;; amdgpu-corpus repo=pytorch/pytorch kind=compiled arch=gfx950 opt=O3
	.amdgcn_target "amdgcn-amd-amdhsa--gfx950"
	.amdhsa_code_object_version 6
	.section	.text._ZN7rocprim17ROCPRIM_400000_NS6detail31init_lookback_scan_state_kernelINS1_19lookback_scan_stateIdLb0ELb1EEENS1_16block_id_wrapperIjLb0EEEEEvT_jT0_jPNS7_10value_typeE,"axG",@progbits,_ZN7rocprim17ROCPRIM_400000_NS6detail31init_lookback_scan_state_kernelINS1_19lookback_scan_stateIdLb0ELb1EEENS1_16block_id_wrapperIjLb0EEEEEvT_jT0_jPNS7_10value_typeE,comdat
	.protected	_ZN7rocprim17ROCPRIM_400000_NS6detail31init_lookback_scan_state_kernelINS1_19lookback_scan_stateIdLb0ELb1EEENS1_16block_id_wrapperIjLb0EEEEEvT_jT0_jPNS7_10value_typeE ; -- Begin function _ZN7rocprim17ROCPRIM_400000_NS6detail31init_lookback_scan_state_kernelINS1_19lookback_scan_stateIdLb0ELb1EEENS1_16block_id_wrapperIjLb0EEEEEvT_jT0_jPNS7_10value_typeE
	.globl	_ZN7rocprim17ROCPRIM_400000_NS6detail31init_lookback_scan_state_kernelINS1_19lookback_scan_stateIdLb0ELb1EEENS1_16block_id_wrapperIjLb0EEEEEvT_jT0_jPNS7_10value_typeE
	.p2align	8
	.type	_ZN7rocprim17ROCPRIM_400000_NS6detail31init_lookback_scan_state_kernelINS1_19lookback_scan_stateIdLb0ELb1EEENS1_16block_id_wrapperIjLb0EEEEEvT_jT0_jPNS7_10value_typeE,@function
_ZN7rocprim17ROCPRIM_400000_NS6detail31init_lookback_scan_state_kernelINS1_19lookback_scan_stateIdLb0ELb1EEENS1_16block_id_wrapperIjLb0EEEEEvT_jT0_jPNS7_10value_typeE: ; @_ZN7rocprim17ROCPRIM_400000_NS6detail31init_lookback_scan_state_kernelINS1_19lookback_scan_stateIdLb0ELb1EEENS1_16block_id_wrapperIjLb0EEEEEvT_jT0_jPNS7_10value_typeE
; %bb.0:
	s_load_dword s3, s[0:1], 0x2c
	s_load_dwordx2 s[6:7], s[0:1], 0x18
	s_load_dwordx2 s[4:5], s[0:1], 0x0
	s_load_dword s12, s[0:1], 0x8
	s_waitcnt lgkmcnt(0)
	s_and_b32 s3, s3, 0xffff
	s_mul_i32 s2, s2, s3
	s_cmp_eq_u64 s[6:7], 0
	v_add_u32_e32 v0, s2, v0
	s_cbranch_scc1 .LBB0_8
; %bb.1:
	s_load_dword s2, s[0:1], 0x10
	s_mov_b32 s3, 0
	s_waitcnt lgkmcnt(0)
	s_cmp_lt_u32 s2, s12
	s_cselect_b32 s0, s2, 0
	v_cmp_eq_u32_e32 vcc, s0, v0
	s_and_saveexec_b64 s[0:1], vcc
	s_cbranch_execz .LBB0_7
; %bb.2:
	s_add_i32 s2, s2, 64
	s_lshl_b64 s[2:3], s[2:3], 4
	s_add_u32 s10, s4, s2
	s_addc_u32 s11, s5, s3
	v_mov_b64_e32 v[2:3], s[10:11]
	;;#ASMSTART
	global_load_dwordx4 v[2:5], v[2:3] off sc1	
s_waitcnt vmcnt(0)
	;;#ASMEND
	v_mov_b32_e32 v7, 0
	v_and_b32_e32 v6, 0xff, v4
	s_mov_b64 s[8:9], 0
	v_cmp_eq_u64_e32 vcc, 0, v[6:7]
	s_and_saveexec_b64 s[2:3], vcc
	s_cbranch_execz .LBB0_6
; %bb.3:
	v_mov_b64_e32 v[8:9], s[10:11]
.LBB0_4:                                ; =>This Inner Loop Header: Depth=1
	;;#ASMSTART
	global_load_dwordx4 v[2:5], v[8:9] off sc1	
s_waitcnt vmcnt(0)
	;;#ASMEND
	s_nop 0
	v_and_b32_e32 v6, 0xff, v4
	v_cmp_ne_u64_e32 vcc, 0, v[6:7]
	s_or_b64 s[8:9], vcc, s[8:9]
	s_andn2_b64 exec, exec, s[8:9]
	s_cbranch_execnz .LBB0_4
; %bb.5:
	s_or_b64 exec, exec, s[8:9]
.LBB0_6:
	s_or_b64 exec, exec, s[2:3]
	v_mov_b32_e32 v1, 0
	global_store_dwordx2 v1, v[2:3], s[6:7]
.LBB0_7:
	s_or_b64 exec, exec, s[0:1]
.LBB0_8:
	v_cmp_gt_u32_e32 vcc, s12, v0
	s_and_saveexec_b64 s[0:1], vcc
	s_cbranch_execnz .LBB0_11
; %bb.9:
	s_or_b64 exec, exec, s[0:1]
	v_cmp_gt_u32_e32 vcc, 64, v0
	s_and_saveexec_b64 s[0:1], vcc
	s_cbranch_execnz .LBB0_12
.LBB0_10:
	s_endpgm
.LBB0_11:
	v_add_u32_e32 v2, 64, v0
	v_mov_b32_e32 v3, 0
	v_lshl_add_u64 v[6:7], v[2:3], 4, s[4:5]
	v_mov_b32_e32 v2, v3
	v_mov_b32_e32 v4, v3
	v_mov_b32_e32 v5, v3
	global_store_dwordx4 v[6:7], v[2:5], off
	s_or_b64 exec, exec, s[0:1]
	v_cmp_gt_u32_e32 vcc, 64, v0
	s_and_saveexec_b64 s[0:1], vcc
	s_cbranch_execz .LBB0_10
.LBB0_12:
	v_mov_b32_e32 v1, 0
	v_lshl_add_u64 v[4:5], v[0:1], 4, s[4:5]
	v_mov_b32_e32 v2, 0xff
	v_mov_b32_e32 v0, v1
	;; [unrolled: 1-line block ×3, first 2 shown]
	global_store_dwordx4 v[4:5], v[0:3], off
	s_endpgm
	.section	.rodata,"a",@progbits
	.p2align	6, 0x0
	.amdhsa_kernel _ZN7rocprim17ROCPRIM_400000_NS6detail31init_lookback_scan_state_kernelINS1_19lookback_scan_stateIdLb0ELb1EEENS1_16block_id_wrapperIjLb0EEEEEvT_jT0_jPNS7_10value_typeE
		.amdhsa_group_segment_fixed_size 0
		.amdhsa_private_segment_fixed_size 0
		.amdhsa_kernarg_size 288
		.amdhsa_user_sgpr_count 2
		.amdhsa_user_sgpr_dispatch_ptr 0
		.amdhsa_user_sgpr_queue_ptr 0
		.amdhsa_user_sgpr_kernarg_segment_ptr 1
		.amdhsa_user_sgpr_dispatch_id 0
		.amdhsa_user_sgpr_kernarg_preload_length 0
		.amdhsa_user_sgpr_kernarg_preload_offset 0
		.amdhsa_user_sgpr_private_segment_size 0
		.amdhsa_uses_dynamic_stack 0
		.amdhsa_enable_private_segment 0
		.amdhsa_system_sgpr_workgroup_id_x 1
		.amdhsa_system_sgpr_workgroup_id_y 0
		.amdhsa_system_sgpr_workgroup_id_z 0
		.amdhsa_system_sgpr_workgroup_info 0
		.amdhsa_system_vgpr_workitem_id 0
		.amdhsa_next_free_vgpr 10
		.amdhsa_next_free_sgpr 13
		.amdhsa_accum_offset 12
		.amdhsa_reserve_vcc 1
		.amdhsa_float_round_mode_32 0
		.amdhsa_float_round_mode_16_64 0
		.amdhsa_float_denorm_mode_32 3
		.amdhsa_float_denorm_mode_16_64 3
		.amdhsa_dx10_clamp 1
		.amdhsa_ieee_mode 1
		.amdhsa_fp16_overflow 0
		.amdhsa_tg_split 0
		.amdhsa_exception_fp_ieee_invalid_op 0
		.amdhsa_exception_fp_denorm_src 0
		.amdhsa_exception_fp_ieee_div_zero 0
		.amdhsa_exception_fp_ieee_overflow 0
		.amdhsa_exception_fp_ieee_underflow 0
		.amdhsa_exception_fp_ieee_inexact 0
		.amdhsa_exception_int_div_zero 0
	.end_amdhsa_kernel
	.section	.text._ZN7rocprim17ROCPRIM_400000_NS6detail31init_lookback_scan_state_kernelINS1_19lookback_scan_stateIdLb0ELb1EEENS1_16block_id_wrapperIjLb0EEEEEvT_jT0_jPNS7_10value_typeE,"axG",@progbits,_ZN7rocprim17ROCPRIM_400000_NS6detail31init_lookback_scan_state_kernelINS1_19lookback_scan_stateIdLb0ELb1EEENS1_16block_id_wrapperIjLb0EEEEEvT_jT0_jPNS7_10value_typeE,comdat
.Lfunc_end0:
	.size	_ZN7rocprim17ROCPRIM_400000_NS6detail31init_lookback_scan_state_kernelINS1_19lookback_scan_stateIdLb0ELb1EEENS1_16block_id_wrapperIjLb0EEEEEvT_jT0_jPNS7_10value_typeE, .Lfunc_end0-_ZN7rocprim17ROCPRIM_400000_NS6detail31init_lookback_scan_state_kernelINS1_19lookback_scan_stateIdLb0ELb1EEENS1_16block_id_wrapperIjLb0EEEEEvT_jT0_jPNS7_10value_typeE
                                        ; -- End function
	.set _ZN7rocprim17ROCPRIM_400000_NS6detail31init_lookback_scan_state_kernelINS1_19lookback_scan_stateIdLb0ELb1EEENS1_16block_id_wrapperIjLb0EEEEEvT_jT0_jPNS7_10value_typeE.num_vgpr, 10
	.set _ZN7rocprim17ROCPRIM_400000_NS6detail31init_lookback_scan_state_kernelINS1_19lookback_scan_stateIdLb0ELb1EEENS1_16block_id_wrapperIjLb0EEEEEvT_jT0_jPNS7_10value_typeE.num_agpr, 0
	.set _ZN7rocprim17ROCPRIM_400000_NS6detail31init_lookback_scan_state_kernelINS1_19lookback_scan_stateIdLb0ELb1EEENS1_16block_id_wrapperIjLb0EEEEEvT_jT0_jPNS7_10value_typeE.numbered_sgpr, 13
	.set _ZN7rocprim17ROCPRIM_400000_NS6detail31init_lookback_scan_state_kernelINS1_19lookback_scan_stateIdLb0ELb1EEENS1_16block_id_wrapperIjLb0EEEEEvT_jT0_jPNS7_10value_typeE.num_named_barrier, 0
	.set _ZN7rocprim17ROCPRIM_400000_NS6detail31init_lookback_scan_state_kernelINS1_19lookback_scan_stateIdLb0ELb1EEENS1_16block_id_wrapperIjLb0EEEEEvT_jT0_jPNS7_10value_typeE.private_seg_size, 0
	.set _ZN7rocprim17ROCPRIM_400000_NS6detail31init_lookback_scan_state_kernelINS1_19lookback_scan_stateIdLb0ELb1EEENS1_16block_id_wrapperIjLb0EEEEEvT_jT0_jPNS7_10value_typeE.uses_vcc, 1
	.set _ZN7rocprim17ROCPRIM_400000_NS6detail31init_lookback_scan_state_kernelINS1_19lookback_scan_stateIdLb0ELb1EEENS1_16block_id_wrapperIjLb0EEEEEvT_jT0_jPNS7_10value_typeE.uses_flat_scratch, 0
	.set _ZN7rocprim17ROCPRIM_400000_NS6detail31init_lookback_scan_state_kernelINS1_19lookback_scan_stateIdLb0ELb1EEENS1_16block_id_wrapperIjLb0EEEEEvT_jT0_jPNS7_10value_typeE.has_dyn_sized_stack, 0
	.set _ZN7rocprim17ROCPRIM_400000_NS6detail31init_lookback_scan_state_kernelINS1_19lookback_scan_stateIdLb0ELb1EEENS1_16block_id_wrapperIjLb0EEEEEvT_jT0_jPNS7_10value_typeE.has_recursion, 0
	.set _ZN7rocprim17ROCPRIM_400000_NS6detail31init_lookback_scan_state_kernelINS1_19lookback_scan_stateIdLb0ELb1EEENS1_16block_id_wrapperIjLb0EEEEEvT_jT0_jPNS7_10value_typeE.has_indirect_call, 0
	.section	.AMDGPU.csdata,"",@progbits
; Kernel info:
; codeLenInByte = 388
; TotalNumSgprs: 19
; NumVgprs: 10
; NumAgprs: 0
; TotalNumVgprs: 10
; ScratchSize: 0
; MemoryBound: 0
; FloatMode: 240
; IeeeMode: 1
; LDSByteSize: 0 bytes/workgroup (compile time only)
; SGPRBlocks: 2
; VGPRBlocks: 1
; NumSGPRsForWavesPerEU: 19
; NumVGPRsForWavesPerEU: 10
; AccumOffset: 12
; Occupancy: 8
; WaveLimiterHint : 0
; COMPUTE_PGM_RSRC2:SCRATCH_EN: 0
; COMPUTE_PGM_RSRC2:USER_SGPR: 2
; COMPUTE_PGM_RSRC2:TRAP_HANDLER: 0
; COMPUTE_PGM_RSRC2:TGID_X_EN: 1
; COMPUTE_PGM_RSRC2:TGID_Y_EN: 0
; COMPUTE_PGM_RSRC2:TGID_Z_EN: 0
; COMPUTE_PGM_RSRC2:TIDIG_COMP_CNT: 0
; COMPUTE_PGM_RSRC3_GFX90A:ACCUM_OFFSET: 2
; COMPUTE_PGM_RSRC3_GFX90A:TG_SPLIT: 0
	.section	.text._ZN7rocprim17ROCPRIM_400000_NS6detail17trampoline_kernelINS0_14default_configENS1_20scan_config_selectorIdEEZZNS1_9scan_implILNS1_25lookback_scan_determinismE0ELb0ELb0ES3_PKdPddZZZN2at6native31launch_logcumsumexp_cuda_kernelERKNSB_10TensorBaseESF_lENKUlvE_clEvENKUlvE_clEvEUlddE_dEEDaPvRmT3_T4_T5_mT6_P12ihipStream_tbENKUlT_T0_E_clISt17integral_constantIbLb0EESW_EEDaSR_SS_EUlSR_E_NS1_11comp_targetILNS1_3genE0ELNS1_11target_archE4294967295ELNS1_3gpuE0ELNS1_3repE0EEENS1_30default_config_static_selectorELNS0_4arch9wavefront6targetE1EEEvT1_,"axG",@progbits,_ZN7rocprim17ROCPRIM_400000_NS6detail17trampoline_kernelINS0_14default_configENS1_20scan_config_selectorIdEEZZNS1_9scan_implILNS1_25lookback_scan_determinismE0ELb0ELb0ES3_PKdPddZZZN2at6native31launch_logcumsumexp_cuda_kernelERKNSB_10TensorBaseESF_lENKUlvE_clEvENKUlvE_clEvEUlddE_dEEDaPvRmT3_T4_T5_mT6_P12ihipStream_tbENKUlT_T0_E_clISt17integral_constantIbLb0EESW_EEDaSR_SS_EUlSR_E_NS1_11comp_targetILNS1_3genE0ELNS1_11target_archE4294967295ELNS1_3gpuE0ELNS1_3repE0EEENS1_30default_config_static_selectorELNS0_4arch9wavefront6targetE1EEEvT1_,comdat
	.globl	_ZN7rocprim17ROCPRIM_400000_NS6detail17trampoline_kernelINS0_14default_configENS1_20scan_config_selectorIdEEZZNS1_9scan_implILNS1_25lookback_scan_determinismE0ELb0ELb0ES3_PKdPddZZZN2at6native31launch_logcumsumexp_cuda_kernelERKNSB_10TensorBaseESF_lENKUlvE_clEvENKUlvE_clEvEUlddE_dEEDaPvRmT3_T4_T5_mT6_P12ihipStream_tbENKUlT_T0_E_clISt17integral_constantIbLb0EESW_EEDaSR_SS_EUlSR_E_NS1_11comp_targetILNS1_3genE0ELNS1_11target_archE4294967295ELNS1_3gpuE0ELNS1_3repE0EEENS1_30default_config_static_selectorELNS0_4arch9wavefront6targetE1EEEvT1_ ; -- Begin function _ZN7rocprim17ROCPRIM_400000_NS6detail17trampoline_kernelINS0_14default_configENS1_20scan_config_selectorIdEEZZNS1_9scan_implILNS1_25lookback_scan_determinismE0ELb0ELb0ES3_PKdPddZZZN2at6native31launch_logcumsumexp_cuda_kernelERKNSB_10TensorBaseESF_lENKUlvE_clEvENKUlvE_clEvEUlddE_dEEDaPvRmT3_T4_T5_mT6_P12ihipStream_tbENKUlT_T0_E_clISt17integral_constantIbLb0EESW_EEDaSR_SS_EUlSR_E_NS1_11comp_targetILNS1_3genE0ELNS1_11target_archE4294967295ELNS1_3gpuE0ELNS1_3repE0EEENS1_30default_config_static_selectorELNS0_4arch9wavefront6targetE1EEEvT1_
	.p2align	8
	.type	_ZN7rocprim17ROCPRIM_400000_NS6detail17trampoline_kernelINS0_14default_configENS1_20scan_config_selectorIdEEZZNS1_9scan_implILNS1_25lookback_scan_determinismE0ELb0ELb0ES3_PKdPddZZZN2at6native31launch_logcumsumexp_cuda_kernelERKNSB_10TensorBaseESF_lENKUlvE_clEvENKUlvE_clEvEUlddE_dEEDaPvRmT3_T4_T5_mT6_P12ihipStream_tbENKUlT_T0_E_clISt17integral_constantIbLb0EESW_EEDaSR_SS_EUlSR_E_NS1_11comp_targetILNS1_3genE0ELNS1_11target_archE4294967295ELNS1_3gpuE0ELNS1_3repE0EEENS1_30default_config_static_selectorELNS0_4arch9wavefront6targetE1EEEvT1_,@function
_ZN7rocprim17ROCPRIM_400000_NS6detail17trampoline_kernelINS0_14default_configENS1_20scan_config_selectorIdEEZZNS1_9scan_implILNS1_25lookback_scan_determinismE0ELb0ELb0ES3_PKdPddZZZN2at6native31launch_logcumsumexp_cuda_kernelERKNSB_10TensorBaseESF_lENKUlvE_clEvENKUlvE_clEvEUlddE_dEEDaPvRmT3_T4_T5_mT6_P12ihipStream_tbENKUlT_T0_E_clISt17integral_constantIbLb0EESW_EEDaSR_SS_EUlSR_E_NS1_11comp_targetILNS1_3genE0ELNS1_11target_archE4294967295ELNS1_3gpuE0ELNS1_3repE0EEENS1_30default_config_static_selectorELNS0_4arch9wavefront6targetE1EEEvT1_: ; @_ZN7rocprim17ROCPRIM_400000_NS6detail17trampoline_kernelINS0_14default_configENS1_20scan_config_selectorIdEEZZNS1_9scan_implILNS1_25lookback_scan_determinismE0ELb0ELb0ES3_PKdPddZZZN2at6native31launch_logcumsumexp_cuda_kernelERKNSB_10TensorBaseESF_lENKUlvE_clEvENKUlvE_clEvEUlddE_dEEDaPvRmT3_T4_T5_mT6_P12ihipStream_tbENKUlT_T0_E_clISt17integral_constantIbLb0EESW_EEDaSR_SS_EUlSR_E_NS1_11comp_targetILNS1_3genE0ELNS1_11target_archE4294967295ELNS1_3gpuE0ELNS1_3repE0EEENS1_30default_config_static_selectorELNS0_4arch9wavefront6targetE1EEEvT1_
; %bb.0:
	s_load_dwordx8 s[20:27], s[0:1], 0x0
	s_load_dword s3, s[0:1], 0x38
	s_mul_i32 s4, s2, 0x600
	s_mov_b32 s5, 0
	v_lshlrev_b32_e32 v30, 3, v0
	s_waitcnt lgkmcnt(0)
	s_lshl_b64 s[28:29], s[22:23], 3
	s_add_u32 s6, s20, s28
	s_addc_u32 s7, s21, s29
	s_add_i32 s3, s3, -1
	s_mul_i32 s8, s3, 0x600
	s_sub_u32 s33, s26, s8
	s_subb_u32 s64, s27, 0
	s_cmp_lg_u32 s2, s3
	s_cselect_b64 s[26:27], -1, 0
	s_lshl_b64 s[30:31], s[4:5], 3
	s_add_u32 s6, s6, s30
	s_addc_u32 s7, s7, s31
	s_mov_b64 s[4:5], -1
	s_and_b64 vcc, exec, s[26:27]
	s_cbranch_vccz .LBB1_2
; %bb.1:
	v_mov_b32_e32 v31, 0
	v_lshl_add_u64 v[2:3], s[6:7], 0, v[30:31]
	v_add_co_u32_e32 v8, vcc, 0x1000, v2
	global_load_dwordx2 v[4:5], v30, s[6:7]
	global_load_dwordx2 v[6:7], v30, s[6:7] offset:2048
	v_addc_co_u32_e32 v9, vcc, 0, v3, vcc
	v_add_co_u32_e32 v2, vcc, 0x2000, v2
	s_mov_b64 s[4:5], 0
	s_nop 0
	v_addc_co_u32_e32 v3, vcc, 0, v3, vcc
	global_load_dwordx2 v[10:11], v[8:9], off
	global_load_dwordx2 v[12:13], v[8:9], off offset:2048
	global_load_dwordx2 v[14:15], v[2:3], off
	global_load_dwordx2 v[16:17], v[2:3], off offset:2048
	s_waitcnt vmcnt(4)
	ds_write2st64_b64 v30, v[4:5], v[6:7] offset1:4
	s_waitcnt vmcnt(2)
	ds_write2st64_b64 v30, v[10:11], v[12:13] offset0:8 offset1:12
	s_waitcnt vmcnt(0)
	ds_write2st64_b64 v30, v[14:15], v[16:17] offset0:16 offset1:20
	s_waitcnt lgkmcnt(0)
	s_barrier
.LBB1_2:
	s_load_dwordx2 s[34:35], s[0:1], 0x30
	s_andn2_b64 vcc, exec, s[4:5]
	v_cmp_gt_u32_e64 s[4:5], s33, v0
	s_cbranch_vccnz .LBB1_16
; %bb.3:
	s_load_dwordx2 s[8:9], s[6:7], 0x0
	s_waitcnt lgkmcnt(0)
	s_mov_b32 s10, s8
	s_mov_b32 s11, s9
	;; [unrolled: 1-line block ×10, first 2 shown]
	v_mov_b64_e32 v[2:3], s[8:9]
	v_mov_b64_e32 v[4:5], s[10:11]
	;; [unrolled: 1-line block ×8, first 2 shown]
	s_and_saveexec_b64 s[10:11], s[4:5]
	s_cbranch_execz .LBB1_5
; %bb.4:
	global_load_dwordx2 v[2:3], v30, s[6:7]
	v_mov_b32_e32 v4, s8
	v_mov_b32_e32 v5, s9
	;; [unrolled: 1-line block ×10, first 2 shown]
.LBB1_5:
	s_or_b64 exec, exec, s[10:11]
	v_or_b32_e32 v1, 0x100, v0
	v_cmp_gt_u32_e32 vcc, s33, v1
	s_and_saveexec_b64 s[4:5], vcc
	s_cbranch_execz .LBB1_7
; %bb.6:
	global_load_dwordx2 v[4:5], v30, s[6:7] offset:2048
.LBB1_7:
	s_or_b64 exec, exec, s[4:5]
	v_or_b32_e32 v1, 0x200, v0
	v_cmp_gt_u32_e32 vcc, s33, v1
	s_and_saveexec_b64 s[4:5], vcc
	s_cbranch_execz .LBB1_9
; %bb.8:
	v_lshlrev_b32_e32 v1, 3, v1
	global_load_dwordx2 v[6:7], v1, s[6:7]
.LBB1_9:
	s_or_b64 exec, exec, s[4:5]
	v_or_b32_e32 v1, 0x300, v0
	v_cmp_gt_u32_e32 vcc, s33, v1
	s_and_saveexec_b64 s[4:5], vcc
	s_cbranch_execz .LBB1_11
; %bb.10:
	v_lshlrev_b32_e32 v1, 3, v1
	global_load_dwordx2 v[8:9], v1, s[6:7]
.LBB1_11:
	;; [unrolled: 9-line block ×4, first 2 shown]
	s_or_b64 exec, exec, s[4:5]
	s_waitcnt vmcnt(0)
	ds_write2st64_b64 v30, v[2:3], v[4:5] offset1:4
	ds_write2st64_b64 v30, v[6:7], v[8:9] offset0:8 offset1:12
	ds_write2st64_b64 v30, v[10:11], v[12:13] offset0:16 offset1:20
	s_waitcnt lgkmcnt(0)
	s_barrier
.LBB1_16:
	v_mul_u32_u24_e32 v1, 48, v0
	s_waitcnt lgkmcnt(0)
	ds_read_b128 v[2:5], v1
	ds_read_b128 v[26:29], v1 offset:16
	ds_read_b128 v[22:25], v1 offset:32
	s_cmp_lg_u32 s2, 0
	s_waitcnt lgkmcnt(0)
	v_cmp_u_f64_e64 s[20:21], v[4:5], v[4:5]
	v_max_f64 v[32:33], v[4:5], v[4:5]
	s_barrier
	s_cbranch_scc0 .LBB1_134
; %bb.17:
	v_max_f64 v[34:35], v[2:3], v[2:3]
	v_min_f64 v[6:7], v[34:35], v[32:33]
	v_cmp_u_f64_e64 s[12:13], v[2:3], v[2:3]
	s_movk_i32 s3, 0x1f8
	v_mov_b64_e32 v[36:37], v[2:3]
	v_cndmask_b32_e64 v6, v6, v2, s[12:13]
	v_cndmask_b32_e64 v7, v7, v3, s[12:13]
	;; [unrolled: 1-line block ×4, first 2 shown]
	v_max_f64 v[6:7], v[34:35], v[32:33]
	v_cndmask_b32_e64 v6, v6, v2, s[12:13]
	v_cndmask_b32_e64 v7, v7, v3, s[12:13]
	;; [unrolled: 1-line block ×4, first 2 shown]
	v_cmp_neq_f64_e32 vcc, v[8:9], v[6:7]
	v_cmp_class_f64_e64 s[4:5], v[8:9], s3
	s_or_b64 s[4:5], vcc, s[4:5]
	s_and_saveexec_b64 s[6:7], s[4:5]
	s_cbranch_execz .LBB1_19
; %bb.18:
	s_mov_b32 s4, 0x652b82fe
	v_add_f64 v[8:9], v[8:9], -v[6:7]
	s_mov_b32 s5, 0x3ff71547
	v_mul_f64 v[10:11], v[8:9], s[4:5]
	v_rndne_f64_e32 v[10:11], v[10:11]
	s_mov_b32 s9, 0xbfe62e42
	s_mov_b32 s8, 0xfefa39ef
	v_fma_f64 v[12:13], s[8:9], v[10:11], v[8:9]
	s_mov_b32 s11, 0xbc7abc9e
	s_mov_b32 s10, 0x3b39803f
	;; [unrolled: 1-line block ×3, first 2 shown]
	v_fmac_f64_e32 v[12:13], s[10:11], v[10:11]
	v_mov_b32_e32 v14, 0xfca7ab0c
	v_mov_b32_e32 v15, 0x3e928af3
	s_mov_b32 s5, 0x3e5ade15
	v_fmac_f64_e32 v[14:15], s[4:5], v[12:13]
	v_mov_b32_e32 v16, 0x623fde64
	v_mov_b32_e32 v17, 0x3ec71dee
	v_fmac_f64_e32 v[16:17], v[12:13], v[14:15]
	v_mov_b32_e32 v14, 0x7c89e6b0
	v_mov_b32_e32 v15, 0x3efa0199
	;; [unrolled: 3-line block ×8, first 2 shown]
	s_mov_b32 s4, 0
	v_fmac_f64_e32 v[14:15], v[12:13], v[16:17]
	s_mov_b32 s5, 0x40900000
	v_fma_f64 v[14:15], v[12:13], v[14:15], 1.0
	v_cmp_nlt_f64_e32 vcc, s[4:5], v[8:9]
	s_mov_b32 s4, 0
	v_fma_f64 v[12:13], v[12:13], v[14:15], 1.0
	v_cvt_i32_f64_e32 v10, v[10:11]
	s_mov_b32 s5, 0xc090cc00
	v_ldexp_f64 v[10:11], v[12:13], v10
	v_mov_b32_e32 v31, 0x7ff00000
	v_cmp_ngt_f64_e64 s[4:5], s[4:5], v[8:9]
	v_cndmask_b32_e32 v11, v31, v11, vcc
	s_and_b64 vcc, s[4:5], vcc
	v_cndmask_b32_e64 v9, 0, v11, s[4:5]
	v_cndmask_b32_e32 v8, 0, v10, vcc
	v_add_f64 v[10:11], v[8:9], 1.0
	v_add_f64 v[12:13], v[10:11], -1.0
	v_add_f64 v[14:15], v[12:13], -v[10:11]
	v_add_f64 v[14:15], v[14:15], 1.0
	v_add_f64 v[12:13], v[8:9], -v[12:13]
	s_mov_b32 s4, 0x55555555
	v_add_f64 v[12:13], v[12:13], v[14:15]
	v_frexp_mant_f64_e32 v[14:15], v[10:11]
	s_mov_b32 s5, 0x3fe55555
	v_frexp_exp_i32_f64_e32 v16, v[10:11]
	v_cmp_gt_f64_e32 vcc, s[4:5], v[14:15]
	s_mov_b32 s4, 0xbf559e2b
	s_mov_b32 s5, 0x3fc3ab76
	v_subbrev_co_u32_e32 v44, vcc, 0, v16, vcc
	v_sub_u32_e32 v14, 0, v44
	v_ldexp_f64 v[10:11], v[10:11], v14
	v_ldexp_f64 v[12:13], v[12:13], v14
	v_add_f64 v[14:15], v[10:11], -1.0
	v_add_f64 v[20:21], v[10:11], 1.0
	v_add_f64 v[16:17], v[14:15], 1.0
	v_add_f64 v[36:37], v[20:21], -1.0
	v_add_f64 v[16:17], v[10:11], -v[16:17]
	v_add_f64 v[10:11], v[10:11], -v[36:37]
	v_add_f64 v[10:11], v[12:13], v[10:11]
	v_add_f64 v[16:17], v[12:13], v[16:17]
	;; [unrolled: 1-line block ×3, first 2 shown]
	v_rcp_f64_e32 v[36:37], v[12:13]
	v_add_f64 v[18:19], v[14:15], v[16:17]
	v_add_f64 v[14:15], v[18:19], -v[14:15]
	v_add_f64 v[14:15], v[16:17], -v[14:15]
	;; [unrolled: 1-line block ×4, first 2 shown]
	v_fma_f64 v[16:17], -v[12:13], v[36:37], 1.0
	v_fmac_f64_e32 v[36:37], v[16:17], v[36:37]
	v_fma_f64 v[16:17], -v[12:13], v[36:37], 1.0
	v_fmac_f64_e32 v[36:37], v[16:17], v[36:37]
	v_mul_f64 v[16:17], v[18:19], v[36:37]
	v_mul_f64 v[20:21], v[12:13], v[16:17]
	v_fma_f64 v[38:39], v[16:17], v[12:13], -v[20:21]
	v_fmac_f64_e32 v[38:39], v[16:17], v[10:11]
	v_add_f64 v[40:41], v[20:21], v[38:39]
	v_add_f64 v[42:43], v[18:19], -v[40:41]
	v_add_f64 v[18:19], v[18:19], -v[42:43]
	;; [unrolled: 1-line block ×4, first 2 shown]
	v_add_f64 v[14:15], v[14:15], v[18:19]
	v_add_f64 v[18:19], v[20:21], -v[38:39]
	v_add_f64 v[14:15], v[18:19], v[14:15]
	v_add_f64 v[18:19], v[42:43], v[14:15]
	v_add_f64 v[20:21], v[42:43], -v[18:19]
	v_add_f64 v[14:15], v[14:15], v[20:21]
	v_mul_f64 v[20:21], v[36:37], v[18:19]
	v_mul_f64 v[38:39], v[12:13], v[20:21]
	v_fma_f64 v[12:13], v[20:21], v[12:13], -v[38:39]
	v_fmac_f64_e32 v[12:13], v[20:21], v[10:11]
	v_add_f64 v[10:11], v[38:39], v[12:13]
	v_add_f64 v[40:41], v[18:19], -v[10:11]
	v_add_f64 v[18:19], v[18:19], -v[40:41]
	;; [unrolled: 1-line block ×4, first 2 shown]
	v_add_f64 v[10:11], v[14:15], v[10:11]
	v_add_f64 v[12:13], v[38:39], -v[12:13]
	v_add_f64 v[10:11], v[12:13], v[10:11]
	v_add_f64 v[12:13], v[16:17], v[20:21]
	;; [unrolled: 1-line block ×3, first 2 shown]
	v_add_f64 v[14:15], v[12:13], -v[16:17]
	v_mul_f64 v[10:11], v[36:37], v[10:11]
	v_add_f64 v[14:15], v[20:21], -v[14:15]
	v_add_f64 v[10:11], v[14:15], v[10:11]
	v_add_f64 v[14:15], v[12:13], v[10:11]
	v_add_f64 v[12:13], v[14:15], -v[12:13]
	v_add_f64 v[10:11], v[10:11], -v[12:13]
	v_mul_f64 v[12:13], v[14:15], v[14:15]
	v_mov_b32_e32 v16, 0x6b47b09a
	v_mov_b32_e32 v17, 0x3fc38538
	v_fmac_f64_e32 v[16:17], s[4:5], v[12:13]
	v_mov_b32_e32 v18, 0xd7f4df2e
	v_mov_b32_e32 v19, 0x3fc7474d
	v_fmac_f64_e32 v[18:19], v[12:13], v[16:17]
	;; [unrolled: 3-line block ×6, first 2 shown]
	v_cvt_f64_i32_e32 v[16:17], v44
	s_mov_b32 s9, 0x3fe62e42
	v_mul_f64 v[20:21], v[16:17], s[8:9]
	v_fma_f64 v[36:37], v[16:17], s[8:9], -v[20:21]
	s_mov_b32 s11, 0x3c7abc9e
	v_fmac_f64_e32 v[36:37], s[10:11], v[16:17]
	v_add_f64 v[16:17], v[20:21], v[36:37]
	v_add_f64 v[20:21], v[16:17], -v[20:21]
	v_mul_f64 v[12:13], v[14:15], v[12:13]
	v_add_f64 v[20:21], v[36:37], -v[20:21]
	v_ldexp_f64 v[36:37], v[14:15], 1
	v_mul_f64 v[12:13], v[12:13], v[18:19]
	v_add_f64 v[14:15], v[36:37], v[12:13]
	v_add_f64 v[18:19], v[14:15], -v[36:37]
	v_ldexp_f64 v[10:11], v[10:11], 1
	v_add_f64 v[12:13], v[12:13], -v[18:19]
	v_add_f64 v[10:11], v[10:11], v[12:13]
	v_add_f64 v[12:13], v[14:15], v[10:11]
	v_add_f64 v[14:15], v[12:13], -v[14:15]
	v_add_f64 v[10:11], v[10:11], -v[14:15]
	v_add_f64 v[14:15], v[16:17], v[12:13]
	v_add_f64 v[18:19], v[14:15], -v[16:17]
	v_add_f64 v[36:37], v[14:15], -v[18:19]
	;; [unrolled: 1-line block ×4, first 2 shown]
	v_add_f64 v[12:13], v[12:13], v[16:17]
	v_add_f64 v[16:17], v[20:21], v[10:11]
	v_add_f64 v[18:19], v[16:17], -v[20:21]
	v_add_f64 v[12:13], v[16:17], v[12:13]
	v_add_f64 v[36:37], v[16:17], -v[18:19]
	;; [unrolled: 2-line block ×3, first 2 shown]
	v_add_f64 v[10:11], v[10:11], -v[18:19]
	v_add_f64 v[14:15], v[16:17], -v[14:15]
	v_add_f64 v[10:11], v[10:11], v[20:21]
	v_add_f64 v[12:13], v[12:13], -v[14:15]
	s_mov_b32 s4, 0
	v_add_f64 v[10:11], v[10:11], v[12:13]
	s_mov_b32 s5, 0x7ff00000
	v_add_f64 v[10:11], v[16:17], v[10:11]
	v_cmp_neq_f64_e32 vcc, s[4:5], v[8:9]
	v_mov_b32_e32 v12, 0x7ff80000
	v_cmp_ngt_f64_e64 s[4:5], -1.0, v[8:9]
	v_cndmask_b32_e32 v11, v31, v11, vcc
	s_nop 0
	v_cndmask_b32_e64 v11, v12, v11, s[4:5]
	v_cmp_nge_f64_e64 s[4:5], -1.0, v[8:9]
	s_and_b64 vcc, s[4:5], vcc
	v_cndmask_b32_e32 v10, 0, v10, vcc
	v_mov_b32_e32 v12, 0xfff00000
	v_cmp_neq_f64_e32 vcc, -1.0, v[8:9]
	s_nop 1
	v_cndmask_b32_e32 v11, v12, v11, vcc
	v_add_f64 v[36:37], v[6:7], v[10:11]
.LBB1_19:
	s_or_b64 exec, exec, s[6:7]
	v_max_f64 v[14:15], v[26:27], v[26:27]
	v_max_f64 v[6:7], v[36:37], v[36:37]
	v_min_f64 v[8:9], v[6:7], v[14:15]
	v_cmp_u_f64_e32 vcc, v[36:37], v[36:37]
	v_max_f64 v[6:7], v[6:7], v[14:15]
	v_cmp_u_f64_e64 s[4:5], v[26:27], v[26:27]
	v_cndmask_b32_e32 v8, v8, v36, vcc
	v_cndmask_b32_e32 v9, v9, v37, vcc
	;; [unrolled: 1-line block ×4, first 2 shown]
	v_cndmask_b32_e64 v9, v9, v27, s[4:5]
	v_cndmask_b32_e64 v8, v8, v26, s[4:5]
	;; [unrolled: 1-line block ×4, first 2 shown]
	v_cmp_neq_f64_e32 vcc, v[8:9], v[6:7]
	v_cmp_class_f64_e64 s[6:7], v[8:9], s3
	s_or_b64 s[6:7], vcc, s[6:7]
	s_and_saveexec_b64 s[8:9], s[6:7]
	s_cbranch_execz .LBB1_21
; %bb.20:
	s_mov_b32 s6, 0x652b82fe
	v_add_f64 v[8:9], v[8:9], -v[6:7]
	s_mov_b32 s7, 0x3ff71547
	v_mul_f64 v[10:11], v[8:9], s[6:7]
	v_rndne_f64_e32 v[10:11], v[10:11]
	s_mov_b32 s11, 0xbfe62e42
	s_mov_b32 s10, 0xfefa39ef
	v_fma_f64 v[12:13], s[10:11], v[10:11], v[8:9]
	s_mov_b32 s15, 0xbc7abc9e
	s_mov_b32 s14, 0x3b39803f
	;; [unrolled: 1-line block ×3, first 2 shown]
	v_fmac_f64_e32 v[12:13], s[14:15], v[10:11]
	v_mov_b32_e32 v16, 0xfca7ab0c
	v_mov_b32_e32 v17, 0x3e928af3
	s_mov_b32 s7, 0x3e5ade15
	v_fmac_f64_e32 v[16:17], s[6:7], v[12:13]
	v_mov_b32_e32 v18, 0x623fde64
	v_mov_b32_e32 v19, 0x3ec71dee
	v_fmac_f64_e32 v[18:19], v[12:13], v[16:17]
	v_mov_b32_e32 v16, 0x7c89e6b0
	v_mov_b32_e32 v17, 0x3efa0199
	;; [unrolled: 3-line block ×8, first 2 shown]
	s_mov_b32 s6, 0
	v_fmac_f64_e32 v[16:17], v[12:13], v[18:19]
	s_mov_b32 s7, 0x40900000
	v_fma_f64 v[16:17], v[12:13], v[16:17], 1.0
	v_cmp_nlt_f64_e32 vcc, s[6:7], v[8:9]
	s_mov_b32 s6, 0
	v_fma_f64 v[12:13], v[12:13], v[16:17], 1.0
	v_cvt_i32_f64_e32 v10, v[10:11]
	s_mov_b32 s7, 0xc090cc00
	v_ldexp_f64 v[10:11], v[12:13], v10
	v_mov_b32_e32 v31, 0x7ff00000
	v_cmp_ngt_f64_e64 s[6:7], s[6:7], v[8:9]
	v_cndmask_b32_e32 v11, v31, v11, vcc
	s_and_b64 vcc, s[6:7], vcc
	v_cndmask_b32_e64 v9, 0, v11, s[6:7]
	v_cndmask_b32_e32 v8, 0, v10, vcc
	v_add_f64 v[10:11], v[8:9], 1.0
	v_add_f64 v[12:13], v[10:11], -1.0
	v_add_f64 v[16:17], v[12:13], -v[10:11]
	v_add_f64 v[16:17], v[16:17], 1.0
	v_add_f64 v[12:13], v[8:9], -v[12:13]
	s_mov_b32 s6, 0x55555555
	v_add_f64 v[12:13], v[12:13], v[16:17]
	v_frexp_mant_f64_e32 v[16:17], v[10:11]
	s_mov_b32 s7, 0x3fe55555
	v_frexp_exp_i32_f64_e32 v18, v[10:11]
	v_cmp_gt_f64_e32 vcc, s[6:7], v[16:17]
	s_mov_b32 s6, 0xbf559e2b
	s_mov_b32 s7, 0x3fc3ab76
	v_subbrev_co_u32_e32 v46, vcc, 0, v18, vcc
	v_sub_u32_e32 v16, 0, v46
	v_ldexp_f64 v[10:11], v[10:11], v16
	v_ldexp_f64 v[12:13], v[12:13], v16
	v_add_f64 v[16:17], v[10:11], -1.0
	v_add_f64 v[36:37], v[10:11], 1.0
	v_add_f64 v[18:19], v[16:17], 1.0
	v_add_f64 v[38:39], v[36:37], -1.0
	v_add_f64 v[18:19], v[10:11], -v[18:19]
	v_add_f64 v[10:11], v[10:11], -v[38:39]
	v_add_f64 v[10:11], v[12:13], v[10:11]
	v_add_f64 v[18:19], v[12:13], v[18:19]
	;; [unrolled: 1-line block ×3, first 2 shown]
	v_rcp_f64_e32 v[38:39], v[12:13]
	v_add_f64 v[20:21], v[16:17], v[18:19]
	v_add_f64 v[16:17], v[20:21], -v[16:17]
	v_add_f64 v[16:17], v[18:19], -v[16:17]
	;; [unrolled: 1-line block ×4, first 2 shown]
	v_fma_f64 v[18:19], -v[12:13], v[38:39], 1.0
	v_fmac_f64_e32 v[38:39], v[18:19], v[38:39]
	v_fma_f64 v[18:19], -v[12:13], v[38:39], 1.0
	v_fmac_f64_e32 v[38:39], v[18:19], v[38:39]
	v_mul_f64 v[18:19], v[20:21], v[38:39]
	v_mul_f64 v[36:37], v[12:13], v[18:19]
	v_fma_f64 v[40:41], v[18:19], v[12:13], -v[36:37]
	v_fmac_f64_e32 v[40:41], v[18:19], v[10:11]
	v_add_f64 v[42:43], v[36:37], v[40:41]
	v_add_f64 v[44:45], v[20:21], -v[42:43]
	v_add_f64 v[20:21], v[20:21], -v[44:45]
	;; [unrolled: 1-line block ×4, first 2 shown]
	v_add_f64 v[16:17], v[16:17], v[20:21]
	v_add_f64 v[20:21], v[36:37], -v[40:41]
	v_add_f64 v[16:17], v[20:21], v[16:17]
	v_add_f64 v[20:21], v[44:45], v[16:17]
	v_add_f64 v[36:37], v[44:45], -v[20:21]
	v_add_f64 v[16:17], v[16:17], v[36:37]
	v_mul_f64 v[36:37], v[38:39], v[20:21]
	v_mul_f64 v[40:41], v[12:13], v[36:37]
	v_fma_f64 v[12:13], v[36:37], v[12:13], -v[40:41]
	v_fmac_f64_e32 v[12:13], v[36:37], v[10:11]
	v_add_f64 v[10:11], v[40:41], v[12:13]
	v_add_f64 v[42:43], v[20:21], -v[10:11]
	v_add_f64 v[20:21], v[20:21], -v[42:43]
	;; [unrolled: 1-line block ×4, first 2 shown]
	v_add_f64 v[10:11], v[16:17], v[10:11]
	v_add_f64 v[12:13], v[40:41], -v[12:13]
	v_add_f64 v[10:11], v[12:13], v[10:11]
	v_add_f64 v[12:13], v[18:19], v[36:37]
	;; [unrolled: 1-line block ×3, first 2 shown]
	v_add_f64 v[16:17], v[12:13], -v[18:19]
	v_mul_f64 v[10:11], v[38:39], v[10:11]
	v_add_f64 v[16:17], v[36:37], -v[16:17]
	v_add_f64 v[10:11], v[16:17], v[10:11]
	v_add_f64 v[16:17], v[12:13], v[10:11]
	v_add_f64 v[12:13], v[16:17], -v[12:13]
	v_add_f64 v[10:11], v[10:11], -v[12:13]
	v_mul_f64 v[12:13], v[16:17], v[16:17]
	v_mov_b32_e32 v18, 0x6b47b09a
	v_mov_b32_e32 v19, 0x3fc38538
	v_fmac_f64_e32 v[18:19], s[6:7], v[12:13]
	v_mov_b32_e32 v20, 0xd7f4df2e
	v_mov_b32_e32 v21, 0x3fc7474d
	v_fmac_f64_e32 v[20:21], v[12:13], v[18:19]
	v_mov_b32_e32 v18, 0x16291751
	v_mov_b32_e32 v19, 0x3fcc71c0
	v_fmac_f64_e32 v[18:19], v[12:13], v[20:21]
	v_mov_b32_e32 v20, 0x9b27acf1
	v_mov_b32_e32 v21, 0x3fd24924
	v_fmac_f64_e32 v[20:21], v[12:13], v[18:19]
	v_mov_b32_e32 v18, 0x998ef7b6
	v_mov_b32_e32 v19, 0x3fd99999
	v_fmac_f64_e32 v[18:19], v[12:13], v[20:21]
	v_mov_b32_e32 v20, 0x55555780
	v_mov_b32_e32 v21, 0x3fe55555
	v_fmac_f64_e32 v[20:21], v[12:13], v[18:19]
	v_cvt_f64_i32_e32 v[18:19], v46
	s_mov_b32 s11, 0x3fe62e42
	v_mul_f64 v[36:37], v[18:19], s[10:11]
	v_fma_f64 v[38:39], v[18:19], s[10:11], -v[36:37]
	s_mov_b32 s15, 0x3c7abc9e
	v_fmac_f64_e32 v[38:39], s[14:15], v[18:19]
	v_add_f64 v[18:19], v[36:37], v[38:39]
	v_add_f64 v[36:37], v[18:19], -v[36:37]
	v_mul_f64 v[12:13], v[16:17], v[12:13]
	v_add_f64 v[36:37], v[38:39], -v[36:37]
	v_ldexp_f64 v[38:39], v[16:17], 1
	v_mul_f64 v[12:13], v[12:13], v[20:21]
	v_add_f64 v[16:17], v[38:39], v[12:13]
	v_add_f64 v[20:21], v[16:17], -v[38:39]
	v_ldexp_f64 v[10:11], v[10:11], 1
	v_add_f64 v[12:13], v[12:13], -v[20:21]
	v_add_f64 v[10:11], v[10:11], v[12:13]
	v_add_f64 v[12:13], v[16:17], v[10:11]
	v_add_f64 v[16:17], v[12:13], -v[16:17]
	v_add_f64 v[10:11], v[10:11], -v[16:17]
	v_add_f64 v[16:17], v[18:19], v[12:13]
	v_add_f64 v[20:21], v[16:17], -v[18:19]
	v_add_f64 v[38:39], v[16:17], -v[20:21]
	;; [unrolled: 1-line block ×4, first 2 shown]
	v_add_f64 v[12:13], v[12:13], v[18:19]
	v_add_f64 v[18:19], v[36:37], v[10:11]
	v_add_f64 v[20:21], v[18:19], -v[36:37]
	v_add_f64 v[12:13], v[18:19], v[12:13]
	v_add_f64 v[38:39], v[18:19], -v[20:21]
	;; [unrolled: 2-line block ×3, first 2 shown]
	v_add_f64 v[10:11], v[10:11], -v[20:21]
	v_add_f64 v[16:17], v[18:19], -v[16:17]
	v_add_f64 v[10:11], v[10:11], v[36:37]
	v_add_f64 v[12:13], v[12:13], -v[16:17]
	s_mov_b32 s6, 0
	v_add_f64 v[10:11], v[10:11], v[12:13]
	s_mov_b32 s7, 0x7ff00000
	v_add_f64 v[10:11], v[18:19], v[10:11]
	v_cmp_neq_f64_e32 vcc, s[6:7], v[8:9]
	v_mov_b32_e32 v12, 0x7ff80000
	v_cmp_ngt_f64_e64 s[6:7], -1.0, v[8:9]
	v_cndmask_b32_e32 v11, v31, v11, vcc
	s_nop 0
	v_cndmask_b32_e64 v11, v12, v11, s[6:7]
	v_cmp_nge_f64_e64 s[6:7], -1.0, v[8:9]
	s_and_b64 vcc, s[6:7], vcc
	v_cndmask_b32_e32 v10, 0, v10, vcc
	v_mov_b32_e32 v12, 0xfff00000
	v_cmp_neq_f64_e32 vcc, -1.0, v[8:9]
	s_nop 1
	v_cndmask_b32_e32 v11, v12, v11, vcc
	v_add_f64 v[36:37], v[6:7], v[10:11]
.LBB1_21:
	s_or_b64 exec, exec, s[8:9]
	v_max_f64 v[16:17], v[28:29], v[28:29]
	v_max_f64 v[6:7], v[36:37], v[36:37]
	v_min_f64 v[8:9], v[6:7], v[16:17]
	v_cmp_u_f64_e32 vcc, v[36:37], v[36:37]
	v_max_f64 v[6:7], v[6:7], v[16:17]
	v_cmp_u_f64_e64 s[6:7], v[28:29], v[28:29]
	v_cndmask_b32_e32 v8, v8, v36, vcc
	v_cndmask_b32_e32 v9, v9, v37, vcc
	v_cndmask_b32_e32 v6, v6, v36, vcc
	v_cndmask_b32_e32 v7, v7, v37, vcc
	v_cndmask_b32_e64 v9, v9, v29, s[6:7]
	v_cndmask_b32_e64 v8, v8, v28, s[6:7]
	v_cndmask_b32_e64 v7, v7, v29, s[6:7]
	v_cndmask_b32_e64 v6, v6, v28, s[6:7]
	v_cmp_neq_f64_e32 vcc, v[8:9], v[6:7]
	v_cmp_class_f64_e64 s[8:9], v[8:9], s3
	s_or_b64 s[8:9], vcc, s[8:9]
	s_and_saveexec_b64 s[10:11], s[8:9]
	s_cbranch_execz .LBB1_23
; %bb.22:
	s_mov_b32 s8, 0x652b82fe
	v_add_f64 v[8:9], v[8:9], -v[6:7]
	s_mov_b32 s9, 0x3ff71547
	v_mul_f64 v[10:11], v[8:9], s[8:9]
	v_rndne_f64_e32 v[10:11], v[10:11]
	s_mov_b32 s15, 0xbfe62e42
	s_mov_b32 s14, 0xfefa39ef
	v_fma_f64 v[12:13], s[14:15], v[10:11], v[8:9]
	s_mov_b32 s17, 0xbc7abc9e
	s_mov_b32 s16, 0x3b39803f
	;; [unrolled: 1-line block ×3, first 2 shown]
	v_fmac_f64_e32 v[12:13], s[16:17], v[10:11]
	v_mov_b32_e32 v18, 0xfca7ab0c
	v_mov_b32_e32 v19, 0x3e928af3
	s_mov_b32 s9, 0x3e5ade15
	v_fmac_f64_e32 v[18:19], s[8:9], v[12:13]
	v_mov_b32_e32 v20, 0x623fde64
	v_mov_b32_e32 v21, 0x3ec71dee
	v_fmac_f64_e32 v[20:21], v[12:13], v[18:19]
	v_mov_b32_e32 v18, 0x7c89e6b0
	v_mov_b32_e32 v19, 0x3efa0199
	;; [unrolled: 3-line block ×8, first 2 shown]
	s_mov_b32 s8, 0
	v_fmac_f64_e32 v[18:19], v[12:13], v[20:21]
	s_mov_b32 s9, 0x40900000
	v_fma_f64 v[18:19], v[12:13], v[18:19], 1.0
	v_cmp_nlt_f64_e32 vcc, s[8:9], v[8:9]
	s_mov_b32 s8, 0
	v_fma_f64 v[12:13], v[12:13], v[18:19], 1.0
	v_cvt_i32_f64_e32 v10, v[10:11]
	s_mov_b32 s9, 0xc090cc00
	v_ldexp_f64 v[10:11], v[12:13], v10
	v_mov_b32_e32 v31, 0x7ff00000
	v_cmp_ngt_f64_e64 s[8:9], s[8:9], v[8:9]
	v_cndmask_b32_e32 v11, v31, v11, vcc
	s_and_b64 vcc, s[8:9], vcc
	v_cndmask_b32_e64 v9, 0, v11, s[8:9]
	v_cndmask_b32_e32 v8, 0, v10, vcc
	v_add_f64 v[10:11], v[8:9], 1.0
	v_add_f64 v[12:13], v[10:11], -1.0
	v_add_f64 v[18:19], v[12:13], -v[10:11]
	v_add_f64 v[18:19], v[18:19], 1.0
	v_add_f64 v[12:13], v[8:9], -v[12:13]
	s_mov_b32 s8, 0x55555555
	v_add_f64 v[12:13], v[12:13], v[18:19]
	v_frexp_mant_f64_e32 v[18:19], v[10:11]
	s_mov_b32 s9, 0x3fe55555
	v_frexp_exp_i32_f64_e32 v20, v[10:11]
	v_cmp_gt_f64_e32 vcc, s[8:9], v[18:19]
	s_mov_b32 s8, 0xbf559e2b
	s_mov_b32 s9, 0x3fc3ab76
	v_subbrev_co_u32_e32 v48, vcc, 0, v20, vcc
	v_sub_u32_e32 v18, 0, v48
	v_ldexp_f64 v[10:11], v[10:11], v18
	v_ldexp_f64 v[12:13], v[12:13], v18
	v_add_f64 v[18:19], v[10:11], -1.0
	v_add_f64 v[38:39], v[10:11], 1.0
	v_add_f64 v[20:21], v[18:19], 1.0
	v_add_f64 v[40:41], v[38:39], -1.0
	v_add_f64 v[20:21], v[10:11], -v[20:21]
	v_add_f64 v[10:11], v[10:11], -v[40:41]
	v_add_f64 v[10:11], v[12:13], v[10:11]
	v_add_f64 v[20:21], v[12:13], v[20:21]
	;; [unrolled: 1-line block ×3, first 2 shown]
	v_rcp_f64_e32 v[40:41], v[12:13]
	v_add_f64 v[36:37], v[18:19], v[20:21]
	v_add_f64 v[18:19], v[36:37], -v[18:19]
	v_add_f64 v[18:19], v[20:21], -v[18:19]
	;; [unrolled: 1-line block ×4, first 2 shown]
	v_fma_f64 v[20:21], -v[12:13], v[40:41], 1.0
	v_fmac_f64_e32 v[40:41], v[20:21], v[40:41]
	v_fma_f64 v[20:21], -v[12:13], v[40:41], 1.0
	v_fmac_f64_e32 v[40:41], v[20:21], v[40:41]
	v_mul_f64 v[20:21], v[36:37], v[40:41]
	v_mul_f64 v[38:39], v[12:13], v[20:21]
	v_fma_f64 v[42:43], v[20:21], v[12:13], -v[38:39]
	v_fmac_f64_e32 v[42:43], v[20:21], v[10:11]
	v_add_f64 v[44:45], v[38:39], v[42:43]
	v_add_f64 v[46:47], v[36:37], -v[44:45]
	v_add_f64 v[36:37], v[36:37], -v[46:47]
	;; [unrolled: 1-line block ×4, first 2 shown]
	v_add_f64 v[18:19], v[18:19], v[36:37]
	v_add_f64 v[36:37], v[38:39], -v[42:43]
	v_add_f64 v[18:19], v[36:37], v[18:19]
	v_add_f64 v[36:37], v[46:47], v[18:19]
	v_add_f64 v[38:39], v[46:47], -v[36:37]
	v_add_f64 v[18:19], v[18:19], v[38:39]
	v_mul_f64 v[38:39], v[40:41], v[36:37]
	v_mul_f64 v[42:43], v[12:13], v[38:39]
	v_fma_f64 v[12:13], v[38:39], v[12:13], -v[42:43]
	v_fmac_f64_e32 v[12:13], v[38:39], v[10:11]
	v_add_f64 v[10:11], v[42:43], v[12:13]
	v_add_f64 v[44:45], v[36:37], -v[10:11]
	v_add_f64 v[36:37], v[36:37], -v[44:45]
	;; [unrolled: 1-line block ×4, first 2 shown]
	v_add_f64 v[10:11], v[18:19], v[10:11]
	v_add_f64 v[12:13], v[42:43], -v[12:13]
	v_add_f64 v[10:11], v[12:13], v[10:11]
	v_add_f64 v[12:13], v[20:21], v[38:39]
	;; [unrolled: 1-line block ×3, first 2 shown]
	v_add_f64 v[18:19], v[12:13], -v[20:21]
	v_mul_f64 v[10:11], v[40:41], v[10:11]
	v_add_f64 v[18:19], v[38:39], -v[18:19]
	v_add_f64 v[10:11], v[18:19], v[10:11]
	v_add_f64 v[18:19], v[12:13], v[10:11]
	v_add_f64 v[12:13], v[18:19], -v[12:13]
	v_add_f64 v[10:11], v[10:11], -v[12:13]
	v_mul_f64 v[12:13], v[18:19], v[18:19]
	v_mov_b32_e32 v20, 0x6b47b09a
	v_mov_b32_e32 v21, 0x3fc38538
	v_fmac_f64_e32 v[20:21], s[8:9], v[12:13]
	v_mov_b32_e32 v36, 0xd7f4df2e
	v_mov_b32_e32 v37, 0x3fc7474d
	v_fmac_f64_e32 v[36:37], v[12:13], v[20:21]
	;; [unrolled: 3-line block ×6, first 2 shown]
	v_cvt_f64_i32_e32 v[20:21], v48
	s_mov_b32 s15, 0x3fe62e42
	v_mul_f64 v[38:39], v[20:21], s[14:15]
	v_fma_f64 v[40:41], v[20:21], s[14:15], -v[38:39]
	s_mov_b32 s17, 0x3c7abc9e
	v_fmac_f64_e32 v[40:41], s[16:17], v[20:21]
	v_add_f64 v[20:21], v[38:39], v[40:41]
	v_add_f64 v[38:39], v[20:21], -v[38:39]
	v_mul_f64 v[12:13], v[18:19], v[12:13]
	v_add_f64 v[38:39], v[40:41], -v[38:39]
	v_ldexp_f64 v[40:41], v[18:19], 1
	v_mul_f64 v[12:13], v[12:13], v[36:37]
	v_add_f64 v[18:19], v[40:41], v[12:13]
	v_add_f64 v[36:37], v[18:19], -v[40:41]
	v_ldexp_f64 v[10:11], v[10:11], 1
	v_add_f64 v[12:13], v[12:13], -v[36:37]
	v_add_f64 v[10:11], v[10:11], v[12:13]
	v_add_f64 v[12:13], v[18:19], v[10:11]
	v_add_f64 v[18:19], v[12:13], -v[18:19]
	v_add_f64 v[10:11], v[10:11], -v[18:19]
	v_add_f64 v[18:19], v[20:21], v[12:13]
	v_add_f64 v[36:37], v[18:19], -v[20:21]
	v_add_f64 v[40:41], v[18:19], -v[36:37]
	;; [unrolled: 1-line block ×4, first 2 shown]
	v_add_f64 v[12:13], v[12:13], v[20:21]
	v_add_f64 v[20:21], v[38:39], v[10:11]
	v_add_f64 v[36:37], v[20:21], -v[38:39]
	v_add_f64 v[12:13], v[20:21], v[12:13]
	v_add_f64 v[40:41], v[20:21], -v[36:37]
	;; [unrolled: 2-line block ×3, first 2 shown]
	v_add_f64 v[10:11], v[10:11], -v[36:37]
	v_add_f64 v[18:19], v[20:21], -v[18:19]
	v_add_f64 v[10:11], v[10:11], v[38:39]
	v_add_f64 v[12:13], v[12:13], -v[18:19]
	s_mov_b32 s8, 0
	v_add_f64 v[10:11], v[10:11], v[12:13]
	s_mov_b32 s9, 0x7ff00000
	v_add_f64 v[10:11], v[20:21], v[10:11]
	v_cmp_neq_f64_e32 vcc, s[8:9], v[8:9]
	v_mov_b32_e32 v12, 0x7ff80000
	v_cmp_ngt_f64_e64 s[8:9], -1.0, v[8:9]
	v_cndmask_b32_e32 v11, v31, v11, vcc
	s_nop 0
	v_cndmask_b32_e64 v11, v12, v11, s[8:9]
	v_cmp_nge_f64_e64 s[8:9], -1.0, v[8:9]
	s_and_b64 vcc, s[8:9], vcc
	v_cndmask_b32_e32 v10, 0, v10, vcc
	v_mov_b32_e32 v12, 0xfff00000
	v_cmp_neq_f64_e32 vcc, -1.0, v[8:9]
	s_nop 1
	v_cndmask_b32_e32 v11, v12, v11, vcc
	v_add_f64 v[36:37], v[6:7], v[10:11]
.LBB1_23:
	s_or_b64 exec, exec, s[10:11]
	v_max_f64 v[18:19], v[22:23], v[22:23]
	v_max_f64 v[6:7], v[36:37], v[36:37]
	v_min_f64 v[8:9], v[6:7], v[18:19]
	v_cmp_u_f64_e32 vcc, v[36:37], v[36:37]
	v_max_f64 v[6:7], v[6:7], v[18:19]
	v_cmp_u_f64_e64 s[8:9], v[22:23], v[22:23]
	v_cndmask_b32_e32 v8, v8, v36, vcc
	v_cndmask_b32_e32 v9, v9, v37, vcc
	;; [unrolled: 1-line block ×4, first 2 shown]
	v_cndmask_b32_e64 v9, v9, v23, s[8:9]
	v_cndmask_b32_e64 v8, v8, v22, s[8:9]
	;; [unrolled: 1-line block ×4, first 2 shown]
	v_cmp_neq_f64_e32 vcc, v[8:9], v[6:7]
	v_cmp_class_f64_e64 s[10:11], v[8:9], s3
	s_or_b64 s[10:11], vcc, s[10:11]
	s_and_saveexec_b64 s[14:15], s[10:11]
	s_cbranch_execz .LBB1_25
; %bb.24:
	s_mov_b32 s10, 0x652b82fe
	v_add_f64 v[8:9], v[8:9], -v[6:7]
	s_mov_b32 s11, 0x3ff71547
	v_mul_f64 v[10:11], v[8:9], s[10:11]
	v_rndne_f64_e32 v[10:11], v[10:11]
	s_mov_b32 s17, 0xbfe62e42
	s_mov_b32 s16, 0xfefa39ef
	v_fma_f64 v[12:13], s[16:17], v[10:11], v[8:9]
	s_mov_b32 s19, 0xbc7abc9e
	s_mov_b32 s18, 0x3b39803f
	;; [unrolled: 1-line block ×3, first 2 shown]
	v_fmac_f64_e32 v[12:13], s[18:19], v[10:11]
	v_mov_b32_e32 v20, 0xfca7ab0c
	v_mov_b32_e32 v21, 0x3e928af3
	s_mov_b32 s11, 0x3e5ade15
	v_fmac_f64_e32 v[20:21], s[10:11], v[12:13]
	v_mov_b32_e32 v36, 0x623fde64
	v_mov_b32_e32 v37, 0x3ec71dee
	v_fmac_f64_e32 v[36:37], v[12:13], v[20:21]
	v_mov_b32_e32 v20, 0x7c89e6b0
	v_mov_b32_e32 v21, 0x3efa0199
	;; [unrolled: 3-line block ×8, first 2 shown]
	s_mov_b32 s10, 0
	v_fmac_f64_e32 v[20:21], v[12:13], v[36:37]
	s_mov_b32 s11, 0x40900000
	v_fma_f64 v[20:21], v[12:13], v[20:21], 1.0
	v_cmp_nlt_f64_e32 vcc, s[10:11], v[8:9]
	s_mov_b32 s10, 0
	v_fma_f64 v[12:13], v[12:13], v[20:21], 1.0
	v_cvt_i32_f64_e32 v10, v[10:11]
	s_mov_b32 s11, 0xc090cc00
	v_ldexp_f64 v[10:11], v[12:13], v10
	v_mov_b32_e32 v31, 0x7ff00000
	v_cmp_ngt_f64_e64 s[10:11], s[10:11], v[8:9]
	v_cndmask_b32_e32 v11, v31, v11, vcc
	s_and_b64 vcc, s[10:11], vcc
	v_cndmask_b32_e64 v9, 0, v11, s[10:11]
	v_cndmask_b32_e32 v8, 0, v10, vcc
	v_add_f64 v[10:11], v[8:9], 1.0
	v_add_f64 v[12:13], v[10:11], -1.0
	v_add_f64 v[20:21], v[12:13], -v[10:11]
	v_add_f64 v[20:21], v[20:21], 1.0
	v_add_f64 v[12:13], v[8:9], -v[12:13]
	s_mov_b32 s10, 0x55555555
	v_add_f64 v[12:13], v[12:13], v[20:21]
	v_frexp_mant_f64_e32 v[20:21], v[10:11]
	s_mov_b32 s11, 0x3fe55555
	v_frexp_exp_i32_f64_e32 v36, v[10:11]
	v_cmp_gt_f64_e32 vcc, s[10:11], v[20:21]
	s_mov_b32 s10, 0xbf559e2b
	s_mov_b32 s11, 0x3fc3ab76
	v_subbrev_co_u32_e32 v50, vcc, 0, v36, vcc
	v_sub_u32_e32 v20, 0, v50
	v_ldexp_f64 v[10:11], v[10:11], v20
	v_ldexp_f64 v[12:13], v[12:13], v20
	v_add_f64 v[20:21], v[10:11], -1.0
	v_add_f64 v[40:41], v[10:11], 1.0
	v_add_f64 v[36:37], v[20:21], 1.0
	v_add_f64 v[42:43], v[40:41], -1.0
	v_add_f64 v[36:37], v[10:11], -v[36:37]
	v_add_f64 v[10:11], v[10:11], -v[42:43]
	v_add_f64 v[10:11], v[12:13], v[10:11]
	v_add_f64 v[36:37], v[12:13], v[36:37]
	;; [unrolled: 1-line block ×3, first 2 shown]
	v_rcp_f64_e32 v[42:43], v[12:13]
	v_add_f64 v[38:39], v[20:21], v[36:37]
	v_add_f64 v[20:21], v[38:39], -v[20:21]
	v_add_f64 v[20:21], v[36:37], -v[20:21]
	;; [unrolled: 1-line block ×4, first 2 shown]
	v_fma_f64 v[36:37], -v[12:13], v[42:43], 1.0
	v_fmac_f64_e32 v[42:43], v[36:37], v[42:43]
	v_fma_f64 v[36:37], -v[12:13], v[42:43], 1.0
	v_fmac_f64_e32 v[42:43], v[36:37], v[42:43]
	v_mul_f64 v[36:37], v[38:39], v[42:43]
	v_mul_f64 v[40:41], v[12:13], v[36:37]
	v_fma_f64 v[44:45], v[36:37], v[12:13], -v[40:41]
	v_fmac_f64_e32 v[44:45], v[36:37], v[10:11]
	v_add_f64 v[46:47], v[40:41], v[44:45]
	v_add_f64 v[48:49], v[38:39], -v[46:47]
	v_add_f64 v[38:39], v[38:39], -v[48:49]
	;; [unrolled: 1-line block ×4, first 2 shown]
	v_add_f64 v[20:21], v[20:21], v[38:39]
	v_add_f64 v[38:39], v[40:41], -v[44:45]
	v_add_f64 v[20:21], v[38:39], v[20:21]
	v_add_f64 v[38:39], v[48:49], v[20:21]
	v_add_f64 v[40:41], v[48:49], -v[38:39]
	v_add_f64 v[20:21], v[20:21], v[40:41]
	v_mul_f64 v[40:41], v[42:43], v[38:39]
	v_mul_f64 v[44:45], v[12:13], v[40:41]
	v_fma_f64 v[12:13], v[40:41], v[12:13], -v[44:45]
	v_fmac_f64_e32 v[12:13], v[40:41], v[10:11]
	v_add_f64 v[10:11], v[44:45], v[12:13]
	v_add_f64 v[46:47], v[38:39], -v[10:11]
	v_add_f64 v[38:39], v[38:39], -v[46:47]
	;; [unrolled: 1-line block ×4, first 2 shown]
	v_add_f64 v[10:11], v[20:21], v[10:11]
	v_add_f64 v[12:13], v[44:45], -v[12:13]
	v_add_f64 v[10:11], v[12:13], v[10:11]
	v_add_f64 v[12:13], v[36:37], v[40:41]
	;; [unrolled: 1-line block ×3, first 2 shown]
	v_add_f64 v[20:21], v[12:13], -v[36:37]
	v_mul_f64 v[10:11], v[42:43], v[10:11]
	v_add_f64 v[20:21], v[40:41], -v[20:21]
	v_add_f64 v[10:11], v[20:21], v[10:11]
	v_add_f64 v[20:21], v[12:13], v[10:11]
	v_add_f64 v[12:13], v[20:21], -v[12:13]
	v_add_f64 v[10:11], v[10:11], -v[12:13]
	v_mul_f64 v[12:13], v[20:21], v[20:21]
	v_mov_b32_e32 v36, 0x6b47b09a
	v_mov_b32_e32 v37, 0x3fc38538
	v_fmac_f64_e32 v[36:37], s[10:11], v[12:13]
	v_mov_b32_e32 v38, 0xd7f4df2e
	v_mov_b32_e32 v39, 0x3fc7474d
	v_fmac_f64_e32 v[38:39], v[12:13], v[36:37]
	;; [unrolled: 3-line block ×6, first 2 shown]
	v_cvt_f64_i32_e32 v[36:37], v50
	s_mov_b32 s17, 0x3fe62e42
	v_mul_f64 v[40:41], v[36:37], s[16:17]
	v_fma_f64 v[42:43], v[36:37], s[16:17], -v[40:41]
	s_mov_b32 s19, 0x3c7abc9e
	v_fmac_f64_e32 v[42:43], s[18:19], v[36:37]
	v_add_f64 v[36:37], v[40:41], v[42:43]
	v_add_f64 v[40:41], v[36:37], -v[40:41]
	v_mul_f64 v[12:13], v[20:21], v[12:13]
	v_add_f64 v[40:41], v[42:43], -v[40:41]
	v_ldexp_f64 v[42:43], v[20:21], 1
	v_mul_f64 v[12:13], v[12:13], v[38:39]
	v_add_f64 v[20:21], v[42:43], v[12:13]
	v_add_f64 v[38:39], v[20:21], -v[42:43]
	v_ldexp_f64 v[10:11], v[10:11], 1
	v_add_f64 v[12:13], v[12:13], -v[38:39]
	v_add_f64 v[10:11], v[10:11], v[12:13]
	v_add_f64 v[12:13], v[20:21], v[10:11]
	v_add_f64 v[20:21], v[12:13], -v[20:21]
	v_add_f64 v[10:11], v[10:11], -v[20:21]
	v_add_f64 v[20:21], v[36:37], v[12:13]
	v_add_f64 v[38:39], v[20:21], -v[36:37]
	v_add_f64 v[42:43], v[20:21], -v[38:39]
	;; [unrolled: 1-line block ×4, first 2 shown]
	v_add_f64 v[12:13], v[12:13], v[36:37]
	v_add_f64 v[36:37], v[40:41], v[10:11]
	v_add_f64 v[38:39], v[36:37], -v[40:41]
	v_add_f64 v[12:13], v[36:37], v[12:13]
	v_add_f64 v[42:43], v[36:37], -v[38:39]
	;; [unrolled: 2-line block ×3, first 2 shown]
	v_add_f64 v[10:11], v[10:11], -v[38:39]
	v_add_f64 v[20:21], v[36:37], -v[20:21]
	v_add_f64 v[10:11], v[10:11], v[40:41]
	v_add_f64 v[12:13], v[12:13], -v[20:21]
	s_mov_b32 s10, 0
	v_add_f64 v[10:11], v[10:11], v[12:13]
	s_mov_b32 s11, 0x7ff00000
	v_add_f64 v[10:11], v[36:37], v[10:11]
	v_cmp_neq_f64_e32 vcc, s[10:11], v[8:9]
	v_mov_b32_e32 v12, 0x7ff80000
	v_cmp_ngt_f64_e64 s[10:11], -1.0, v[8:9]
	v_cndmask_b32_e32 v11, v31, v11, vcc
	s_nop 0
	v_cndmask_b32_e64 v11, v12, v11, s[10:11]
	v_cmp_nge_f64_e64 s[10:11], -1.0, v[8:9]
	s_and_b64 vcc, s[10:11], vcc
	v_cndmask_b32_e32 v10, 0, v10, vcc
	v_mov_b32_e32 v12, 0xfff00000
	v_cmp_neq_f64_e32 vcc, -1.0, v[8:9]
	s_nop 1
	v_cndmask_b32_e32 v11, v12, v11, vcc
	v_add_f64 v[36:37], v[6:7], v[10:11]
.LBB1_25:
	s_or_b64 exec, exec, s[14:15]
	v_max_f64 v[20:21], v[24:25], v[24:25]
	v_max_f64 v[6:7], v[36:37], v[36:37]
	v_min_f64 v[8:9], v[6:7], v[20:21]
	v_cmp_u_f64_e32 vcc, v[36:37], v[36:37]
	v_max_f64 v[6:7], v[6:7], v[20:21]
	v_cmp_u_f64_e64 s[10:11], v[24:25], v[24:25]
	v_cndmask_b32_e32 v8, v8, v36, vcc
	v_cndmask_b32_e32 v9, v9, v37, vcc
	;; [unrolled: 1-line block ×4, first 2 shown]
	v_cndmask_b32_e64 v9, v9, v25, s[10:11]
	v_cndmask_b32_e64 v8, v8, v24, s[10:11]
	;; [unrolled: 1-line block ×4, first 2 shown]
	v_cmp_neq_f64_e32 vcc, v[8:9], v[6:7]
	v_cmp_class_f64_e64 s[14:15], v[8:9], s3
	s_or_b64 s[14:15], vcc, s[14:15]
	s_and_saveexec_b64 s[16:17], s[14:15]
	s_cbranch_execz .LBB1_27
; %bb.26:
	s_mov_b32 s14, 0x652b82fe
	v_add_f64 v[8:9], v[8:9], -v[6:7]
	s_mov_b32 s15, 0x3ff71547
	v_mul_f64 v[10:11], v[8:9], s[14:15]
	v_rndne_f64_e32 v[10:11], v[10:11]
	s_mov_b32 s19, 0xbfe62e42
	s_mov_b32 s18, 0xfefa39ef
	v_fma_f64 v[12:13], s[18:19], v[10:11], v[8:9]
	s_mov_b32 s23, 0xbc7abc9e
	s_mov_b32 s22, 0x3b39803f
	;; [unrolled: 1-line block ×3, first 2 shown]
	v_fmac_f64_e32 v[12:13], s[22:23], v[10:11]
	v_mov_b32_e32 v36, 0xfca7ab0c
	v_mov_b32_e32 v37, 0x3e928af3
	s_mov_b32 s15, 0x3e5ade15
	v_fmac_f64_e32 v[36:37], s[14:15], v[12:13]
	v_mov_b32_e32 v38, 0x623fde64
	v_mov_b32_e32 v39, 0x3ec71dee
	v_fmac_f64_e32 v[38:39], v[12:13], v[36:37]
	v_mov_b32_e32 v36, 0x7c89e6b0
	v_mov_b32_e32 v37, 0x3efa0199
	;; [unrolled: 3-line block ×8, first 2 shown]
	s_mov_b32 s14, 0
	v_fmac_f64_e32 v[36:37], v[12:13], v[38:39]
	s_mov_b32 s15, 0x40900000
	v_fma_f64 v[36:37], v[12:13], v[36:37], 1.0
	v_cmp_nlt_f64_e32 vcc, s[14:15], v[8:9]
	s_mov_b32 s14, 0
	v_fma_f64 v[12:13], v[12:13], v[36:37], 1.0
	v_cvt_i32_f64_e32 v10, v[10:11]
	s_mov_b32 s15, 0xc090cc00
	v_ldexp_f64 v[10:11], v[12:13], v10
	v_mov_b32_e32 v31, 0x7ff00000
	v_cmp_ngt_f64_e64 s[14:15], s[14:15], v[8:9]
	v_cndmask_b32_e32 v11, v31, v11, vcc
	s_and_b64 vcc, s[14:15], vcc
	v_cndmask_b32_e64 v9, 0, v11, s[14:15]
	v_cndmask_b32_e32 v8, 0, v10, vcc
	v_add_f64 v[10:11], v[8:9], 1.0
	v_add_f64 v[12:13], v[10:11], -1.0
	v_add_f64 v[36:37], v[12:13], -v[10:11]
	v_add_f64 v[36:37], v[36:37], 1.0
	v_add_f64 v[12:13], v[8:9], -v[12:13]
	s_mov_b32 s14, 0x55555555
	v_add_f64 v[12:13], v[12:13], v[36:37]
	v_frexp_mant_f64_e32 v[36:37], v[10:11]
	s_mov_b32 s15, 0x3fe55555
	v_frexp_exp_i32_f64_e32 v38, v[10:11]
	v_cmp_gt_f64_e32 vcc, s[14:15], v[36:37]
	s_mov_b32 s14, 0xbf559e2b
	s_mov_b32 s15, 0x3fc3ab76
	v_subbrev_co_u32_e32 v52, vcc, 0, v38, vcc
	v_sub_u32_e32 v36, 0, v52
	v_ldexp_f64 v[10:11], v[10:11], v36
	v_ldexp_f64 v[12:13], v[12:13], v36
	v_add_f64 v[36:37], v[10:11], -1.0
	v_add_f64 v[42:43], v[10:11], 1.0
	v_add_f64 v[38:39], v[36:37], 1.0
	v_add_f64 v[44:45], v[42:43], -1.0
	v_add_f64 v[38:39], v[10:11], -v[38:39]
	v_add_f64 v[10:11], v[10:11], -v[44:45]
	v_add_f64 v[10:11], v[12:13], v[10:11]
	v_add_f64 v[38:39], v[12:13], v[38:39]
	;; [unrolled: 1-line block ×3, first 2 shown]
	v_rcp_f64_e32 v[44:45], v[12:13]
	v_add_f64 v[40:41], v[36:37], v[38:39]
	v_add_f64 v[36:37], v[40:41], -v[36:37]
	v_add_f64 v[36:37], v[38:39], -v[36:37]
	;; [unrolled: 1-line block ×4, first 2 shown]
	v_fma_f64 v[38:39], -v[12:13], v[44:45], 1.0
	v_fmac_f64_e32 v[44:45], v[38:39], v[44:45]
	v_fma_f64 v[38:39], -v[12:13], v[44:45], 1.0
	v_fmac_f64_e32 v[44:45], v[38:39], v[44:45]
	v_mul_f64 v[38:39], v[40:41], v[44:45]
	v_mul_f64 v[42:43], v[12:13], v[38:39]
	v_fma_f64 v[46:47], v[38:39], v[12:13], -v[42:43]
	v_fmac_f64_e32 v[46:47], v[38:39], v[10:11]
	v_add_f64 v[48:49], v[42:43], v[46:47]
	v_add_f64 v[50:51], v[40:41], -v[48:49]
	v_add_f64 v[40:41], v[40:41], -v[50:51]
	;; [unrolled: 1-line block ×4, first 2 shown]
	v_add_f64 v[36:37], v[36:37], v[40:41]
	v_add_f64 v[40:41], v[42:43], -v[46:47]
	v_add_f64 v[36:37], v[40:41], v[36:37]
	v_add_f64 v[40:41], v[50:51], v[36:37]
	v_add_f64 v[42:43], v[50:51], -v[40:41]
	v_add_f64 v[36:37], v[36:37], v[42:43]
	v_mul_f64 v[42:43], v[44:45], v[40:41]
	v_mul_f64 v[46:47], v[12:13], v[42:43]
	v_fma_f64 v[12:13], v[42:43], v[12:13], -v[46:47]
	v_fmac_f64_e32 v[12:13], v[42:43], v[10:11]
	v_add_f64 v[10:11], v[46:47], v[12:13]
	v_add_f64 v[48:49], v[40:41], -v[10:11]
	v_add_f64 v[40:41], v[40:41], -v[48:49]
	;; [unrolled: 1-line block ×4, first 2 shown]
	v_add_f64 v[10:11], v[36:37], v[10:11]
	v_add_f64 v[12:13], v[46:47], -v[12:13]
	v_add_f64 v[10:11], v[12:13], v[10:11]
	v_add_f64 v[12:13], v[38:39], v[42:43]
	;; [unrolled: 1-line block ×3, first 2 shown]
	v_add_f64 v[36:37], v[12:13], -v[38:39]
	v_mul_f64 v[10:11], v[44:45], v[10:11]
	v_add_f64 v[36:37], v[42:43], -v[36:37]
	v_add_f64 v[10:11], v[36:37], v[10:11]
	v_add_f64 v[36:37], v[12:13], v[10:11]
	v_add_f64 v[12:13], v[36:37], -v[12:13]
	v_add_f64 v[10:11], v[10:11], -v[12:13]
	v_mul_f64 v[12:13], v[36:37], v[36:37]
	v_mov_b32_e32 v38, 0x6b47b09a
	v_mov_b32_e32 v39, 0x3fc38538
	v_fmac_f64_e32 v[38:39], s[14:15], v[12:13]
	v_mov_b32_e32 v40, 0xd7f4df2e
	v_mov_b32_e32 v41, 0x3fc7474d
	v_fmac_f64_e32 v[40:41], v[12:13], v[38:39]
	;; [unrolled: 3-line block ×6, first 2 shown]
	v_cvt_f64_i32_e32 v[38:39], v52
	s_mov_b32 s19, 0x3fe62e42
	v_mul_f64 v[42:43], v[38:39], s[18:19]
	v_fma_f64 v[44:45], v[38:39], s[18:19], -v[42:43]
	s_mov_b32 s23, 0x3c7abc9e
	v_fmac_f64_e32 v[44:45], s[22:23], v[38:39]
	v_add_f64 v[38:39], v[42:43], v[44:45]
	v_add_f64 v[42:43], v[38:39], -v[42:43]
	v_mul_f64 v[12:13], v[36:37], v[12:13]
	v_add_f64 v[42:43], v[44:45], -v[42:43]
	v_ldexp_f64 v[44:45], v[36:37], 1
	v_mul_f64 v[12:13], v[12:13], v[40:41]
	v_add_f64 v[36:37], v[44:45], v[12:13]
	v_add_f64 v[40:41], v[36:37], -v[44:45]
	v_ldexp_f64 v[10:11], v[10:11], 1
	v_add_f64 v[12:13], v[12:13], -v[40:41]
	v_add_f64 v[10:11], v[10:11], v[12:13]
	v_add_f64 v[12:13], v[36:37], v[10:11]
	v_add_f64 v[36:37], v[12:13], -v[36:37]
	v_add_f64 v[10:11], v[10:11], -v[36:37]
	v_add_f64 v[36:37], v[38:39], v[12:13]
	v_add_f64 v[40:41], v[36:37], -v[38:39]
	v_add_f64 v[44:45], v[36:37], -v[40:41]
	;; [unrolled: 1-line block ×4, first 2 shown]
	v_add_f64 v[12:13], v[12:13], v[38:39]
	v_add_f64 v[38:39], v[42:43], v[10:11]
	v_add_f64 v[40:41], v[38:39], -v[42:43]
	v_add_f64 v[12:13], v[38:39], v[12:13]
	v_add_f64 v[44:45], v[38:39], -v[40:41]
	;; [unrolled: 2-line block ×3, first 2 shown]
	v_add_f64 v[10:11], v[10:11], -v[40:41]
	v_add_f64 v[36:37], v[38:39], -v[36:37]
	v_add_f64 v[10:11], v[10:11], v[42:43]
	v_add_f64 v[12:13], v[12:13], -v[36:37]
	s_mov_b32 s14, 0
	v_add_f64 v[10:11], v[10:11], v[12:13]
	s_mov_b32 s15, 0x7ff00000
	v_add_f64 v[10:11], v[38:39], v[10:11]
	v_cmp_neq_f64_e32 vcc, s[14:15], v[8:9]
	v_mov_b32_e32 v12, 0x7ff80000
	v_cmp_ngt_f64_e64 s[14:15], -1.0, v[8:9]
	v_cndmask_b32_e32 v11, v31, v11, vcc
	s_nop 0
	v_cndmask_b32_e64 v11, v12, v11, s[14:15]
	v_cmp_nge_f64_e64 s[14:15], -1.0, v[8:9]
	s_and_b64 vcc, s[14:15], vcc
	v_cndmask_b32_e32 v10, 0, v10, vcc
	v_mov_b32_e32 v12, 0xfff00000
	v_cmp_neq_f64_e32 vcc, -1.0, v[8:9]
	s_nop 1
	v_cndmask_b32_e32 v11, v12, v11, vcc
	v_add_f64 v[36:37], v[6:7], v[10:11]
.LBB1_27:
	s_or_b64 exec, exec, s[16:17]
	v_lshrrev_b32_e32 v6, 2, v0
	v_and_b32_e32 v6, 56, v6
	v_lshl_add_u32 v6, v0, 3, v6
	v_cmp_gt_u32_e32 vcc, 64, v0
	ds_write_b64 v6, v[36:37]
	s_waitcnt lgkmcnt(0)
	s_barrier
	s_and_saveexec_b64 s[22:23], vcc
	s_cbranch_execz .LBB1_67
; %bb.28:
	v_and_b32_e32 v6, 0xf8, v0
	v_lshlrev_b32_e32 v7, 5, v0
	v_add_u32_e32 v31, v6, v7
	ds_read2_b64 v[6:9], v31 offset1:1
	s_waitcnt lgkmcnt(0)
	v_max_f64 v[12:13], v[8:9], v[8:9]
	v_max_f64 v[10:11], v[6:7], v[6:7]
	v_min_f64 v[38:39], v[10:11], v[12:13]
	v_cmp_u_f64_e64 s[14:15], v[6:7], v[6:7]
	v_max_f64 v[12:13], v[10:11], v[12:13]
	v_cmp_u_f64_e64 s[16:17], v[8:9], v[8:9]
	v_cndmask_b32_e64 v38, v38, v6, s[14:15]
	v_cndmask_b32_e64 v39, v39, v7, s[14:15]
	v_cndmask_b32_e64 v12, v12, v6, s[14:15]
	v_cndmask_b32_e64 v13, v13, v7, s[14:15]
	v_cndmask_b32_e64 v39, v39, v9, s[16:17]
	v_cndmask_b32_e64 v38, v38, v8, s[16:17]
	v_cndmask_b32_e64 v13, v13, v9, s[16:17]
	v_cndmask_b32_e64 v12, v12, v8, s[16:17]
	v_cmp_neq_f64_e64 s[16:17], v[38:39], v[12:13]
	v_cmp_class_f64_e64 s[18:19], v[38:39], s3
	s_or_b64 s[16:17], s[16:17], s[18:19]
	v_mov_b64_e32 v[8:9], v[6:7]
	s_and_saveexec_b64 s[36:37], s[16:17]
	s_cbranch_execz .LBB1_30
; %bb.29:
	s_mov_b32 s16, 0x652b82fe
	v_add_f64 v[8:9], v[38:39], -v[12:13]
	s_mov_b32 s17, 0x3ff71547
	v_mul_f64 v[38:39], v[8:9], s[16:17]
	v_rndne_f64_e32 v[38:39], v[38:39]
	s_mov_b32 s39, 0xbfe62e42
	s_mov_b32 s38, 0xfefa39ef
	v_fma_f64 v[40:41], s[38:39], v[38:39], v[8:9]
	s_mov_b32 s41, 0xbc7abc9e
	s_mov_b32 s40, 0x3b39803f
	;; [unrolled: 1-line block ×3, first 2 shown]
	v_fmac_f64_e32 v[40:41], s[40:41], v[38:39]
	v_mov_b32_e32 v42, 0xfca7ab0c
	v_mov_b32_e32 v43, 0x3e928af3
	s_mov_b32 s17, 0x3e5ade15
	v_fmac_f64_e32 v[42:43], s[16:17], v[40:41]
	v_mov_b32_e32 v44, 0x623fde64
	v_mov_b32_e32 v45, 0x3ec71dee
	v_fmac_f64_e32 v[44:45], v[40:41], v[42:43]
	v_mov_b32_e32 v42, 0x7c89e6b0
	v_mov_b32_e32 v43, 0x3efa0199
	;; [unrolled: 3-line block ×8, first 2 shown]
	v_fmac_f64_e32 v[42:43], v[40:41], v[44:45]
	v_fma_f64 v[42:43], v[40:41], v[42:43], 1.0
	s_mov_b32 s16, 0
	s_mov_b32 s18, 0
	v_fma_f64 v[40:41], v[40:41], v[42:43], 1.0
	v_cvt_i32_f64_e32 v38, v[38:39]
	s_mov_b32 s17, 0x40900000
	s_mov_b32 s19, 0xc090cc00
	v_ldexp_f64 v[38:39], v[40:41], v38
	v_mov_b32_e32 v58, 0x7ff00000
	v_cmp_nlt_f64_e64 s[16:17], s[16:17], v[8:9]
	v_cmp_ngt_f64_e64 s[18:19], s[18:19], v[8:9]
	s_mov_b32 s39, 0x3fe62e42
	v_cndmask_b32_e64 v39, v58, v39, s[16:17]
	s_and_b64 s[16:17], s[18:19], s[16:17]
	v_cndmask_b32_e64 v9, 0, v39, s[18:19]
	v_cndmask_b32_e64 v8, 0, v38, s[16:17]
	v_add_f64 v[38:39], v[8:9], 1.0
	v_add_f64 v[40:41], v[38:39], -1.0
	v_add_f64 v[42:43], v[40:41], -v[38:39]
	v_add_f64 v[42:43], v[42:43], 1.0
	v_add_f64 v[40:41], v[8:9], -v[40:41]
	s_mov_b32 s16, 0x55555555
	v_add_f64 v[40:41], v[40:41], v[42:43]
	v_frexp_mant_f64_e32 v[42:43], v[38:39]
	s_mov_b32 s17, 0x3fe55555
	v_frexp_exp_i32_f64_e32 v44, v[38:39]
	v_cmp_gt_f64_e64 s[16:17], s[16:17], v[42:43]
	s_mov_b32 s41, 0x3c7abc9e
	v_cmp_ngt_f64_e64 s[18:19], -1.0, v[8:9]
	v_subbrev_co_u32_e64 v59, s[16:17], 0, v44, s[16:17]
	v_sub_u32_e32 v42, 0, v59
	v_ldexp_f64 v[38:39], v[38:39], v42
	v_ldexp_f64 v[40:41], v[40:41], v42
	v_add_f64 v[42:43], v[38:39], -1.0
	v_add_f64 v[48:49], v[38:39], 1.0
	v_add_f64 v[44:45], v[42:43], 1.0
	v_add_f64 v[50:51], v[48:49], -1.0
	v_add_f64 v[44:45], v[38:39], -v[44:45]
	v_add_f64 v[38:39], v[38:39], -v[50:51]
	v_add_f64 v[38:39], v[40:41], v[38:39]
	v_add_f64 v[44:45], v[40:41], v[44:45]
	;; [unrolled: 1-line block ×3, first 2 shown]
	v_rcp_f64_e32 v[50:51], v[40:41]
	v_add_f64 v[46:47], v[42:43], v[44:45]
	v_add_f64 v[42:43], v[46:47], -v[42:43]
	v_add_f64 v[42:43], v[44:45], -v[42:43]
	;; [unrolled: 1-line block ×4, first 2 shown]
	v_fma_f64 v[44:45], -v[40:41], v[50:51], 1.0
	v_fmac_f64_e32 v[50:51], v[44:45], v[50:51]
	v_fma_f64 v[44:45], -v[40:41], v[50:51], 1.0
	v_fmac_f64_e32 v[50:51], v[44:45], v[50:51]
	v_mul_f64 v[44:45], v[46:47], v[50:51]
	v_mul_f64 v[48:49], v[40:41], v[44:45]
	v_fma_f64 v[52:53], v[44:45], v[40:41], -v[48:49]
	v_fmac_f64_e32 v[52:53], v[44:45], v[38:39]
	v_add_f64 v[54:55], v[48:49], v[52:53]
	v_add_f64 v[56:57], v[46:47], -v[54:55]
	v_add_f64 v[46:47], v[46:47], -v[56:57]
	;; [unrolled: 1-line block ×4, first 2 shown]
	v_add_f64 v[42:43], v[42:43], v[46:47]
	v_add_f64 v[46:47], v[48:49], -v[52:53]
	v_add_f64 v[42:43], v[46:47], v[42:43]
	v_add_f64 v[46:47], v[56:57], v[42:43]
	v_add_f64 v[48:49], v[56:57], -v[46:47]
	v_add_f64 v[42:43], v[42:43], v[48:49]
	v_mul_f64 v[48:49], v[50:51], v[46:47]
	v_mul_f64 v[52:53], v[40:41], v[48:49]
	v_fma_f64 v[40:41], v[48:49], v[40:41], -v[52:53]
	v_fmac_f64_e32 v[40:41], v[48:49], v[38:39]
	v_add_f64 v[38:39], v[52:53], v[40:41]
	v_add_f64 v[54:55], v[46:47], -v[38:39]
	v_add_f64 v[46:47], v[46:47], -v[54:55]
	;; [unrolled: 1-line block ×4, first 2 shown]
	v_add_f64 v[38:39], v[42:43], v[38:39]
	v_add_f64 v[40:41], v[52:53], -v[40:41]
	v_add_f64 v[38:39], v[40:41], v[38:39]
	v_add_f64 v[40:41], v[44:45], v[48:49]
	;; [unrolled: 1-line block ×3, first 2 shown]
	v_add_f64 v[42:43], v[40:41], -v[44:45]
	v_mul_f64 v[38:39], v[50:51], v[38:39]
	v_add_f64 v[42:43], v[48:49], -v[42:43]
	v_add_f64 v[38:39], v[42:43], v[38:39]
	v_add_f64 v[42:43], v[40:41], v[38:39]
	v_add_f64 v[40:41], v[42:43], -v[40:41]
	s_mov_b32 s16, 0xbf559e2b
	v_add_f64 v[38:39], v[38:39], -v[40:41]
	v_mul_f64 v[40:41], v[42:43], v[42:43]
	v_mov_b32_e32 v44, 0x6b47b09a
	v_mov_b32_e32 v45, 0x3fc38538
	s_mov_b32 s17, 0x3fc3ab76
	v_fmac_f64_e32 v[44:45], s[16:17], v[40:41]
	v_mov_b32_e32 v46, 0xd7f4df2e
	v_mov_b32_e32 v47, 0x3fc7474d
	v_fmac_f64_e32 v[46:47], v[40:41], v[44:45]
	v_mov_b32_e32 v44, 0x16291751
	v_mov_b32_e32 v45, 0x3fcc71c0
	;; [unrolled: 3-line block ×5, first 2 shown]
	v_fmac_f64_e32 v[46:47], v[40:41], v[44:45]
	v_cvt_f64_i32_e32 v[44:45], v59
	v_mul_f64 v[48:49], v[44:45], s[38:39]
	v_fma_f64 v[50:51], v[44:45], s[38:39], -v[48:49]
	v_fmac_f64_e32 v[50:51], s[40:41], v[44:45]
	v_add_f64 v[44:45], v[48:49], v[50:51]
	v_add_f64 v[48:49], v[44:45], -v[48:49]
	v_mul_f64 v[40:41], v[42:43], v[40:41]
	v_add_f64 v[48:49], v[50:51], -v[48:49]
	v_ldexp_f64 v[50:51], v[42:43], 1
	v_mul_f64 v[40:41], v[40:41], v[46:47]
	v_add_f64 v[42:43], v[50:51], v[40:41]
	v_add_f64 v[46:47], v[42:43], -v[50:51]
	v_ldexp_f64 v[38:39], v[38:39], 1
	v_add_f64 v[40:41], v[40:41], -v[46:47]
	v_add_f64 v[38:39], v[38:39], v[40:41]
	v_add_f64 v[40:41], v[42:43], v[38:39]
	v_add_f64 v[42:43], v[40:41], -v[42:43]
	v_add_f64 v[38:39], v[38:39], -v[42:43]
	v_add_f64 v[42:43], v[44:45], v[40:41]
	v_add_f64 v[46:47], v[42:43], -v[44:45]
	v_add_f64 v[50:51], v[42:43], -v[46:47]
	v_add_f64 v[44:45], v[44:45], -v[50:51]
	v_add_f64 v[40:41], v[40:41], -v[46:47]
	v_add_f64 v[40:41], v[40:41], v[44:45]
	v_add_f64 v[44:45], v[48:49], v[38:39]
	v_add_f64 v[46:47], v[44:45], -v[48:49]
	v_add_f64 v[40:41], v[44:45], v[40:41]
	v_add_f64 v[50:51], v[44:45], -v[46:47]
	;; [unrolled: 2-line block ×3, first 2 shown]
	v_add_f64 v[38:39], v[38:39], -v[46:47]
	v_add_f64 v[42:43], v[44:45], -v[42:43]
	v_add_f64 v[38:39], v[38:39], v[48:49]
	v_add_f64 v[40:41], v[40:41], -v[42:43]
	s_mov_b32 s16, 0
	v_add_f64 v[38:39], v[38:39], v[40:41]
	s_mov_b32 s17, 0x7ff00000
	v_add_f64 v[38:39], v[44:45], v[38:39]
	v_cmp_neq_f64_e64 s[16:17], s[16:17], v[8:9]
	v_mov_b32_e32 v40, 0x7ff80000
	s_nop 0
	v_cndmask_b32_e64 v39, v58, v39, s[16:17]
	v_cndmask_b32_e64 v39, v40, v39, s[18:19]
	v_cmp_nge_f64_e64 s[18:19], -1.0, v[8:9]
	s_and_b64 s[16:17], s[18:19], s[16:17]
	v_cndmask_b32_e64 v38, 0, v38, s[16:17]
	v_mov_b32_e32 v40, 0xfff00000
	v_cmp_neq_f64_e64 s[16:17], -1.0, v[8:9]
	s_nop 1
	v_cndmask_b32_e64 v39, v40, v39, s[16:17]
	v_add_f64 v[8:9], v[12:13], v[38:39]
.LBB1_30:
	s_or_b64 exec, exec, s[36:37]
	ds_read_b64 v[12:13], v31 offset:16
	v_max_f64 v[40:41], v[8:9], v[8:9]
	v_cmp_u_f64_e64 s[16:17], v[8:9], v[8:9]
	s_waitcnt lgkmcnt(0)
	v_max_f64 v[42:43], v[12:13], v[12:13]
	v_min_f64 v[38:39], v[40:41], v[42:43]
	v_max_f64 v[40:41], v[40:41], v[42:43]
	v_cndmask_b32_e64 v38, v38, v8, s[16:17]
	v_cndmask_b32_e64 v39, v39, v9, s[16:17]
	v_cmp_u_f64_e64 s[18:19], v[12:13], v[12:13]
	v_cndmask_b32_e64 v40, v40, v8, s[16:17]
	v_cndmask_b32_e64 v41, v41, v9, s[16:17]
	;; [unrolled: 1-line block ×6, first 2 shown]
	v_cmp_neq_f64_e64 s[16:17], v[38:39], v[12:13]
	v_cmp_class_f64_e64 s[18:19], v[38:39], s3
	s_or_b64 s[16:17], s[16:17], s[18:19]
	s_and_saveexec_b64 s[36:37], s[16:17]
	s_cbranch_execz .LBB1_32
; %bb.31:
	s_mov_b32 s16, 0x652b82fe
	v_add_f64 v[8:9], v[38:39], -v[12:13]
	s_mov_b32 s17, 0x3ff71547
	v_mul_f64 v[38:39], v[8:9], s[16:17]
	v_rndne_f64_e32 v[38:39], v[38:39]
	s_mov_b32 s39, 0xbfe62e42
	s_mov_b32 s38, 0xfefa39ef
	v_fma_f64 v[40:41], s[38:39], v[38:39], v[8:9]
	s_mov_b32 s41, 0xbc7abc9e
	s_mov_b32 s40, 0x3b39803f
	;; [unrolled: 1-line block ×3, first 2 shown]
	v_fmac_f64_e32 v[40:41], s[40:41], v[38:39]
	v_mov_b32_e32 v42, 0xfca7ab0c
	v_mov_b32_e32 v43, 0x3e928af3
	s_mov_b32 s17, 0x3e5ade15
	v_fmac_f64_e32 v[42:43], s[16:17], v[40:41]
	v_mov_b32_e32 v44, 0x623fde64
	v_mov_b32_e32 v45, 0x3ec71dee
	v_fmac_f64_e32 v[44:45], v[40:41], v[42:43]
	v_mov_b32_e32 v42, 0x7c89e6b0
	v_mov_b32_e32 v43, 0x3efa0199
	v_fmac_f64_e32 v[42:43], v[40:41], v[44:45]
	v_mov_b32_e32 v44, 0x14761f6e
	v_mov_b32_e32 v45, 0x3f2a01a0
	v_fmac_f64_e32 v[44:45], v[40:41], v[42:43]
	v_mov_b32_e32 v42, 0x1852b7b0
	v_mov_b32_e32 v43, 0x3f56c16c
	v_fmac_f64_e32 v[42:43], v[40:41], v[44:45]
	v_mov_b32_e32 v44, 0x11122322
	v_mov_b32_e32 v45, 0x3f811111
	v_fmac_f64_e32 v[44:45], v[40:41], v[42:43]
	v_mov_b32_e32 v42, 0x555502a1
	v_mov_b32_e32 v43, 0x3fa55555
	v_fmac_f64_e32 v[42:43], v[40:41], v[44:45]
	v_mov_b32_e32 v44, 0x55555511
	v_mov_b32_e32 v45, 0x3fc55555
	v_fmac_f64_e32 v[44:45], v[40:41], v[42:43]
	v_mov_b32_e32 v42, 11
	v_mov_b32_e32 v43, 0x3fe00000
	v_fmac_f64_e32 v[42:43], v[40:41], v[44:45]
	v_fma_f64 v[42:43], v[40:41], v[42:43], 1.0
	s_mov_b32 s16, 0
	s_mov_b32 s18, 0
	v_fma_f64 v[40:41], v[40:41], v[42:43], 1.0
	v_cvt_i32_f64_e32 v38, v[38:39]
	s_mov_b32 s17, 0x40900000
	s_mov_b32 s19, 0xc090cc00
	v_ldexp_f64 v[38:39], v[40:41], v38
	v_mov_b32_e32 v58, 0x7ff00000
	v_cmp_nlt_f64_e64 s[16:17], s[16:17], v[8:9]
	v_cmp_ngt_f64_e64 s[18:19], s[18:19], v[8:9]
	s_mov_b32 s39, 0x3fe62e42
	v_cndmask_b32_e64 v39, v58, v39, s[16:17]
	s_and_b64 s[16:17], s[18:19], s[16:17]
	v_cndmask_b32_e64 v9, 0, v39, s[18:19]
	v_cndmask_b32_e64 v8, 0, v38, s[16:17]
	v_add_f64 v[38:39], v[8:9], 1.0
	v_add_f64 v[40:41], v[38:39], -1.0
	v_add_f64 v[42:43], v[40:41], -v[38:39]
	v_add_f64 v[42:43], v[42:43], 1.0
	v_add_f64 v[40:41], v[8:9], -v[40:41]
	s_mov_b32 s16, 0x55555555
	v_add_f64 v[40:41], v[40:41], v[42:43]
	v_frexp_mant_f64_e32 v[42:43], v[38:39]
	s_mov_b32 s17, 0x3fe55555
	v_frexp_exp_i32_f64_e32 v44, v[38:39]
	v_cmp_gt_f64_e64 s[16:17], s[16:17], v[42:43]
	s_mov_b32 s41, 0x3c7abc9e
	v_cmp_ngt_f64_e64 s[18:19], -1.0, v[8:9]
	v_subbrev_co_u32_e64 v59, s[16:17], 0, v44, s[16:17]
	v_sub_u32_e32 v42, 0, v59
	v_ldexp_f64 v[38:39], v[38:39], v42
	v_ldexp_f64 v[40:41], v[40:41], v42
	v_add_f64 v[42:43], v[38:39], -1.0
	v_add_f64 v[48:49], v[38:39], 1.0
	v_add_f64 v[44:45], v[42:43], 1.0
	v_add_f64 v[50:51], v[48:49], -1.0
	v_add_f64 v[44:45], v[38:39], -v[44:45]
	v_add_f64 v[38:39], v[38:39], -v[50:51]
	v_add_f64 v[38:39], v[40:41], v[38:39]
	v_add_f64 v[44:45], v[40:41], v[44:45]
	;; [unrolled: 1-line block ×3, first 2 shown]
	v_rcp_f64_e32 v[50:51], v[40:41]
	v_add_f64 v[46:47], v[42:43], v[44:45]
	v_add_f64 v[42:43], v[46:47], -v[42:43]
	v_add_f64 v[42:43], v[44:45], -v[42:43]
	;; [unrolled: 1-line block ×4, first 2 shown]
	v_fma_f64 v[44:45], -v[40:41], v[50:51], 1.0
	v_fmac_f64_e32 v[50:51], v[44:45], v[50:51]
	v_fma_f64 v[44:45], -v[40:41], v[50:51], 1.0
	v_fmac_f64_e32 v[50:51], v[44:45], v[50:51]
	v_mul_f64 v[44:45], v[46:47], v[50:51]
	v_mul_f64 v[48:49], v[40:41], v[44:45]
	v_fma_f64 v[52:53], v[44:45], v[40:41], -v[48:49]
	v_fmac_f64_e32 v[52:53], v[44:45], v[38:39]
	v_add_f64 v[54:55], v[48:49], v[52:53]
	v_add_f64 v[56:57], v[46:47], -v[54:55]
	v_add_f64 v[46:47], v[46:47], -v[56:57]
	v_add_f64 v[48:49], v[54:55], -v[48:49]
	v_add_f64 v[46:47], v[46:47], -v[54:55]
	v_add_f64 v[42:43], v[42:43], v[46:47]
	v_add_f64 v[46:47], v[48:49], -v[52:53]
	v_add_f64 v[42:43], v[46:47], v[42:43]
	v_add_f64 v[46:47], v[56:57], v[42:43]
	v_add_f64 v[48:49], v[56:57], -v[46:47]
	v_add_f64 v[42:43], v[42:43], v[48:49]
	v_mul_f64 v[48:49], v[50:51], v[46:47]
	v_mul_f64 v[52:53], v[40:41], v[48:49]
	v_fma_f64 v[40:41], v[48:49], v[40:41], -v[52:53]
	v_fmac_f64_e32 v[40:41], v[48:49], v[38:39]
	v_add_f64 v[38:39], v[52:53], v[40:41]
	v_add_f64 v[54:55], v[46:47], -v[38:39]
	v_add_f64 v[46:47], v[46:47], -v[54:55]
	v_add_f64 v[52:53], v[38:39], -v[52:53]
	v_add_f64 v[38:39], v[46:47], -v[38:39]
	v_add_f64 v[38:39], v[42:43], v[38:39]
	v_add_f64 v[40:41], v[52:53], -v[40:41]
	v_add_f64 v[38:39], v[40:41], v[38:39]
	v_add_f64 v[40:41], v[44:45], v[48:49]
	;; [unrolled: 1-line block ×3, first 2 shown]
	v_add_f64 v[42:43], v[40:41], -v[44:45]
	v_mul_f64 v[38:39], v[50:51], v[38:39]
	v_add_f64 v[42:43], v[48:49], -v[42:43]
	v_add_f64 v[38:39], v[42:43], v[38:39]
	v_add_f64 v[42:43], v[40:41], v[38:39]
	v_add_f64 v[40:41], v[42:43], -v[40:41]
	s_mov_b32 s16, 0xbf559e2b
	v_add_f64 v[38:39], v[38:39], -v[40:41]
	v_mul_f64 v[40:41], v[42:43], v[42:43]
	v_mov_b32_e32 v44, 0x6b47b09a
	v_mov_b32_e32 v45, 0x3fc38538
	s_mov_b32 s17, 0x3fc3ab76
	v_fmac_f64_e32 v[44:45], s[16:17], v[40:41]
	v_mov_b32_e32 v46, 0xd7f4df2e
	v_mov_b32_e32 v47, 0x3fc7474d
	v_fmac_f64_e32 v[46:47], v[40:41], v[44:45]
	v_mov_b32_e32 v44, 0x16291751
	v_mov_b32_e32 v45, 0x3fcc71c0
	;; [unrolled: 3-line block ×5, first 2 shown]
	v_fmac_f64_e32 v[46:47], v[40:41], v[44:45]
	v_cvt_f64_i32_e32 v[44:45], v59
	v_mul_f64 v[48:49], v[44:45], s[38:39]
	v_fma_f64 v[50:51], v[44:45], s[38:39], -v[48:49]
	v_fmac_f64_e32 v[50:51], s[40:41], v[44:45]
	v_add_f64 v[44:45], v[48:49], v[50:51]
	v_add_f64 v[48:49], v[44:45], -v[48:49]
	v_mul_f64 v[40:41], v[42:43], v[40:41]
	v_add_f64 v[48:49], v[50:51], -v[48:49]
	v_ldexp_f64 v[50:51], v[42:43], 1
	v_mul_f64 v[40:41], v[40:41], v[46:47]
	v_add_f64 v[42:43], v[50:51], v[40:41]
	v_add_f64 v[46:47], v[42:43], -v[50:51]
	v_ldexp_f64 v[38:39], v[38:39], 1
	v_add_f64 v[40:41], v[40:41], -v[46:47]
	v_add_f64 v[38:39], v[38:39], v[40:41]
	v_add_f64 v[40:41], v[42:43], v[38:39]
	v_add_f64 v[42:43], v[40:41], -v[42:43]
	v_add_f64 v[38:39], v[38:39], -v[42:43]
	v_add_f64 v[42:43], v[44:45], v[40:41]
	v_add_f64 v[46:47], v[42:43], -v[44:45]
	v_add_f64 v[50:51], v[42:43], -v[46:47]
	v_add_f64 v[44:45], v[44:45], -v[50:51]
	v_add_f64 v[40:41], v[40:41], -v[46:47]
	v_add_f64 v[40:41], v[40:41], v[44:45]
	v_add_f64 v[44:45], v[48:49], v[38:39]
	v_add_f64 v[46:47], v[44:45], -v[48:49]
	v_add_f64 v[40:41], v[44:45], v[40:41]
	v_add_f64 v[50:51], v[44:45], -v[46:47]
	;; [unrolled: 2-line block ×3, first 2 shown]
	v_add_f64 v[38:39], v[38:39], -v[46:47]
	v_add_f64 v[42:43], v[44:45], -v[42:43]
	v_add_f64 v[38:39], v[38:39], v[48:49]
	v_add_f64 v[40:41], v[40:41], -v[42:43]
	s_mov_b32 s16, 0
	v_add_f64 v[38:39], v[38:39], v[40:41]
	s_mov_b32 s17, 0x7ff00000
	v_add_f64 v[38:39], v[44:45], v[38:39]
	v_cmp_neq_f64_e64 s[16:17], s[16:17], v[8:9]
	v_mov_b32_e32 v40, 0x7ff80000
	s_nop 0
	v_cndmask_b32_e64 v39, v58, v39, s[16:17]
	v_cndmask_b32_e64 v39, v40, v39, s[18:19]
	v_cmp_nge_f64_e64 s[18:19], -1.0, v[8:9]
	s_and_b64 s[16:17], s[18:19], s[16:17]
	v_cndmask_b32_e64 v38, 0, v38, s[16:17]
	v_mov_b32_e32 v40, 0xfff00000
	v_cmp_neq_f64_e64 s[16:17], -1.0, v[8:9]
	s_nop 1
	v_cndmask_b32_e64 v39, v40, v39, s[16:17]
	v_add_f64 v[8:9], v[12:13], v[38:39]
.LBB1_32:
	s_or_b64 exec, exec, s[36:37]
	ds_read_b64 v[12:13], v31 offset:24
	v_max_f64 v[40:41], v[8:9], v[8:9]
	v_cmp_u_f64_e64 s[16:17], v[8:9], v[8:9]
	s_waitcnt lgkmcnt(0)
	v_max_f64 v[42:43], v[12:13], v[12:13]
	v_min_f64 v[38:39], v[40:41], v[42:43]
	v_max_f64 v[40:41], v[40:41], v[42:43]
	v_cndmask_b32_e64 v38, v38, v8, s[16:17]
	v_cndmask_b32_e64 v39, v39, v9, s[16:17]
	v_cmp_u_f64_e64 s[18:19], v[12:13], v[12:13]
	v_cndmask_b32_e64 v40, v40, v8, s[16:17]
	v_cndmask_b32_e64 v41, v41, v9, s[16:17]
	;; [unrolled: 1-line block ×6, first 2 shown]
	v_cmp_neq_f64_e64 s[16:17], v[38:39], v[12:13]
	v_cmp_class_f64_e64 s[18:19], v[38:39], s3
	s_or_b64 s[16:17], s[16:17], s[18:19]
	s_and_saveexec_b64 s[36:37], s[16:17]
	s_cbranch_execz .LBB1_34
; %bb.33:
	s_mov_b32 s16, 0x652b82fe
	v_add_f64 v[8:9], v[38:39], -v[12:13]
	s_mov_b32 s17, 0x3ff71547
	v_mul_f64 v[38:39], v[8:9], s[16:17]
	v_rndne_f64_e32 v[38:39], v[38:39]
	s_mov_b32 s39, 0xbfe62e42
	s_mov_b32 s38, 0xfefa39ef
	v_fma_f64 v[40:41], s[38:39], v[38:39], v[8:9]
	s_mov_b32 s41, 0xbc7abc9e
	s_mov_b32 s40, 0x3b39803f
	;; [unrolled: 1-line block ×3, first 2 shown]
	v_fmac_f64_e32 v[40:41], s[40:41], v[38:39]
	v_mov_b32_e32 v42, 0xfca7ab0c
	v_mov_b32_e32 v43, 0x3e928af3
	s_mov_b32 s17, 0x3e5ade15
	v_fmac_f64_e32 v[42:43], s[16:17], v[40:41]
	v_mov_b32_e32 v44, 0x623fde64
	v_mov_b32_e32 v45, 0x3ec71dee
	v_fmac_f64_e32 v[44:45], v[40:41], v[42:43]
	v_mov_b32_e32 v42, 0x7c89e6b0
	v_mov_b32_e32 v43, 0x3efa0199
	;; [unrolled: 3-line block ×8, first 2 shown]
	v_fmac_f64_e32 v[42:43], v[40:41], v[44:45]
	v_fma_f64 v[42:43], v[40:41], v[42:43], 1.0
	s_mov_b32 s16, 0
	s_mov_b32 s18, 0
	v_fma_f64 v[40:41], v[40:41], v[42:43], 1.0
	v_cvt_i32_f64_e32 v38, v[38:39]
	s_mov_b32 s17, 0x40900000
	s_mov_b32 s19, 0xc090cc00
	v_ldexp_f64 v[38:39], v[40:41], v38
	v_mov_b32_e32 v58, 0x7ff00000
	v_cmp_nlt_f64_e64 s[16:17], s[16:17], v[8:9]
	v_cmp_ngt_f64_e64 s[18:19], s[18:19], v[8:9]
	s_mov_b32 s39, 0x3fe62e42
	v_cndmask_b32_e64 v39, v58, v39, s[16:17]
	s_and_b64 s[16:17], s[18:19], s[16:17]
	v_cndmask_b32_e64 v9, 0, v39, s[18:19]
	v_cndmask_b32_e64 v8, 0, v38, s[16:17]
	v_add_f64 v[38:39], v[8:9], 1.0
	v_add_f64 v[40:41], v[38:39], -1.0
	v_add_f64 v[42:43], v[40:41], -v[38:39]
	v_add_f64 v[42:43], v[42:43], 1.0
	v_add_f64 v[40:41], v[8:9], -v[40:41]
	s_mov_b32 s16, 0x55555555
	v_add_f64 v[40:41], v[40:41], v[42:43]
	v_frexp_mant_f64_e32 v[42:43], v[38:39]
	s_mov_b32 s17, 0x3fe55555
	v_frexp_exp_i32_f64_e32 v44, v[38:39]
	v_cmp_gt_f64_e64 s[16:17], s[16:17], v[42:43]
	s_mov_b32 s41, 0x3c7abc9e
	v_cmp_ngt_f64_e64 s[18:19], -1.0, v[8:9]
	v_subbrev_co_u32_e64 v59, s[16:17], 0, v44, s[16:17]
	v_sub_u32_e32 v42, 0, v59
	v_ldexp_f64 v[38:39], v[38:39], v42
	v_ldexp_f64 v[40:41], v[40:41], v42
	v_add_f64 v[42:43], v[38:39], -1.0
	v_add_f64 v[48:49], v[38:39], 1.0
	v_add_f64 v[44:45], v[42:43], 1.0
	v_add_f64 v[50:51], v[48:49], -1.0
	v_add_f64 v[44:45], v[38:39], -v[44:45]
	v_add_f64 v[38:39], v[38:39], -v[50:51]
	v_add_f64 v[38:39], v[40:41], v[38:39]
	v_add_f64 v[44:45], v[40:41], v[44:45]
	v_add_f64 v[40:41], v[48:49], v[38:39]
	v_rcp_f64_e32 v[50:51], v[40:41]
	v_add_f64 v[46:47], v[42:43], v[44:45]
	v_add_f64 v[42:43], v[46:47], -v[42:43]
	v_add_f64 v[42:43], v[44:45], -v[42:43]
	;; [unrolled: 1-line block ×4, first 2 shown]
	v_fma_f64 v[44:45], -v[40:41], v[50:51], 1.0
	v_fmac_f64_e32 v[50:51], v[44:45], v[50:51]
	v_fma_f64 v[44:45], -v[40:41], v[50:51], 1.0
	v_fmac_f64_e32 v[50:51], v[44:45], v[50:51]
	v_mul_f64 v[44:45], v[46:47], v[50:51]
	v_mul_f64 v[48:49], v[40:41], v[44:45]
	v_fma_f64 v[52:53], v[44:45], v[40:41], -v[48:49]
	v_fmac_f64_e32 v[52:53], v[44:45], v[38:39]
	v_add_f64 v[54:55], v[48:49], v[52:53]
	v_add_f64 v[56:57], v[46:47], -v[54:55]
	v_add_f64 v[46:47], v[46:47], -v[56:57]
	;; [unrolled: 1-line block ×4, first 2 shown]
	v_add_f64 v[42:43], v[42:43], v[46:47]
	v_add_f64 v[46:47], v[48:49], -v[52:53]
	v_add_f64 v[42:43], v[46:47], v[42:43]
	v_add_f64 v[46:47], v[56:57], v[42:43]
	v_add_f64 v[48:49], v[56:57], -v[46:47]
	v_add_f64 v[42:43], v[42:43], v[48:49]
	v_mul_f64 v[48:49], v[50:51], v[46:47]
	v_mul_f64 v[52:53], v[40:41], v[48:49]
	v_fma_f64 v[40:41], v[48:49], v[40:41], -v[52:53]
	v_fmac_f64_e32 v[40:41], v[48:49], v[38:39]
	v_add_f64 v[38:39], v[52:53], v[40:41]
	v_add_f64 v[54:55], v[46:47], -v[38:39]
	v_add_f64 v[46:47], v[46:47], -v[54:55]
	;; [unrolled: 1-line block ×4, first 2 shown]
	v_add_f64 v[38:39], v[42:43], v[38:39]
	v_add_f64 v[40:41], v[52:53], -v[40:41]
	v_add_f64 v[38:39], v[40:41], v[38:39]
	v_add_f64 v[40:41], v[44:45], v[48:49]
	;; [unrolled: 1-line block ×3, first 2 shown]
	v_add_f64 v[42:43], v[40:41], -v[44:45]
	v_mul_f64 v[38:39], v[50:51], v[38:39]
	v_add_f64 v[42:43], v[48:49], -v[42:43]
	v_add_f64 v[38:39], v[42:43], v[38:39]
	v_add_f64 v[42:43], v[40:41], v[38:39]
	v_add_f64 v[40:41], v[42:43], -v[40:41]
	s_mov_b32 s16, 0xbf559e2b
	v_add_f64 v[38:39], v[38:39], -v[40:41]
	v_mul_f64 v[40:41], v[42:43], v[42:43]
	v_mov_b32_e32 v44, 0x6b47b09a
	v_mov_b32_e32 v45, 0x3fc38538
	s_mov_b32 s17, 0x3fc3ab76
	v_fmac_f64_e32 v[44:45], s[16:17], v[40:41]
	v_mov_b32_e32 v46, 0xd7f4df2e
	v_mov_b32_e32 v47, 0x3fc7474d
	v_fmac_f64_e32 v[46:47], v[40:41], v[44:45]
	v_mov_b32_e32 v44, 0x16291751
	v_mov_b32_e32 v45, 0x3fcc71c0
	;; [unrolled: 3-line block ×5, first 2 shown]
	v_fmac_f64_e32 v[46:47], v[40:41], v[44:45]
	v_cvt_f64_i32_e32 v[44:45], v59
	v_mul_f64 v[48:49], v[44:45], s[38:39]
	v_fma_f64 v[50:51], v[44:45], s[38:39], -v[48:49]
	v_fmac_f64_e32 v[50:51], s[40:41], v[44:45]
	v_add_f64 v[44:45], v[48:49], v[50:51]
	v_add_f64 v[48:49], v[44:45], -v[48:49]
	v_mul_f64 v[40:41], v[42:43], v[40:41]
	v_add_f64 v[48:49], v[50:51], -v[48:49]
	v_ldexp_f64 v[50:51], v[42:43], 1
	v_mul_f64 v[40:41], v[40:41], v[46:47]
	v_add_f64 v[42:43], v[50:51], v[40:41]
	v_add_f64 v[46:47], v[42:43], -v[50:51]
	v_ldexp_f64 v[38:39], v[38:39], 1
	v_add_f64 v[40:41], v[40:41], -v[46:47]
	v_add_f64 v[38:39], v[38:39], v[40:41]
	v_add_f64 v[40:41], v[42:43], v[38:39]
	v_add_f64 v[42:43], v[40:41], -v[42:43]
	v_add_f64 v[38:39], v[38:39], -v[42:43]
	v_add_f64 v[42:43], v[44:45], v[40:41]
	v_add_f64 v[46:47], v[42:43], -v[44:45]
	v_add_f64 v[50:51], v[42:43], -v[46:47]
	v_add_f64 v[44:45], v[44:45], -v[50:51]
	v_add_f64 v[40:41], v[40:41], -v[46:47]
	v_add_f64 v[40:41], v[40:41], v[44:45]
	v_add_f64 v[44:45], v[48:49], v[38:39]
	v_add_f64 v[46:47], v[44:45], -v[48:49]
	v_add_f64 v[40:41], v[44:45], v[40:41]
	v_add_f64 v[50:51], v[44:45], -v[46:47]
	;; [unrolled: 2-line block ×3, first 2 shown]
	v_add_f64 v[38:39], v[38:39], -v[46:47]
	v_add_f64 v[42:43], v[44:45], -v[42:43]
	v_add_f64 v[38:39], v[38:39], v[48:49]
	v_add_f64 v[40:41], v[40:41], -v[42:43]
	s_mov_b32 s16, 0
	v_add_f64 v[38:39], v[38:39], v[40:41]
	s_mov_b32 s17, 0x7ff00000
	v_add_f64 v[38:39], v[44:45], v[38:39]
	v_cmp_neq_f64_e64 s[16:17], s[16:17], v[8:9]
	v_mov_b32_e32 v40, 0x7ff80000
	s_nop 0
	v_cndmask_b32_e64 v39, v58, v39, s[16:17]
	v_cndmask_b32_e64 v39, v40, v39, s[18:19]
	v_cmp_nge_f64_e64 s[18:19], -1.0, v[8:9]
	s_and_b64 s[16:17], s[18:19], s[16:17]
	v_cndmask_b32_e64 v38, 0, v38, s[16:17]
	v_mov_b32_e32 v40, 0xfff00000
	v_cmp_neq_f64_e64 s[16:17], -1.0, v[8:9]
	s_nop 1
	v_cndmask_b32_e64 v39, v40, v39, s[16:17]
	v_add_f64 v[8:9], v[12:13], v[38:39]
.LBB1_34:
	s_or_b64 exec, exec, s[36:37]
	v_mbcnt_lo_u32_b32 v12, -1, 0
	v_mbcnt_hi_u32_b32 v40, -1, v12
	v_and_b32_e32 v41, 15, v40
	v_mov_b32_dpp v12, v8 row_shr:1 row_mask:0xf bank_mask:0xf
	v_mov_b32_dpp v13, v9 row_shr:1 row_mask:0xf bank_mask:0xf
	v_cmp_ne_u32_e64 s[16:17], 0, v41
	v_mov_b32_e32 v38, v8
	v_mov_b32_e32 v39, v9
	s_and_saveexec_b64 s[18:19], s[16:17]
	s_xor_b64 s[36:37], exec, s[18:19]
	s_cbranch_execz .LBB1_38
; %bb.35:
	v_max_f64 v[42:43], v[12:13], v[12:13]
	v_max_f64 v[44:45], v[8:9], v[8:9]
	v_min_f64 v[38:39], v[42:43], v[44:45]
	v_cmp_u_f64_e64 s[16:17], v[12:13], v[12:13]
	v_max_f64 v[42:43], v[42:43], v[44:45]
	v_cmp_u_f64_e64 s[18:19], v[8:9], v[8:9]
	v_cndmask_b32_e64 v39, v39, v13, s[16:17]
	v_cndmask_b32_e64 v38, v38, v12, s[16:17]
	;; [unrolled: 1-line block ×8, first 2 shown]
	v_cmp_neq_f64_e64 s[16:17], v[38:39], v[8:9]
	v_cmp_class_f64_e64 s[18:19], v[38:39], s3
	s_or_b64 s[16:17], s[16:17], s[18:19]
	s_and_saveexec_b64 s[38:39], s[16:17]
	s_cbranch_execz .LBB1_37
; %bb.36:
	s_mov_b32 s16, 0x652b82fe
	v_add_f64 v[12:13], v[38:39], -v[8:9]
	s_mov_b32 s17, 0x3ff71547
	v_mul_f64 v[38:39], v[12:13], s[16:17]
	v_rndne_f64_e32 v[38:39], v[38:39]
	s_mov_b32 s41, 0xbfe62e42
	s_mov_b32 s40, 0xfefa39ef
	v_fma_f64 v[42:43], s[40:41], v[38:39], v[12:13]
	s_mov_b32 s43, 0xbc7abc9e
	s_mov_b32 s42, 0x3b39803f
	;; [unrolled: 1-line block ×3, first 2 shown]
	v_fmac_f64_e32 v[42:43], s[42:43], v[38:39]
	v_mov_b32_e32 v44, 0xfca7ab0c
	v_mov_b32_e32 v45, 0x3e928af3
	s_mov_b32 s17, 0x3e5ade15
	v_fmac_f64_e32 v[44:45], s[16:17], v[42:43]
	v_mov_b32_e32 v46, 0x623fde64
	v_mov_b32_e32 v47, 0x3ec71dee
	v_fmac_f64_e32 v[46:47], v[42:43], v[44:45]
	v_mov_b32_e32 v44, 0x7c89e6b0
	v_mov_b32_e32 v45, 0x3efa0199
	;; [unrolled: 3-line block ×8, first 2 shown]
	v_fmac_f64_e32 v[44:45], v[42:43], v[46:47]
	v_fma_f64 v[44:45], v[42:43], v[44:45], 1.0
	s_mov_b32 s16, 0
	s_mov_b32 s18, 0
	v_fma_f64 v[42:43], v[42:43], v[44:45], 1.0
	v_cvt_i32_f64_e32 v38, v[38:39]
	s_mov_b32 s17, 0x40900000
	s_mov_b32 s19, 0xc090cc00
	v_ldexp_f64 v[38:39], v[42:43], v38
	v_mov_b32_e32 v60, 0x7ff00000
	v_cmp_nlt_f64_e64 s[16:17], s[16:17], v[12:13]
	v_cmp_ngt_f64_e64 s[18:19], s[18:19], v[12:13]
	s_mov_b32 s41, 0x3fe62e42
	v_cndmask_b32_e64 v39, v60, v39, s[16:17]
	s_and_b64 s[16:17], s[18:19], s[16:17]
	v_cndmask_b32_e64 v13, 0, v39, s[18:19]
	v_cndmask_b32_e64 v12, 0, v38, s[16:17]
	v_add_f64 v[38:39], v[12:13], 1.0
	v_add_f64 v[42:43], v[38:39], -1.0
	v_add_f64 v[44:45], v[42:43], -v[38:39]
	v_add_f64 v[44:45], v[44:45], 1.0
	v_add_f64 v[42:43], v[12:13], -v[42:43]
	s_mov_b32 s16, 0x55555555
	v_add_f64 v[42:43], v[42:43], v[44:45]
	v_frexp_mant_f64_e32 v[44:45], v[38:39]
	s_mov_b32 s17, 0x3fe55555
	v_frexp_exp_i32_f64_e32 v46, v[38:39]
	v_cmp_gt_f64_e64 s[16:17], s[16:17], v[44:45]
	s_mov_b32 s43, 0x3c7abc9e
	v_cmp_ngt_f64_e64 s[18:19], -1.0, v[12:13]
	v_subbrev_co_u32_e64 v61, s[16:17], 0, v46, s[16:17]
	v_sub_u32_e32 v44, 0, v61
	v_ldexp_f64 v[38:39], v[38:39], v44
	v_ldexp_f64 v[42:43], v[42:43], v44
	v_add_f64 v[44:45], v[38:39], -1.0
	v_add_f64 v[50:51], v[38:39], 1.0
	v_add_f64 v[46:47], v[44:45], 1.0
	v_add_f64 v[52:53], v[50:51], -1.0
	v_add_f64 v[46:47], v[38:39], -v[46:47]
	v_add_f64 v[38:39], v[38:39], -v[52:53]
	v_add_f64 v[38:39], v[42:43], v[38:39]
	v_add_f64 v[46:47], v[42:43], v[46:47]
	;; [unrolled: 1-line block ×3, first 2 shown]
	v_rcp_f64_e32 v[52:53], v[42:43]
	v_add_f64 v[48:49], v[44:45], v[46:47]
	v_add_f64 v[44:45], v[48:49], -v[44:45]
	v_add_f64 v[44:45], v[46:47], -v[44:45]
	;; [unrolled: 1-line block ×4, first 2 shown]
	v_fma_f64 v[46:47], -v[42:43], v[52:53], 1.0
	v_fmac_f64_e32 v[52:53], v[46:47], v[52:53]
	v_fma_f64 v[46:47], -v[42:43], v[52:53], 1.0
	v_fmac_f64_e32 v[52:53], v[46:47], v[52:53]
	v_mul_f64 v[46:47], v[48:49], v[52:53]
	v_mul_f64 v[50:51], v[42:43], v[46:47]
	v_fma_f64 v[54:55], v[46:47], v[42:43], -v[50:51]
	v_fmac_f64_e32 v[54:55], v[46:47], v[38:39]
	v_add_f64 v[56:57], v[50:51], v[54:55]
	v_add_f64 v[58:59], v[48:49], -v[56:57]
	v_add_f64 v[48:49], v[48:49], -v[58:59]
	;; [unrolled: 1-line block ×4, first 2 shown]
	v_add_f64 v[44:45], v[44:45], v[48:49]
	v_add_f64 v[48:49], v[50:51], -v[54:55]
	v_add_f64 v[44:45], v[48:49], v[44:45]
	v_add_f64 v[48:49], v[58:59], v[44:45]
	v_add_f64 v[50:51], v[58:59], -v[48:49]
	v_add_f64 v[44:45], v[44:45], v[50:51]
	v_mul_f64 v[50:51], v[52:53], v[48:49]
	v_mul_f64 v[54:55], v[42:43], v[50:51]
	v_fma_f64 v[42:43], v[50:51], v[42:43], -v[54:55]
	v_fmac_f64_e32 v[42:43], v[50:51], v[38:39]
	v_add_f64 v[38:39], v[54:55], v[42:43]
	v_add_f64 v[56:57], v[48:49], -v[38:39]
	v_add_f64 v[48:49], v[48:49], -v[56:57]
	;; [unrolled: 1-line block ×4, first 2 shown]
	v_add_f64 v[38:39], v[44:45], v[38:39]
	v_add_f64 v[42:43], v[54:55], -v[42:43]
	v_add_f64 v[38:39], v[42:43], v[38:39]
	v_add_f64 v[42:43], v[46:47], v[50:51]
	;; [unrolled: 1-line block ×3, first 2 shown]
	v_add_f64 v[44:45], v[42:43], -v[46:47]
	v_mul_f64 v[38:39], v[52:53], v[38:39]
	v_add_f64 v[44:45], v[50:51], -v[44:45]
	v_add_f64 v[38:39], v[44:45], v[38:39]
	v_add_f64 v[44:45], v[42:43], v[38:39]
	v_add_f64 v[42:43], v[44:45], -v[42:43]
	s_mov_b32 s16, 0xbf559e2b
	v_add_f64 v[38:39], v[38:39], -v[42:43]
	v_mul_f64 v[42:43], v[44:45], v[44:45]
	v_mov_b32_e32 v46, 0x6b47b09a
	v_mov_b32_e32 v47, 0x3fc38538
	s_mov_b32 s17, 0x3fc3ab76
	v_fmac_f64_e32 v[46:47], s[16:17], v[42:43]
	v_mov_b32_e32 v48, 0xd7f4df2e
	v_mov_b32_e32 v49, 0x3fc7474d
	v_fmac_f64_e32 v[48:49], v[42:43], v[46:47]
	v_mov_b32_e32 v46, 0x16291751
	v_mov_b32_e32 v47, 0x3fcc71c0
	;; [unrolled: 3-line block ×5, first 2 shown]
	v_fmac_f64_e32 v[48:49], v[42:43], v[46:47]
	v_cvt_f64_i32_e32 v[46:47], v61
	v_mul_f64 v[50:51], v[46:47], s[40:41]
	v_fma_f64 v[52:53], v[46:47], s[40:41], -v[50:51]
	v_fmac_f64_e32 v[52:53], s[42:43], v[46:47]
	v_add_f64 v[46:47], v[50:51], v[52:53]
	v_add_f64 v[50:51], v[46:47], -v[50:51]
	v_mul_f64 v[42:43], v[44:45], v[42:43]
	v_add_f64 v[50:51], v[52:53], -v[50:51]
	v_ldexp_f64 v[52:53], v[44:45], 1
	v_mul_f64 v[42:43], v[42:43], v[48:49]
	v_add_f64 v[44:45], v[52:53], v[42:43]
	v_add_f64 v[48:49], v[44:45], -v[52:53]
	v_ldexp_f64 v[38:39], v[38:39], 1
	v_add_f64 v[42:43], v[42:43], -v[48:49]
	v_add_f64 v[38:39], v[38:39], v[42:43]
	v_add_f64 v[42:43], v[44:45], v[38:39]
	v_add_f64 v[44:45], v[42:43], -v[44:45]
	v_add_f64 v[38:39], v[38:39], -v[44:45]
	v_add_f64 v[44:45], v[46:47], v[42:43]
	v_add_f64 v[48:49], v[44:45], -v[46:47]
	v_add_f64 v[52:53], v[44:45], -v[48:49]
	;; [unrolled: 1-line block ×4, first 2 shown]
	v_add_f64 v[42:43], v[42:43], v[46:47]
	v_add_f64 v[46:47], v[50:51], v[38:39]
	v_add_f64 v[48:49], v[46:47], -v[50:51]
	v_add_f64 v[42:43], v[46:47], v[42:43]
	v_add_f64 v[52:53], v[46:47], -v[48:49]
	v_add_f64 v[46:47], v[44:45], v[42:43]
	v_add_f64 v[50:51], v[50:51], -v[52:53]
	v_add_f64 v[38:39], v[38:39], -v[48:49]
	v_add_f64 v[44:45], v[46:47], -v[44:45]
	v_add_f64 v[38:39], v[38:39], v[50:51]
	v_add_f64 v[42:43], v[42:43], -v[44:45]
	s_mov_b32 s16, 0
	v_add_f64 v[38:39], v[38:39], v[42:43]
	s_mov_b32 s17, 0x7ff00000
	v_add_f64 v[38:39], v[46:47], v[38:39]
	v_cmp_neq_f64_e64 s[16:17], s[16:17], v[12:13]
	v_mov_b32_e32 v42, 0x7ff80000
	s_nop 0
	v_cndmask_b32_e64 v39, v60, v39, s[16:17]
	v_cndmask_b32_e64 v39, v42, v39, s[18:19]
	v_cmp_nge_f64_e64 s[18:19], -1.0, v[12:13]
	s_and_b64 s[16:17], s[18:19], s[16:17]
	v_cndmask_b32_e64 v38, 0, v38, s[16:17]
	v_mov_b32_e32 v42, 0xfff00000
	v_cmp_neq_f64_e64 s[16:17], -1.0, v[12:13]
	s_nop 1
	v_cndmask_b32_e64 v39, v42, v39, s[16:17]
	v_add_f64 v[12:13], v[8:9], v[38:39]
.LBB1_37:
	s_or_b64 exec, exec, s[38:39]
	v_mov_b32_e32 v38, v12
	v_mov_b32_e32 v39, v13
	v_mov_b64_e32 v[8:9], v[12:13]
.LBB1_38:
	s_or_b64 exec, exec, s[36:37]
	v_mov_b32_dpp v12, v38 row_shr:2 row_mask:0xf bank_mask:0xf
	v_mov_b32_dpp v13, v39 row_shr:2 row_mask:0xf bank_mask:0xf
	v_cmp_lt_u32_e64 s[16:17], 1, v41
	s_and_saveexec_b64 s[36:37], s[16:17]
	s_cbranch_execz .LBB1_42
; %bb.39:
	v_max_f64 v[42:43], v[12:13], v[12:13]
	v_max_f64 v[44:45], v[8:9], v[8:9]
	v_min_f64 v[38:39], v[42:43], v[44:45]
	v_cmp_u_f64_e64 s[16:17], v[12:13], v[12:13]
	v_max_f64 v[42:43], v[42:43], v[44:45]
	v_cmp_u_f64_e64 s[18:19], v[8:9], v[8:9]
	v_cndmask_b32_e64 v39, v39, v13, s[16:17]
	v_cndmask_b32_e64 v38, v38, v12, s[16:17]
	;; [unrolled: 1-line block ×8, first 2 shown]
	v_cmp_neq_f64_e64 s[16:17], v[38:39], v[8:9]
	v_cmp_class_f64_e64 s[18:19], v[38:39], s3
	s_or_b64 s[16:17], s[16:17], s[18:19]
	s_and_saveexec_b64 s[38:39], s[16:17]
	s_cbranch_execz .LBB1_41
; %bb.40:
	s_mov_b32 s16, 0x652b82fe
	v_add_f64 v[12:13], v[38:39], -v[8:9]
	s_mov_b32 s17, 0x3ff71547
	v_mul_f64 v[38:39], v[12:13], s[16:17]
	v_rndne_f64_e32 v[38:39], v[38:39]
	s_mov_b32 s41, 0xbfe62e42
	s_mov_b32 s40, 0xfefa39ef
	v_fma_f64 v[42:43], s[40:41], v[38:39], v[12:13]
	s_mov_b32 s43, 0xbc7abc9e
	s_mov_b32 s42, 0x3b39803f
	;; [unrolled: 1-line block ×3, first 2 shown]
	v_fmac_f64_e32 v[42:43], s[42:43], v[38:39]
	v_mov_b32_e32 v44, 0xfca7ab0c
	v_mov_b32_e32 v45, 0x3e928af3
	s_mov_b32 s17, 0x3e5ade15
	v_fmac_f64_e32 v[44:45], s[16:17], v[42:43]
	v_mov_b32_e32 v46, 0x623fde64
	v_mov_b32_e32 v47, 0x3ec71dee
	v_fmac_f64_e32 v[46:47], v[42:43], v[44:45]
	v_mov_b32_e32 v44, 0x7c89e6b0
	v_mov_b32_e32 v45, 0x3efa0199
	;; [unrolled: 3-line block ×8, first 2 shown]
	v_fmac_f64_e32 v[44:45], v[42:43], v[46:47]
	v_fma_f64 v[44:45], v[42:43], v[44:45], 1.0
	s_mov_b32 s16, 0
	s_mov_b32 s18, 0
	v_fma_f64 v[42:43], v[42:43], v[44:45], 1.0
	v_cvt_i32_f64_e32 v38, v[38:39]
	s_mov_b32 s17, 0x40900000
	s_mov_b32 s19, 0xc090cc00
	v_ldexp_f64 v[38:39], v[42:43], v38
	v_mov_b32_e32 v60, 0x7ff00000
	v_cmp_nlt_f64_e64 s[16:17], s[16:17], v[12:13]
	v_cmp_ngt_f64_e64 s[18:19], s[18:19], v[12:13]
	s_mov_b32 s41, 0x3fe62e42
	v_cndmask_b32_e64 v39, v60, v39, s[16:17]
	s_and_b64 s[16:17], s[18:19], s[16:17]
	v_cndmask_b32_e64 v13, 0, v39, s[18:19]
	v_cndmask_b32_e64 v12, 0, v38, s[16:17]
	v_add_f64 v[38:39], v[12:13], 1.0
	v_add_f64 v[42:43], v[38:39], -1.0
	v_add_f64 v[44:45], v[42:43], -v[38:39]
	v_add_f64 v[44:45], v[44:45], 1.0
	v_add_f64 v[42:43], v[12:13], -v[42:43]
	s_mov_b32 s16, 0x55555555
	v_add_f64 v[42:43], v[42:43], v[44:45]
	v_frexp_mant_f64_e32 v[44:45], v[38:39]
	s_mov_b32 s17, 0x3fe55555
	v_frexp_exp_i32_f64_e32 v46, v[38:39]
	v_cmp_gt_f64_e64 s[16:17], s[16:17], v[44:45]
	s_mov_b32 s43, 0x3c7abc9e
	v_cmp_ngt_f64_e64 s[18:19], -1.0, v[12:13]
	v_subbrev_co_u32_e64 v61, s[16:17], 0, v46, s[16:17]
	v_sub_u32_e32 v44, 0, v61
	v_ldexp_f64 v[38:39], v[38:39], v44
	v_ldexp_f64 v[42:43], v[42:43], v44
	v_add_f64 v[44:45], v[38:39], -1.0
	v_add_f64 v[50:51], v[38:39], 1.0
	v_add_f64 v[46:47], v[44:45], 1.0
	v_add_f64 v[52:53], v[50:51], -1.0
	v_add_f64 v[46:47], v[38:39], -v[46:47]
	v_add_f64 v[38:39], v[38:39], -v[52:53]
	v_add_f64 v[38:39], v[42:43], v[38:39]
	v_add_f64 v[46:47], v[42:43], v[46:47]
	;; [unrolled: 1-line block ×3, first 2 shown]
	v_rcp_f64_e32 v[52:53], v[42:43]
	v_add_f64 v[48:49], v[44:45], v[46:47]
	v_add_f64 v[44:45], v[48:49], -v[44:45]
	v_add_f64 v[44:45], v[46:47], -v[44:45]
	;; [unrolled: 1-line block ×4, first 2 shown]
	v_fma_f64 v[46:47], -v[42:43], v[52:53], 1.0
	v_fmac_f64_e32 v[52:53], v[46:47], v[52:53]
	v_fma_f64 v[46:47], -v[42:43], v[52:53], 1.0
	v_fmac_f64_e32 v[52:53], v[46:47], v[52:53]
	v_mul_f64 v[46:47], v[48:49], v[52:53]
	v_mul_f64 v[50:51], v[42:43], v[46:47]
	v_fma_f64 v[54:55], v[46:47], v[42:43], -v[50:51]
	v_fmac_f64_e32 v[54:55], v[46:47], v[38:39]
	v_add_f64 v[56:57], v[50:51], v[54:55]
	v_add_f64 v[58:59], v[48:49], -v[56:57]
	v_add_f64 v[48:49], v[48:49], -v[58:59]
	;; [unrolled: 1-line block ×4, first 2 shown]
	v_add_f64 v[44:45], v[44:45], v[48:49]
	v_add_f64 v[48:49], v[50:51], -v[54:55]
	v_add_f64 v[44:45], v[48:49], v[44:45]
	v_add_f64 v[48:49], v[58:59], v[44:45]
	v_add_f64 v[50:51], v[58:59], -v[48:49]
	v_add_f64 v[44:45], v[44:45], v[50:51]
	v_mul_f64 v[50:51], v[52:53], v[48:49]
	v_mul_f64 v[54:55], v[42:43], v[50:51]
	v_fma_f64 v[42:43], v[50:51], v[42:43], -v[54:55]
	v_fmac_f64_e32 v[42:43], v[50:51], v[38:39]
	v_add_f64 v[38:39], v[54:55], v[42:43]
	v_add_f64 v[56:57], v[48:49], -v[38:39]
	v_add_f64 v[48:49], v[48:49], -v[56:57]
	;; [unrolled: 1-line block ×4, first 2 shown]
	v_add_f64 v[38:39], v[44:45], v[38:39]
	v_add_f64 v[42:43], v[54:55], -v[42:43]
	v_add_f64 v[38:39], v[42:43], v[38:39]
	v_add_f64 v[42:43], v[46:47], v[50:51]
	;; [unrolled: 1-line block ×3, first 2 shown]
	v_add_f64 v[44:45], v[42:43], -v[46:47]
	v_mul_f64 v[38:39], v[52:53], v[38:39]
	v_add_f64 v[44:45], v[50:51], -v[44:45]
	v_add_f64 v[38:39], v[44:45], v[38:39]
	v_add_f64 v[44:45], v[42:43], v[38:39]
	v_add_f64 v[42:43], v[44:45], -v[42:43]
	s_mov_b32 s16, 0xbf559e2b
	v_add_f64 v[38:39], v[38:39], -v[42:43]
	v_mul_f64 v[42:43], v[44:45], v[44:45]
	v_mov_b32_e32 v46, 0x6b47b09a
	v_mov_b32_e32 v47, 0x3fc38538
	s_mov_b32 s17, 0x3fc3ab76
	v_fmac_f64_e32 v[46:47], s[16:17], v[42:43]
	v_mov_b32_e32 v48, 0xd7f4df2e
	v_mov_b32_e32 v49, 0x3fc7474d
	v_fmac_f64_e32 v[48:49], v[42:43], v[46:47]
	v_mov_b32_e32 v46, 0x16291751
	v_mov_b32_e32 v47, 0x3fcc71c0
	;; [unrolled: 3-line block ×5, first 2 shown]
	v_fmac_f64_e32 v[48:49], v[42:43], v[46:47]
	v_cvt_f64_i32_e32 v[46:47], v61
	v_mul_f64 v[50:51], v[46:47], s[40:41]
	v_fma_f64 v[52:53], v[46:47], s[40:41], -v[50:51]
	v_fmac_f64_e32 v[52:53], s[42:43], v[46:47]
	v_add_f64 v[46:47], v[50:51], v[52:53]
	v_add_f64 v[50:51], v[46:47], -v[50:51]
	v_mul_f64 v[42:43], v[44:45], v[42:43]
	v_add_f64 v[50:51], v[52:53], -v[50:51]
	v_ldexp_f64 v[52:53], v[44:45], 1
	v_mul_f64 v[42:43], v[42:43], v[48:49]
	v_add_f64 v[44:45], v[52:53], v[42:43]
	v_add_f64 v[48:49], v[44:45], -v[52:53]
	v_ldexp_f64 v[38:39], v[38:39], 1
	v_add_f64 v[42:43], v[42:43], -v[48:49]
	v_add_f64 v[38:39], v[38:39], v[42:43]
	v_add_f64 v[42:43], v[44:45], v[38:39]
	v_add_f64 v[44:45], v[42:43], -v[44:45]
	v_add_f64 v[38:39], v[38:39], -v[44:45]
	v_add_f64 v[44:45], v[46:47], v[42:43]
	v_add_f64 v[48:49], v[44:45], -v[46:47]
	v_add_f64 v[52:53], v[44:45], -v[48:49]
	v_add_f64 v[46:47], v[46:47], -v[52:53]
	v_add_f64 v[42:43], v[42:43], -v[48:49]
	v_add_f64 v[42:43], v[42:43], v[46:47]
	v_add_f64 v[46:47], v[50:51], v[38:39]
	v_add_f64 v[48:49], v[46:47], -v[50:51]
	v_add_f64 v[42:43], v[46:47], v[42:43]
	v_add_f64 v[52:53], v[46:47], -v[48:49]
	;; [unrolled: 2-line block ×3, first 2 shown]
	v_add_f64 v[38:39], v[38:39], -v[48:49]
	v_add_f64 v[44:45], v[46:47], -v[44:45]
	v_add_f64 v[38:39], v[38:39], v[50:51]
	v_add_f64 v[42:43], v[42:43], -v[44:45]
	s_mov_b32 s16, 0
	v_add_f64 v[38:39], v[38:39], v[42:43]
	s_mov_b32 s17, 0x7ff00000
	v_add_f64 v[38:39], v[46:47], v[38:39]
	v_cmp_neq_f64_e64 s[16:17], s[16:17], v[12:13]
	v_mov_b32_e32 v42, 0x7ff80000
	s_nop 0
	v_cndmask_b32_e64 v39, v60, v39, s[16:17]
	v_cndmask_b32_e64 v39, v42, v39, s[18:19]
	v_cmp_nge_f64_e64 s[18:19], -1.0, v[12:13]
	s_and_b64 s[16:17], s[18:19], s[16:17]
	v_cndmask_b32_e64 v38, 0, v38, s[16:17]
	v_mov_b32_e32 v42, 0xfff00000
	v_cmp_neq_f64_e64 s[16:17], -1.0, v[12:13]
	s_nop 1
	v_cndmask_b32_e64 v39, v42, v39, s[16:17]
	v_add_f64 v[12:13], v[8:9], v[38:39]
.LBB1_41:
	s_or_b64 exec, exec, s[38:39]
	v_mov_b64_e32 v[8:9], v[12:13]
	v_mov_b32_e32 v38, v12
	v_mov_b32_e32 v39, v13
.LBB1_42:
	s_or_b64 exec, exec, s[36:37]
	v_mov_b32_dpp v12, v38 row_shr:4 row_mask:0xf bank_mask:0xf
	v_mov_b32_dpp v13, v39 row_shr:4 row_mask:0xf bank_mask:0xf
	v_cmp_lt_u32_e64 s[16:17], 3, v41
	s_and_saveexec_b64 s[36:37], s[16:17]
	s_cbranch_execz .LBB1_46
; %bb.43:
	v_max_f64 v[42:43], v[12:13], v[12:13]
	v_max_f64 v[44:45], v[8:9], v[8:9]
	v_min_f64 v[38:39], v[42:43], v[44:45]
	v_cmp_u_f64_e64 s[16:17], v[12:13], v[12:13]
	v_max_f64 v[42:43], v[42:43], v[44:45]
	v_cmp_u_f64_e64 s[18:19], v[8:9], v[8:9]
	v_cndmask_b32_e64 v39, v39, v13, s[16:17]
	v_cndmask_b32_e64 v38, v38, v12, s[16:17]
	;; [unrolled: 1-line block ×8, first 2 shown]
	v_cmp_neq_f64_e64 s[16:17], v[38:39], v[8:9]
	v_cmp_class_f64_e64 s[18:19], v[38:39], s3
	s_or_b64 s[16:17], s[16:17], s[18:19]
	s_and_saveexec_b64 s[38:39], s[16:17]
	s_cbranch_execz .LBB1_45
; %bb.44:
	s_mov_b32 s16, 0x652b82fe
	v_add_f64 v[12:13], v[38:39], -v[8:9]
	s_mov_b32 s17, 0x3ff71547
	v_mul_f64 v[38:39], v[12:13], s[16:17]
	v_rndne_f64_e32 v[38:39], v[38:39]
	s_mov_b32 s41, 0xbfe62e42
	s_mov_b32 s40, 0xfefa39ef
	v_fma_f64 v[42:43], s[40:41], v[38:39], v[12:13]
	s_mov_b32 s43, 0xbc7abc9e
	s_mov_b32 s42, 0x3b39803f
	;; [unrolled: 1-line block ×3, first 2 shown]
	v_fmac_f64_e32 v[42:43], s[42:43], v[38:39]
	v_mov_b32_e32 v44, 0xfca7ab0c
	v_mov_b32_e32 v45, 0x3e928af3
	s_mov_b32 s17, 0x3e5ade15
	v_fmac_f64_e32 v[44:45], s[16:17], v[42:43]
	v_mov_b32_e32 v46, 0x623fde64
	v_mov_b32_e32 v47, 0x3ec71dee
	v_fmac_f64_e32 v[46:47], v[42:43], v[44:45]
	v_mov_b32_e32 v44, 0x7c89e6b0
	v_mov_b32_e32 v45, 0x3efa0199
	;; [unrolled: 3-line block ×8, first 2 shown]
	v_fmac_f64_e32 v[44:45], v[42:43], v[46:47]
	v_fma_f64 v[44:45], v[42:43], v[44:45], 1.0
	s_mov_b32 s16, 0
	s_mov_b32 s18, 0
	v_fma_f64 v[42:43], v[42:43], v[44:45], 1.0
	v_cvt_i32_f64_e32 v38, v[38:39]
	s_mov_b32 s17, 0x40900000
	s_mov_b32 s19, 0xc090cc00
	v_ldexp_f64 v[38:39], v[42:43], v38
	v_mov_b32_e32 v60, 0x7ff00000
	v_cmp_nlt_f64_e64 s[16:17], s[16:17], v[12:13]
	v_cmp_ngt_f64_e64 s[18:19], s[18:19], v[12:13]
	s_mov_b32 s41, 0x3fe62e42
	v_cndmask_b32_e64 v39, v60, v39, s[16:17]
	s_and_b64 s[16:17], s[18:19], s[16:17]
	v_cndmask_b32_e64 v13, 0, v39, s[18:19]
	v_cndmask_b32_e64 v12, 0, v38, s[16:17]
	v_add_f64 v[38:39], v[12:13], 1.0
	v_add_f64 v[42:43], v[38:39], -1.0
	v_add_f64 v[44:45], v[42:43], -v[38:39]
	v_add_f64 v[44:45], v[44:45], 1.0
	v_add_f64 v[42:43], v[12:13], -v[42:43]
	s_mov_b32 s16, 0x55555555
	v_add_f64 v[42:43], v[42:43], v[44:45]
	v_frexp_mant_f64_e32 v[44:45], v[38:39]
	s_mov_b32 s17, 0x3fe55555
	v_frexp_exp_i32_f64_e32 v46, v[38:39]
	v_cmp_gt_f64_e64 s[16:17], s[16:17], v[44:45]
	s_mov_b32 s43, 0x3c7abc9e
	v_cmp_ngt_f64_e64 s[18:19], -1.0, v[12:13]
	v_subbrev_co_u32_e64 v61, s[16:17], 0, v46, s[16:17]
	v_sub_u32_e32 v44, 0, v61
	v_ldexp_f64 v[38:39], v[38:39], v44
	v_ldexp_f64 v[42:43], v[42:43], v44
	v_add_f64 v[44:45], v[38:39], -1.0
	v_add_f64 v[50:51], v[38:39], 1.0
	v_add_f64 v[46:47], v[44:45], 1.0
	v_add_f64 v[52:53], v[50:51], -1.0
	v_add_f64 v[46:47], v[38:39], -v[46:47]
	v_add_f64 v[38:39], v[38:39], -v[52:53]
	v_add_f64 v[38:39], v[42:43], v[38:39]
	v_add_f64 v[46:47], v[42:43], v[46:47]
	;; [unrolled: 1-line block ×3, first 2 shown]
	v_rcp_f64_e32 v[52:53], v[42:43]
	v_add_f64 v[48:49], v[44:45], v[46:47]
	v_add_f64 v[44:45], v[48:49], -v[44:45]
	v_add_f64 v[44:45], v[46:47], -v[44:45]
	;; [unrolled: 1-line block ×4, first 2 shown]
	v_fma_f64 v[46:47], -v[42:43], v[52:53], 1.0
	v_fmac_f64_e32 v[52:53], v[46:47], v[52:53]
	v_fma_f64 v[46:47], -v[42:43], v[52:53], 1.0
	v_fmac_f64_e32 v[52:53], v[46:47], v[52:53]
	v_mul_f64 v[46:47], v[48:49], v[52:53]
	v_mul_f64 v[50:51], v[42:43], v[46:47]
	v_fma_f64 v[54:55], v[46:47], v[42:43], -v[50:51]
	v_fmac_f64_e32 v[54:55], v[46:47], v[38:39]
	v_add_f64 v[56:57], v[50:51], v[54:55]
	v_add_f64 v[58:59], v[48:49], -v[56:57]
	v_add_f64 v[48:49], v[48:49], -v[58:59]
	;; [unrolled: 1-line block ×4, first 2 shown]
	v_add_f64 v[44:45], v[44:45], v[48:49]
	v_add_f64 v[48:49], v[50:51], -v[54:55]
	v_add_f64 v[44:45], v[48:49], v[44:45]
	v_add_f64 v[48:49], v[58:59], v[44:45]
	v_add_f64 v[50:51], v[58:59], -v[48:49]
	v_add_f64 v[44:45], v[44:45], v[50:51]
	v_mul_f64 v[50:51], v[52:53], v[48:49]
	v_mul_f64 v[54:55], v[42:43], v[50:51]
	v_fma_f64 v[42:43], v[50:51], v[42:43], -v[54:55]
	v_fmac_f64_e32 v[42:43], v[50:51], v[38:39]
	v_add_f64 v[38:39], v[54:55], v[42:43]
	v_add_f64 v[56:57], v[48:49], -v[38:39]
	v_add_f64 v[48:49], v[48:49], -v[56:57]
	;; [unrolled: 1-line block ×4, first 2 shown]
	v_add_f64 v[38:39], v[44:45], v[38:39]
	v_add_f64 v[42:43], v[54:55], -v[42:43]
	v_add_f64 v[38:39], v[42:43], v[38:39]
	v_add_f64 v[42:43], v[46:47], v[50:51]
	;; [unrolled: 1-line block ×3, first 2 shown]
	v_add_f64 v[44:45], v[42:43], -v[46:47]
	v_mul_f64 v[38:39], v[52:53], v[38:39]
	v_add_f64 v[44:45], v[50:51], -v[44:45]
	v_add_f64 v[38:39], v[44:45], v[38:39]
	v_add_f64 v[44:45], v[42:43], v[38:39]
	v_add_f64 v[42:43], v[44:45], -v[42:43]
	s_mov_b32 s16, 0xbf559e2b
	v_add_f64 v[38:39], v[38:39], -v[42:43]
	v_mul_f64 v[42:43], v[44:45], v[44:45]
	v_mov_b32_e32 v46, 0x6b47b09a
	v_mov_b32_e32 v47, 0x3fc38538
	s_mov_b32 s17, 0x3fc3ab76
	v_fmac_f64_e32 v[46:47], s[16:17], v[42:43]
	v_mov_b32_e32 v48, 0xd7f4df2e
	v_mov_b32_e32 v49, 0x3fc7474d
	v_fmac_f64_e32 v[48:49], v[42:43], v[46:47]
	v_mov_b32_e32 v46, 0x16291751
	v_mov_b32_e32 v47, 0x3fcc71c0
	;; [unrolled: 3-line block ×5, first 2 shown]
	v_fmac_f64_e32 v[48:49], v[42:43], v[46:47]
	v_cvt_f64_i32_e32 v[46:47], v61
	v_mul_f64 v[50:51], v[46:47], s[40:41]
	v_fma_f64 v[52:53], v[46:47], s[40:41], -v[50:51]
	v_fmac_f64_e32 v[52:53], s[42:43], v[46:47]
	v_add_f64 v[46:47], v[50:51], v[52:53]
	v_add_f64 v[50:51], v[46:47], -v[50:51]
	v_mul_f64 v[42:43], v[44:45], v[42:43]
	v_add_f64 v[50:51], v[52:53], -v[50:51]
	v_ldexp_f64 v[52:53], v[44:45], 1
	v_mul_f64 v[42:43], v[42:43], v[48:49]
	v_add_f64 v[44:45], v[52:53], v[42:43]
	v_add_f64 v[48:49], v[44:45], -v[52:53]
	v_ldexp_f64 v[38:39], v[38:39], 1
	v_add_f64 v[42:43], v[42:43], -v[48:49]
	v_add_f64 v[38:39], v[38:39], v[42:43]
	v_add_f64 v[42:43], v[44:45], v[38:39]
	v_add_f64 v[44:45], v[42:43], -v[44:45]
	v_add_f64 v[38:39], v[38:39], -v[44:45]
	v_add_f64 v[44:45], v[46:47], v[42:43]
	v_add_f64 v[48:49], v[44:45], -v[46:47]
	v_add_f64 v[52:53], v[44:45], -v[48:49]
	;; [unrolled: 1-line block ×4, first 2 shown]
	v_add_f64 v[42:43], v[42:43], v[46:47]
	v_add_f64 v[46:47], v[50:51], v[38:39]
	v_add_f64 v[48:49], v[46:47], -v[50:51]
	v_add_f64 v[42:43], v[46:47], v[42:43]
	v_add_f64 v[52:53], v[46:47], -v[48:49]
	;; [unrolled: 2-line block ×3, first 2 shown]
	v_add_f64 v[38:39], v[38:39], -v[48:49]
	v_add_f64 v[44:45], v[46:47], -v[44:45]
	v_add_f64 v[38:39], v[38:39], v[50:51]
	v_add_f64 v[42:43], v[42:43], -v[44:45]
	s_mov_b32 s16, 0
	v_add_f64 v[38:39], v[38:39], v[42:43]
	s_mov_b32 s17, 0x7ff00000
	v_add_f64 v[38:39], v[46:47], v[38:39]
	v_cmp_neq_f64_e64 s[16:17], s[16:17], v[12:13]
	v_mov_b32_e32 v42, 0x7ff80000
	s_nop 0
	v_cndmask_b32_e64 v39, v60, v39, s[16:17]
	v_cndmask_b32_e64 v39, v42, v39, s[18:19]
	v_cmp_nge_f64_e64 s[18:19], -1.0, v[12:13]
	s_and_b64 s[16:17], s[18:19], s[16:17]
	v_cndmask_b32_e64 v38, 0, v38, s[16:17]
	v_mov_b32_e32 v42, 0xfff00000
	v_cmp_neq_f64_e64 s[16:17], -1.0, v[12:13]
	s_nop 1
	v_cndmask_b32_e64 v39, v42, v39, s[16:17]
	v_add_f64 v[12:13], v[8:9], v[38:39]
.LBB1_45:
	s_or_b64 exec, exec, s[38:39]
	v_mov_b64_e32 v[8:9], v[12:13]
	v_mov_b32_e32 v38, v12
	v_mov_b32_e32 v39, v13
.LBB1_46:
	s_or_b64 exec, exec, s[36:37]
	v_mov_b32_dpp v12, v38 row_shr:8 row_mask:0xf bank_mask:0xf
	v_mov_b32_dpp v13, v39 row_shr:8 row_mask:0xf bank_mask:0xf
	v_cmp_lt_u32_e64 s[16:17], 7, v41
	s_and_saveexec_b64 s[36:37], s[16:17]
	s_cbranch_execz .LBB1_50
; %bb.47:
	v_max_f64 v[42:43], v[12:13], v[12:13]
	v_max_f64 v[44:45], v[8:9], v[8:9]
	v_min_f64 v[38:39], v[42:43], v[44:45]
	v_cmp_u_f64_e64 s[16:17], v[12:13], v[12:13]
	v_max_f64 v[42:43], v[42:43], v[44:45]
	v_cmp_u_f64_e64 s[18:19], v[8:9], v[8:9]
	v_cndmask_b32_e64 v39, v39, v13, s[16:17]
	v_cndmask_b32_e64 v38, v38, v12, s[16:17]
	;; [unrolled: 1-line block ×8, first 2 shown]
	v_cmp_neq_f64_e64 s[16:17], v[38:39], v[8:9]
	v_cmp_class_f64_e64 s[18:19], v[38:39], s3
	s_or_b64 s[16:17], s[16:17], s[18:19]
	s_and_saveexec_b64 s[38:39], s[16:17]
	s_cbranch_execz .LBB1_49
; %bb.48:
	s_mov_b32 s16, 0x652b82fe
	v_add_f64 v[12:13], v[38:39], -v[8:9]
	s_mov_b32 s17, 0x3ff71547
	v_mul_f64 v[38:39], v[12:13], s[16:17]
	v_rndne_f64_e32 v[38:39], v[38:39]
	s_mov_b32 s41, 0xbfe62e42
	s_mov_b32 s40, 0xfefa39ef
	v_fma_f64 v[42:43], s[40:41], v[38:39], v[12:13]
	s_mov_b32 s43, 0xbc7abc9e
	s_mov_b32 s42, 0x3b39803f
	;; [unrolled: 1-line block ×3, first 2 shown]
	v_fmac_f64_e32 v[42:43], s[42:43], v[38:39]
	v_mov_b32_e32 v44, 0xfca7ab0c
	v_mov_b32_e32 v45, 0x3e928af3
	s_mov_b32 s17, 0x3e5ade15
	v_fmac_f64_e32 v[44:45], s[16:17], v[42:43]
	v_mov_b32_e32 v46, 0x623fde64
	v_mov_b32_e32 v47, 0x3ec71dee
	v_fmac_f64_e32 v[46:47], v[42:43], v[44:45]
	v_mov_b32_e32 v44, 0x7c89e6b0
	v_mov_b32_e32 v45, 0x3efa0199
	;; [unrolled: 3-line block ×8, first 2 shown]
	v_fmac_f64_e32 v[44:45], v[42:43], v[46:47]
	v_fma_f64 v[44:45], v[42:43], v[44:45], 1.0
	s_mov_b32 s16, 0
	s_mov_b32 s18, 0
	v_fma_f64 v[42:43], v[42:43], v[44:45], 1.0
	v_cvt_i32_f64_e32 v38, v[38:39]
	s_mov_b32 s17, 0x40900000
	s_mov_b32 s19, 0xc090cc00
	v_ldexp_f64 v[38:39], v[42:43], v38
	v_mov_b32_e32 v41, 0x7ff00000
	v_cmp_nlt_f64_e64 s[16:17], s[16:17], v[12:13]
	v_cmp_ngt_f64_e64 s[18:19], s[18:19], v[12:13]
	s_mov_b32 s41, 0x3fe62e42
	v_cndmask_b32_e64 v39, v41, v39, s[16:17]
	s_and_b64 s[16:17], s[18:19], s[16:17]
	v_cndmask_b32_e64 v13, 0, v39, s[18:19]
	v_cndmask_b32_e64 v12, 0, v38, s[16:17]
	v_add_f64 v[38:39], v[12:13], 1.0
	v_add_f64 v[42:43], v[38:39], -1.0
	v_add_f64 v[44:45], v[42:43], -v[38:39]
	v_add_f64 v[44:45], v[44:45], 1.0
	v_add_f64 v[42:43], v[12:13], -v[42:43]
	s_mov_b32 s16, 0x55555555
	v_add_f64 v[42:43], v[42:43], v[44:45]
	v_frexp_mant_f64_e32 v[44:45], v[38:39]
	s_mov_b32 s17, 0x3fe55555
	v_frexp_exp_i32_f64_e32 v46, v[38:39]
	v_cmp_gt_f64_e64 s[16:17], s[16:17], v[44:45]
	s_mov_b32 s43, 0x3c7abc9e
	v_cmp_ngt_f64_e64 s[18:19], -1.0, v[12:13]
	v_subbrev_co_u32_e64 v60, s[16:17], 0, v46, s[16:17]
	v_sub_u32_e32 v44, 0, v60
	v_ldexp_f64 v[38:39], v[38:39], v44
	v_ldexp_f64 v[42:43], v[42:43], v44
	v_add_f64 v[44:45], v[38:39], -1.0
	v_add_f64 v[50:51], v[38:39], 1.0
	v_add_f64 v[46:47], v[44:45], 1.0
	v_add_f64 v[52:53], v[50:51], -1.0
	v_add_f64 v[46:47], v[38:39], -v[46:47]
	v_add_f64 v[38:39], v[38:39], -v[52:53]
	v_add_f64 v[38:39], v[42:43], v[38:39]
	v_add_f64 v[46:47], v[42:43], v[46:47]
	;; [unrolled: 1-line block ×3, first 2 shown]
	v_rcp_f64_e32 v[52:53], v[42:43]
	v_add_f64 v[48:49], v[44:45], v[46:47]
	v_add_f64 v[44:45], v[48:49], -v[44:45]
	v_add_f64 v[44:45], v[46:47], -v[44:45]
	;; [unrolled: 1-line block ×4, first 2 shown]
	v_fma_f64 v[46:47], -v[42:43], v[52:53], 1.0
	v_fmac_f64_e32 v[52:53], v[46:47], v[52:53]
	v_fma_f64 v[46:47], -v[42:43], v[52:53], 1.0
	v_fmac_f64_e32 v[52:53], v[46:47], v[52:53]
	v_mul_f64 v[46:47], v[48:49], v[52:53]
	v_mul_f64 v[50:51], v[42:43], v[46:47]
	v_fma_f64 v[54:55], v[46:47], v[42:43], -v[50:51]
	v_fmac_f64_e32 v[54:55], v[46:47], v[38:39]
	v_add_f64 v[56:57], v[50:51], v[54:55]
	v_add_f64 v[58:59], v[48:49], -v[56:57]
	v_add_f64 v[48:49], v[48:49], -v[58:59]
	;; [unrolled: 1-line block ×4, first 2 shown]
	v_add_f64 v[44:45], v[44:45], v[48:49]
	v_add_f64 v[48:49], v[50:51], -v[54:55]
	v_add_f64 v[44:45], v[48:49], v[44:45]
	v_add_f64 v[48:49], v[58:59], v[44:45]
	v_add_f64 v[50:51], v[58:59], -v[48:49]
	v_add_f64 v[44:45], v[44:45], v[50:51]
	v_mul_f64 v[50:51], v[52:53], v[48:49]
	v_mul_f64 v[54:55], v[42:43], v[50:51]
	v_fma_f64 v[42:43], v[50:51], v[42:43], -v[54:55]
	v_fmac_f64_e32 v[42:43], v[50:51], v[38:39]
	v_add_f64 v[38:39], v[54:55], v[42:43]
	v_add_f64 v[56:57], v[48:49], -v[38:39]
	v_add_f64 v[48:49], v[48:49], -v[56:57]
	;; [unrolled: 1-line block ×4, first 2 shown]
	v_add_f64 v[38:39], v[44:45], v[38:39]
	v_add_f64 v[42:43], v[54:55], -v[42:43]
	v_add_f64 v[38:39], v[42:43], v[38:39]
	v_add_f64 v[42:43], v[46:47], v[50:51]
	;; [unrolled: 1-line block ×3, first 2 shown]
	v_add_f64 v[44:45], v[42:43], -v[46:47]
	v_mul_f64 v[38:39], v[52:53], v[38:39]
	v_add_f64 v[44:45], v[50:51], -v[44:45]
	v_add_f64 v[38:39], v[44:45], v[38:39]
	v_add_f64 v[44:45], v[42:43], v[38:39]
	v_add_f64 v[42:43], v[44:45], -v[42:43]
	s_mov_b32 s16, 0xbf559e2b
	v_add_f64 v[38:39], v[38:39], -v[42:43]
	v_mul_f64 v[42:43], v[44:45], v[44:45]
	v_mov_b32_e32 v46, 0x6b47b09a
	v_mov_b32_e32 v47, 0x3fc38538
	s_mov_b32 s17, 0x3fc3ab76
	v_fmac_f64_e32 v[46:47], s[16:17], v[42:43]
	v_mov_b32_e32 v48, 0xd7f4df2e
	v_mov_b32_e32 v49, 0x3fc7474d
	v_fmac_f64_e32 v[48:49], v[42:43], v[46:47]
	v_mov_b32_e32 v46, 0x16291751
	v_mov_b32_e32 v47, 0x3fcc71c0
	;; [unrolled: 3-line block ×5, first 2 shown]
	v_fmac_f64_e32 v[48:49], v[42:43], v[46:47]
	v_cvt_f64_i32_e32 v[46:47], v60
	v_mul_f64 v[50:51], v[46:47], s[40:41]
	v_fma_f64 v[52:53], v[46:47], s[40:41], -v[50:51]
	v_fmac_f64_e32 v[52:53], s[42:43], v[46:47]
	v_add_f64 v[46:47], v[50:51], v[52:53]
	v_add_f64 v[50:51], v[46:47], -v[50:51]
	v_mul_f64 v[42:43], v[44:45], v[42:43]
	v_add_f64 v[50:51], v[52:53], -v[50:51]
	v_ldexp_f64 v[52:53], v[44:45], 1
	v_mul_f64 v[42:43], v[42:43], v[48:49]
	v_add_f64 v[44:45], v[52:53], v[42:43]
	v_add_f64 v[48:49], v[44:45], -v[52:53]
	v_ldexp_f64 v[38:39], v[38:39], 1
	v_add_f64 v[42:43], v[42:43], -v[48:49]
	v_add_f64 v[38:39], v[38:39], v[42:43]
	v_add_f64 v[42:43], v[44:45], v[38:39]
	v_add_f64 v[44:45], v[42:43], -v[44:45]
	v_add_f64 v[38:39], v[38:39], -v[44:45]
	v_add_f64 v[44:45], v[46:47], v[42:43]
	v_add_f64 v[48:49], v[44:45], -v[46:47]
	v_add_f64 v[52:53], v[44:45], -v[48:49]
	;; [unrolled: 1-line block ×4, first 2 shown]
	v_add_f64 v[42:43], v[42:43], v[46:47]
	v_add_f64 v[46:47], v[50:51], v[38:39]
	v_add_f64 v[48:49], v[46:47], -v[50:51]
	v_add_f64 v[42:43], v[46:47], v[42:43]
	v_add_f64 v[52:53], v[46:47], -v[48:49]
	;; [unrolled: 2-line block ×3, first 2 shown]
	v_add_f64 v[38:39], v[38:39], -v[48:49]
	v_add_f64 v[44:45], v[46:47], -v[44:45]
	v_add_f64 v[38:39], v[38:39], v[50:51]
	v_add_f64 v[42:43], v[42:43], -v[44:45]
	s_mov_b32 s16, 0
	v_add_f64 v[38:39], v[38:39], v[42:43]
	s_mov_b32 s17, 0x7ff00000
	v_add_f64 v[38:39], v[46:47], v[38:39]
	v_cmp_neq_f64_e64 s[16:17], s[16:17], v[12:13]
	s_nop 1
	v_cndmask_b32_e64 v39, v41, v39, s[16:17]
	v_mov_b32_e32 v41, 0x7ff80000
	v_cndmask_b32_e64 v39, v41, v39, s[18:19]
	v_cmp_nge_f64_e64 s[18:19], -1.0, v[12:13]
	s_and_b64 s[16:17], s[18:19], s[16:17]
	v_cndmask_b32_e64 v38, 0, v38, s[16:17]
	v_mov_b32_e32 v41, 0xfff00000
	v_cmp_neq_f64_e64 s[16:17], -1.0, v[12:13]
	s_nop 1
	v_cndmask_b32_e64 v39, v41, v39, s[16:17]
	v_add_f64 v[12:13], v[8:9], v[38:39]
.LBB1_49:
	s_or_b64 exec, exec, s[38:39]
	v_mov_b64_e32 v[8:9], v[12:13]
	v_mov_b32_e32 v38, v12
	v_mov_b32_e32 v39, v13
.LBB1_50:
	s_or_b64 exec, exec, s[36:37]
	v_and_b32_e32 v41, 16, v40
	v_mov_b32_dpp v12, v38 row_bcast:15 row_mask:0xf bank_mask:0xf
	v_mov_b32_dpp v13, v39 row_bcast:15 row_mask:0xf bank_mask:0xf
	v_cmp_ne_u32_e64 s[16:17], 0, v41
	s_and_saveexec_b64 s[36:37], s[16:17]
	s_cbranch_execz .LBB1_54
; %bb.51:
	v_max_f64 v[42:43], v[12:13], v[12:13]
	v_max_f64 v[44:45], v[8:9], v[8:9]
	v_min_f64 v[38:39], v[42:43], v[44:45]
	v_cmp_u_f64_e64 s[16:17], v[12:13], v[12:13]
	v_max_f64 v[42:43], v[42:43], v[44:45]
	v_cmp_u_f64_e64 s[18:19], v[8:9], v[8:9]
	v_cndmask_b32_e64 v39, v39, v13, s[16:17]
	v_cndmask_b32_e64 v38, v38, v12, s[16:17]
	;; [unrolled: 1-line block ×8, first 2 shown]
	v_cmp_neq_f64_e64 s[16:17], v[38:39], v[8:9]
	v_cmp_class_f64_e64 s[18:19], v[38:39], s3
	s_or_b64 s[16:17], s[16:17], s[18:19]
	s_and_saveexec_b64 s[38:39], s[16:17]
	s_cbranch_execz .LBB1_53
; %bb.52:
	s_mov_b32 s16, 0x652b82fe
	v_add_f64 v[12:13], v[38:39], -v[8:9]
	s_mov_b32 s17, 0x3ff71547
	v_mul_f64 v[38:39], v[12:13], s[16:17]
	v_rndne_f64_e32 v[38:39], v[38:39]
	s_mov_b32 s41, 0xbfe62e42
	s_mov_b32 s40, 0xfefa39ef
	v_fma_f64 v[42:43], s[40:41], v[38:39], v[12:13]
	s_mov_b32 s43, 0xbc7abc9e
	s_mov_b32 s42, 0x3b39803f
	;; [unrolled: 1-line block ×3, first 2 shown]
	v_fmac_f64_e32 v[42:43], s[42:43], v[38:39]
	v_mov_b32_e32 v44, 0xfca7ab0c
	v_mov_b32_e32 v45, 0x3e928af3
	s_mov_b32 s17, 0x3e5ade15
	v_fmac_f64_e32 v[44:45], s[16:17], v[42:43]
	v_mov_b32_e32 v46, 0x623fde64
	v_mov_b32_e32 v47, 0x3ec71dee
	v_fmac_f64_e32 v[46:47], v[42:43], v[44:45]
	v_mov_b32_e32 v44, 0x7c89e6b0
	v_mov_b32_e32 v45, 0x3efa0199
	;; [unrolled: 3-line block ×8, first 2 shown]
	v_fmac_f64_e32 v[44:45], v[42:43], v[46:47]
	v_fma_f64 v[44:45], v[42:43], v[44:45], 1.0
	s_mov_b32 s16, 0
	s_mov_b32 s18, 0
	v_fma_f64 v[42:43], v[42:43], v[44:45], 1.0
	v_cvt_i32_f64_e32 v38, v[38:39]
	s_mov_b32 s17, 0x40900000
	s_mov_b32 s19, 0xc090cc00
	v_ldexp_f64 v[38:39], v[42:43], v38
	v_mov_b32_e32 v41, 0x7ff00000
	v_cmp_nlt_f64_e64 s[16:17], s[16:17], v[12:13]
	v_cmp_ngt_f64_e64 s[18:19], s[18:19], v[12:13]
	s_mov_b32 s41, 0x3fe62e42
	v_cndmask_b32_e64 v39, v41, v39, s[16:17]
	s_and_b64 s[16:17], s[18:19], s[16:17]
	v_cndmask_b32_e64 v13, 0, v39, s[18:19]
	v_cndmask_b32_e64 v12, 0, v38, s[16:17]
	v_add_f64 v[38:39], v[12:13], 1.0
	v_add_f64 v[42:43], v[38:39], -1.0
	v_add_f64 v[44:45], v[42:43], -v[38:39]
	v_add_f64 v[44:45], v[44:45], 1.0
	v_add_f64 v[42:43], v[12:13], -v[42:43]
	s_mov_b32 s16, 0x55555555
	v_add_f64 v[42:43], v[42:43], v[44:45]
	v_frexp_mant_f64_e32 v[44:45], v[38:39]
	s_mov_b32 s17, 0x3fe55555
	v_frexp_exp_i32_f64_e32 v46, v[38:39]
	v_cmp_gt_f64_e64 s[16:17], s[16:17], v[44:45]
	s_mov_b32 s43, 0x3c7abc9e
	v_cmp_ngt_f64_e64 s[18:19], -1.0, v[12:13]
	v_subbrev_co_u32_e64 v60, s[16:17], 0, v46, s[16:17]
	v_sub_u32_e32 v44, 0, v60
	v_ldexp_f64 v[38:39], v[38:39], v44
	v_ldexp_f64 v[42:43], v[42:43], v44
	v_add_f64 v[44:45], v[38:39], -1.0
	v_add_f64 v[50:51], v[38:39], 1.0
	v_add_f64 v[46:47], v[44:45], 1.0
	v_add_f64 v[52:53], v[50:51], -1.0
	v_add_f64 v[46:47], v[38:39], -v[46:47]
	v_add_f64 v[38:39], v[38:39], -v[52:53]
	v_add_f64 v[38:39], v[42:43], v[38:39]
	v_add_f64 v[46:47], v[42:43], v[46:47]
	;; [unrolled: 1-line block ×3, first 2 shown]
	v_rcp_f64_e32 v[52:53], v[42:43]
	v_add_f64 v[48:49], v[44:45], v[46:47]
	v_add_f64 v[44:45], v[48:49], -v[44:45]
	v_add_f64 v[44:45], v[46:47], -v[44:45]
	;; [unrolled: 1-line block ×4, first 2 shown]
	v_fma_f64 v[46:47], -v[42:43], v[52:53], 1.0
	v_fmac_f64_e32 v[52:53], v[46:47], v[52:53]
	v_fma_f64 v[46:47], -v[42:43], v[52:53], 1.0
	v_fmac_f64_e32 v[52:53], v[46:47], v[52:53]
	v_mul_f64 v[46:47], v[48:49], v[52:53]
	v_mul_f64 v[50:51], v[42:43], v[46:47]
	v_fma_f64 v[54:55], v[46:47], v[42:43], -v[50:51]
	v_fmac_f64_e32 v[54:55], v[46:47], v[38:39]
	v_add_f64 v[56:57], v[50:51], v[54:55]
	v_add_f64 v[58:59], v[48:49], -v[56:57]
	v_add_f64 v[48:49], v[48:49], -v[58:59]
	;; [unrolled: 1-line block ×4, first 2 shown]
	v_add_f64 v[44:45], v[44:45], v[48:49]
	v_add_f64 v[48:49], v[50:51], -v[54:55]
	v_add_f64 v[44:45], v[48:49], v[44:45]
	v_add_f64 v[48:49], v[58:59], v[44:45]
	v_add_f64 v[50:51], v[58:59], -v[48:49]
	v_add_f64 v[44:45], v[44:45], v[50:51]
	v_mul_f64 v[50:51], v[52:53], v[48:49]
	v_mul_f64 v[54:55], v[42:43], v[50:51]
	v_fma_f64 v[42:43], v[50:51], v[42:43], -v[54:55]
	v_fmac_f64_e32 v[42:43], v[50:51], v[38:39]
	v_add_f64 v[38:39], v[54:55], v[42:43]
	v_add_f64 v[56:57], v[48:49], -v[38:39]
	v_add_f64 v[48:49], v[48:49], -v[56:57]
	;; [unrolled: 1-line block ×4, first 2 shown]
	v_add_f64 v[38:39], v[44:45], v[38:39]
	v_add_f64 v[42:43], v[54:55], -v[42:43]
	v_add_f64 v[38:39], v[42:43], v[38:39]
	v_add_f64 v[42:43], v[46:47], v[50:51]
	;; [unrolled: 1-line block ×3, first 2 shown]
	v_add_f64 v[44:45], v[42:43], -v[46:47]
	v_mul_f64 v[38:39], v[52:53], v[38:39]
	v_add_f64 v[44:45], v[50:51], -v[44:45]
	v_add_f64 v[38:39], v[44:45], v[38:39]
	v_add_f64 v[44:45], v[42:43], v[38:39]
	v_add_f64 v[42:43], v[44:45], -v[42:43]
	s_mov_b32 s16, 0xbf559e2b
	v_add_f64 v[38:39], v[38:39], -v[42:43]
	v_mul_f64 v[42:43], v[44:45], v[44:45]
	v_mov_b32_e32 v46, 0x6b47b09a
	v_mov_b32_e32 v47, 0x3fc38538
	s_mov_b32 s17, 0x3fc3ab76
	v_fmac_f64_e32 v[46:47], s[16:17], v[42:43]
	v_mov_b32_e32 v48, 0xd7f4df2e
	v_mov_b32_e32 v49, 0x3fc7474d
	v_fmac_f64_e32 v[48:49], v[42:43], v[46:47]
	v_mov_b32_e32 v46, 0x16291751
	v_mov_b32_e32 v47, 0x3fcc71c0
	;; [unrolled: 3-line block ×5, first 2 shown]
	v_fmac_f64_e32 v[48:49], v[42:43], v[46:47]
	v_cvt_f64_i32_e32 v[46:47], v60
	v_mul_f64 v[50:51], v[46:47], s[40:41]
	v_fma_f64 v[52:53], v[46:47], s[40:41], -v[50:51]
	v_fmac_f64_e32 v[52:53], s[42:43], v[46:47]
	v_add_f64 v[46:47], v[50:51], v[52:53]
	v_add_f64 v[50:51], v[46:47], -v[50:51]
	v_mul_f64 v[42:43], v[44:45], v[42:43]
	v_add_f64 v[50:51], v[52:53], -v[50:51]
	v_ldexp_f64 v[52:53], v[44:45], 1
	v_mul_f64 v[42:43], v[42:43], v[48:49]
	v_add_f64 v[44:45], v[52:53], v[42:43]
	v_add_f64 v[48:49], v[44:45], -v[52:53]
	v_ldexp_f64 v[38:39], v[38:39], 1
	v_add_f64 v[42:43], v[42:43], -v[48:49]
	v_add_f64 v[38:39], v[38:39], v[42:43]
	v_add_f64 v[42:43], v[44:45], v[38:39]
	v_add_f64 v[44:45], v[42:43], -v[44:45]
	v_add_f64 v[38:39], v[38:39], -v[44:45]
	v_add_f64 v[44:45], v[46:47], v[42:43]
	v_add_f64 v[48:49], v[44:45], -v[46:47]
	v_add_f64 v[52:53], v[44:45], -v[48:49]
	;; [unrolled: 1-line block ×4, first 2 shown]
	v_add_f64 v[42:43], v[42:43], v[46:47]
	v_add_f64 v[46:47], v[50:51], v[38:39]
	v_add_f64 v[48:49], v[46:47], -v[50:51]
	v_add_f64 v[42:43], v[46:47], v[42:43]
	v_add_f64 v[52:53], v[46:47], -v[48:49]
	;; [unrolled: 2-line block ×3, first 2 shown]
	v_add_f64 v[38:39], v[38:39], -v[48:49]
	v_add_f64 v[44:45], v[46:47], -v[44:45]
	v_add_f64 v[38:39], v[38:39], v[50:51]
	v_add_f64 v[42:43], v[42:43], -v[44:45]
	s_mov_b32 s16, 0
	v_add_f64 v[38:39], v[38:39], v[42:43]
	s_mov_b32 s17, 0x7ff00000
	v_add_f64 v[38:39], v[46:47], v[38:39]
	v_cmp_neq_f64_e64 s[16:17], s[16:17], v[12:13]
	s_nop 1
	v_cndmask_b32_e64 v39, v41, v39, s[16:17]
	v_mov_b32_e32 v41, 0x7ff80000
	v_cndmask_b32_e64 v39, v41, v39, s[18:19]
	v_cmp_nge_f64_e64 s[18:19], -1.0, v[12:13]
	s_and_b64 s[16:17], s[18:19], s[16:17]
	v_cndmask_b32_e64 v38, 0, v38, s[16:17]
	v_mov_b32_e32 v41, 0xfff00000
	v_cmp_neq_f64_e64 s[16:17], -1.0, v[12:13]
	s_nop 1
	v_cndmask_b32_e64 v39, v41, v39, s[16:17]
	v_add_f64 v[12:13], v[8:9], v[38:39]
.LBB1_53:
	s_or_b64 exec, exec, s[38:39]
	v_mov_b32_e32 v38, v12
	v_mov_b32_e32 v39, v13
	v_mov_b64_e32 v[8:9], v[12:13]
.LBB1_54:
	s_or_b64 exec, exec, s[36:37]
	v_mov_b32_dpp v12, v38 row_bcast:31 row_mask:0xf bank_mask:0xf
	v_mov_b32_dpp v13, v39 row_bcast:31 row_mask:0xf bank_mask:0xf
	v_cmp_lt_u32_e64 s[16:17], 31, v40
	s_and_saveexec_b64 s[36:37], s[16:17]
	s_cbranch_execz .LBB1_58
; %bb.55:
	v_max_f64 v[42:43], v[12:13], v[12:13]
	v_max_f64 v[44:45], v[8:9], v[8:9]
	v_min_f64 v[38:39], v[42:43], v[44:45]
	v_cmp_u_f64_e64 s[16:17], v[12:13], v[12:13]
	v_max_f64 v[42:43], v[42:43], v[44:45]
	v_cmp_u_f64_e64 s[18:19], v[8:9], v[8:9]
	v_cndmask_b32_e64 v39, v39, v13, s[16:17]
	v_cndmask_b32_e64 v38, v38, v12, s[16:17]
	;; [unrolled: 1-line block ×8, first 2 shown]
	v_cmp_neq_f64_e64 s[16:17], v[38:39], v[8:9]
	v_cmp_class_f64_e64 s[18:19], v[38:39], s3
	s_or_b64 s[16:17], s[16:17], s[18:19]
	s_and_saveexec_b64 s[38:39], s[16:17]
	s_cbranch_execz .LBB1_57
; %bb.56:
	s_mov_b32 s16, 0x652b82fe
	v_add_f64 v[12:13], v[38:39], -v[8:9]
	s_mov_b32 s17, 0x3ff71547
	v_mul_f64 v[38:39], v[12:13], s[16:17]
	v_rndne_f64_e32 v[38:39], v[38:39]
	s_mov_b32 s41, 0xbfe62e42
	s_mov_b32 s40, 0xfefa39ef
	v_fma_f64 v[42:43], s[40:41], v[38:39], v[12:13]
	s_mov_b32 s43, 0xbc7abc9e
	s_mov_b32 s42, 0x3b39803f
	;; [unrolled: 1-line block ×3, first 2 shown]
	v_fmac_f64_e32 v[42:43], s[42:43], v[38:39]
	v_mov_b32_e32 v44, 0xfca7ab0c
	v_mov_b32_e32 v45, 0x3e928af3
	s_mov_b32 s17, 0x3e5ade15
	v_fmac_f64_e32 v[44:45], s[16:17], v[42:43]
	v_mov_b32_e32 v46, 0x623fde64
	v_mov_b32_e32 v47, 0x3ec71dee
	v_fmac_f64_e32 v[46:47], v[42:43], v[44:45]
	v_mov_b32_e32 v44, 0x7c89e6b0
	v_mov_b32_e32 v45, 0x3efa0199
	;; [unrolled: 3-line block ×8, first 2 shown]
	v_fmac_f64_e32 v[44:45], v[42:43], v[46:47]
	v_fma_f64 v[44:45], v[42:43], v[44:45], 1.0
	s_mov_b32 s16, 0
	s_mov_b32 s18, 0
	v_fma_f64 v[42:43], v[42:43], v[44:45], 1.0
	v_cvt_i32_f64_e32 v38, v[38:39]
	s_mov_b32 s17, 0x40900000
	s_mov_b32 s19, 0xc090cc00
	v_ldexp_f64 v[38:39], v[42:43], v38
	v_mov_b32_e32 v41, 0x7ff00000
	v_cmp_nlt_f64_e64 s[16:17], s[16:17], v[12:13]
	v_cmp_ngt_f64_e64 s[18:19], s[18:19], v[12:13]
	s_mov_b32 s41, 0x3fe62e42
	v_cndmask_b32_e64 v39, v41, v39, s[16:17]
	s_and_b64 s[16:17], s[18:19], s[16:17]
	v_cndmask_b32_e64 v13, 0, v39, s[18:19]
	v_cndmask_b32_e64 v12, 0, v38, s[16:17]
	v_add_f64 v[38:39], v[12:13], 1.0
	v_add_f64 v[42:43], v[38:39], -1.0
	v_add_f64 v[44:45], v[42:43], -v[38:39]
	v_add_f64 v[44:45], v[44:45], 1.0
	v_add_f64 v[42:43], v[12:13], -v[42:43]
	s_mov_b32 s16, 0x55555555
	v_add_f64 v[42:43], v[42:43], v[44:45]
	v_frexp_mant_f64_e32 v[44:45], v[38:39]
	s_mov_b32 s17, 0x3fe55555
	v_frexp_exp_i32_f64_e32 v46, v[38:39]
	v_cmp_gt_f64_e64 s[16:17], s[16:17], v[44:45]
	s_mov_b32 s43, 0x3c7abc9e
	v_cmp_ngt_f64_e64 s[18:19], -1.0, v[12:13]
	v_subbrev_co_u32_e64 v60, s[16:17], 0, v46, s[16:17]
	v_sub_u32_e32 v44, 0, v60
	v_ldexp_f64 v[38:39], v[38:39], v44
	v_ldexp_f64 v[42:43], v[42:43], v44
	v_add_f64 v[44:45], v[38:39], -1.0
	v_add_f64 v[50:51], v[38:39], 1.0
	v_add_f64 v[46:47], v[44:45], 1.0
	v_add_f64 v[52:53], v[50:51], -1.0
	v_add_f64 v[46:47], v[38:39], -v[46:47]
	v_add_f64 v[38:39], v[38:39], -v[52:53]
	v_add_f64 v[38:39], v[42:43], v[38:39]
	v_add_f64 v[46:47], v[42:43], v[46:47]
	;; [unrolled: 1-line block ×3, first 2 shown]
	v_rcp_f64_e32 v[52:53], v[42:43]
	v_add_f64 v[48:49], v[44:45], v[46:47]
	v_add_f64 v[44:45], v[48:49], -v[44:45]
	v_add_f64 v[44:45], v[46:47], -v[44:45]
	;; [unrolled: 1-line block ×4, first 2 shown]
	v_fma_f64 v[46:47], -v[42:43], v[52:53], 1.0
	v_fmac_f64_e32 v[52:53], v[46:47], v[52:53]
	v_fma_f64 v[46:47], -v[42:43], v[52:53], 1.0
	v_fmac_f64_e32 v[52:53], v[46:47], v[52:53]
	v_mul_f64 v[46:47], v[48:49], v[52:53]
	v_mul_f64 v[50:51], v[42:43], v[46:47]
	v_fma_f64 v[54:55], v[46:47], v[42:43], -v[50:51]
	v_fmac_f64_e32 v[54:55], v[46:47], v[38:39]
	v_add_f64 v[56:57], v[50:51], v[54:55]
	v_add_f64 v[58:59], v[48:49], -v[56:57]
	v_add_f64 v[48:49], v[48:49], -v[58:59]
	v_add_f64 v[50:51], v[56:57], -v[50:51]
	v_add_f64 v[48:49], v[48:49], -v[56:57]
	v_add_f64 v[44:45], v[44:45], v[48:49]
	v_add_f64 v[48:49], v[50:51], -v[54:55]
	v_add_f64 v[44:45], v[48:49], v[44:45]
	v_add_f64 v[48:49], v[58:59], v[44:45]
	v_add_f64 v[50:51], v[58:59], -v[48:49]
	v_add_f64 v[44:45], v[44:45], v[50:51]
	v_mul_f64 v[50:51], v[52:53], v[48:49]
	v_mul_f64 v[54:55], v[42:43], v[50:51]
	v_fma_f64 v[42:43], v[50:51], v[42:43], -v[54:55]
	v_fmac_f64_e32 v[42:43], v[50:51], v[38:39]
	v_add_f64 v[38:39], v[54:55], v[42:43]
	v_add_f64 v[56:57], v[48:49], -v[38:39]
	v_add_f64 v[48:49], v[48:49], -v[56:57]
	;; [unrolled: 1-line block ×4, first 2 shown]
	v_add_f64 v[38:39], v[44:45], v[38:39]
	v_add_f64 v[42:43], v[54:55], -v[42:43]
	v_add_f64 v[38:39], v[42:43], v[38:39]
	v_add_f64 v[42:43], v[46:47], v[50:51]
	;; [unrolled: 1-line block ×3, first 2 shown]
	v_add_f64 v[44:45], v[42:43], -v[46:47]
	v_mul_f64 v[38:39], v[52:53], v[38:39]
	v_add_f64 v[44:45], v[50:51], -v[44:45]
	v_add_f64 v[38:39], v[44:45], v[38:39]
	v_add_f64 v[44:45], v[42:43], v[38:39]
	v_add_f64 v[42:43], v[44:45], -v[42:43]
	s_mov_b32 s16, 0xbf559e2b
	v_add_f64 v[38:39], v[38:39], -v[42:43]
	v_mul_f64 v[42:43], v[44:45], v[44:45]
	v_mov_b32_e32 v46, 0x6b47b09a
	v_mov_b32_e32 v47, 0x3fc38538
	s_mov_b32 s17, 0x3fc3ab76
	v_fmac_f64_e32 v[46:47], s[16:17], v[42:43]
	v_mov_b32_e32 v48, 0xd7f4df2e
	v_mov_b32_e32 v49, 0x3fc7474d
	v_fmac_f64_e32 v[48:49], v[42:43], v[46:47]
	v_mov_b32_e32 v46, 0x16291751
	v_mov_b32_e32 v47, 0x3fcc71c0
	;; [unrolled: 3-line block ×5, first 2 shown]
	v_fmac_f64_e32 v[48:49], v[42:43], v[46:47]
	v_cvt_f64_i32_e32 v[46:47], v60
	v_mul_f64 v[50:51], v[46:47], s[40:41]
	v_fma_f64 v[52:53], v[46:47], s[40:41], -v[50:51]
	v_fmac_f64_e32 v[52:53], s[42:43], v[46:47]
	v_add_f64 v[46:47], v[50:51], v[52:53]
	v_add_f64 v[50:51], v[46:47], -v[50:51]
	v_mul_f64 v[42:43], v[44:45], v[42:43]
	v_add_f64 v[50:51], v[52:53], -v[50:51]
	v_ldexp_f64 v[52:53], v[44:45], 1
	v_mul_f64 v[42:43], v[42:43], v[48:49]
	v_add_f64 v[44:45], v[52:53], v[42:43]
	v_add_f64 v[48:49], v[44:45], -v[52:53]
	v_ldexp_f64 v[38:39], v[38:39], 1
	v_add_f64 v[42:43], v[42:43], -v[48:49]
	v_add_f64 v[38:39], v[38:39], v[42:43]
	v_add_f64 v[42:43], v[44:45], v[38:39]
	v_add_f64 v[44:45], v[42:43], -v[44:45]
	v_add_f64 v[38:39], v[38:39], -v[44:45]
	v_add_f64 v[44:45], v[46:47], v[42:43]
	v_add_f64 v[48:49], v[44:45], -v[46:47]
	v_add_f64 v[52:53], v[44:45], -v[48:49]
	;; [unrolled: 1-line block ×4, first 2 shown]
	v_add_f64 v[42:43], v[42:43], v[46:47]
	v_add_f64 v[46:47], v[50:51], v[38:39]
	v_add_f64 v[48:49], v[46:47], -v[50:51]
	v_add_f64 v[42:43], v[46:47], v[42:43]
	v_add_f64 v[52:53], v[46:47], -v[48:49]
	;; [unrolled: 2-line block ×3, first 2 shown]
	v_add_f64 v[38:39], v[38:39], -v[48:49]
	v_add_f64 v[44:45], v[46:47], -v[44:45]
	v_add_f64 v[38:39], v[38:39], v[50:51]
	v_add_f64 v[42:43], v[42:43], -v[44:45]
	s_mov_b32 s16, 0
	v_add_f64 v[38:39], v[38:39], v[42:43]
	s_mov_b32 s17, 0x7ff00000
	v_add_f64 v[38:39], v[46:47], v[38:39]
	v_cmp_neq_f64_e64 s[16:17], s[16:17], v[12:13]
	s_nop 1
	v_cndmask_b32_e64 v39, v41, v39, s[16:17]
	v_mov_b32_e32 v41, 0x7ff80000
	v_cndmask_b32_e64 v39, v41, v39, s[18:19]
	v_cmp_nge_f64_e64 s[18:19], -1.0, v[12:13]
	s_and_b64 s[16:17], s[18:19], s[16:17]
	v_cndmask_b32_e64 v38, 0, v38, s[16:17]
	v_mov_b32_e32 v41, 0xfff00000
	v_cmp_neq_f64_e64 s[16:17], -1.0, v[12:13]
	s_nop 1
	v_cndmask_b32_e64 v39, v41, v39, s[16:17]
	v_add_f64 v[12:13], v[8:9], v[38:39]
.LBB1_57:
	s_or_b64 exec, exec, s[38:39]
	v_mov_b64_e32 v[8:9], v[12:13]
.LBB1_58:
	s_or_b64 exec, exec, s[36:37]
	v_add_u32_e32 v12, -1, v40
	v_and_b32_e32 v13, 64, v40
	v_cmp_lt_i32_e64 s[16:17], v12, v13
	s_nop 1
	v_cndmask_b32_e64 v12, v12, v40, s[16:17]
	v_lshlrev_b32_e32 v12, 2, v12
	ds_bpermute_b32 v8, v12, v8
	ds_bpermute_b32 v9, v12, v9
	s_waitcnt lgkmcnt(0)
	v_max_f64 v[38:39], v[8:9], v[8:9]
	v_min_f64 v[12:13], v[38:39], v[10:11]
	v_cmp_u_f64_e64 s[16:17], v[8:9], v[8:9]
	v_max_f64 v[10:11], v[38:39], v[10:11]
	s_nop 0
	v_cndmask_b32_e64 v12, v12, v8, s[16:17]
	v_cndmask_b32_e64 v13, v13, v9, s[16:17]
	;; [unrolled: 1-line block ×8, first 2 shown]
	v_cmp_neq_f64_e64 s[14:15], v[12:13], v[6:7]
	v_cmp_class_f64_e64 s[16:17], v[12:13], s3
	s_or_b64 s[14:15], s[14:15], s[16:17]
	s_and_saveexec_b64 s[18:19], s[14:15]
	s_cbranch_execz .LBB1_60
; %bb.59:
	s_mov_b32 s14, 0x652b82fe
	v_add_f64 v[8:9], v[12:13], -v[6:7]
	s_mov_b32 s15, 0x3ff71547
	v_mul_f64 v[10:11], v[8:9], s[14:15]
	v_rndne_f64_e32 v[10:11], v[10:11]
	s_mov_b32 s37, 0xbfe62e42
	s_mov_b32 s36, 0xfefa39ef
	v_fma_f64 v[12:13], s[36:37], v[10:11], v[8:9]
	s_mov_b32 s39, 0xbc7abc9e
	s_mov_b32 s38, 0x3b39803f
	;; [unrolled: 1-line block ×3, first 2 shown]
	v_fmac_f64_e32 v[12:13], s[38:39], v[10:11]
	v_mov_b32_e32 v38, 0xfca7ab0c
	v_mov_b32_e32 v39, 0x3e928af3
	s_mov_b32 s15, 0x3e5ade15
	v_fmac_f64_e32 v[38:39], s[14:15], v[12:13]
	v_mov_b32_e32 v40, 0x623fde64
	v_mov_b32_e32 v41, 0x3ec71dee
	v_fmac_f64_e32 v[40:41], v[12:13], v[38:39]
	v_mov_b32_e32 v38, 0x7c89e6b0
	v_mov_b32_e32 v39, 0x3efa0199
	;; [unrolled: 3-line block ×8, first 2 shown]
	v_fmac_f64_e32 v[38:39], v[12:13], v[40:41]
	v_fma_f64 v[38:39], v[12:13], v[38:39], 1.0
	s_mov_b32 s14, 0
	s_mov_b32 s16, 0
	v_fma_f64 v[12:13], v[12:13], v[38:39], 1.0
	v_cvt_i32_f64_e32 v10, v[10:11]
	s_mov_b32 s15, 0x40900000
	s_mov_b32 s17, 0xc090cc00
	v_ldexp_f64 v[10:11], v[12:13], v10
	v_mov_b32_e32 v54, 0x7ff00000
	v_cmp_nlt_f64_e64 s[14:15], s[14:15], v[8:9]
	v_cmp_ngt_f64_e64 s[16:17], s[16:17], v[8:9]
	s_mov_b32 s37, 0x3fe62e42
	v_cndmask_b32_e64 v11, v54, v11, s[14:15]
	s_and_b64 s[14:15], s[16:17], s[14:15]
	v_cndmask_b32_e64 v9, 0, v11, s[16:17]
	v_cndmask_b32_e64 v8, 0, v10, s[14:15]
	v_add_f64 v[10:11], v[8:9], 1.0
	v_add_f64 v[12:13], v[10:11], -1.0
	v_add_f64 v[38:39], v[12:13], -v[10:11]
	v_add_f64 v[38:39], v[38:39], 1.0
	v_add_f64 v[12:13], v[8:9], -v[12:13]
	s_mov_b32 s14, 0x55555555
	v_add_f64 v[12:13], v[12:13], v[38:39]
	v_frexp_mant_f64_e32 v[38:39], v[10:11]
	s_mov_b32 s15, 0x3fe55555
	v_frexp_exp_i32_f64_e32 v40, v[10:11]
	v_cmp_gt_f64_e64 s[14:15], s[14:15], v[38:39]
	s_mov_b32 s39, 0x3c7abc9e
	v_cmp_ngt_f64_e64 s[16:17], -1.0, v[8:9]
	v_subbrev_co_u32_e64 v55, s[14:15], 0, v40, s[14:15]
	v_sub_u32_e32 v38, 0, v55
	v_ldexp_f64 v[10:11], v[10:11], v38
	v_ldexp_f64 v[12:13], v[12:13], v38
	v_add_f64 v[38:39], v[10:11], -1.0
	v_add_f64 v[44:45], v[10:11], 1.0
	v_add_f64 v[40:41], v[38:39], 1.0
	v_add_f64 v[46:47], v[44:45], -1.0
	v_add_f64 v[40:41], v[10:11], -v[40:41]
	v_add_f64 v[10:11], v[10:11], -v[46:47]
	v_add_f64 v[10:11], v[12:13], v[10:11]
	v_add_f64 v[40:41], v[12:13], v[40:41]
	;; [unrolled: 1-line block ×3, first 2 shown]
	v_rcp_f64_e32 v[46:47], v[12:13]
	v_add_f64 v[42:43], v[38:39], v[40:41]
	v_add_f64 v[38:39], v[42:43], -v[38:39]
	v_add_f64 v[38:39], v[40:41], -v[38:39]
	;; [unrolled: 1-line block ×4, first 2 shown]
	v_fma_f64 v[40:41], -v[12:13], v[46:47], 1.0
	v_fmac_f64_e32 v[46:47], v[40:41], v[46:47]
	v_fma_f64 v[40:41], -v[12:13], v[46:47], 1.0
	v_fmac_f64_e32 v[46:47], v[40:41], v[46:47]
	v_mul_f64 v[40:41], v[42:43], v[46:47]
	v_mul_f64 v[44:45], v[12:13], v[40:41]
	v_fma_f64 v[48:49], v[40:41], v[12:13], -v[44:45]
	v_fmac_f64_e32 v[48:49], v[40:41], v[10:11]
	v_add_f64 v[50:51], v[44:45], v[48:49]
	v_add_f64 v[52:53], v[42:43], -v[50:51]
	v_add_f64 v[42:43], v[42:43], -v[52:53]
	;; [unrolled: 1-line block ×4, first 2 shown]
	v_add_f64 v[38:39], v[38:39], v[42:43]
	v_add_f64 v[42:43], v[44:45], -v[48:49]
	v_add_f64 v[38:39], v[42:43], v[38:39]
	v_add_f64 v[42:43], v[52:53], v[38:39]
	v_add_f64 v[44:45], v[52:53], -v[42:43]
	v_add_f64 v[38:39], v[38:39], v[44:45]
	v_mul_f64 v[44:45], v[46:47], v[42:43]
	v_mul_f64 v[48:49], v[12:13], v[44:45]
	v_fma_f64 v[12:13], v[44:45], v[12:13], -v[48:49]
	v_fmac_f64_e32 v[12:13], v[44:45], v[10:11]
	v_add_f64 v[10:11], v[48:49], v[12:13]
	v_add_f64 v[50:51], v[42:43], -v[10:11]
	v_add_f64 v[42:43], v[42:43], -v[50:51]
	;; [unrolled: 1-line block ×4, first 2 shown]
	v_add_f64 v[10:11], v[38:39], v[10:11]
	v_add_f64 v[12:13], v[48:49], -v[12:13]
	v_add_f64 v[10:11], v[12:13], v[10:11]
	v_add_f64 v[12:13], v[40:41], v[44:45]
	;; [unrolled: 1-line block ×3, first 2 shown]
	v_add_f64 v[38:39], v[12:13], -v[40:41]
	v_mul_f64 v[10:11], v[46:47], v[10:11]
	v_add_f64 v[38:39], v[44:45], -v[38:39]
	v_add_f64 v[10:11], v[38:39], v[10:11]
	v_add_f64 v[38:39], v[12:13], v[10:11]
	v_add_f64 v[12:13], v[38:39], -v[12:13]
	s_mov_b32 s14, 0xbf559e2b
	v_add_f64 v[10:11], v[10:11], -v[12:13]
	v_mul_f64 v[12:13], v[38:39], v[38:39]
	v_mov_b32_e32 v40, 0x6b47b09a
	v_mov_b32_e32 v41, 0x3fc38538
	s_mov_b32 s15, 0x3fc3ab76
	v_fmac_f64_e32 v[40:41], s[14:15], v[12:13]
	v_mov_b32_e32 v42, 0xd7f4df2e
	v_mov_b32_e32 v43, 0x3fc7474d
	v_fmac_f64_e32 v[42:43], v[12:13], v[40:41]
	v_mov_b32_e32 v40, 0x16291751
	v_mov_b32_e32 v41, 0x3fcc71c0
	;; [unrolled: 3-line block ×5, first 2 shown]
	v_fmac_f64_e32 v[42:43], v[12:13], v[40:41]
	v_cvt_f64_i32_e32 v[40:41], v55
	v_mul_f64 v[44:45], v[40:41], s[36:37]
	v_fma_f64 v[46:47], v[40:41], s[36:37], -v[44:45]
	v_fmac_f64_e32 v[46:47], s[38:39], v[40:41]
	v_add_f64 v[40:41], v[44:45], v[46:47]
	v_add_f64 v[44:45], v[40:41], -v[44:45]
	v_mul_f64 v[12:13], v[38:39], v[12:13]
	v_add_f64 v[44:45], v[46:47], -v[44:45]
	v_ldexp_f64 v[46:47], v[38:39], 1
	v_mul_f64 v[12:13], v[12:13], v[42:43]
	v_add_f64 v[38:39], v[46:47], v[12:13]
	v_add_f64 v[42:43], v[38:39], -v[46:47]
	v_ldexp_f64 v[10:11], v[10:11], 1
	v_add_f64 v[12:13], v[12:13], -v[42:43]
	v_add_f64 v[10:11], v[10:11], v[12:13]
	v_add_f64 v[12:13], v[38:39], v[10:11]
	v_add_f64 v[38:39], v[12:13], -v[38:39]
	v_add_f64 v[10:11], v[10:11], -v[38:39]
	v_add_f64 v[38:39], v[40:41], v[12:13]
	v_add_f64 v[42:43], v[38:39], -v[40:41]
	v_add_f64 v[46:47], v[38:39], -v[42:43]
	;; [unrolled: 1-line block ×4, first 2 shown]
	v_add_f64 v[12:13], v[12:13], v[40:41]
	v_add_f64 v[40:41], v[44:45], v[10:11]
	v_add_f64 v[42:43], v[40:41], -v[44:45]
	v_add_f64 v[12:13], v[40:41], v[12:13]
	v_add_f64 v[46:47], v[40:41], -v[42:43]
	;; [unrolled: 2-line block ×3, first 2 shown]
	v_add_f64 v[10:11], v[10:11], -v[42:43]
	v_add_f64 v[38:39], v[40:41], -v[38:39]
	v_add_f64 v[10:11], v[10:11], v[44:45]
	v_add_f64 v[12:13], v[12:13], -v[38:39]
	s_mov_b32 s14, 0
	v_add_f64 v[10:11], v[10:11], v[12:13]
	s_mov_b32 s15, 0x7ff00000
	v_add_f64 v[10:11], v[40:41], v[10:11]
	v_cmp_neq_f64_e64 s[14:15], s[14:15], v[8:9]
	v_mov_b32_e32 v12, 0x7ff80000
	s_nop 0
	v_cndmask_b32_e64 v11, v54, v11, s[14:15]
	v_cndmask_b32_e64 v11, v12, v11, s[16:17]
	v_cmp_nge_f64_e64 s[16:17], -1.0, v[8:9]
	s_and_b64 s[14:15], s[16:17], s[14:15]
	v_cndmask_b32_e64 v10, 0, v10, s[14:15]
	v_mov_b32_e32 v12, 0xfff00000
	v_cmp_neq_f64_e64 s[14:15], -1.0, v[8:9]
	s_nop 1
	v_cndmask_b32_e64 v11, v12, v11, s[14:15]
	v_add_f64 v[8:9], v[6:7], v[10:11]
.LBB1_60:
	s_or_b64 exec, exec, s[18:19]
	v_cmp_eq_u32_e64 s[14:15], 0, v0
	; wave barrier
	s_nop 1
	v_cndmask_b32_e64 v9, v9, v37, s[14:15]
	v_cndmask_b32_e64 v8, v8, v36, s[14:15]
	ds_write_b64 v31, v[8:9]
	; wave barrier
	ds_read_b64 v[6:7], v31 offset:8
	v_max_f64 v[12:13], v[8:9], v[8:9]
	v_cmp_u_f64_e64 s[14:15], v[8:9], v[8:9]
	s_waitcnt lgkmcnt(0)
	v_max_f64 v[38:39], v[6:7], v[6:7]
	v_min_f64 v[10:11], v[12:13], v[38:39]
	v_max_f64 v[12:13], v[12:13], v[38:39]
	v_cndmask_b32_e64 v10, v10, v8, s[14:15]
	v_cndmask_b32_e64 v11, v11, v9, s[14:15]
	v_cmp_u_f64_e64 s[16:17], v[6:7], v[6:7]
	v_cndmask_b32_e64 v12, v12, v8, s[14:15]
	v_cndmask_b32_e64 v13, v13, v9, s[14:15]
	v_cndmask_b32_e64 v11, v11, v7, s[16:17]
	v_cndmask_b32_e64 v10, v10, v6, s[16:17]
	v_cndmask_b32_e64 v7, v13, v7, s[16:17]
	v_cndmask_b32_e64 v6, v12, v6, s[16:17]
	v_cmp_neq_f64_e64 s[14:15], v[10:11], v[6:7]
	v_cmp_class_f64_e64 s[16:17], v[10:11], s3
	s_or_b64 s[14:15], s[14:15], s[16:17]
	s_and_saveexec_b64 s[18:19], s[14:15]
	s_cbranch_execz .LBB1_62
; %bb.61:
	s_mov_b32 s14, 0x652b82fe
	v_add_f64 v[8:9], v[10:11], -v[6:7]
	s_mov_b32 s15, 0x3ff71547
	v_mul_f64 v[10:11], v[8:9], s[14:15]
	v_rndne_f64_e32 v[10:11], v[10:11]
	s_mov_b32 s37, 0xbfe62e42
	s_mov_b32 s36, 0xfefa39ef
	v_fma_f64 v[12:13], s[36:37], v[10:11], v[8:9]
	s_mov_b32 s39, 0xbc7abc9e
	s_mov_b32 s38, 0x3b39803f
	;; [unrolled: 1-line block ×3, first 2 shown]
	v_fmac_f64_e32 v[12:13], s[38:39], v[10:11]
	v_mov_b32_e32 v38, 0xfca7ab0c
	v_mov_b32_e32 v39, 0x3e928af3
	s_mov_b32 s15, 0x3e5ade15
	v_fmac_f64_e32 v[38:39], s[14:15], v[12:13]
	v_mov_b32_e32 v40, 0x623fde64
	v_mov_b32_e32 v41, 0x3ec71dee
	v_fmac_f64_e32 v[40:41], v[12:13], v[38:39]
	v_mov_b32_e32 v38, 0x7c89e6b0
	v_mov_b32_e32 v39, 0x3efa0199
	;; [unrolled: 3-line block ×8, first 2 shown]
	v_fmac_f64_e32 v[38:39], v[12:13], v[40:41]
	v_fma_f64 v[38:39], v[12:13], v[38:39], 1.0
	s_mov_b32 s14, 0
	s_mov_b32 s16, 0
	v_fma_f64 v[12:13], v[12:13], v[38:39], 1.0
	v_cvt_i32_f64_e32 v10, v[10:11]
	s_mov_b32 s15, 0x40900000
	s_mov_b32 s17, 0xc090cc00
	v_ldexp_f64 v[10:11], v[12:13], v10
	v_mov_b32_e32 v54, 0x7ff00000
	v_cmp_nlt_f64_e64 s[14:15], s[14:15], v[8:9]
	v_cmp_ngt_f64_e64 s[16:17], s[16:17], v[8:9]
	s_mov_b32 s37, 0x3fe62e42
	v_cndmask_b32_e64 v11, v54, v11, s[14:15]
	s_and_b64 s[14:15], s[16:17], s[14:15]
	v_cndmask_b32_e64 v9, 0, v11, s[16:17]
	v_cndmask_b32_e64 v8, 0, v10, s[14:15]
	v_add_f64 v[10:11], v[8:9], 1.0
	v_add_f64 v[12:13], v[10:11], -1.0
	v_add_f64 v[38:39], v[12:13], -v[10:11]
	v_add_f64 v[38:39], v[38:39], 1.0
	v_add_f64 v[12:13], v[8:9], -v[12:13]
	s_mov_b32 s14, 0x55555555
	v_add_f64 v[12:13], v[12:13], v[38:39]
	v_frexp_mant_f64_e32 v[38:39], v[10:11]
	s_mov_b32 s15, 0x3fe55555
	v_frexp_exp_i32_f64_e32 v40, v[10:11]
	v_cmp_gt_f64_e64 s[14:15], s[14:15], v[38:39]
	s_mov_b32 s39, 0x3c7abc9e
	v_cmp_ngt_f64_e64 s[16:17], -1.0, v[8:9]
	v_subbrev_co_u32_e64 v55, s[14:15], 0, v40, s[14:15]
	v_sub_u32_e32 v38, 0, v55
	v_ldexp_f64 v[10:11], v[10:11], v38
	v_ldexp_f64 v[12:13], v[12:13], v38
	v_add_f64 v[38:39], v[10:11], -1.0
	v_add_f64 v[44:45], v[10:11], 1.0
	v_add_f64 v[40:41], v[38:39], 1.0
	v_add_f64 v[46:47], v[44:45], -1.0
	v_add_f64 v[40:41], v[10:11], -v[40:41]
	v_add_f64 v[10:11], v[10:11], -v[46:47]
	v_add_f64 v[10:11], v[12:13], v[10:11]
	v_add_f64 v[40:41], v[12:13], v[40:41]
	v_add_f64 v[12:13], v[44:45], v[10:11]
	v_rcp_f64_e32 v[46:47], v[12:13]
	v_add_f64 v[42:43], v[38:39], v[40:41]
	v_add_f64 v[38:39], v[42:43], -v[38:39]
	v_add_f64 v[38:39], v[40:41], -v[38:39]
	v_add_f64 v[40:41], v[12:13], -v[44:45]
	v_add_f64 v[10:11], v[10:11], -v[40:41]
	v_fma_f64 v[40:41], -v[12:13], v[46:47], 1.0
	v_fmac_f64_e32 v[46:47], v[40:41], v[46:47]
	v_fma_f64 v[40:41], -v[12:13], v[46:47], 1.0
	v_fmac_f64_e32 v[46:47], v[40:41], v[46:47]
	v_mul_f64 v[40:41], v[42:43], v[46:47]
	v_mul_f64 v[44:45], v[12:13], v[40:41]
	v_fma_f64 v[48:49], v[40:41], v[12:13], -v[44:45]
	v_fmac_f64_e32 v[48:49], v[40:41], v[10:11]
	v_add_f64 v[50:51], v[44:45], v[48:49]
	v_add_f64 v[52:53], v[42:43], -v[50:51]
	v_add_f64 v[42:43], v[42:43], -v[52:53]
	;; [unrolled: 1-line block ×4, first 2 shown]
	v_add_f64 v[38:39], v[38:39], v[42:43]
	v_add_f64 v[42:43], v[44:45], -v[48:49]
	v_add_f64 v[38:39], v[42:43], v[38:39]
	v_add_f64 v[42:43], v[52:53], v[38:39]
	v_add_f64 v[44:45], v[52:53], -v[42:43]
	v_add_f64 v[38:39], v[38:39], v[44:45]
	v_mul_f64 v[44:45], v[46:47], v[42:43]
	v_mul_f64 v[48:49], v[12:13], v[44:45]
	v_fma_f64 v[12:13], v[44:45], v[12:13], -v[48:49]
	v_fmac_f64_e32 v[12:13], v[44:45], v[10:11]
	v_add_f64 v[10:11], v[48:49], v[12:13]
	v_add_f64 v[50:51], v[42:43], -v[10:11]
	v_add_f64 v[42:43], v[42:43], -v[50:51]
	;; [unrolled: 1-line block ×4, first 2 shown]
	v_add_f64 v[10:11], v[38:39], v[10:11]
	v_add_f64 v[12:13], v[48:49], -v[12:13]
	v_add_f64 v[10:11], v[12:13], v[10:11]
	v_add_f64 v[12:13], v[40:41], v[44:45]
	;; [unrolled: 1-line block ×3, first 2 shown]
	v_add_f64 v[38:39], v[12:13], -v[40:41]
	v_mul_f64 v[10:11], v[46:47], v[10:11]
	v_add_f64 v[38:39], v[44:45], -v[38:39]
	v_add_f64 v[10:11], v[38:39], v[10:11]
	v_add_f64 v[38:39], v[12:13], v[10:11]
	v_add_f64 v[12:13], v[38:39], -v[12:13]
	s_mov_b32 s14, 0xbf559e2b
	v_add_f64 v[10:11], v[10:11], -v[12:13]
	v_mul_f64 v[12:13], v[38:39], v[38:39]
	v_mov_b32_e32 v40, 0x6b47b09a
	v_mov_b32_e32 v41, 0x3fc38538
	s_mov_b32 s15, 0x3fc3ab76
	v_fmac_f64_e32 v[40:41], s[14:15], v[12:13]
	v_mov_b32_e32 v42, 0xd7f4df2e
	v_mov_b32_e32 v43, 0x3fc7474d
	v_fmac_f64_e32 v[42:43], v[12:13], v[40:41]
	v_mov_b32_e32 v40, 0x16291751
	v_mov_b32_e32 v41, 0x3fcc71c0
	;; [unrolled: 3-line block ×5, first 2 shown]
	v_fmac_f64_e32 v[42:43], v[12:13], v[40:41]
	v_cvt_f64_i32_e32 v[40:41], v55
	v_mul_f64 v[44:45], v[40:41], s[36:37]
	v_fma_f64 v[46:47], v[40:41], s[36:37], -v[44:45]
	v_fmac_f64_e32 v[46:47], s[38:39], v[40:41]
	v_add_f64 v[40:41], v[44:45], v[46:47]
	v_add_f64 v[44:45], v[40:41], -v[44:45]
	v_mul_f64 v[12:13], v[38:39], v[12:13]
	v_add_f64 v[44:45], v[46:47], -v[44:45]
	v_ldexp_f64 v[46:47], v[38:39], 1
	v_mul_f64 v[12:13], v[12:13], v[42:43]
	v_add_f64 v[38:39], v[46:47], v[12:13]
	v_add_f64 v[42:43], v[38:39], -v[46:47]
	v_ldexp_f64 v[10:11], v[10:11], 1
	v_add_f64 v[12:13], v[12:13], -v[42:43]
	v_add_f64 v[10:11], v[10:11], v[12:13]
	v_add_f64 v[12:13], v[38:39], v[10:11]
	v_add_f64 v[38:39], v[12:13], -v[38:39]
	v_add_f64 v[10:11], v[10:11], -v[38:39]
	v_add_f64 v[38:39], v[40:41], v[12:13]
	v_add_f64 v[42:43], v[38:39], -v[40:41]
	v_add_f64 v[46:47], v[38:39], -v[42:43]
	;; [unrolled: 1-line block ×4, first 2 shown]
	v_add_f64 v[12:13], v[12:13], v[40:41]
	v_add_f64 v[40:41], v[44:45], v[10:11]
	v_add_f64 v[42:43], v[40:41], -v[44:45]
	v_add_f64 v[12:13], v[40:41], v[12:13]
	v_add_f64 v[46:47], v[40:41], -v[42:43]
	;; [unrolled: 2-line block ×3, first 2 shown]
	v_add_f64 v[10:11], v[10:11], -v[42:43]
	v_add_f64 v[38:39], v[40:41], -v[38:39]
	v_add_f64 v[10:11], v[10:11], v[44:45]
	v_add_f64 v[12:13], v[12:13], -v[38:39]
	s_mov_b32 s14, 0
	v_add_f64 v[10:11], v[10:11], v[12:13]
	s_mov_b32 s15, 0x7ff00000
	v_add_f64 v[10:11], v[40:41], v[10:11]
	v_cmp_neq_f64_e64 s[14:15], s[14:15], v[8:9]
	v_mov_b32_e32 v12, 0x7ff80000
	s_nop 0
	v_cndmask_b32_e64 v11, v54, v11, s[14:15]
	v_cndmask_b32_e64 v11, v12, v11, s[16:17]
	v_cmp_nge_f64_e64 s[16:17], -1.0, v[8:9]
	s_and_b64 s[14:15], s[16:17], s[14:15]
	v_cndmask_b32_e64 v10, 0, v10, s[14:15]
	v_mov_b32_e32 v12, 0xfff00000
	v_cmp_neq_f64_e64 s[14:15], -1.0, v[8:9]
	s_nop 1
	v_cndmask_b32_e64 v11, v12, v11, s[14:15]
	v_add_f64 v[8:9], v[6:7], v[10:11]
.LBB1_62:
	s_or_b64 exec, exec, s[18:19]
	ds_read_b64 v[6:7], v31 offset:16
	v_max_f64 v[12:13], v[8:9], v[8:9]
	v_cmp_u_f64_e64 s[14:15], v[8:9], v[8:9]
	ds_write_b64 v31, v[8:9] offset:8
	s_waitcnt lgkmcnt(1)
	v_max_f64 v[38:39], v[6:7], v[6:7]
	v_min_f64 v[10:11], v[12:13], v[38:39]
	v_max_f64 v[12:13], v[12:13], v[38:39]
	v_cndmask_b32_e64 v10, v10, v8, s[14:15]
	v_cndmask_b32_e64 v11, v11, v9, s[14:15]
	v_cmp_u_f64_e64 s[16:17], v[6:7], v[6:7]
	v_cndmask_b32_e64 v12, v12, v8, s[14:15]
	v_cndmask_b32_e64 v13, v13, v9, s[14:15]
	v_cndmask_b32_e64 v11, v11, v7, s[16:17]
	v_cndmask_b32_e64 v10, v10, v6, s[16:17]
	v_cndmask_b32_e64 v7, v13, v7, s[16:17]
	v_cndmask_b32_e64 v6, v12, v6, s[16:17]
	v_cmp_neq_f64_e64 s[14:15], v[10:11], v[6:7]
	v_cmp_class_f64_e64 s[16:17], v[10:11], s3
	s_or_b64 s[14:15], s[14:15], s[16:17]
	s_and_saveexec_b64 s[18:19], s[14:15]
	s_cbranch_execz .LBB1_64
; %bb.63:
	s_mov_b32 s14, 0x652b82fe
	v_add_f64 v[8:9], v[10:11], -v[6:7]
	s_mov_b32 s15, 0x3ff71547
	v_mul_f64 v[10:11], v[8:9], s[14:15]
	v_rndne_f64_e32 v[10:11], v[10:11]
	s_mov_b32 s37, 0xbfe62e42
	s_mov_b32 s36, 0xfefa39ef
	v_fma_f64 v[12:13], s[36:37], v[10:11], v[8:9]
	s_mov_b32 s39, 0xbc7abc9e
	s_mov_b32 s38, 0x3b39803f
	;; [unrolled: 1-line block ×3, first 2 shown]
	v_fmac_f64_e32 v[12:13], s[38:39], v[10:11]
	v_mov_b32_e32 v38, 0xfca7ab0c
	v_mov_b32_e32 v39, 0x3e928af3
	s_mov_b32 s15, 0x3e5ade15
	v_fmac_f64_e32 v[38:39], s[14:15], v[12:13]
	v_mov_b32_e32 v40, 0x623fde64
	v_mov_b32_e32 v41, 0x3ec71dee
	v_fmac_f64_e32 v[40:41], v[12:13], v[38:39]
	v_mov_b32_e32 v38, 0x7c89e6b0
	v_mov_b32_e32 v39, 0x3efa0199
	;; [unrolled: 3-line block ×8, first 2 shown]
	v_fmac_f64_e32 v[38:39], v[12:13], v[40:41]
	v_fma_f64 v[38:39], v[12:13], v[38:39], 1.0
	s_mov_b32 s14, 0
	s_mov_b32 s16, 0
	v_fma_f64 v[12:13], v[12:13], v[38:39], 1.0
	v_cvt_i32_f64_e32 v10, v[10:11]
	s_mov_b32 s15, 0x40900000
	s_mov_b32 s17, 0xc090cc00
	v_ldexp_f64 v[10:11], v[12:13], v10
	v_mov_b32_e32 v54, 0x7ff00000
	v_cmp_nlt_f64_e64 s[14:15], s[14:15], v[8:9]
	v_cmp_ngt_f64_e64 s[16:17], s[16:17], v[8:9]
	s_mov_b32 s37, 0x3fe62e42
	v_cndmask_b32_e64 v11, v54, v11, s[14:15]
	s_and_b64 s[14:15], s[16:17], s[14:15]
	v_cndmask_b32_e64 v9, 0, v11, s[16:17]
	v_cndmask_b32_e64 v8, 0, v10, s[14:15]
	v_add_f64 v[10:11], v[8:9], 1.0
	v_add_f64 v[12:13], v[10:11], -1.0
	v_add_f64 v[38:39], v[12:13], -v[10:11]
	v_add_f64 v[38:39], v[38:39], 1.0
	v_add_f64 v[12:13], v[8:9], -v[12:13]
	s_mov_b32 s14, 0x55555555
	v_add_f64 v[12:13], v[12:13], v[38:39]
	v_frexp_mant_f64_e32 v[38:39], v[10:11]
	s_mov_b32 s15, 0x3fe55555
	v_frexp_exp_i32_f64_e32 v40, v[10:11]
	v_cmp_gt_f64_e64 s[14:15], s[14:15], v[38:39]
	s_mov_b32 s39, 0x3c7abc9e
	v_cmp_ngt_f64_e64 s[16:17], -1.0, v[8:9]
	v_subbrev_co_u32_e64 v55, s[14:15], 0, v40, s[14:15]
	v_sub_u32_e32 v38, 0, v55
	v_ldexp_f64 v[10:11], v[10:11], v38
	v_ldexp_f64 v[12:13], v[12:13], v38
	v_add_f64 v[38:39], v[10:11], -1.0
	v_add_f64 v[44:45], v[10:11], 1.0
	v_add_f64 v[40:41], v[38:39], 1.0
	v_add_f64 v[46:47], v[44:45], -1.0
	v_add_f64 v[40:41], v[10:11], -v[40:41]
	v_add_f64 v[10:11], v[10:11], -v[46:47]
	v_add_f64 v[10:11], v[12:13], v[10:11]
	v_add_f64 v[40:41], v[12:13], v[40:41]
	;; [unrolled: 1-line block ×3, first 2 shown]
	v_rcp_f64_e32 v[46:47], v[12:13]
	v_add_f64 v[42:43], v[38:39], v[40:41]
	v_add_f64 v[38:39], v[42:43], -v[38:39]
	v_add_f64 v[38:39], v[40:41], -v[38:39]
	;; [unrolled: 1-line block ×4, first 2 shown]
	v_fma_f64 v[40:41], -v[12:13], v[46:47], 1.0
	v_fmac_f64_e32 v[46:47], v[40:41], v[46:47]
	v_fma_f64 v[40:41], -v[12:13], v[46:47], 1.0
	v_fmac_f64_e32 v[46:47], v[40:41], v[46:47]
	v_mul_f64 v[40:41], v[42:43], v[46:47]
	v_mul_f64 v[44:45], v[12:13], v[40:41]
	v_fma_f64 v[48:49], v[40:41], v[12:13], -v[44:45]
	v_fmac_f64_e32 v[48:49], v[40:41], v[10:11]
	v_add_f64 v[50:51], v[44:45], v[48:49]
	v_add_f64 v[52:53], v[42:43], -v[50:51]
	v_add_f64 v[42:43], v[42:43], -v[52:53]
	;; [unrolled: 1-line block ×4, first 2 shown]
	v_add_f64 v[38:39], v[38:39], v[42:43]
	v_add_f64 v[42:43], v[44:45], -v[48:49]
	v_add_f64 v[38:39], v[42:43], v[38:39]
	v_add_f64 v[42:43], v[52:53], v[38:39]
	v_add_f64 v[44:45], v[52:53], -v[42:43]
	v_add_f64 v[38:39], v[38:39], v[44:45]
	v_mul_f64 v[44:45], v[46:47], v[42:43]
	v_mul_f64 v[48:49], v[12:13], v[44:45]
	v_fma_f64 v[12:13], v[44:45], v[12:13], -v[48:49]
	v_fmac_f64_e32 v[12:13], v[44:45], v[10:11]
	v_add_f64 v[10:11], v[48:49], v[12:13]
	v_add_f64 v[50:51], v[42:43], -v[10:11]
	v_add_f64 v[42:43], v[42:43], -v[50:51]
	;; [unrolled: 1-line block ×4, first 2 shown]
	v_add_f64 v[10:11], v[38:39], v[10:11]
	v_add_f64 v[12:13], v[48:49], -v[12:13]
	v_add_f64 v[10:11], v[12:13], v[10:11]
	v_add_f64 v[12:13], v[40:41], v[44:45]
	;; [unrolled: 1-line block ×3, first 2 shown]
	v_add_f64 v[38:39], v[12:13], -v[40:41]
	v_mul_f64 v[10:11], v[46:47], v[10:11]
	v_add_f64 v[38:39], v[44:45], -v[38:39]
	v_add_f64 v[10:11], v[38:39], v[10:11]
	v_add_f64 v[38:39], v[12:13], v[10:11]
	v_add_f64 v[12:13], v[38:39], -v[12:13]
	s_mov_b32 s14, 0xbf559e2b
	v_add_f64 v[10:11], v[10:11], -v[12:13]
	v_mul_f64 v[12:13], v[38:39], v[38:39]
	v_mov_b32_e32 v40, 0x6b47b09a
	v_mov_b32_e32 v41, 0x3fc38538
	s_mov_b32 s15, 0x3fc3ab76
	v_fmac_f64_e32 v[40:41], s[14:15], v[12:13]
	v_mov_b32_e32 v42, 0xd7f4df2e
	v_mov_b32_e32 v43, 0x3fc7474d
	v_fmac_f64_e32 v[42:43], v[12:13], v[40:41]
	v_mov_b32_e32 v40, 0x16291751
	v_mov_b32_e32 v41, 0x3fcc71c0
	;; [unrolled: 3-line block ×5, first 2 shown]
	v_fmac_f64_e32 v[42:43], v[12:13], v[40:41]
	v_cvt_f64_i32_e32 v[40:41], v55
	v_mul_f64 v[44:45], v[40:41], s[36:37]
	v_fma_f64 v[46:47], v[40:41], s[36:37], -v[44:45]
	v_fmac_f64_e32 v[46:47], s[38:39], v[40:41]
	v_add_f64 v[40:41], v[44:45], v[46:47]
	v_add_f64 v[44:45], v[40:41], -v[44:45]
	v_mul_f64 v[12:13], v[38:39], v[12:13]
	v_add_f64 v[44:45], v[46:47], -v[44:45]
	v_ldexp_f64 v[46:47], v[38:39], 1
	v_mul_f64 v[12:13], v[12:13], v[42:43]
	v_add_f64 v[38:39], v[46:47], v[12:13]
	v_add_f64 v[42:43], v[38:39], -v[46:47]
	v_ldexp_f64 v[10:11], v[10:11], 1
	v_add_f64 v[12:13], v[12:13], -v[42:43]
	v_add_f64 v[10:11], v[10:11], v[12:13]
	v_add_f64 v[12:13], v[38:39], v[10:11]
	v_add_f64 v[38:39], v[12:13], -v[38:39]
	v_add_f64 v[10:11], v[10:11], -v[38:39]
	v_add_f64 v[38:39], v[40:41], v[12:13]
	v_add_f64 v[42:43], v[38:39], -v[40:41]
	v_add_f64 v[46:47], v[38:39], -v[42:43]
	;; [unrolled: 1-line block ×4, first 2 shown]
	v_add_f64 v[12:13], v[12:13], v[40:41]
	v_add_f64 v[40:41], v[44:45], v[10:11]
	v_add_f64 v[42:43], v[40:41], -v[44:45]
	v_add_f64 v[12:13], v[40:41], v[12:13]
	v_add_f64 v[46:47], v[40:41], -v[42:43]
	;; [unrolled: 2-line block ×3, first 2 shown]
	v_add_f64 v[10:11], v[10:11], -v[42:43]
	v_add_f64 v[38:39], v[40:41], -v[38:39]
	v_add_f64 v[10:11], v[10:11], v[44:45]
	v_add_f64 v[12:13], v[12:13], -v[38:39]
	s_mov_b32 s14, 0
	v_add_f64 v[10:11], v[10:11], v[12:13]
	s_mov_b32 s15, 0x7ff00000
	v_add_f64 v[10:11], v[40:41], v[10:11]
	v_cmp_neq_f64_e64 s[14:15], s[14:15], v[8:9]
	v_mov_b32_e32 v12, 0x7ff80000
	s_nop 0
	v_cndmask_b32_e64 v11, v54, v11, s[14:15]
	v_cndmask_b32_e64 v11, v12, v11, s[16:17]
	v_cmp_nge_f64_e64 s[16:17], -1.0, v[8:9]
	s_and_b64 s[14:15], s[16:17], s[14:15]
	v_cndmask_b32_e64 v10, 0, v10, s[14:15]
	v_mov_b32_e32 v12, 0xfff00000
	v_cmp_neq_f64_e64 s[14:15], -1.0, v[8:9]
	s_nop 1
	v_cndmask_b32_e64 v11, v12, v11, s[14:15]
	v_add_f64 v[8:9], v[6:7], v[10:11]
.LBB1_64:
	s_or_b64 exec, exec, s[18:19]
	ds_read_b64 v[6:7], v31 offset:24
	v_max_f64 v[12:13], v[8:9], v[8:9]
	v_cmp_u_f64_e64 s[14:15], v[8:9], v[8:9]
	ds_write_b64 v31, v[8:9] offset:16
	s_waitcnt lgkmcnt(1)
	v_max_f64 v[38:39], v[6:7], v[6:7]
	v_min_f64 v[10:11], v[12:13], v[38:39]
	v_max_f64 v[12:13], v[12:13], v[38:39]
	v_cndmask_b32_e64 v10, v10, v8, s[14:15]
	v_cndmask_b32_e64 v11, v11, v9, s[14:15]
	v_cmp_u_f64_e64 s[16:17], v[6:7], v[6:7]
	v_cndmask_b32_e64 v12, v12, v8, s[14:15]
	v_cndmask_b32_e64 v13, v13, v9, s[14:15]
	;; [unrolled: 1-line block ×6, first 2 shown]
	v_cmp_neq_f64_e64 s[14:15], v[10:11], v[6:7]
	v_cmp_class_f64_e64 s[16:17], v[10:11], s3
	s_or_b64 s[14:15], s[14:15], s[16:17]
	s_and_saveexec_b64 s[18:19], s[14:15]
	s_cbranch_execz .LBB1_66
; %bb.65:
	s_mov_b32 s14, 0x652b82fe
	v_add_f64 v[8:9], v[10:11], -v[6:7]
	s_mov_b32 s15, 0x3ff71547
	v_mul_f64 v[10:11], v[8:9], s[14:15]
	v_rndne_f64_e32 v[10:11], v[10:11]
	s_mov_b32 s37, 0xbfe62e42
	s_mov_b32 s36, 0xfefa39ef
	v_fma_f64 v[12:13], s[36:37], v[10:11], v[8:9]
	s_mov_b32 s39, 0xbc7abc9e
	s_mov_b32 s38, 0x3b39803f
	;; [unrolled: 1-line block ×3, first 2 shown]
	v_fmac_f64_e32 v[12:13], s[38:39], v[10:11]
	v_mov_b32_e32 v38, 0xfca7ab0c
	v_mov_b32_e32 v39, 0x3e928af3
	s_mov_b32 s15, 0x3e5ade15
	v_fmac_f64_e32 v[38:39], s[14:15], v[12:13]
	v_mov_b32_e32 v40, 0x623fde64
	v_mov_b32_e32 v41, 0x3ec71dee
	v_fmac_f64_e32 v[40:41], v[12:13], v[38:39]
	v_mov_b32_e32 v38, 0x7c89e6b0
	v_mov_b32_e32 v39, 0x3efa0199
	;; [unrolled: 3-line block ×8, first 2 shown]
	v_fmac_f64_e32 v[38:39], v[12:13], v[40:41]
	v_fma_f64 v[38:39], v[12:13], v[38:39], 1.0
	s_mov_b32 s14, 0
	s_mov_b32 s16, 0
	v_fma_f64 v[12:13], v[12:13], v[38:39], 1.0
	v_cvt_i32_f64_e32 v10, v[10:11]
	s_mov_b32 s15, 0x40900000
	s_mov_b32 s17, 0xc090cc00
	v_ldexp_f64 v[10:11], v[12:13], v10
	v_mov_b32_e32 v54, 0x7ff00000
	v_cmp_nlt_f64_e64 s[14:15], s[14:15], v[8:9]
	v_cmp_ngt_f64_e64 s[16:17], s[16:17], v[8:9]
	s_mov_b32 s37, 0x3fe62e42
	v_cndmask_b32_e64 v11, v54, v11, s[14:15]
	s_and_b64 s[14:15], s[16:17], s[14:15]
	v_cndmask_b32_e64 v9, 0, v11, s[16:17]
	v_cndmask_b32_e64 v8, 0, v10, s[14:15]
	v_add_f64 v[10:11], v[8:9], 1.0
	v_add_f64 v[12:13], v[10:11], -1.0
	v_add_f64 v[38:39], v[12:13], -v[10:11]
	v_add_f64 v[38:39], v[38:39], 1.0
	v_add_f64 v[12:13], v[8:9], -v[12:13]
	s_mov_b32 s14, 0x55555555
	v_add_f64 v[12:13], v[12:13], v[38:39]
	v_frexp_mant_f64_e32 v[38:39], v[10:11]
	s_mov_b32 s15, 0x3fe55555
	v_frexp_exp_i32_f64_e32 v40, v[10:11]
	v_cmp_gt_f64_e64 s[14:15], s[14:15], v[38:39]
	s_mov_b32 s39, 0x3c7abc9e
	v_cmp_ngt_f64_e64 s[16:17], -1.0, v[8:9]
	v_subbrev_co_u32_e64 v55, s[14:15], 0, v40, s[14:15]
	v_sub_u32_e32 v38, 0, v55
	v_ldexp_f64 v[10:11], v[10:11], v38
	v_ldexp_f64 v[12:13], v[12:13], v38
	v_add_f64 v[38:39], v[10:11], -1.0
	v_add_f64 v[44:45], v[10:11], 1.0
	v_add_f64 v[40:41], v[38:39], 1.0
	v_add_f64 v[46:47], v[44:45], -1.0
	v_add_f64 v[40:41], v[10:11], -v[40:41]
	v_add_f64 v[10:11], v[10:11], -v[46:47]
	v_add_f64 v[10:11], v[12:13], v[10:11]
	v_add_f64 v[40:41], v[12:13], v[40:41]
	;; [unrolled: 1-line block ×3, first 2 shown]
	v_rcp_f64_e32 v[46:47], v[12:13]
	v_add_f64 v[42:43], v[38:39], v[40:41]
	v_add_f64 v[38:39], v[42:43], -v[38:39]
	v_add_f64 v[38:39], v[40:41], -v[38:39]
	;; [unrolled: 1-line block ×4, first 2 shown]
	v_fma_f64 v[40:41], -v[12:13], v[46:47], 1.0
	v_fmac_f64_e32 v[46:47], v[40:41], v[46:47]
	v_fma_f64 v[40:41], -v[12:13], v[46:47], 1.0
	v_fmac_f64_e32 v[46:47], v[40:41], v[46:47]
	v_mul_f64 v[40:41], v[42:43], v[46:47]
	v_mul_f64 v[44:45], v[12:13], v[40:41]
	v_fma_f64 v[48:49], v[40:41], v[12:13], -v[44:45]
	v_fmac_f64_e32 v[48:49], v[40:41], v[10:11]
	v_add_f64 v[50:51], v[44:45], v[48:49]
	v_add_f64 v[52:53], v[42:43], -v[50:51]
	v_add_f64 v[42:43], v[42:43], -v[52:53]
	;; [unrolled: 1-line block ×4, first 2 shown]
	v_add_f64 v[38:39], v[38:39], v[42:43]
	v_add_f64 v[42:43], v[44:45], -v[48:49]
	v_add_f64 v[38:39], v[42:43], v[38:39]
	v_add_f64 v[42:43], v[52:53], v[38:39]
	v_add_f64 v[44:45], v[52:53], -v[42:43]
	v_add_f64 v[38:39], v[38:39], v[44:45]
	v_mul_f64 v[44:45], v[46:47], v[42:43]
	v_mul_f64 v[48:49], v[12:13], v[44:45]
	v_fma_f64 v[12:13], v[44:45], v[12:13], -v[48:49]
	v_fmac_f64_e32 v[12:13], v[44:45], v[10:11]
	v_add_f64 v[10:11], v[48:49], v[12:13]
	v_add_f64 v[50:51], v[42:43], -v[10:11]
	v_add_f64 v[42:43], v[42:43], -v[50:51]
	;; [unrolled: 1-line block ×4, first 2 shown]
	v_add_f64 v[10:11], v[38:39], v[10:11]
	v_add_f64 v[12:13], v[48:49], -v[12:13]
	v_add_f64 v[10:11], v[12:13], v[10:11]
	v_add_f64 v[12:13], v[40:41], v[44:45]
	;; [unrolled: 1-line block ×3, first 2 shown]
	v_add_f64 v[38:39], v[12:13], -v[40:41]
	v_mul_f64 v[10:11], v[46:47], v[10:11]
	v_add_f64 v[38:39], v[44:45], -v[38:39]
	v_add_f64 v[10:11], v[38:39], v[10:11]
	v_add_f64 v[38:39], v[12:13], v[10:11]
	v_add_f64 v[12:13], v[38:39], -v[12:13]
	s_mov_b32 s14, 0xbf559e2b
	v_add_f64 v[10:11], v[10:11], -v[12:13]
	v_mul_f64 v[12:13], v[38:39], v[38:39]
	v_mov_b32_e32 v40, 0x6b47b09a
	v_mov_b32_e32 v41, 0x3fc38538
	s_mov_b32 s15, 0x3fc3ab76
	v_fmac_f64_e32 v[40:41], s[14:15], v[12:13]
	v_mov_b32_e32 v42, 0xd7f4df2e
	v_mov_b32_e32 v43, 0x3fc7474d
	v_fmac_f64_e32 v[42:43], v[12:13], v[40:41]
	v_mov_b32_e32 v40, 0x16291751
	v_mov_b32_e32 v41, 0x3fcc71c0
	;; [unrolled: 3-line block ×5, first 2 shown]
	v_fmac_f64_e32 v[42:43], v[12:13], v[40:41]
	v_cvt_f64_i32_e32 v[40:41], v55
	v_mul_f64 v[44:45], v[40:41], s[36:37]
	v_fma_f64 v[46:47], v[40:41], s[36:37], -v[44:45]
	v_fmac_f64_e32 v[46:47], s[38:39], v[40:41]
	v_add_f64 v[40:41], v[44:45], v[46:47]
	v_add_f64 v[44:45], v[40:41], -v[44:45]
	v_mul_f64 v[12:13], v[38:39], v[12:13]
	v_add_f64 v[44:45], v[46:47], -v[44:45]
	v_ldexp_f64 v[46:47], v[38:39], 1
	v_mul_f64 v[12:13], v[12:13], v[42:43]
	v_add_f64 v[38:39], v[46:47], v[12:13]
	v_add_f64 v[42:43], v[38:39], -v[46:47]
	v_ldexp_f64 v[10:11], v[10:11], 1
	v_add_f64 v[12:13], v[12:13], -v[42:43]
	v_add_f64 v[10:11], v[10:11], v[12:13]
	v_add_f64 v[12:13], v[38:39], v[10:11]
	v_add_f64 v[38:39], v[12:13], -v[38:39]
	v_add_f64 v[10:11], v[10:11], -v[38:39]
	v_add_f64 v[38:39], v[40:41], v[12:13]
	v_add_f64 v[42:43], v[38:39], -v[40:41]
	v_add_f64 v[46:47], v[38:39], -v[42:43]
	;; [unrolled: 1-line block ×4, first 2 shown]
	v_add_f64 v[12:13], v[12:13], v[40:41]
	v_add_f64 v[40:41], v[44:45], v[10:11]
	v_add_f64 v[42:43], v[40:41], -v[44:45]
	v_add_f64 v[12:13], v[40:41], v[12:13]
	v_add_f64 v[46:47], v[40:41], -v[42:43]
	;; [unrolled: 2-line block ×3, first 2 shown]
	v_add_f64 v[10:11], v[10:11], -v[42:43]
	v_add_f64 v[38:39], v[40:41], -v[38:39]
	v_add_f64 v[10:11], v[10:11], v[44:45]
	v_add_f64 v[12:13], v[12:13], -v[38:39]
	s_mov_b32 s14, 0
	v_add_f64 v[10:11], v[10:11], v[12:13]
	s_mov_b32 s15, 0x7ff00000
	v_add_f64 v[10:11], v[40:41], v[10:11]
	v_cmp_neq_f64_e64 s[14:15], s[14:15], v[8:9]
	v_mov_b32_e32 v12, 0x7ff80000
	s_nop 0
	v_cndmask_b32_e64 v11, v54, v11, s[14:15]
	v_cndmask_b32_e64 v11, v12, v11, s[16:17]
	v_cmp_nge_f64_e64 s[16:17], -1.0, v[8:9]
	s_and_b64 s[14:15], s[16:17], s[14:15]
	v_cndmask_b32_e64 v10, 0, v10, s[14:15]
	v_mov_b32_e32 v12, 0xfff00000
	v_cmp_neq_f64_e64 s[14:15], -1.0, v[8:9]
	s_nop 1
	v_cndmask_b32_e64 v11, v12, v11, s[14:15]
	v_add_f64 v[8:9], v[6:7], v[10:11]
.LBB1_66:
	s_or_b64 exec, exec, s[18:19]
	ds_write_b64 v31, v[8:9] offset:24
.LBB1_67:
	s_or_b64 exec, exec, s[22:23]
	v_cmp_eq_u32_e64 s[16:17], 0, v0
	v_cmp_ne_u32_e64 s[14:15], 0, v0
	s_waitcnt lgkmcnt(0)
	s_barrier
	s_and_saveexec_b64 s[18:19], s[14:15]
; %bb.68:
	v_add_u32_e32 v6, -1, v0
	v_lshrrev_b32_e32 v7, 2, v6
	v_and_b32_e32 v7, 0x3ffffff8, v7
	v_lshl_add_u32 v6, v6, 3, v7
	ds_read_b64 v[36:37], v6
; %bb.69:
	s_or_b64 exec, exec, s[18:19]
	s_and_saveexec_b64 s[36:37], vcc
	s_cbranch_execz .LBB1_141
; %bb.70:
	v_mov_b32_e32 v9, 0
	ds_read_b64 v[6:7], v9 offset:2096
	v_mbcnt_lo_u32_b32 v8, -1, 0
	v_mbcnt_hi_u32_b32 v39, -1, v8
	s_mov_b32 s39, 0
	v_cmp_eq_u32_e64 s[18:19], 0, v39
	s_and_saveexec_b64 s[22:23], s[18:19]
	s_cbranch_execz .LBB1_72
; %bb.71:
	s_add_i32 s38, s2, 64
	s_lshl_b64 s[38:39], s[38:39], 4
	s_add_u32 s38, s34, s38
	s_addc_u32 s39, s35, s39
	v_mov_b32_e32 v8, 1
	v_mov_b64_e32 v[10:11], s[38:39]
	s_waitcnt lgkmcnt(0)
	;;#ASMSTART
	global_store_dwordx4 v[10:11], v[6:9] off sc1	
s_waitcnt vmcnt(0)
	;;#ASMEND
.LBB1_72:
	s_or_b64 exec, exec, s[22:23]
	v_xad_u32 v38, v39, -1, s2
	v_add_u32_e32 v8, 64, v38
	v_lshl_add_u64 v[40:41], v[8:9], 4, s[34:35]
	;;#ASMSTART
	global_load_dwordx4 v[10:13], v[40:41] off sc1	
s_waitcnt vmcnt(0)
	;;#ASMEND
	s_nop 0
	v_cmp_eq_u16_sdwa s[38:39], v12, v9 src0_sel:BYTE_0 src1_sel:DWORD
	s_and_saveexec_b64 s[22:23], s[38:39]
	s_cbranch_execz .LBB1_76
; %bb.73:
	s_mov_b64 s[38:39], 0
	v_mov_b32_e32 v8, 0
.LBB1_74:                               ; =>This Inner Loop Header: Depth=1
	;;#ASMSTART
	global_load_dwordx4 v[10:13], v[40:41] off sc1	
s_waitcnt vmcnt(0)
	;;#ASMEND
	s_nop 0
	v_cmp_ne_u16_sdwa s[40:41], v12, v8 src0_sel:BYTE_0 src1_sel:DWORD
	s_or_b64 s[38:39], s[40:41], s[38:39]
	s_andn2_b64 exec, exec, s[38:39]
	s_cbranch_execnz .LBB1_74
; %bb.75:
	s_or_b64 exec, exec, s[38:39]
.LBB1_76:
	s_or_b64 exec, exec, s[22:23]
	v_and_b32_e32 v31, 63, v39
	v_mov_b32_e32 v8, 2
	v_cmp_ne_u32_e32 vcc, 63, v31
	v_cmp_eq_u16_sdwa s[22:23], v12, v8 src0_sel:BYTE_0 src1_sel:DWORD
	v_lshlrev_b64 v[8:9], v39, -1
	v_addc_co_u32_e32 v40, vcc, 0, v39, vcc
	v_and_b32_e32 v13, s23, v9
	v_lshlrev_b32_e32 v78, 2, v40
	v_or_b32_e32 v13, 0x80000000, v13
	ds_bpermute_b32 v40, v78, v10
	ds_bpermute_b32 v41, v78, v11
	v_and_b32_e32 v42, s22, v8
	v_ffbl_b32_e32 v13, v13
	v_add_u32_e32 v13, 32, v13
	v_ffbl_b32_e32 v42, v42
	v_min_u32_e32 v13, v42, v13
	v_cmp_lt_u32_e32 vcc, v31, v13
	v_mov_b64_e32 v[72:73], v[10:11]
	s_and_saveexec_b64 s[38:39], vcc
	s_cbranch_execz .LBB1_80
; %bb.77:
	s_waitcnt lgkmcnt(0)
	v_max_f64 v[44:45], v[40:41], v[40:41]
	v_max_f64 v[46:47], v[10:11], v[10:11]
	v_min_f64 v[42:43], v[44:45], v[46:47]
	v_cmp_u_f64_e32 vcc, v[40:41], v[40:41]
	v_max_f64 v[44:45], v[44:45], v[46:47]
	v_cmp_u_f64_e64 s[22:23], v[10:11], v[10:11]
	v_cndmask_b32_e32 v43, v43, v41, vcc
	v_cndmask_b32_e32 v42, v42, v40, vcc
	;; [unrolled: 1-line block ×4, first 2 shown]
	v_cndmask_b32_e64 v43, v43, v11, s[22:23]
	v_cndmask_b32_e64 v42, v42, v10, s[22:23]
	;; [unrolled: 1-line block ×4, first 2 shown]
	s_movk_i32 s3, 0x1f8
	v_cmp_neq_f64_e32 vcc, v[42:43], v[10:11]
	v_cmp_class_f64_e64 s[22:23], v[42:43], s3
	s_or_b64 s[22:23], vcc, s[22:23]
	s_and_saveexec_b64 s[40:41], s[22:23]
	s_cbranch_execz .LBB1_79
; %bb.78:
	s_mov_b32 s22, 0x652b82fe
	v_add_f64 v[40:41], v[42:43], -v[10:11]
	s_mov_b32 s23, 0x3ff71547
	v_mul_f64 v[42:43], v[40:41], s[22:23]
	v_rndne_f64_e32 v[42:43], v[42:43]
	s_mov_b32 s43, 0xbfe62e42
	s_mov_b32 s42, 0xfefa39ef
	v_fma_f64 v[44:45], s[42:43], v[42:43], v[40:41]
	s_mov_b32 s45, 0xbc7abc9e
	s_mov_b32 s44, 0x3b39803f
	;; [unrolled: 1-line block ×3, first 2 shown]
	v_fmac_f64_e32 v[44:45], s[44:45], v[42:43]
	v_mov_b32_e32 v46, 0xfca7ab0c
	v_mov_b32_e32 v47, 0x3e928af3
	s_mov_b32 s23, 0x3e5ade15
	v_fmac_f64_e32 v[46:47], s[22:23], v[44:45]
	v_mov_b32_e32 v48, 0x623fde64
	v_mov_b32_e32 v49, 0x3ec71dee
	v_fmac_f64_e32 v[48:49], v[44:45], v[46:47]
	v_mov_b32_e32 v46, 0x7c89e6b0
	v_mov_b32_e32 v47, 0x3efa0199
	v_fmac_f64_e32 v[46:47], v[44:45], v[48:49]
	v_mov_b32_e32 v48, 0x14761f6e
	v_mov_b32_e32 v49, 0x3f2a01a0
	v_fmac_f64_e32 v[48:49], v[44:45], v[46:47]
	v_mov_b32_e32 v46, 0x1852b7b0
	v_mov_b32_e32 v47, 0x3f56c16c
	v_fmac_f64_e32 v[46:47], v[44:45], v[48:49]
	v_mov_b32_e32 v48, 0x11122322
	v_mov_b32_e32 v49, 0x3f811111
	v_fmac_f64_e32 v[48:49], v[44:45], v[46:47]
	v_mov_b32_e32 v46, 0x555502a1
	v_mov_b32_e32 v47, 0x3fa55555
	v_fmac_f64_e32 v[46:47], v[44:45], v[48:49]
	v_mov_b32_e32 v48, 0x55555511
	v_mov_b32_e32 v49, 0x3fc55555
	v_fmac_f64_e32 v[48:49], v[44:45], v[46:47]
	v_mov_b32_e32 v46, 11
	v_mov_b32_e32 v47, 0x3fe00000
	s_mov_b32 s22, 0
	v_fmac_f64_e32 v[46:47], v[44:45], v[48:49]
	s_mov_b32 s23, 0x40900000
	v_fma_f64 v[46:47], v[44:45], v[46:47], 1.0
	v_cmp_nlt_f64_e32 vcc, s[22:23], v[40:41]
	s_mov_b32 s22, 0
	v_fma_f64 v[44:45], v[44:45], v[46:47], 1.0
	v_cvt_i32_f64_e32 v42, v[42:43]
	s_mov_b32 s23, 0xc090cc00
	v_ldexp_f64 v[42:43], v[44:45], v42
	v_mov_b32_e32 v62, 0x7ff00000
	v_cmp_ngt_f64_e64 s[22:23], s[22:23], v[40:41]
	v_cndmask_b32_e32 v43, v62, v43, vcc
	s_and_b64 vcc, s[22:23], vcc
	v_cndmask_b32_e64 v41, 0, v43, s[22:23]
	v_cndmask_b32_e32 v40, 0, v42, vcc
	v_add_f64 v[42:43], v[40:41], 1.0
	v_add_f64 v[44:45], v[42:43], -1.0
	v_add_f64 v[46:47], v[44:45], -v[42:43]
	v_add_f64 v[46:47], v[46:47], 1.0
	v_add_f64 v[44:45], v[40:41], -v[44:45]
	s_mov_b32 s22, 0x55555555
	v_add_f64 v[44:45], v[44:45], v[46:47]
	v_frexp_mant_f64_e32 v[46:47], v[42:43]
	s_mov_b32 s23, 0x3fe55555
	v_frexp_exp_i32_f64_e32 v48, v[42:43]
	v_cmp_gt_f64_e32 vcc, s[22:23], v[46:47]
	s_mov_b32 s22, 0xbf559e2b
	s_mov_b32 s23, 0x3fc3ab76
	v_subbrev_co_u32_e32 v63, vcc, 0, v48, vcc
	v_sub_u32_e32 v46, 0, v63
	v_ldexp_f64 v[42:43], v[42:43], v46
	v_ldexp_f64 v[44:45], v[44:45], v46
	v_add_f64 v[46:47], v[42:43], -1.0
	v_add_f64 v[52:53], v[42:43], 1.0
	v_add_f64 v[48:49], v[46:47], 1.0
	v_add_f64 v[54:55], v[52:53], -1.0
	v_add_f64 v[48:49], v[42:43], -v[48:49]
	v_add_f64 v[42:43], v[42:43], -v[54:55]
	v_add_f64 v[42:43], v[44:45], v[42:43]
	v_add_f64 v[48:49], v[44:45], v[48:49]
	;; [unrolled: 1-line block ×3, first 2 shown]
	v_rcp_f64_e32 v[54:55], v[44:45]
	v_add_f64 v[50:51], v[46:47], v[48:49]
	v_add_f64 v[46:47], v[50:51], -v[46:47]
	v_add_f64 v[46:47], v[48:49], -v[46:47]
	;; [unrolled: 1-line block ×4, first 2 shown]
	v_fma_f64 v[48:49], -v[44:45], v[54:55], 1.0
	v_fmac_f64_e32 v[54:55], v[48:49], v[54:55]
	v_fma_f64 v[48:49], -v[44:45], v[54:55], 1.0
	v_fmac_f64_e32 v[54:55], v[48:49], v[54:55]
	v_mul_f64 v[48:49], v[50:51], v[54:55]
	v_mul_f64 v[52:53], v[44:45], v[48:49]
	v_fma_f64 v[56:57], v[48:49], v[44:45], -v[52:53]
	v_fmac_f64_e32 v[56:57], v[48:49], v[42:43]
	v_add_f64 v[58:59], v[52:53], v[56:57]
	v_add_f64 v[60:61], v[50:51], -v[58:59]
	v_add_f64 v[50:51], v[50:51], -v[60:61]
	;; [unrolled: 1-line block ×4, first 2 shown]
	v_add_f64 v[46:47], v[46:47], v[50:51]
	v_add_f64 v[50:51], v[52:53], -v[56:57]
	v_add_f64 v[46:47], v[50:51], v[46:47]
	v_add_f64 v[50:51], v[60:61], v[46:47]
	v_add_f64 v[52:53], v[60:61], -v[50:51]
	v_add_f64 v[46:47], v[46:47], v[52:53]
	v_mul_f64 v[52:53], v[54:55], v[50:51]
	v_mul_f64 v[56:57], v[44:45], v[52:53]
	v_fma_f64 v[44:45], v[52:53], v[44:45], -v[56:57]
	v_fmac_f64_e32 v[44:45], v[52:53], v[42:43]
	v_add_f64 v[42:43], v[56:57], v[44:45]
	v_add_f64 v[58:59], v[50:51], -v[42:43]
	v_add_f64 v[50:51], v[50:51], -v[58:59]
	;; [unrolled: 1-line block ×4, first 2 shown]
	v_add_f64 v[42:43], v[46:47], v[42:43]
	v_add_f64 v[44:45], v[56:57], -v[44:45]
	v_add_f64 v[42:43], v[44:45], v[42:43]
	v_add_f64 v[44:45], v[48:49], v[52:53]
	;; [unrolled: 1-line block ×3, first 2 shown]
	v_add_f64 v[46:47], v[44:45], -v[48:49]
	v_mul_f64 v[42:43], v[54:55], v[42:43]
	v_add_f64 v[46:47], v[52:53], -v[46:47]
	v_add_f64 v[42:43], v[46:47], v[42:43]
	v_add_f64 v[46:47], v[44:45], v[42:43]
	v_add_f64 v[44:45], v[46:47], -v[44:45]
	v_add_f64 v[42:43], v[42:43], -v[44:45]
	v_mul_f64 v[44:45], v[46:47], v[46:47]
	v_mov_b32_e32 v48, 0x6b47b09a
	v_mov_b32_e32 v49, 0x3fc38538
	v_fmac_f64_e32 v[48:49], s[22:23], v[44:45]
	v_mov_b32_e32 v50, 0xd7f4df2e
	v_mov_b32_e32 v51, 0x3fc7474d
	v_fmac_f64_e32 v[50:51], v[44:45], v[48:49]
	;; [unrolled: 3-line block ×6, first 2 shown]
	v_cvt_f64_i32_e32 v[48:49], v63
	s_mov_b32 s43, 0x3fe62e42
	v_mul_f64 v[52:53], v[48:49], s[42:43]
	v_fma_f64 v[54:55], v[48:49], s[42:43], -v[52:53]
	s_mov_b32 s45, 0x3c7abc9e
	v_fmac_f64_e32 v[54:55], s[44:45], v[48:49]
	v_add_f64 v[48:49], v[52:53], v[54:55]
	v_add_f64 v[52:53], v[48:49], -v[52:53]
	v_mul_f64 v[44:45], v[46:47], v[44:45]
	v_add_f64 v[52:53], v[54:55], -v[52:53]
	v_ldexp_f64 v[54:55], v[46:47], 1
	v_mul_f64 v[44:45], v[44:45], v[50:51]
	v_add_f64 v[46:47], v[54:55], v[44:45]
	v_add_f64 v[50:51], v[46:47], -v[54:55]
	v_ldexp_f64 v[42:43], v[42:43], 1
	v_add_f64 v[44:45], v[44:45], -v[50:51]
	v_add_f64 v[42:43], v[42:43], v[44:45]
	v_add_f64 v[44:45], v[46:47], v[42:43]
	v_add_f64 v[46:47], v[44:45], -v[46:47]
	v_add_f64 v[42:43], v[42:43], -v[46:47]
	v_add_f64 v[46:47], v[48:49], v[44:45]
	v_add_f64 v[50:51], v[46:47], -v[48:49]
	v_add_f64 v[54:55], v[46:47], -v[50:51]
	;; [unrolled: 1-line block ×4, first 2 shown]
	v_add_f64 v[44:45], v[44:45], v[48:49]
	v_add_f64 v[48:49], v[52:53], v[42:43]
	v_add_f64 v[50:51], v[48:49], -v[52:53]
	v_add_f64 v[44:45], v[48:49], v[44:45]
	v_add_f64 v[54:55], v[48:49], -v[50:51]
	v_add_f64 v[48:49], v[46:47], v[44:45]
	v_add_f64 v[52:53], v[52:53], -v[54:55]
	v_add_f64 v[42:43], v[42:43], -v[50:51]
	v_add_f64 v[46:47], v[48:49], -v[46:47]
	v_add_f64 v[42:43], v[42:43], v[52:53]
	v_add_f64 v[44:45], v[44:45], -v[46:47]
	s_mov_b32 s22, 0
	v_add_f64 v[42:43], v[42:43], v[44:45]
	s_mov_b32 s23, 0x7ff00000
	v_add_f64 v[42:43], v[48:49], v[42:43]
	v_cmp_neq_f64_e32 vcc, s[22:23], v[40:41]
	v_mov_b32_e32 v44, 0x7ff80000
	v_cmp_ngt_f64_e64 s[22:23], -1.0, v[40:41]
	v_cndmask_b32_e32 v43, v62, v43, vcc
	s_nop 0
	v_cndmask_b32_e64 v43, v44, v43, s[22:23]
	v_cmp_nge_f64_e64 s[22:23], -1.0, v[40:41]
	s_and_b64 vcc, s[22:23], vcc
	v_cndmask_b32_e32 v42, 0, v42, vcc
	v_mov_b32_e32 v44, 0xfff00000
	v_cmp_neq_f64_e32 vcc, -1.0, v[40:41]
	s_nop 1
	v_cndmask_b32_e32 v43, v44, v43, vcc
	v_add_f64 v[40:41], v[10:11], v[42:43]
.LBB1_79:
	s_or_b64 exec, exec, s[40:41]
	v_mov_b32_e32 v10, v40
	v_mov_b32_e32 v11, v41
	v_mov_b64_e32 v[72:73], v[40:41]
.LBB1_80:
	s_or_b64 exec, exec, s[38:39]
	v_cmp_gt_u32_e32 vcc, 62, v31
	v_add_u32_e32 v80, 2, v31
	s_waitcnt lgkmcnt(1)
	v_cndmask_b32_e64 v40, 0, 2, vcc
	v_add_lshl_u32 v79, v40, v39, 2
	ds_bpermute_b32 v40, v79, v10
	s_waitcnt lgkmcnt(1)
	ds_bpermute_b32 v41, v79, v11
	v_cmp_le_u32_e32 vcc, v80, v13
	s_and_saveexec_b64 s[38:39], vcc
	s_cbranch_execz .LBB1_84
; %bb.81:
	s_waitcnt lgkmcnt(0)
	v_max_f64 v[10:11], v[40:41], v[40:41]
	v_max_f64 v[44:45], v[72:73], v[72:73]
	v_min_f64 v[42:43], v[10:11], v[44:45]
	v_cmp_u_f64_e32 vcc, v[40:41], v[40:41]
	v_max_f64 v[10:11], v[10:11], v[44:45]
	v_cmp_u_f64_e64 s[22:23], v[72:73], v[72:73]
	v_cndmask_b32_e32 v43, v43, v41, vcc
	v_cndmask_b32_e32 v42, v42, v40, vcc
	;; [unrolled: 1-line block ×4, first 2 shown]
	v_cndmask_b32_e64 v43, v43, v73, s[22:23]
	v_cndmask_b32_e64 v42, v42, v72, s[22:23]
	;; [unrolled: 1-line block ×4, first 2 shown]
	s_movk_i32 s3, 0x1f8
	v_cmp_neq_f64_e32 vcc, v[42:43], v[10:11]
	v_cmp_class_f64_e64 s[22:23], v[42:43], s3
	s_or_b64 s[22:23], vcc, s[22:23]
	s_and_saveexec_b64 s[40:41], s[22:23]
	s_cbranch_execz .LBB1_83
; %bb.82:
	s_mov_b32 s22, 0x652b82fe
	v_add_f64 v[40:41], v[42:43], -v[10:11]
	s_mov_b32 s23, 0x3ff71547
	v_mul_f64 v[42:43], v[40:41], s[22:23]
	v_rndne_f64_e32 v[42:43], v[42:43]
	s_mov_b32 s43, 0xbfe62e42
	s_mov_b32 s42, 0xfefa39ef
	v_fma_f64 v[44:45], s[42:43], v[42:43], v[40:41]
	s_mov_b32 s45, 0xbc7abc9e
	s_mov_b32 s44, 0x3b39803f
	;; [unrolled: 1-line block ×3, first 2 shown]
	v_fmac_f64_e32 v[44:45], s[44:45], v[42:43]
	v_mov_b32_e32 v46, 0xfca7ab0c
	v_mov_b32_e32 v47, 0x3e928af3
	s_mov_b32 s23, 0x3e5ade15
	v_fmac_f64_e32 v[46:47], s[22:23], v[44:45]
	v_mov_b32_e32 v48, 0x623fde64
	v_mov_b32_e32 v49, 0x3ec71dee
	v_fmac_f64_e32 v[48:49], v[44:45], v[46:47]
	v_mov_b32_e32 v46, 0x7c89e6b0
	v_mov_b32_e32 v47, 0x3efa0199
	;; [unrolled: 3-line block ×8, first 2 shown]
	s_mov_b32 s22, 0
	v_fmac_f64_e32 v[46:47], v[44:45], v[48:49]
	s_mov_b32 s23, 0x40900000
	v_fma_f64 v[46:47], v[44:45], v[46:47], 1.0
	v_cmp_nlt_f64_e32 vcc, s[22:23], v[40:41]
	s_mov_b32 s22, 0
	v_fma_f64 v[44:45], v[44:45], v[46:47], 1.0
	v_cvt_i32_f64_e32 v42, v[42:43]
	s_mov_b32 s23, 0xc090cc00
	v_ldexp_f64 v[42:43], v[44:45], v42
	v_mov_b32_e32 v62, 0x7ff00000
	v_cmp_ngt_f64_e64 s[22:23], s[22:23], v[40:41]
	v_cndmask_b32_e32 v43, v62, v43, vcc
	s_and_b64 vcc, s[22:23], vcc
	v_cndmask_b32_e64 v41, 0, v43, s[22:23]
	v_cndmask_b32_e32 v40, 0, v42, vcc
	v_add_f64 v[42:43], v[40:41], 1.0
	v_add_f64 v[44:45], v[42:43], -1.0
	v_add_f64 v[46:47], v[44:45], -v[42:43]
	v_add_f64 v[46:47], v[46:47], 1.0
	v_add_f64 v[44:45], v[40:41], -v[44:45]
	s_mov_b32 s22, 0x55555555
	v_add_f64 v[44:45], v[44:45], v[46:47]
	v_frexp_mant_f64_e32 v[46:47], v[42:43]
	s_mov_b32 s23, 0x3fe55555
	v_frexp_exp_i32_f64_e32 v48, v[42:43]
	v_cmp_gt_f64_e32 vcc, s[22:23], v[46:47]
	s_mov_b32 s22, 0xbf559e2b
	s_mov_b32 s23, 0x3fc3ab76
	v_subbrev_co_u32_e32 v63, vcc, 0, v48, vcc
	v_sub_u32_e32 v46, 0, v63
	v_ldexp_f64 v[42:43], v[42:43], v46
	v_ldexp_f64 v[44:45], v[44:45], v46
	v_add_f64 v[46:47], v[42:43], -1.0
	v_add_f64 v[52:53], v[42:43], 1.0
	v_add_f64 v[48:49], v[46:47], 1.0
	v_add_f64 v[54:55], v[52:53], -1.0
	v_add_f64 v[48:49], v[42:43], -v[48:49]
	v_add_f64 v[42:43], v[42:43], -v[54:55]
	v_add_f64 v[42:43], v[44:45], v[42:43]
	v_add_f64 v[48:49], v[44:45], v[48:49]
	;; [unrolled: 1-line block ×3, first 2 shown]
	v_rcp_f64_e32 v[54:55], v[44:45]
	v_add_f64 v[50:51], v[46:47], v[48:49]
	v_add_f64 v[46:47], v[50:51], -v[46:47]
	v_add_f64 v[46:47], v[48:49], -v[46:47]
	;; [unrolled: 1-line block ×4, first 2 shown]
	v_fma_f64 v[48:49], -v[44:45], v[54:55], 1.0
	v_fmac_f64_e32 v[54:55], v[48:49], v[54:55]
	v_fma_f64 v[48:49], -v[44:45], v[54:55], 1.0
	v_fmac_f64_e32 v[54:55], v[48:49], v[54:55]
	v_mul_f64 v[48:49], v[50:51], v[54:55]
	v_mul_f64 v[52:53], v[44:45], v[48:49]
	v_fma_f64 v[56:57], v[48:49], v[44:45], -v[52:53]
	v_fmac_f64_e32 v[56:57], v[48:49], v[42:43]
	v_add_f64 v[58:59], v[52:53], v[56:57]
	v_add_f64 v[60:61], v[50:51], -v[58:59]
	v_add_f64 v[50:51], v[50:51], -v[60:61]
	v_add_f64 v[52:53], v[58:59], -v[52:53]
	v_add_f64 v[50:51], v[50:51], -v[58:59]
	v_add_f64 v[46:47], v[46:47], v[50:51]
	v_add_f64 v[50:51], v[52:53], -v[56:57]
	v_add_f64 v[46:47], v[50:51], v[46:47]
	v_add_f64 v[50:51], v[60:61], v[46:47]
	v_add_f64 v[52:53], v[60:61], -v[50:51]
	v_add_f64 v[46:47], v[46:47], v[52:53]
	v_mul_f64 v[52:53], v[54:55], v[50:51]
	v_mul_f64 v[56:57], v[44:45], v[52:53]
	v_fma_f64 v[44:45], v[52:53], v[44:45], -v[56:57]
	v_fmac_f64_e32 v[44:45], v[52:53], v[42:43]
	v_add_f64 v[42:43], v[56:57], v[44:45]
	v_add_f64 v[58:59], v[50:51], -v[42:43]
	v_add_f64 v[50:51], v[50:51], -v[58:59]
	v_add_f64 v[56:57], v[42:43], -v[56:57]
	v_add_f64 v[42:43], v[50:51], -v[42:43]
	v_add_f64 v[42:43], v[46:47], v[42:43]
	v_add_f64 v[44:45], v[56:57], -v[44:45]
	v_add_f64 v[42:43], v[44:45], v[42:43]
	v_add_f64 v[44:45], v[48:49], v[52:53]
	;; [unrolled: 1-line block ×3, first 2 shown]
	v_add_f64 v[46:47], v[44:45], -v[48:49]
	v_mul_f64 v[42:43], v[54:55], v[42:43]
	v_add_f64 v[46:47], v[52:53], -v[46:47]
	v_add_f64 v[42:43], v[46:47], v[42:43]
	v_add_f64 v[46:47], v[44:45], v[42:43]
	v_add_f64 v[44:45], v[46:47], -v[44:45]
	v_add_f64 v[42:43], v[42:43], -v[44:45]
	v_mul_f64 v[44:45], v[46:47], v[46:47]
	v_mov_b32_e32 v48, 0x6b47b09a
	v_mov_b32_e32 v49, 0x3fc38538
	v_fmac_f64_e32 v[48:49], s[22:23], v[44:45]
	v_mov_b32_e32 v50, 0xd7f4df2e
	v_mov_b32_e32 v51, 0x3fc7474d
	v_fmac_f64_e32 v[50:51], v[44:45], v[48:49]
	;; [unrolled: 3-line block ×6, first 2 shown]
	v_cvt_f64_i32_e32 v[48:49], v63
	s_mov_b32 s43, 0x3fe62e42
	v_mul_f64 v[52:53], v[48:49], s[42:43]
	v_fma_f64 v[54:55], v[48:49], s[42:43], -v[52:53]
	s_mov_b32 s45, 0x3c7abc9e
	v_fmac_f64_e32 v[54:55], s[44:45], v[48:49]
	v_add_f64 v[48:49], v[52:53], v[54:55]
	v_add_f64 v[52:53], v[48:49], -v[52:53]
	v_mul_f64 v[44:45], v[46:47], v[44:45]
	v_add_f64 v[52:53], v[54:55], -v[52:53]
	v_ldexp_f64 v[54:55], v[46:47], 1
	v_mul_f64 v[44:45], v[44:45], v[50:51]
	v_add_f64 v[46:47], v[54:55], v[44:45]
	v_add_f64 v[50:51], v[46:47], -v[54:55]
	v_ldexp_f64 v[42:43], v[42:43], 1
	v_add_f64 v[44:45], v[44:45], -v[50:51]
	v_add_f64 v[42:43], v[42:43], v[44:45]
	v_add_f64 v[44:45], v[46:47], v[42:43]
	v_add_f64 v[46:47], v[44:45], -v[46:47]
	v_add_f64 v[42:43], v[42:43], -v[46:47]
	v_add_f64 v[46:47], v[48:49], v[44:45]
	v_add_f64 v[50:51], v[46:47], -v[48:49]
	v_add_f64 v[54:55], v[46:47], -v[50:51]
	;; [unrolled: 1-line block ×4, first 2 shown]
	v_add_f64 v[44:45], v[44:45], v[48:49]
	v_add_f64 v[48:49], v[52:53], v[42:43]
	v_add_f64 v[50:51], v[48:49], -v[52:53]
	v_add_f64 v[44:45], v[48:49], v[44:45]
	v_add_f64 v[54:55], v[48:49], -v[50:51]
	;; [unrolled: 2-line block ×3, first 2 shown]
	v_add_f64 v[42:43], v[42:43], -v[50:51]
	v_add_f64 v[46:47], v[48:49], -v[46:47]
	v_add_f64 v[42:43], v[42:43], v[52:53]
	v_add_f64 v[44:45], v[44:45], -v[46:47]
	s_mov_b32 s22, 0
	v_add_f64 v[42:43], v[42:43], v[44:45]
	s_mov_b32 s23, 0x7ff00000
	v_add_f64 v[42:43], v[48:49], v[42:43]
	v_cmp_neq_f64_e32 vcc, s[22:23], v[40:41]
	v_mov_b32_e32 v44, 0x7ff80000
	v_cmp_ngt_f64_e64 s[22:23], -1.0, v[40:41]
	v_cndmask_b32_e32 v43, v62, v43, vcc
	s_nop 0
	v_cndmask_b32_e64 v43, v44, v43, s[22:23]
	v_cmp_nge_f64_e64 s[22:23], -1.0, v[40:41]
	s_and_b64 vcc, s[22:23], vcc
	v_cndmask_b32_e32 v42, 0, v42, vcc
	v_mov_b32_e32 v44, 0xfff00000
	v_cmp_neq_f64_e32 vcc, -1.0, v[40:41]
	s_nop 1
	v_cndmask_b32_e32 v43, v44, v43, vcc
	v_add_f64 v[40:41], v[10:11], v[42:43]
.LBB1_83:
	s_or_b64 exec, exec, s[40:41]
	v_mov_b32_e32 v10, v40
	v_mov_b32_e32 v11, v41
	v_mov_b64_e32 v[72:73], v[40:41]
.LBB1_84:
	s_or_b64 exec, exec, s[38:39]
	v_cmp_gt_u32_e32 vcc, 60, v31
	v_add_u32_e32 v82, 4, v31
	s_waitcnt lgkmcnt(1)
	v_cndmask_b32_e64 v40, 0, 4, vcc
	v_add_lshl_u32 v81, v40, v39, 2
	ds_bpermute_b32 v40, v81, v10
	s_waitcnt lgkmcnt(1)
	ds_bpermute_b32 v41, v81, v11
	v_cmp_le_u32_e32 vcc, v82, v13
	s_and_saveexec_b64 s[38:39], vcc
	s_cbranch_execz .LBB1_88
; %bb.85:
	s_waitcnt lgkmcnt(0)
	v_max_f64 v[10:11], v[40:41], v[40:41]
	v_max_f64 v[44:45], v[72:73], v[72:73]
	v_min_f64 v[42:43], v[10:11], v[44:45]
	v_cmp_u_f64_e32 vcc, v[40:41], v[40:41]
	v_max_f64 v[10:11], v[10:11], v[44:45]
	v_cmp_u_f64_e64 s[22:23], v[72:73], v[72:73]
	v_cndmask_b32_e32 v43, v43, v41, vcc
	v_cndmask_b32_e32 v42, v42, v40, vcc
	;; [unrolled: 1-line block ×4, first 2 shown]
	v_cndmask_b32_e64 v43, v43, v73, s[22:23]
	v_cndmask_b32_e64 v42, v42, v72, s[22:23]
	;; [unrolled: 1-line block ×4, first 2 shown]
	s_movk_i32 s3, 0x1f8
	v_cmp_neq_f64_e32 vcc, v[42:43], v[10:11]
	v_cmp_class_f64_e64 s[22:23], v[42:43], s3
	s_or_b64 s[22:23], vcc, s[22:23]
	s_and_saveexec_b64 s[40:41], s[22:23]
	s_cbranch_execz .LBB1_87
; %bb.86:
	s_mov_b32 s22, 0x652b82fe
	v_add_f64 v[40:41], v[42:43], -v[10:11]
	s_mov_b32 s23, 0x3ff71547
	v_mul_f64 v[42:43], v[40:41], s[22:23]
	v_rndne_f64_e32 v[42:43], v[42:43]
	s_mov_b32 s43, 0xbfe62e42
	s_mov_b32 s42, 0xfefa39ef
	v_fma_f64 v[44:45], s[42:43], v[42:43], v[40:41]
	s_mov_b32 s45, 0xbc7abc9e
	s_mov_b32 s44, 0x3b39803f
	;; [unrolled: 1-line block ×3, first 2 shown]
	v_fmac_f64_e32 v[44:45], s[44:45], v[42:43]
	v_mov_b32_e32 v46, 0xfca7ab0c
	v_mov_b32_e32 v47, 0x3e928af3
	s_mov_b32 s23, 0x3e5ade15
	v_fmac_f64_e32 v[46:47], s[22:23], v[44:45]
	v_mov_b32_e32 v48, 0x623fde64
	v_mov_b32_e32 v49, 0x3ec71dee
	v_fmac_f64_e32 v[48:49], v[44:45], v[46:47]
	v_mov_b32_e32 v46, 0x7c89e6b0
	v_mov_b32_e32 v47, 0x3efa0199
	;; [unrolled: 3-line block ×8, first 2 shown]
	s_mov_b32 s22, 0
	v_fmac_f64_e32 v[46:47], v[44:45], v[48:49]
	s_mov_b32 s23, 0x40900000
	v_fma_f64 v[46:47], v[44:45], v[46:47], 1.0
	v_cmp_nlt_f64_e32 vcc, s[22:23], v[40:41]
	s_mov_b32 s22, 0
	v_fma_f64 v[44:45], v[44:45], v[46:47], 1.0
	v_cvt_i32_f64_e32 v42, v[42:43]
	s_mov_b32 s23, 0xc090cc00
	v_ldexp_f64 v[42:43], v[44:45], v42
	v_mov_b32_e32 v62, 0x7ff00000
	v_cmp_ngt_f64_e64 s[22:23], s[22:23], v[40:41]
	v_cndmask_b32_e32 v43, v62, v43, vcc
	s_and_b64 vcc, s[22:23], vcc
	v_cndmask_b32_e64 v41, 0, v43, s[22:23]
	v_cndmask_b32_e32 v40, 0, v42, vcc
	v_add_f64 v[42:43], v[40:41], 1.0
	v_add_f64 v[44:45], v[42:43], -1.0
	v_add_f64 v[46:47], v[44:45], -v[42:43]
	v_add_f64 v[46:47], v[46:47], 1.0
	v_add_f64 v[44:45], v[40:41], -v[44:45]
	s_mov_b32 s22, 0x55555555
	v_add_f64 v[44:45], v[44:45], v[46:47]
	v_frexp_mant_f64_e32 v[46:47], v[42:43]
	s_mov_b32 s23, 0x3fe55555
	v_frexp_exp_i32_f64_e32 v48, v[42:43]
	v_cmp_gt_f64_e32 vcc, s[22:23], v[46:47]
	s_mov_b32 s22, 0xbf559e2b
	s_mov_b32 s23, 0x3fc3ab76
	v_subbrev_co_u32_e32 v63, vcc, 0, v48, vcc
	v_sub_u32_e32 v46, 0, v63
	v_ldexp_f64 v[42:43], v[42:43], v46
	v_ldexp_f64 v[44:45], v[44:45], v46
	v_add_f64 v[46:47], v[42:43], -1.0
	v_add_f64 v[52:53], v[42:43], 1.0
	v_add_f64 v[48:49], v[46:47], 1.0
	v_add_f64 v[54:55], v[52:53], -1.0
	v_add_f64 v[48:49], v[42:43], -v[48:49]
	v_add_f64 v[42:43], v[42:43], -v[54:55]
	v_add_f64 v[42:43], v[44:45], v[42:43]
	v_add_f64 v[48:49], v[44:45], v[48:49]
	;; [unrolled: 1-line block ×3, first 2 shown]
	v_rcp_f64_e32 v[54:55], v[44:45]
	v_add_f64 v[50:51], v[46:47], v[48:49]
	v_add_f64 v[46:47], v[50:51], -v[46:47]
	v_add_f64 v[46:47], v[48:49], -v[46:47]
	;; [unrolled: 1-line block ×4, first 2 shown]
	v_fma_f64 v[48:49], -v[44:45], v[54:55], 1.0
	v_fmac_f64_e32 v[54:55], v[48:49], v[54:55]
	v_fma_f64 v[48:49], -v[44:45], v[54:55], 1.0
	v_fmac_f64_e32 v[54:55], v[48:49], v[54:55]
	v_mul_f64 v[48:49], v[50:51], v[54:55]
	v_mul_f64 v[52:53], v[44:45], v[48:49]
	v_fma_f64 v[56:57], v[48:49], v[44:45], -v[52:53]
	v_fmac_f64_e32 v[56:57], v[48:49], v[42:43]
	v_add_f64 v[58:59], v[52:53], v[56:57]
	v_add_f64 v[60:61], v[50:51], -v[58:59]
	v_add_f64 v[50:51], v[50:51], -v[60:61]
	v_add_f64 v[52:53], v[58:59], -v[52:53]
	v_add_f64 v[50:51], v[50:51], -v[58:59]
	v_add_f64 v[46:47], v[46:47], v[50:51]
	v_add_f64 v[50:51], v[52:53], -v[56:57]
	v_add_f64 v[46:47], v[50:51], v[46:47]
	v_add_f64 v[50:51], v[60:61], v[46:47]
	v_add_f64 v[52:53], v[60:61], -v[50:51]
	v_add_f64 v[46:47], v[46:47], v[52:53]
	v_mul_f64 v[52:53], v[54:55], v[50:51]
	v_mul_f64 v[56:57], v[44:45], v[52:53]
	v_fma_f64 v[44:45], v[52:53], v[44:45], -v[56:57]
	v_fmac_f64_e32 v[44:45], v[52:53], v[42:43]
	v_add_f64 v[42:43], v[56:57], v[44:45]
	v_add_f64 v[58:59], v[50:51], -v[42:43]
	v_add_f64 v[50:51], v[50:51], -v[58:59]
	;; [unrolled: 1-line block ×4, first 2 shown]
	v_add_f64 v[42:43], v[46:47], v[42:43]
	v_add_f64 v[44:45], v[56:57], -v[44:45]
	v_add_f64 v[42:43], v[44:45], v[42:43]
	v_add_f64 v[44:45], v[48:49], v[52:53]
	;; [unrolled: 1-line block ×3, first 2 shown]
	v_add_f64 v[46:47], v[44:45], -v[48:49]
	v_mul_f64 v[42:43], v[54:55], v[42:43]
	v_add_f64 v[46:47], v[52:53], -v[46:47]
	v_add_f64 v[42:43], v[46:47], v[42:43]
	v_add_f64 v[46:47], v[44:45], v[42:43]
	v_add_f64 v[44:45], v[46:47], -v[44:45]
	v_add_f64 v[42:43], v[42:43], -v[44:45]
	v_mul_f64 v[44:45], v[46:47], v[46:47]
	v_mov_b32_e32 v48, 0x6b47b09a
	v_mov_b32_e32 v49, 0x3fc38538
	v_fmac_f64_e32 v[48:49], s[22:23], v[44:45]
	v_mov_b32_e32 v50, 0xd7f4df2e
	v_mov_b32_e32 v51, 0x3fc7474d
	v_fmac_f64_e32 v[50:51], v[44:45], v[48:49]
	;; [unrolled: 3-line block ×6, first 2 shown]
	v_cvt_f64_i32_e32 v[48:49], v63
	s_mov_b32 s43, 0x3fe62e42
	v_mul_f64 v[52:53], v[48:49], s[42:43]
	v_fma_f64 v[54:55], v[48:49], s[42:43], -v[52:53]
	s_mov_b32 s45, 0x3c7abc9e
	v_fmac_f64_e32 v[54:55], s[44:45], v[48:49]
	v_add_f64 v[48:49], v[52:53], v[54:55]
	v_add_f64 v[52:53], v[48:49], -v[52:53]
	v_mul_f64 v[44:45], v[46:47], v[44:45]
	v_add_f64 v[52:53], v[54:55], -v[52:53]
	v_ldexp_f64 v[54:55], v[46:47], 1
	v_mul_f64 v[44:45], v[44:45], v[50:51]
	v_add_f64 v[46:47], v[54:55], v[44:45]
	v_add_f64 v[50:51], v[46:47], -v[54:55]
	v_ldexp_f64 v[42:43], v[42:43], 1
	v_add_f64 v[44:45], v[44:45], -v[50:51]
	v_add_f64 v[42:43], v[42:43], v[44:45]
	v_add_f64 v[44:45], v[46:47], v[42:43]
	v_add_f64 v[46:47], v[44:45], -v[46:47]
	v_add_f64 v[42:43], v[42:43], -v[46:47]
	v_add_f64 v[46:47], v[48:49], v[44:45]
	v_add_f64 v[50:51], v[46:47], -v[48:49]
	v_add_f64 v[54:55], v[46:47], -v[50:51]
	;; [unrolled: 1-line block ×4, first 2 shown]
	v_add_f64 v[44:45], v[44:45], v[48:49]
	v_add_f64 v[48:49], v[52:53], v[42:43]
	v_add_f64 v[50:51], v[48:49], -v[52:53]
	v_add_f64 v[44:45], v[48:49], v[44:45]
	v_add_f64 v[54:55], v[48:49], -v[50:51]
	;; [unrolled: 2-line block ×3, first 2 shown]
	v_add_f64 v[42:43], v[42:43], -v[50:51]
	v_add_f64 v[46:47], v[48:49], -v[46:47]
	v_add_f64 v[42:43], v[42:43], v[52:53]
	v_add_f64 v[44:45], v[44:45], -v[46:47]
	s_mov_b32 s22, 0
	v_add_f64 v[42:43], v[42:43], v[44:45]
	s_mov_b32 s23, 0x7ff00000
	v_add_f64 v[42:43], v[48:49], v[42:43]
	v_cmp_neq_f64_e32 vcc, s[22:23], v[40:41]
	v_mov_b32_e32 v44, 0x7ff80000
	v_cmp_ngt_f64_e64 s[22:23], -1.0, v[40:41]
	v_cndmask_b32_e32 v43, v62, v43, vcc
	s_nop 0
	v_cndmask_b32_e64 v43, v44, v43, s[22:23]
	v_cmp_nge_f64_e64 s[22:23], -1.0, v[40:41]
	s_and_b64 vcc, s[22:23], vcc
	v_cndmask_b32_e32 v42, 0, v42, vcc
	v_mov_b32_e32 v44, 0xfff00000
	v_cmp_neq_f64_e32 vcc, -1.0, v[40:41]
	s_nop 1
	v_cndmask_b32_e32 v43, v44, v43, vcc
	v_add_f64 v[40:41], v[10:11], v[42:43]
.LBB1_87:
	s_or_b64 exec, exec, s[40:41]
	v_mov_b32_e32 v10, v40
	v_mov_b32_e32 v11, v41
	v_mov_b64_e32 v[72:73], v[40:41]
.LBB1_88:
	s_or_b64 exec, exec, s[38:39]
	v_cmp_gt_u32_e32 vcc, 56, v31
	v_add_u32_e32 v84, 8, v31
	s_waitcnt lgkmcnt(1)
	v_cndmask_b32_e64 v40, 0, 8, vcc
	v_add_lshl_u32 v83, v40, v39, 2
	ds_bpermute_b32 v40, v83, v10
	s_waitcnt lgkmcnt(1)
	ds_bpermute_b32 v41, v83, v11
	v_cmp_le_u32_e32 vcc, v84, v13
	s_and_saveexec_b64 s[38:39], vcc
	s_cbranch_execz .LBB1_92
; %bb.89:
	s_waitcnt lgkmcnt(0)
	v_max_f64 v[10:11], v[40:41], v[40:41]
	v_max_f64 v[44:45], v[72:73], v[72:73]
	v_min_f64 v[42:43], v[10:11], v[44:45]
	v_cmp_u_f64_e32 vcc, v[40:41], v[40:41]
	v_max_f64 v[10:11], v[10:11], v[44:45]
	v_cmp_u_f64_e64 s[22:23], v[72:73], v[72:73]
	v_cndmask_b32_e32 v43, v43, v41, vcc
	v_cndmask_b32_e32 v42, v42, v40, vcc
	;; [unrolled: 1-line block ×4, first 2 shown]
	v_cndmask_b32_e64 v43, v43, v73, s[22:23]
	v_cndmask_b32_e64 v42, v42, v72, s[22:23]
	;; [unrolled: 1-line block ×4, first 2 shown]
	s_movk_i32 s3, 0x1f8
	v_cmp_neq_f64_e32 vcc, v[42:43], v[10:11]
	v_cmp_class_f64_e64 s[22:23], v[42:43], s3
	s_or_b64 s[22:23], vcc, s[22:23]
	s_and_saveexec_b64 s[40:41], s[22:23]
	s_cbranch_execz .LBB1_91
; %bb.90:
	s_mov_b32 s22, 0x652b82fe
	v_add_f64 v[40:41], v[42:43], -v[10:11]
	s_mov_b32 s23, 0x3ff71547
	v_mul_f64 v[42:43], v[40:41], s[22:23]
	v_rndne_f64_e32 v[42:43], v[42:43]
	s_mov_b32 s43, 0xbfe62e42
	s_mov_b32 s42, 0xfefa39ef
	v_fma_f64 v[44:45], s[42:43], v[42:43], v[40:41]
	s_mov_b32 s45, 0xbc7abc9e
	s_mov_b32 s44, 0x3b39803f
	;; [unrolled: 1-line block ×3, first 2 shown]
	v_fmac_f64_e32 v[44:45], s[44:45], v[42:43]
	v_mov_b32_e32 v46, 0xfca7ab0c
	v_mov_b32_e32 v47, 0x3e928af3
	s_mov_b32 s23, 0x3e5ade15
	v_fmac_f64_e32 v[46:47], s[22:23], v[44:45]
	v_mov_b32_e32 v48, 0x623fde64
	v_mov_b32_e32 v49, 0x3ec71dee
	v_fmac_f64_e32 v[48:49], v[44:45], v[46:47]
	v_mov_b32_e32 v46, 0x7c89e6b0
	v_mov_b32_e32 v47, 0x3efa0199
	;; [unrolled: 3-line block ×8, first 2 shown]
	s_mov_b32 s22, 0
	v_fmac_f64_e32 v[46:47], v[44:45], v[48:49]
	s_mov_b32 s23, 0x40900000
	v_fma_f64 v[46:47], v[44:45], v[46:47], 1.0
	v_cmp_nlt_f64_e32 vcc, s[22:23], v[40:41]
	s_mov_b32 s22, 0
	v_fma_f64 v[44:45], v[44:45], v[46:47], 1.0
	v_cvt_i32_f64_e32 v42, v[42:43]
	s_mov_b32 s23, 0xc090cc00
	v_ldexp_f64 v[42:43], v[44:45], v42
	v_mov_b32_e32 v62, 0x7ff00000
	v_cmp_ngt_f64_e64 s[22:23], s[22:23], v[40:41]
	v_cndmask_b32_e32 v43, v62, v43, vcc
	s_and_b64 vcc, s[22:23], vcc
	v_cndmask_b32_e64 v41, 0, v43, s[22:23]
	v_cndmask_b32_e32 v40, 0, v42, vcc
	v_add_f64 v[42:43], v[40:41], 1.0
	v_add_f64 v[44:45], v[42:43], -1.0
	v_add_f64 v[46:47], v[44:45], -v[42:43]
	v_add_f64 v[46:47], v[46:47], 1.0
	v_add_f64 v[44:45], v[40:41], -v[44:45]
	s_mov_b32 s22, 0x55555555
	v_add_f64 v[44:45], v[44:45], v[46:47]
	v_frexp_mant_f64_e32 v[46:47], v[42:43]
	s_mov_b32 s23, 0x3fe55555
	v_frexp_exp_i32_f64_e32 v48, v[42:43]
	v_cmp_gt_f64_e32 vcc, s[22:23], v[46:47]
	s_mov_b32 s22, 0xbf559e2b
	s_mov_b32 s23, 0x3fc3ab76
	v_subbrev_co_u32_e32 v63, vcc, 0, v48, vcc
	v_sub_u32_e32 v46, 0, v63
	v_ldexp_f64 v[42:43], v[42:43], v46
	v_ldexp_f64 v[44:45], v[44:45], v46
	v_add_f64 v[46:47], v[42:43], -1.0
	v_add_f64 v[52:53], v[42:43], 1.0
	v_add_f64 v[48:49], v[46:47], 1.0
	v_add_f64 v[54:55], v[52:53], -1.0
	v_add_f64 v[48:49], v[42:43], -v[48:49]
	v_add_f64 v[42:43], v[42:43], -v[54:55]
	v_add_f64 v[42:43], v[44:45], v[42:43]
	v_add_f64 v[48:49], v[44:45], v[48:49]
	v_add_f64 v[44:45], v[52:53], v[42:43]
	v_rcp_f64_e32 v[54:55], v[44:45]
	v_add_f64 v[50:51], v[46:47], v[48:49]
	v_add_f64 v[46:47], v[50:51], -v[46:47]
	v_add_f64 v[46:47], v[48:49], -v[46:47]
	;; [unrolled: 1-line block ×4, first 2 shown]
	v_fma_f64 v[48:49], -v[44:45], v[54:55], 1.0
	v_fmac_f64_e32 v[54:55], v[48:49], v[54:55]
	v_fma_f64 v[48:49], -v[44:45], v[54:55], 1.0
	v_fmac_f64_e32 v[54:55], v[48:49], v[54:55]
	v_mul_f64 v[48:49], v[50:51], v[54:55]
	v_mul_f64 v[52:53], v[44:45], v[48:49]
	v_fma_f64 v[56:57], v[48:49], v[44:45], -v[52:53]
	v_fmac_f64_e32 v[56:57], v[48:49], v[42:43]
	v_add_f64 v[58:59], v[52:53], v[56:57]
	v_add_f64 v[60:61], v[50:51], -v[58:59]
	v_add_f64 v[50:51], v[50:51], -v[60:61]
	;; [unrolled: 1-line block ×4, first 2 shown]
	v_add_f64 v[46:47], v[46:47], v[50:51]
	v_add_f64 v[50:51], v[52:53], -v[56:57]
	v_add_f64 v[46:47], v[50:51], v[46:47]
	v_add_f64 v[50:51], v[60:61], v[46:47]
	v_add_f64 v[52:53], v[60:61], -v[50:51]
	v_add_f64 v[46:47], v[46:47], v[52:53]
	v_mul_f64 v[52:53], v[54:55], v[50:51]
	v_mul_f64 v[56:57], v[44:45], v[52:53]
	v_fma_f64 v[44:45], v[52:53], v[44:45], -v[56:57]
	v_fmac_f64_e32 v[44:45], v[52:53], v[42:43]
	v_add_f64 v[42:43], v[56:57], v[44:45]
	v_add_f64 v[58:59], v[50:51], -v[42:43]
	v_add_f64 v[50:51], v[50:51], -v[58:59]
	;; [unrolled: 1-line block ×4, first 2 shown]
	v_add_f64 v[42:43], v[46:47], v[42:43]
	v_add_f64 v[44:45], v[56:57], -v[44:45]
	v_add_f64 v[42:43], v[44:45], v[42:43]
	v_add_f64 v[44:45], v[48:49], v[52:53]
	;; [unrolled: 1-line block ×3, first 2 shown]
	v_add_f64 v[46:47], v[44:45], -v[48:49]
	v_mul_f64 v[42:43], v[54:55], v[42:43]
	v_add_f64 v[46:47], v[52:53], -v[46:47]
	v_add_f64 v[42:43], v[46:47], v[42:43]
	v_add_f64 v[46:47], v[44:45], v[42:43]
	v_add_f64 v[44:45], v[46:47], -v[44:45]
	v_add_f64 v[42:43], v[42:43], -v[44:45]
	v_mul_f64 v[44:45], v[46:47], v[46:47]
	v_mov_b32_e32 v48, 0x6b47b09a
	v_mov_b32_e32 v49, 0x3fc38538
	v_fmac_f64_e32 v[48:49], s[22:23], v[44:45]
	v_mov_b32_e32 v50, 0xd7f4df2e
	v_mov_b32_e32 v51, 0x3fc7474d
	v_fmac_f64_e32 v[50:51], v[44:45], v[48:49]
	;; [unrolled: 3-line block ×6, first 2 shown]
	v_cvt_f64_i32_e32 v[48:49], v63
	s_mov_b32 s43, 0x3fe62e42
	v_mul_f64 v[52:53], v[48:49], s[42:43]
	v_fma_f64 v[54:55], v[48:49], s[42:43], -v[52:53]
	s_mov_b32 s45, 0x3c7abc9e
	v_fmac_f64_e32 v[54:55], s[44:45], v[48:49]
	v_add_f64 v[48:49], v[52:53], v[54:55]
	v_add_f64 v[52:53], v[48:49], -v[52:53]
	v_mul_f64 v[44:45], v[46:47], v[44:45]
	v_add_f64 v[52:53], v[54:55], -v[52:53]
	v_ldexp_f64 v[54:55], v[46:47], 1
	v_mul_f64 v[44:45], v[44:45], v[50:51]
	v_add_f64 v[46:47], v[54:55], v[44:45]
	v_add_f64 v[50:51], v[46:47], -v[54:55]
	v_ldexp_f64 v[42:43], v[42:43], 1
	v_add_f64 v[44:45], v[44:45], -v[50:51]
	v_add_f64 v[42:43], v[42:43], v[44:45]
	v_add_f64 v[44:45], v[46:47], v[42:43]
	v_add_f64 v[46:47], v[44:45], -v[46:47]
	v_add_f64 v[42:43], v[42:43], -v[46:47]
	v_add_f64 v[46:47], v[48:49], v[44:45]
	v_add_f64 v[50:51], v[46:47], -v[48:49]
	v_add_f64 v[54:55], v[46:47], -v[50:51]
	;; [unrolled: 1-line block ×4, first 2 shown]
	v_add_f64 v[44:45], v[44:45], v[48:49]
	v_add_f64 v[48:49], v[52:53], v[42:43]
	v_add_f64 v[50:51], v[48:49], -v[52:53]
	v_add_f64 v[44:45], v[48:49], v[44:45]
	v_add_f64 v[54:55], v[48:49], -v[50:51]
	;; [unrolled: 2-line block ×3, first 2 shown]
	v_add_f64 v[42:43], v[42:43], -v[50:51]
	v_add_f64 v[46:47], v[48:49], -v[46:47]
	v_add_f64 v[42:43], v[42:43], v[52:53]
	v_add_f64 v[44:45], v[44:45], -v[46:47]
	s_mov_b32 s22, 0
	v_add_f64 v[42:43], v[42:43], v[44:45]
	s_mov_b32 s23, 0x7ff00000
	v_add_f64 v[42:43], v[48:49], v[42:43]
	v_cmp_neq_f64_e32 vcc, s[22:23], v[40:41]
	v_mov_b32_e32 v44, 0x7ff80000
	v_cmp_ngt_f64_e64 s[22:23], -1.0, v[40:41]
	v_cndmask_b32_e32 v43, v62, v43, vcc
	s_nop 0
	v_cndmask_b32_e64 v43, v44, v43, s[22:23]
	v_cmp_nge_f64_e64 s[22:23], -1.0, v[40:41]
	s_and_b64 vcc, s[22:23], vcc
	v_cndmask_b32_e32 v42, 0, v42, vcc
	v_mov_b32_e32 v44, 0xfff00000
	v_cmp_neq_f64_e32 vcc, -1.0, v[40:41]
	s_nop 1
	v_cndmask_b32_e32 v43, v44, v43, vcc
	v_add_f64 v[40:41], v[10:11], v[42:43]
.LBB1_91:
	s_or_b64 exec, exec, s[40:41]
	v_mov_b32_e32 v10, v40
	v_mov_b32_e32 v11, v41
	v_mov_b64_e32 v[72:73], v[40:41]
.LBB1_92:
	s_or_b64 exec, exec, s[38:39]
	v_cmp_gt_u32_e32 vcc, 48, v31
	v_add_u32_e32 v86, 16, v31
	s_waitcnt lgkmcnt(1)
	v_cndmask_b32_e64 v40, 0, 16, vcc
	v_add_lshl_u32 v85, v40, v39, 2
	ds_bpermute_b32 v40, v85, v10
	s_waitcnt lgkmcnt(1)
	ds_bpermute_b32 v41, v85, v11
	v_cmp_le_u32_e32 vcc, v86, v13
	s_and_saveexec_b64 s[38:39], vcc
	s_cbranch_execz .LBB1_96
; %bb.93:
	s_waitcnt lgkmcnt(0)
	v_max_f64 v[10:11], v[40:41], v[40:41]
	v_max_f64 v[44:45], v[72:73], v[72:73]
	v_min_f64 v[42:43], v[10:11], v[44:45]
	v_cmp_u_f64_e32 vcc, v[40:41], v[40:41]
	v_max_f64 v[10:11], v[10:11], v[44:45]
	v_cmp_u_f64_e64 s[22:23], v[72:73], v[72:73]
	v_cndmask_b32_e32 v43, v43, v41, vcc
	v_cndmask_b32_e32 v42, v42, v40, vcc
	;; [unrolled: 1-line block ×4, first 2 shown]
	v_cndmask_b32_e64 v43, v43, v73, s[22:23]
	v_cndmask_b32_e64 v42, v42, v72, s[22:23]
	;; [unrolled: 1-line block ×4, first 2 shown]
	s_movk_i32 s3, 0x1f8
	v_cmp_neq_f64_e32 vcc, v[42:43], v[10:11]
	v_cmp_class_f64_e64 s[22:23], v[42:43], s3
	s_or_b64 s[22:23], vcc, s[22:23]
	s_and_saveexec_b64 s[40:41], s[22:23]
	s_cbranch_execz .LBB1_95
; %bb.94:
	s_mov_b32 s22, 0x652b82fe
	v_add_f64 v[40:41], v[42:43], -v[10:11]
	s_mov_b32 s23, 0x3ff71547
	v_mul_f64 v[42:43], v[40:41], s[22:23]
	v_rndne_f64_e32 v[42:43], v[42:43]
	s_mov_b32 s43, 0xbfe62e42
	s_mov_b32 s42, 0xfefa39ef
	v_fma_f64 v[44:45], s[42:43], v[42:43], v[40:41]
	s_mov_b32 s45, 0xbc7abc9e
	s_mov_b32 s44, 0x3b39803f
	;; [unrolled: 1-line block ×3, first 2 shown]
	v_fmac_f64_e32 v[44:45], s[44:45], v[42:43]
	v_mov_b32_e32 v46, 0xfca7ab0c
	v_mov_b32_e32 v47, 0x3e928af3
	s_mov_b32 s23, 0x3e5ade15
	v_fmac_f64_e32 v[46:47], s[22:23], v[44:45]
	v_mov_b32_e32 v48, 0x623fde64
	v_mov_b32_e32 v49, 0x3ec71dee
	v_fmac_f64_e32 v[48:49], v[44:45], v[46:47]
	v_mov_b32_e32 v46, 0x7c89e6b0
	v_mov_b32_e32 v47, 0x3efa0199
	;; [unrolled: 3-line block ×8, first 2 shown]
	s_mov_b32 s22, 0
	v_fmac_f64_e32 v[46:47], v[44:45], v[48:49]
	s_mov_b32 s23, 0x40900000
	v_fma_f64 v[46:47], v[44:45], v[46:47], 1.0
	v_cmp_nlt_f64_e32 vcc, s[22:23], v[40:41]
	s_mov_b32 s22, 0
	v_fma_f64 v[44:45], v[44:45], v[46:47], 1.0
	v_cvt_i32_f64_e32 v42, v[42:43]
	s_mov_b32 s23, 0xc090cc00
	v_ldexp_f64 v[42:43], v[44:45], v42
	v_mov_b32_e32 v62, 0x7ff00000
	v_cmp_ngt_f64_e64 s[22:23], s[22:23], v[40:41]
	v_cndmask_b32_e32 v43, v62, v43, vcc
	s_and_b64 vcc, s[22:23], vcc
	v_cndmask_b32_e64 v41, 0, v43, s[22:23]
	v_cndmask_b32_e32 v40, 0, v42, vcc
	v_add_f64 v[42:43], v[40:41], 1.0
	v_add_f64 v[44:45], v[42:43], -1.0
	v_add_f64 v[46:47], v[44:45], -v[42:43]
	v_add_f64 v[46:47], v[46:47], 1.0
	v_add_f64 v[44:45], v[40:41], -v[44:45]
	s_mov_b32 s22, 0x55555555
	v_add_f64 v[44:45], v[44:45], v[46:47]
	v_frexp_mant_f64_e32 v[46:47], v[42:43]
	s_mov_b32 s23, 0x3fe55555
	v_frexp_exp_i32_f64_e32 v48, v[42:43]
	v_cmp_gt_f64_e32 vcc, s[22:23], v[46:47]
	s_mov_b32 s22, 0xbf559e2b
	s_mov_b32 s23, 0x3fc3ab76
	v_subbrev_co_u32_e32 v63, vcc, 0, v48, vcc
	v_sub_u32_e32 v46, 0, v63
	v_ldexp_f64 v[42:43], v[42:43], v46
	v_ldexp_f64 v[44:45], v[44:45], v46
	v_add_f64 v[46:47], v[42:43], -1.0
	v_add_f64 v[52:53], v[42:43], 1.0
	v_add_f64 v[48:49], v[46:47], 1.0
	v_add_f64 v[54:55], v[52:53], -1.0
	v_add_f64 v[48:49], v[42:43], -v[48:49]
	v_add_f64 v[42:43], v[42:43], -v[54:55]
	v_add_f64 v[42:43], v[44:45], v[42:43]
	v_add_f64 v[48:49], v[44:45], v[48:49]
	;; [unrolled: 1-line block ×3, first 2 shown]
	v_rcp_f64_e32 v[54:55], v[44:45]
	v_add_f64 v[50:51], v[46:47], v[48:49]
	v_add_f64 v[46:47], v[50:51], -v[46:47]
	v_add_f64 v[46:47], v[48:49], -v[46:47]
	;; [unrolled: 1-line block ×4, first 2 shown]
	v_fma_f64 v[48:49], -v[44:45], v[54:55], 1.0
	v_fmac_f64_e32 v[54:55], v[48:49], v[54:55]
	v_fma_f64 v[48:49], -v[44:45], v[54:55], 1.0
	v_fmac_f64_e32 v[54:55], v[48:49], v[54:55]
	v_mul_f64 v[48:49], v[50:51], v[54:55]
	v_mul_f64 v[52:53], v[44:45], v[48:49]
	v_fma_f64 v[56:57], v[48:49], v[44:45], -v[52:53]
	v_fmac_f64_e32 v[56:57], v[48:49], v[42:43]
	v_add_f64 v[58:59], v[52:53], v[56:57]
	v_add_f64 v[60:61], v[50:51], -v[58:59]
	v_add_f64 v[50:51], v[50:51], -v[60:61]
	;; [unrolled: 1-line block ×4, first 2 shown]
	v_add_f64 v[46:47], v[46:47], v[50:51]
	v_add_f64 v[50:51], v[52:53], -v[56:57]
	v_add_f64 v[46:47], v[50:51], v[46:47]
	v_add_f64 v[50:51], v[60:61], v[46:47]
	v_add_f64 v[52:53], v[60:61], -v[50:51]
	v_add_f64 v[46:47], v[46:47], v[52:53]
	v_mul_f64 v[52:53], v[54:55], v[50:51]
	v_mul_f64 v[56:57], v[44:45], v[52:53]
	v_fma_f64 v[44:45], v[52:53], v[44:45], -v[56:57]
	v_fmac_f64_e32 v[44:45], v[52:53], v[42:43]
	v_add_f64 v[42:43], v[56:57], v[44:45]
	v_add_f64 v[58:59], v[50:51], -v[42:43]
	v_add_f64 v[50:51], v[50:51], -v[58:59]
	;; [unrolled: 1-line block ×4, first 2 shown]
	v_add_f64 v[42:43], v[46:47], v[42:43]
	v_add_f64 v[44:45], v[56:57], -v[44:45]
	v_add_f64 v[42:43], v[44:45], v[42:43]
	v_add_f64 v[44:45], v[48:49], v[52:53]
	;; [unrolled: 1-line block ×3, first 2 shown]
	v_add_f64 v[46:47], v[44:45], -v[48:49]
	v_mul_f64 v[42:43], v[54:55], v[42:43]
	v_add_f64 v[46:47], v[52:53], -v[46:47]
	v_add_f64 v[42:43], v[46:47], v[42:43]
	v_add_f64 v[46:47], v[44:45], v[42:43]
	v_add_f64 v[44:45], v[46:47], -v[44:45]
	v_add_f64 v[42:43], v[42:43], -v[44:45]
	v_mul_f64 v[44:45], v[46:47], v[46:47]
	v_mov_b32_e32 v48, 0x6b47b09a
	v_mov_b32_e32 v49, 0x3fc38538
	v_fmac_f64_e32 v[48:49], s[22:23], v[44:45]
	v_mov_b32_e32 v50, 0xd7f4df2e
	v_mov_b32_e32 v51, 0x3fc7474d
	v_fmac_f64_e32 v[50:51], v[44:45], v[48:49]
	;; [unrolled: 3-line block ×6, first 2 shown]
	v_cvt_f64_i32_e32 v[48:49], v63
	s_mov_b32 s43, 0x3fe62e42
	v_mul_f64 v[52:53], v[48:49], s[42:43]
	v_fma_f64 v[54:55], v[48:49], s[42:43], -v[52:53]
	s_mov_b32 s45, 0x3c7abc9e
	v_fmac_f64_e32 v[54:55], s[44:45], v[48:49]
	v_add_f64 v[48:49], v[52:53], v[54:55]
	v_add_f64 v[52:53], v[48:49], -v[52:53]
	v_mul_f64 v[44:45], v[46:47], v[44:45]
	v_add_f64 v[52:53], v[54:55], -v[52:53]
	v_ldexp_f64 v[54:55], v[46:47], 1
	v_mul_f64 v[44:45], v[44:45], v[50:51]
	v_add_f64 v[46:47], v[54:55], v[44:45]
	v_add_f64 v[50:51], v[46:47], -v[54:55]
	v_ldexp_f64 v[42:43], v[42:43], 1
	v_add_f64 v[44:45], v[44:45], -v[50:51]
	v_add_f64 v[42:43], v[42:43], v[44:45]
	v_add_f64 v[44:45], v[46:47], v[42:43]
	v_add_f64 v[46:47], v[44:45], -v[46:47]
	v_add_f64 v[42:43], v[42:43], -v[46:47]
	v_add_f64 v[46:47], v[48:49], v[44:45]
	v_add_f64 v[50:51], v[46:47], -v[48:49]
	v_add_f64 v[54:55], v[46:47], -v[50:51]
	;; [unrolled: 1-line block ×4, first 2 shown]
	v_add_f64 v[44:45], v[44:45], v[48:49]
	v_add_f64 v[48:49], v[52:53], v[42:43]
	v_add_f64 v[50:51], v[48:49], -v[52:53]
	v_add_f64 v[44:45], v[48:49], v[44:45]
	v_add_f64 v[54:55], v[48:49], -v[50:51]
	;; [unrolled: 2-line block ×3, first 2 shown]
	v_add_f64 v[42:43], v[42:43], -v[50:51]
	v_add_f64 v[46:47], v[48:49], -v[46:47]
	v_add_f64 v[42:43], v[42:43], v[52:53]
	v_add_f64 v[44:45], v[44:45], -v[46:47]
	s_mov_b32 s22, 0
	v_add_f64 v[42:43], v[42:43], v[44:45]
	s_mov_b32 s23, 0x7ff00000
	v_add_f64 v[42:43], v[48:49], v[42:43]
	v_cmp_neq_f64_e32 vcc, s[22:23], v[40:41]
	v_mov_b32_e32 v44, 0x7ff80000
	v_cmp_ngt_f64_e64 s[22:23], -1.0, v[40:41]
	v_cndmask_b32_e32 v43, v62, v43, vcc
	s_nop 0
	v_cndmask_b32_e64 v43, v44, v43, s[22:23]
	v_cmp_nge_f64_e64 s[22:23], -1.0, v[40:41]
	s_and_b64 vcc, s[22:23], vcc
	v_cndmask_b32_e32 v42, 0, v42, vcc
	v_mov_b32_e32 v44, 0xfff00000
	v_cmp_neq_f64_e32 vcc, -1.0, v[40:41]
	s_nop 1
	v_cndmask_b32_e32 v43, v44, v43, vcc
	v_add_f64 v[40:41], v[10:11], v[42:43]
.LBB1_95:
	s_or_b64 exec, exec, s[40:41]
	v_mov_b32_e32 v10, v40
	v_mov_b32_e32 v11, v41
	v_mov_b64_e32 v[72:73], v[40:41]
.LBB1_96:
	s_or_b64 exec, exec, s[38:39]
	s_waitcnt lgkmcnt(1)
	v_mov_b32_e32 v40, 0x80
	v_lshl_or_b32 v87, v39, 2, v40
	ds_bpermute_b32 v40, v87, v10
	s_waitcnt lgkmcnt(1)
	ds_bpermute_b32 v41, v87, v11
	v_add_u32_e32 v88, 32, v31
	v_cmp_le_u32_e32 vcc, v88, v13
	s_and_saveexec_b64 s[38:39], vcc
	s_cbranch_execz .LBB1_100
; %bb.97:
	s_waitcnt lgkmcnt(0)
	v_max_f64 v[10:11], v[40:41], v[40:41]
	v_max_f64 v[44:45], v[72:73], v[72:73]
	v_min_f64 v[42:43], v[10:11], v[44:45]
	v_cmp_u_f64_e32 vcc, v[40:41], v[40:41]
	v_max_f64 v[10:11], v[10:11], v[44:45]
	v_cmp_u_f64_e64 s[22:23], v[72:73], v[72:73]
	v_cndmask_b32_e32 v13, v43, v41, vcc
	v_cndmask_b32_e32 v39, v42, v40, vcc
	;; [unrolled: 1-line block ×4, first 2 shown]
	v_cndmask_b32_e64 v43, v13, v73, s[22:23]
	v_cndmask_b32_e64 v42, v39, v72, s[22:23]
	;; [unrolled: 1-line block ×4, first 2 shown]
	s_movk_i32 s3, 0x1f8
	v_cmp_neq_f64_e32 vcc, v[42:43], v[10:11]
	v_cmp_class_f64_e64 s[22:23], v[42:43], s3
	s_or_b64 s[22:23], vcc, s[22:23]
	s_and_saveexec_b64 s[40:41], s[22:23]
	s_cbranch_execz .LBB1_99
; %bb.98:
	s_mov_b32 s22, 0x652b82fe
	v_add_f64 v[40:41], v[42:43], -v[10:11]
	s_mov_b32 s23, 0x3ff71547
	v_mul_f64 v[42:43], v[40:41], s[22:23]
	v_rndne_f64_e32 v[42:43], v[42:43]
	s_mov_b32 s43, 0xbfe62e42
	s_mov_b32 s42, 0xfefa39ef
	v_fma_f64 v[44:45], s[42:43], v[42:43], v[40:41]
	s_mov_b32 s45, 0xbc7abc9e
	s_mov_b32 s44, 0x3b39803f
	;; [unrolled: 1-line block ×3, first 2 shown]
	v_fmac_f64_e32 v[44:45], s[44:45], v[42:43]
	v_mov_b32_e32 v46, 0xfca7ab0c
	v_mov_b32_e32 v47, 0x3e928af3
	s_mov_b32 s23, 0x3e5ade15
	v_fmac_f64_e32 v[46:47], s[22:23], v[44:45]
	v_mov_b32_e32 v48, 0x623fde64
	v_mov_b32_e32 v49, 0x3ec71dee
	v_fmac_f64_e32 v[48:49], v[44:45], v[46:47]
	v_mov_b32_e32 v46, 0x7c89e6b0
	v_mov_b32_e32 v47, 0x3efa0199
	;; [unrolled: 3-line block ×8, first 2 shown]
	s_mov_b32 s22, 0
	v_fmac_f64_e32 v[46:47], v[44:45], v[48:49]
	s_mov_b32 s23, 0x40900000
	v_fma_f64 v[46:47], v[44:45], v[46:47], 1.0
	v_cmp_nlt_f64_e32 vcc, s[22:23], v[40:41]
	s_mov_b32 s22, 0
	v_fma_f64 v[44:45], v[44:45], v[46:47], 1.0
	v_cvt_i32_f64_e32 v13, v[42:43]
	s_mov_b32 s23, 0xc090cc00
	v_ldexp_f64 v[42:43], v[44:45], v13
	v_mov_b32_e32 v13, 0x7ff00000
	v_cmp_ngt_f64_e64 s[22:23], s[22:23], v[40:41]
	v_cndmask_b32_e32 v39, v13, v43, vcc
	s_and_b64 vcc, s[22:23], vcc
	v_cndmask_b32_e64 v41, 0, v39, s[22:23]
	v_cndmask_b32_e32 v40, 0, v42, vcc
	v_add_f64 v[42:43], v[40:41], 1.0
	v_add_f64 v[44:45], v[42:43], -1.0
	v_add_f64 v[46:47], v[44:45], -v[42:43]
	v_add_f64 v[46:47], v[46:47], 1.0
	v_add_f64 v[44:45], v[40:41], -v[44:45]
	s_mov_b32 s22, 0x55555555
	v_add_f64 v[44:45], v[44:45], v[46:47]
	v_frexp_mant_f64_e32 v[46:47], v[42:43]
	s_mov_b32 s23, 0x3fe55555
	v_frexp_exp_i32_f64_e32 v39, v[42:43]
	v_cmp_gt_f64_e32 vcc, s[22:23], v[46:47]
	s_mov_b32 s22, 0xbf559e2b
	s_mov_b32 s23, 0x3fc3ab76
	v_subbrev_co_u32_e32 v39, vcc, 0, v39, vcc
	v_sub_u32_e32 v46, 0, v39
	v_ldexp_f64 v[42:43], v[42:43], v46
	v_ldexp_f64 v[44:45], v[44:45], v46
	v_add_f64 v[46:47], v[42:43], -1.0
	v_add_f64 v[52:53], v[42:43], 1.0
	v_add_f64 v[48:49], v[46:47], 1.0
	v_add_f64 v[54:55], v[52:53], -1.0
	v_add_f64 v[48:49], v[42:43], -v[48:49]
	v_add_f64 v[42:43], v[42:43], -v[54:55]
	v_add_f64 v[42:43], v[44:45], v[42:43]
	v_add_f64 v[48:49], v[44:45], v[48:49]
	;; [unrolled: 1-line block ×3, first 2 shown]
	v_rcp_f64_e32 v[54:55], v[44:45]
	v_add_f64 v[50:51], v[46:47], v[48:49]
	v_add_f64 v[46:47], v[50:51], -v[46:47]
	v_add_f64 v[46:47], v[48:49], -v[46:47]
	;; [unrolled: 1-line block ×4, first 2 shown]
	v_fma_f64 v[48:49], -v[44:45], v[54:55], 1.0
	v_fmac_f64_e32 v[54:55], v[48:49], v[54:55]
	v_fma_f64 v[48:49], -v[44:45], v[54:55], 1.0
	v_fmac_f64_e32 v[54:55], v[48:49], v[54:55]
	v_mul_f64 v[48:49], v[50:51], v[54:55]
	v_mul_f64 v[52:53], v[44:45], v[48:49]
	v_fma_f64 v[56:57], v[48:49], v[44:45], -v[52:53]
	v_fmac_f64_e32 v[56:57], v[48:49], v[42:43]
	v_add_f64 v[58:59], v[52:53], v[56:57]
	v_add_f64 v[60:61], v[50:51], -v[58:59]
	v_add_f64 v[50:51], v[50:51], -v[60:61]
	;; [unrolled: 1-line block ×4, first 2 shown]
	v_add_f64 v[46:47], v[46:47], v[50:51]
	v_add_f64 v[50:51], v[52:53], -v[56:57]
	v_add_f64 v[46:47], v[50:51], v[46:47]
	v_add_f64 v[50:51], v[60:61], v[46:47]
	v_add_f64 v[52:53], v[60:61], -v[50:51]
	v_add_f64 v[46:47], v[46:47], v[52:53]
	v_mul_f64 v[52:53], v[54:55], v[50:51]
	v_mul_f64 v[56:57], v[44:45], v[52:53]
	v_fma_f64 v[44:45], v[52:53], v[44:45], -v[56:57]
	v_fmac_f64_e32 v[44:45], v[52:53], v[42:43]
	v_add_f64 v[42:43], v[56:57], v[44:45]
	v_add_f64 v[58:59], v[50:51], -v[42:43]
	v_add_f64 v[50:51], v[50:51], -v[58:59]
	;; [unrolled: 1-line block ×4, first 2 shown]
	v_add_f64 v[42:43], v[46:47], v[42:43]
	v_add_f64 v[44:45], v[56:57], -v[44:45]
	v_add_f64 v[42:43], v[44:45], v[42:43]
	v_add_f64 v[44:45], v[48:49], v[52:53]
	;; [unrolled: 1-line block ×3, first 2 shown]
	v_add_f64 v[46:47], v[44:45], -v[48:49]
	v_mul_f64 v[42:43], v[54:55], v[42:43]
	v_add_f64 v[46:47], v[52:53], -v[46:47]
	v_add_f64 v[42:43], v[46:47], v[42:43]
	v_add_f64 v[46:47], v[44:45], v[42:43]
	v_add_f64 v[44:45], v[46:47], -v[44:45]
	v_add_f64 v[42:43], v[42:43], -v[44:45]
	v_mul_f64 v[44:45], v[46:47], v[46:47]
	v_mov_b32_e32 v48, 0x6b47b09a
	v_mov_b32_e32 v49, 0x3fc38538
	v_fmac_f64_e32 v[48:49], s[22:23], v[44:45]
	v_mov_b32_e32 v50, 0xd7f4df2e
	v_mov_b32_e32 v51, 0x3fc7474d
	v_fmac_f64_e32 v[50:51], v[44:45], v[48:49]
	;; [unrolled: 3-line block ×6, first 2 shown]
	v_cvt_f64_i32_e32 v[48:49], v39
	s_mov_b32 s43, 0x3fe62e42
	v_mul_f64 v[52:53], v[48:49], s[42:43]
	v_fma_f64 v[54:55], v[48:49], s[42:43], -v[52:53]
	s_mov_b32 s45, 0x3c7abc9e
	v_fmac_f64_e32 v[54:55], s[44:45], v[48:49]
	v_add_f64 v[48:49], v[52:53], v[54:55]
	v_add_f64 v[52:53], v[48:49], -v[52:53]
	v_mul_f64 v[44:45], v[46:47], v[44:45]
	v_add_f64 v[52:53], v[54:55], -v[52:53]
	v_ldexp_f64 v[54:55], v[46:47], 1
	v_mul_f64 v[44:45], v[44:45], v[50:51]
	v_add_f64 v[46:47], v[54:55], v[44:45]
	v_add_f64 v[50:51], v[46:47], -v[54:55]
	v_ldexp_f64 v[42:43], v[42:43], 1
	v_add_f64 v[44:45], v[44:45], -v[50:51]
	v_add_f64 v[42:43], v[42:43], v[44:45]
	v_add_f64 v[44:45], v[46:47], v[42:43]
	v_add_f64 v[46:47], v[44:45], -v[46:47]
	v_add_f64 v[42:43], v[42:43], -v[46:47]
	v_add_f64 v[46:47], v[48:49], v[44:45]
	v_add_f64 v[50:51], v[46:47], -v[48:49]
	v_add_f64 v[54:55], v[46:47], -v[50:51]
	;; [unrolled: 1-line block ×4, first 2 shown]
	v_add_f64 v[44:45], v[44:45], v[48:49]
	v_add_f64 v[48:49], v[52:53], v[42:43]
	v_add_f64 v[50:51], v[48:49], -v[52:53]
	v_add_f64 v[44:45], v[48:49], v[44:45]
	v_add_f64 v[54:55], v[48:49], -v[50:51]
	;; [unrolled: 2-line block ×3, first 2 shown]
	v_add_f64 v[42:43], v[42:43], -v[50:51]
	v_add_f64 v[46:47], v[48:49], -v[46:47]
	v_add_f64 v[42:43], v[42:43], v[52:53]
	v_add_f64 v[44:45], v[44:45], -v[46:47]
	s_mov_b32 s22, 0
	v_add_f64 v[42:43], v[42:43], v[44:45]
	s_mov_b32 s23, 0x7ff00000
	v_add_f64 v[42:43], v[48:49], v[42:43]
	v_cmp_neq_f64_e32 vcc, s[22:23], v[40:41]
	v_mov_b32_e32 v39, 0x7ff80000
	v_cmp_ngt_f64_e64 s[22:23], -1.0, v[40:41]
	v_cndmask_b32_e32 v13, v13, v43, vcc
	s_nop 0
	v_cndmask_b32_e64 v13, v39, v13, s[22:23]
	v_cmp_nge_f64_e64 s[22:23], -1.0, v[40:41]
	s_and_b64 vcc, s[22:23], vcc
	v_cndmask_b32_e32 v42, 0, v42, vcc
	v_mov_b32_e32 v39, 0xfff00000
	v_cmp_neq_f64_e32 vcc, -1.0, v[40:41]
	s_nop 1
	v_cndmask_b32_e32 v43, v39, v13, vcc
	v_add_f64 v[40:41], v[10:11], v[42:43]
.LBB1_99:
	s_or_b64 exec, exec, s[40:41]
	v_mov_b64_e32 v[72:73], v[40:41]
.LBB1_100:
	s_or_b64 exec, exec, s[38:39]
	s_mov_b32 s38, 0x652b82fe
	s_mov_b32 s40, 0xfefa39ef
	;; [unrolled: 1-line block ×9, first 2 shown]
	v_mov_b32_e32 v39, 0
	s_movk_i32 s3, 0x1f8
	s_mov_b32 s39, 0x3ff71547
	s_mov_b32 s41, 0xbfe62e42
	;; [unrolled: 1-line block ×11, first 2 shown]
	v_mov_b32_e32 v89, 2
	v_mov_b32_e32 v42, 0xfca7ab0c
	;; [unrolled: 1-line block ×34, first 2 shown]
	s_branch .LBB1_103
.LBB1_101:                              ;   in Loop: Header=BB1_103 Depth=1
	s_or_b64 exec, exec, s[60:61]
	v_subrev_u32_e32 v38, 64, v38
	s_mov_b64 s[22:23], 0
.LBB1_102:                              ;   in Loop: Header=BB1_103 Depth=1
	s_and_b64 vcc, exec, s[22:23]
	s_cbranch_vccnz .LBB1_135
.LBB1_103:                              ; =>This Loop Header: Depth=1
                                        ;     Child Loop BB1_106 Depth 2
	v_cmp_ne_u16_sdwa s[22:23], v12, v89 src0_sel:BYTE_0 src1_sel:DWORD
	s_waitcnt lgkmcnt(0)
	v_mov_b64_e32 v[40:41], v[72:73]
	s_cmp_lg_u64 s[22:23], exec
	s_mov_b64 s[22:23], -1
                                        ; implicit-def: $vgpr72_vgpr73
                                        ; implicit-def: $vgpr12
	s_cbranch_scc1 .LBB1_102
; %bb.104:                              ;   in Loop: Header=BB1_103 Depth=1
	v_lshl_add_u64 v[72:73], v[38:39], 4, s[34:35]
	;;#ASMSTART
	global_load_dwordx4 v[10:13], v[72:73] off sc1	
s_waitcnt vmcnt(0)
	;;#ASMEND
	s_nop 0
	v_cmp_eq_u16_sdwa s[60:61], v12, v39 src0_sel:BYTE_0 src1_sel:DWORD
	s_and_saveexec_b64 s[22:23], s[60:61]
	s_cbranch_execz .LBB1_108
; %bb.105:                              ;   in Loop: Header=BB1_103 Depth=1
	s_mov_b64 s[60:61], 0
.LBB1_106:                              ;   Parent Loop BB1_103 Depth=1
                                        ; =>  This Inner Loop Header: Depth=2
	;;#ASMSTART
	global_load_dwordx4 v[10:13], v[72:73] off sc1	
s_waitcnt vmcnt(0)
	;;#ASMEND
	s_nop 0
	v_cmp_ne_u16_sdwa s[62:63], v12, v39 src0_sel:BYTE_0 src1_sel:DWORD
	s_or_b64 s[60:61], s[62:63], s[60:61]
	s_andn2_b64 exec, exec, s[60:61]
	s_cbranch_execnz .LBB1_106
; %bb.107:                              ;   in Loop: Header=BB1_103 Depth=1
	s_or_b64 exec, exec, s[60:61]
.LBB1_108:                              ;   in Loop: Header=BB1_103 Depth=1
	s_or_b64 exec, exec, s[22:23]
	v_cmp_eq_u16_sdwa s[22:23], v12, v89 src0_sel:BYTE_0 src1_sel:DWORD
	ds_bpermute_b32 v74, v78, v10
	ds_bpermute_b32 v75, v78, v11
	v_and_b32_e32 v13, s23, v9
	v_or_b32_e32 v13, 0x80000000, v13
	v_and_b32_e32 v72, s22, v8
	v_ffbl_b32_e32 v13, v13
	v_add_u32_e32 v13, 32, v13
	v_ffbl_b32_e32 v72, v72
	v_min_u32_e32 v13, v72, v13
	v_cmp_lt_u32_e32 vcc, v31, v13
	v_mov_b64_e32 v[72:73], v[10:11]
	s_and_saveexec_b64 s[60:61], vcc
	s_cbranch_execz .LBB1_112
; %bb.109:                              ;   in Loop: Header=BB1_103 Depth=1
	s_waitcnt lgkmcnt(0)
	v_max_f64 v[76:77], v[74:75], v[74:75]
	v_max_f64 v[94:95], v[10:11], v[10:11]
	v_min_f64 v[72:73], v[76:77], v[94:95]
	v_cmp_u_f64_e32 vcc, v[74:75], v[74:75]
	v_max_f64 v[76:77], v[76:77], v[94:95]
	v_cmp_u_f64_e64 s[22:23], v[10:11], v[10:11]
	v_cndmask_b32_e32 v73, v73, v75, vcc
	v_cndmask_b32_e32 v72, v72, v74, vcc
	;; [unrolled: 1-line block ×4, first 2 shown]
	v_cndmask_b32_e64 v73, v73, v11, s[22:23]
	v_cndmask_b32_e64 v72, v72, v10, s[22:23]
	;; [unrolled: 1-line block ×4, first 2 shown]
	v_cmp_neq_f64_e32 vcc, v[72:73], v[10:11]
	v_cmp_class_f64_e64 s[22:23], v[72:73], s3
	s_or_b64 s[22:23], vcc, s[22:23]
	s_and_saveexec_b64 s[62:63], s[22:23]
	s_cbranch_execz .LBB1_111
; %bb.110:                              ;   in Loop: Header=BB1_103 Depth=1
	v_add_f64 v[72:73], v[72:73], -v[10:11]
	v_mul_f64 v[74:75], v[72:73], s[38:39]
	v_rndne_f64_e32 v[74:75], v[74:75]
	v_fma_f64 v[76:77], s[40:41], v[74:75], v[72:73]
	v_fmac_f64_e32 v[76:77], s[42:43], v[74:75]
	v_mov_b64_e32 v[94:95], v[42:43]
	v_fmac_f64_e32 v[94:95], s[44:45], v[76:77]
	v_mov_b64_e32 v[96:97], v[44:45]
	;; [unrolled: 2-line block ×9, first 2 shown]
	v_fmac_f64_e32 v[94:95], v[76:77], v[96:97]
	v_fma_f64 v[94:95], v[76:77], v[94:95], 1.0
	v_fma_f64 v[76:77], v[76:77], v[94:95], 1.0
	v_cvt_i32_f64_e32 v74, v[74:75]
	v_ldexp_f64 v[74:75], v[76:77], v74
	v_cmp_nlt_f64_e32 vcc, s[46:47], v[72:73]
	v_cmp_ngt_f64_e64 s[22:23], s[48:49], v[72:73]
	s_mov_b32 s54, s40
	v_cndmask_b32_e32 v75, v90, v75, vcc
	s_and_b64 vcc, s[22:23], vcc
	v_cndmask_b32_e64 v73, 0, v75, s[22:23]
	v_cndmask_b32_e32 v72, 0, v74, vcc
	v_add_f64 v[74:75], v[72:73], 1.0
	v_add_f64 v[76:77], v[74:75], -1.0
	v_add_f64 v[94:95], v[76:77], -v[74:75]
	v_add_f64 v[94:95], v[94:95], 1.0
	v_add_f64 v[76:77], v[72:73], -v[76:77]
	v_add_f64 v[76:77], v[76:77], v[94:95]
	v_frexp_mant_f64_e32 v[94:95], v[74:75]
	v_frexp_exp_i32_f64_e32 v93, v[74:75]
	v_cmp_gt_f64_e32 vcc, s[50:51], v[94:95]
	s_mov_b32 s56, s42
	v_cmp_ngt_f64_e64 s[22:23], -1.0, v[72:73]
	v_subbrev_co_u32_e32 v93, vcc, 0, v93, vcc
	v_sub_u32_e32 v94, 0, v93
	v_ldexp_f64 v[74:75], v[74:75], v94
	v_ldexp_f64 v[76:77], v[76:77], v94
	v_add_f64 v[94:95], v[74:75], -1.0
	v_add_f64 v[100:101], v[74:75], 1.0
	v_add_f64 v[96:97], v[94:95], 1.0
	v_add_f64 v[102:103], v[100:101], -1.0
	v_add_f64 v[96:97], v[74:75], -v[96:97]
	v_add_f64 v[74:75], v[74:75], -v[102:103]
	v_add_f64 v[74:75], v[76:77], v[74:75]
	v_add_f64 v[96:97], v[76:77], v[96:97]
	;; [unrolled: 1-line block ×3, first 2 shown]
	v_rcp_f64_e32 v[102:103], v[76:77]
	v_add_f64 v[98:99], v[94:95], v[96:97]
	v_add_f64 v[94:95], v[98:99], -v[94:95]
	v_add_f64 v[94:95], v[96:97], -v[94:95]
	v_add_f64 v[96:97], v[76:77], -v[100:101]
	v_add_f64 v[74:75], v[74:75], -v[96:97]
	v_fma_f64 v[96:97], -v[76:77], v[102:103], 1.0
	v_fmac_f64_e32 v[102:103], v[96:97], v[102:103]
	v_fma_f64 v[96:97], -v[76:77], v[102:103], 1.0
	v_fmac_f64_e32 v[102:103], v[96:97], v[102:103]
	v_mul_f64 v[96:97], v[98:99], v[102:103]
	v_mul_f64 v[100:101], v[76:77], v[96:97]
	v_fma_f64 v[104:105], v[96:97], v[76:77], -v[100:101]
	v_fmac_f64_e32 v[104:105], v[96:97], v[74:75]
	v_add_f64 v[106:107], v[100:101], v[104:105]
	v_add_f64 v[108:109], v[98:99], -v[106:107]
	v_add_f64 v[98:99], v[98:99], -v[108:109]
	;; [unrolled: 1-line block ×4, first 2 shown]
	v_add_f64 v[94:95], v[94:95], v[98:99]
	v_add_f64 v[98:99], v[100:101], -v[104:105]
	v_add_f64 v[94:95], v[98:99], v[94:95]
	v_add_f64 v[98:99], v[108:109], v[94:95]
	v_add_f64 v[100:101], v[108:109], -v[98:99]
	v_add_f64 v[94:95], v[94:95], v[100:101]
	v_mul_f64 v[100:101], v[102:103], v[98:99]
	v_mul_f64 v[104:105], v[76:77], v[100:101]
	v_fma_f64 v[76:77], v[100:101], v[76:77], -v[104:105]
	v_fmac_f64_e32 v[76:77], v[100:101], v[74:75]
	v_add_f64 v[74:75], v[104:105], v[76:77]
	v_add_f64 v[106:107], v[98:99], -v[74:75]
	v_add_f64 v[98:99], v[98:99], -v[106:107]
	;; [unrolled: 1-line block ×4, first 2 shown]
	v_add_f64 v[74:75], v[94:95], v[74:75]
	v_add_f64 v[76:77], v[104:105], -v[76:77]
	v_add_f64 v[74:75], v[76:77], v[74:75]
	v_add_f64 v[76:77], v[96:97], v[100:101]
	;; [unrolled: 1-line block ×3, first 2 shown]
	v_add_f64 v[94:95], v[76:77], -v[96:97]
	v_mul_f64 v[74:75], v[102:103], v[74:75]
	v_add_f64 v[94:95], v[100:101], -v[94:95]
	v_add_f64 v[74:75], v[94:95], v[74:75]
	v_add_f64 v[94:95], v[76:77], v[74:75]
	v_add_f64 v[76:77], v[94:95], -v[76:77]
	v_add_f64 v[74:75], v[74:75], -v[76:77]
	v_mul_f64 v[76:77], v[94:95], v[94:95]
	v_mov_b64_e32 v[96:97], v[60:61]
	v_fmac_f64_e32 v[96:97], s[52:53], v[76:77]
	v_mov_b64_e32 v[98:99], v[62:63]
	v_fmac_f64_e32 v[98:99], v[76:77], v[96:97]
	v_mov_b64_e32 v[96:97], v[64:65]
	v_fmac_f64_e32 v[96:97], v[76:77], v[98:99]
	v_mov_b64_e32 v[98:99], v[66:67]
	v_fmac_f64_e32 v[98:99], v[76:77], v[96:97]
	v_mov_b64_e32 v[96:97], v[68:69]
	v_fmac_f64_e32 v[96:97], v[76:77], v[98:99]
	v_mov_b64_e32 v[98:99], v[70:71]
	v_fmac_f64_e32 v[98:99], v[76:77], v[96:97]
	v_cvt_f64_i32_e32 v[96:97], v93
	v_mul_f64 v[100:101], v[96:97], s[54:55]
	v_fma_f64 v[102:103], v[96:97], s[54:55], -v[100:101]
	v_fmac_f64_e32 v[102:103], s[56:57], v[96:97]
	v_add_f64 v[96:97], v[100:101], v[102:103]
	v_add_f64 v[100:101], v[96:97], -v[100:101]
	v_mul_f64 v[76:77], v[94:95], v[76:77]
	v_add_f64 v[100:101], v[102:103], -v[100:101]
	v_ldexp_f64 v[102:103], v[94:95], 1
	v_mul_f64 v[76:77], v[76:77], v[98:99]
	v_add_f64 v[94:95], v[102:103], v[76:77]
	v_add_f64 v[98:99], v[94:95], -v[102:103]
	v_ldexp_f64 v[74:75], v[74:75], 1
	v_add_f64 v[76:77], v[76:77], -v[98:99]
	v_add_f64 v[74:75], v[74:75], v[76:77]
	v_add_f64 v[76:77], v[94:95], v[74:75]
	v_add_f64 v[94:95], v[76:77], -v[94:95]
	v_add_f64 v[74:75], v[74:75], -v[94:95]
	v_add_f64 v[94:95], v[96:97], v[76:77]
	v_add_f64 v[98:99], v[94:95], -v[96:97]
	v_add_f64 v[102:103], v[94:95], -v[98:99]
	;; [unrolled: 1-line block ×4, first 2 shown]
	v_add_f64 v[76:77], v[76:77], v[96:97]
	v_add_f64 v[96:97], v[100:101], v[74:75]
	v_add_f64 v[98:99], v[96:97], -v[100:101]
	v_add_f64 v[76:77], v[96:97], v[76:77]
	v_add_f64 v[102:103], v[96:97], -v[98:99]
	;; [unrolled: 2-line block ×3, first 2 shown]
	v_add_f64 v[74:75], v[74:75], -v[98:99]
	v_add_f64 v[94:95], v[96:97], -v[94:95]
	v_add_f64 v[74:75], v[74:75], v[100:101]
	v_add_f64 v[76:77], v[76:77], -v[94:95]
	v_add_f64 v[74:75], v[74:75], v[76:77]
	v_add_f64 v[74:75], v[96:97], v[74:75]
	v_cmp_neq_f64_e32 vcc, s[58:59], v[72:73]
	s_nop 1
	v_cndmask_b32_e32 v75, v90, v75, vcc
	v_cndmask_b32_e64 v75, v91, v75, s[22:23]
	v_cmp_nge_f64_e64 s[22:23], -1.0, v[72:73]
	s_and_b64 vcc, s[22:23], vcc
	v_cndmask_b32_e32 v74, 0, v74, vcc
	v_cmp_neq_f64_e32 vcc, -1.0, v[72:73]
	s_nop 1
	v_cndmask_b32_e32 v75, v92, v75, vcc
	v_add_f64 v[74:75], v[10:11], v[74:75]
.LBB1_111:                              ;   in Loop: Header=BB1_103 Depth=1
	s_or_b64 exec, exec, s[62:63]
	v_mov_b32_e32 v10, v74
	v_mov_b32_e32 v11, v75
	v_mov_b64_e32 v[72:73], v[74:75]
.LBB1_112:                              ;   in Loop: Header=BB1_103 Depth=1
	s_or_b64 exec, exec, s[60:61]
	s_waitcnt lgkmcnt(1)
	ds_bpermute_b32 v74, v79, v10
	s_waitcnt lgkmcnt(1)
	ds_bpermute_b32 v75, v79, v11
	v_cmp_le_u32_e32 vcc, v80, v13
	s_and_saveexec_b64 s[60:61], vcc
	s_cbranch_execz .LBB1_116
; %bb.113:                              ;   in Loop: Header=BB1_103 Depth=1
	s_waitcnt lgkmcnt(0)
	v_max_f64 v[10:11], v[74:75], v[74:75]
	v_max_f64 v[94:95], v[72:73], v[72:73]
	v_min_f64 v[76:77], v[10:11], v[94:95]
	v_cmp_u_f64_e32 vcc, v[74:75], v[74:75]
	v_max_f64 v[10:11], v[10:11], v[94:95]
	v_cmp_u_f64_e64 s[22:23], v[72:73], v[72:73]
	v_cndmask_b32_e32 v77, v77, v75, vcc
	v_cndmask_b32_e32 v76, v76, v74, vcc
	;; [unrolled: 1-line block ×4, first 2 shown]
	v_cndmask_b32_e64 v77, v77, v73, s[22:23]
	v_cndmask_b32_e64 v76, v76, v72, s[22:23]
	;; [unrolled: 1-line block ×4, first 2 shown]
	v_cmp_neq_f64_e32 vcc, v[76:77], v[10:11]
	v_cmp_class_f64_e64 s[22:23], v[76:77], s3
	s_or_b64 s[22:23], vcc, s[22:23]
	s_and_saveexec_b64 s[62:63], s[22:23]
	s_cbranch_execz .LBB1_115
; %bb.114:                              ;   in Loop: Header=BB1_103 Depth=1
	v_add_f64 v[72:73], v[76:77], -v[10:11]
	v_mul_f64 v[74:75], v[72:73], s[38:39]
	v_rndne_f64_e32 v[74:75], v[74:75]
	v_fma_f64 v[76:77], s[40:41], v[74:75], v[72:73]
	v_fmac_f64_e32 v[76:77], s[42:43], v[74:75]
	v_mov_b64_e32 v[94:95], v[42:43]
	v_fmac_f64_e32 v[94:95], s[44:45], v[76:77]
	v_mov_b64_e32 v[96:97], v[44:45]
	;; [unrolled: 2-line block ×9, first 2 shown]
	v_fmac_f64_e32 v[94:95], v[76:77], v[96:97]
	v_fma_f64 v[94:95], v[76:77], v[94:95], 1.0
	v_fma_f64 v[76:77], v[76:77], v[94:95], 1.0
	v_cvt_i32_f64_e32 v74, v[74:75]
	v_ldexp_f64 v[74:75], v[76:77], v74
	v_cmp_nlt_f64_e32 vcc, s[46:47], v[72:73]
	v_cmp_ngt_f64_e64 s[22:23], s[48:49], v[72:73]
	s_mov_b32 s54, s40
	v_cndmask_b32_e32 v75, v90, v75, vcc
	s_and_b64 vcc, s[22:23], vcc
	v_cndmask_b32_e64 v73, 0, v75, s[22:23]
	v_cndmask_b32_e32 v72, 0, v74, vcc
	v_add_f64 v[74:75], v[72:73], 1.0
	v_add_f64 v[76:77], v[74:75], -1.0
	v_add_f64 v[94:95], v[76:77], -v[74:75]
	v_add_f64 v[94:95], v[94:95], 1.0
	v_add_f64 v[76:77], v[72:73], -v[76:77]
	v_add_f64 v[76:77], v[76:77], v[94:95]
	v_frexp_mant_f64_e32 v[94:95], v[74:75]
	v_frexp_exp_i32_f64_e32 v93, v[74:75]
	v_cmp_gt_f64_e32 vcc, s[50:51], v[94:95]
	s_mov_b32 s56, s42
	v_cmp_ngt_f64_e64 s[22:23], -1.0, v[72:73]
	v_subbrev_co_u32_e32 v93, vcc, 0, v93, vcc
	v_sub_u32_e32 v94, 0, v93
	v_ldexp_f64 v[74:75], v[74:75], v94
	v_ldexp_f64 v[76:77], v[76:77], v94
	v_add_f64 v[94:95], v[74:75], -1.0
	v_add_f64 v[100:101], v[74:75], 1.0
	v_add_f64 v[96:97], v[94:95], 1.0
	v_add_f64 v[102:103], v[100:101], -1.0
	v_add_f64 v[96:97], v[74:75], -v[96:97]
	v_add_f64 v[74:75], v[74:75], -v[102:103]
	v_add_f64 v[74:75], v[76:77], v[74:75]
	v_add_f64 v[96:97], v[76:77], v[96:97]
	;; [unrolled: 1-line block ×3, first 2 shown]
	v_rcp_f64_e32 v[102:103], v[76:77]
	v_add_f64 v[98:99], v[94:95], v[96:97]
	v_add_f64 v[94:95], v[98:99], -v[94:95]
	v_add_f64 v[94:95], v[96:97], -v[94:95]
	;; [unrolled: 1-line block ×4, first 2 shown]
	v_fma_f64 v[96:97], -v[76:77], v[102:103], 1.0
	v_fmac_f64_e32 v[102:103], v[96:97], v[102:103]
	v_fma_f64 v[96:97], -v[76:77], v[102:103], 1.0
	v_fmac_f64_e32 v[102:103], v[96:97], v[102:103]
	v_mul_f64 v[96:97], v[98:99], v[102:103]
	v_mul_f64 v[100:101], v[76:77], v[96:97]
	v_fma_f64 v[104:105], v[96:97], v[76:77], -v[100:101]
	v_fmac_f64_e32 v[104:105], v[96:97], v[74:75]
	v_add_f64 v[106:107], v[100:101], v[104:105]
	v_add_f64 v[108:109], v[98:99], -v[106:107]
	v_add_f64 v[98:99], v[98:99], -v[108:109]
	v_add_f64 v[100:101], v[106:107], -v[100:101]
	v_add_f64 v[98:99], v[98:99], -v[106:107]
	v_add_f64 v[94:95], v[94:95], v[98:99]
	v_add_f64 v[98:99], v[100:101], -v[104:105]
	v_add_f64 v[94:95], v[98:99], v[94:95]
	v_add_f64 v[98:99], v[108:109], v[94:95]
	v_add_f64 v[100:101], v[108:109], -v[98:99]
	v_add_f64 v[94:95], v[94:95], v[100:101]
	v_mul_f64 v[100:101], v[102:103], v[98:99]
	v_mul_f64 v[104:105], v[76:77], v[100:101]
	v_fma_f64 v[76:77], v[100:101], v[76:77], -v[104:105]
	v_fmac_f64_e32 v[76:77], v[100:101], v[74:75]
	v_add_f64 v[74:75], v[104:105], v[76:77]
	v_add_f64 v[106:107], v[98:99], -v[74:75]
	v_add_f64 v[98:99], v[98:99], -v[106:107]
	;; [unrolled: 1-line block ×4, first 2 shown]
	v_add_f64 v[74:75], v[94:95], v[74:75]
	v_add_f64 v[76:77], v[104:105], -v[76:77]
	v_add_f64 v[74:75], v[76:77], v[74:75]
	v_add_f64 v[76:77], v[96:97], v[100:101]
	;; [unrolled: 1-line block ×3, first 2 shown]
	v_add_f64 v[94:95], v[76:77], -v[96:97]
	v_mul_f64 v[74:75], v[102:103], v[74:75]
	v_add_f64 v[94:95], v[100:101], -v[94:95]
	v_add_f64 v[74:75], v[94:95], v[74:75]
	v_add_f64 v[94:95], v[76:77], v[74:75]
	v_add_f64 v[76:77], v[94:95], -v[76:77]
	v_add_f64 v[74:75], v[74:75], -v[76:77]
	v_mul_f64 v[76:77], v[94:95], v[94:95]
	v_mov_b64_e32 v[96:97], v[60:61]
	v_fmac_f64_e32 v[96:97], s[52:53], v[76:77]
	v_mov_b64_e32 v[98:99], v[62:63]
	v_fmac_f64_e32 v[98:99], v[76:77], v[96:97]
	;; [unrolled: 2-line block ×6, first 2 shown]
	v_cvt_f64_i32_e32 v[96:97], v93
	v_mul_f64 v[100:101], v[96:97], s[54:55]
	v_fma_f64 v[102:103], v[96:97], s[54:55], -v[100:101]
	v_fmac_f64_e32 v[102:103], s[56:57], v[96:97]
	v_add_f64 v[96:97], v[100:101], v[102:103]
	v_add_f64 v[100:101], v[96:97], -v[100:101]
	v_mul_f64 v[76:77], v[94:95], v[76:77]
	v_add_f64 v[100:101], v[102:103], -v[100:101]
	v_ldexp_f64 v[102:103], v[94:95], 1
	v_mul_f64 v[76:77], v[76:77], v[98:99]
	v_add_f64 v[94:95], v[102:103], v[76:77]
	v_add_f64 v[98:99], v[94:95], -v[102:103]
	v_ldexp_f64 v[74:75], v[74:75], 1
	v_add_f64 v[76:77], v[76:77], -v[98:99]
	v_add_f64 v[74:75], v[74:75], v[76:77]
	v_add_f64 v[76:77], v[94:95], v[74:75]
	v_add_f64 v[94:95], v[76:77], -v[94:95]
	v_add_f64 v[74:75], v[74:75], -v[94:95]
	v_add_f64 v[94:95], v[96:97], v[76:77]
	v_add_f64 v[98:99], v[94:95], -v[96:97]
	v_add_f64 v[102:103], v[94:95], -v[98:99]
	v_add_f64 v[96:97], v[96:97], -v[102:103]
	v_add_f64 v[76:77], v[76:77], -v[98:99]
	v_add_f64 v[76:77], v[76:77], v[96:97]
	v_add_f64 v[96:97], v[100:101], v[74:75]
	v_add_f64 v[98:99], v[96:97], -v[100:101]
	v_add_f64 v[76:77], v[96:97], v[76:77]
	v_add_f64 v[102:103], v[96:97], -v[98:99]
	;; [unrolled: 2-line block ×3, first 2 shown]
	v_add_f64 v[74:75], v[74:75], -v[98:99]
	v_add_f64 v[94:95], v[96:97], -v[94:95]
	v_add_f64 v[74:75], v[74:75], v[100:101]
	v_add_f64 v[76:77], v[76:77], -v[94:95]
	v_add_f64 v[74:75], v[74:75], v[76:77]
	v_add_f64 v[74:75], v[96:97], v[74:75]
	v_cmp_neq_f64_e32 vcc, s[58:59], v[72:73]
	s_nop 1
	v_cndmask_b32_e32 v75, v90, v75, vcc
	v_cndmask_b32_e64 v75, v91, v75, s[22:23]
	v_cmp_nge_f64_e64 s[22:23], -1.0, v[72:73]
	s_and_b64 vcc, s[22:23], vcc
	v_cndmask_b32_e32 v74, 0, v74, vcc
	v_cmp_neq_f64_e32 vcc, -1.0, v[72:73]
	s_nop 1
	v_cndmask_b32_e32 v75, v92, v75, vcc
	v_add_f64 v[74:75], v[10:11], v[74:75]
.LBB1_115:                              ;   in Loop: Header=BB1_103 Depth=1
	s_or_b64 exec, exec, s[62:63]
	v_mov_b32_e32 v10, v74
	v_mov_b32_e32 v11, v75
	v_mov_b64_e32 v[72:73], v[74:75]
.LBB1_116:                              ;   in Loop: Header=BB1_103 Depth=1
	s_or_b64 exec, exec, s[60:61]
	s_waitcnt lgkmcnt(1)
	ds_bpermute_b32 v74, v81, v10
	s_waitcnt lgkmcnt(1)
	ds_bpermute_b32 v75, v81, v11
	v_cmp_le_u32_e32 vcc, v82, v13
	s_and_saveexec_b64 s[60:61], vcc
	s_cbranch_execz .LBB1_120
; %bb.117:                              ;   in Loop: Header=BB1_103 Depth=1
	s_waitcnt lgkmcnt(0)
	v_max_f64 v[10:11], v[74:75], v[74:75]
	v_max_f64 v[94:95], v[72:73], v[72:73]
	v_min_f64 v[76:77], v[10:11], v[94:95]
	v_cmp_u_f64_e32 vcc, v[74:75], v[74:75]
	v_max_f64 v[10:11], v[10:11], v[94:95]
	v_cmp_u_f64_e64 s[22:23], v[72:73], v[72:73]
	v_cndmask_b32_e32 v77, v77, v75, vcc
	v_cndmask_b32_e32 v76, v76, v74, vcc
	v_cndmask_b32_e32 v11, v11, v75, vcc
	v_cndmask_b32_e32 v10, v10, v74, vcc
	v_cndmask_b32_e64 v77, v77, v73, s[22:23]
	v_cndmask_b32_e64 v76, v76, v72, s[22:23]
	;; [unrolled: 1-line block ×4, first 2 shown]
	v_cmp_neq_f64_e32 vcc, v[76:77], v[10:11]
	v_cmp_class_f64_e64 s[22:23], v[76:77], s3
	s_or_b64 s[22:23], vcc, s[22:23]
	s_and_saveexec_b64 s[62:63], s[22:23]
	s_cbranch_execz .LBB1_119
; %bb.118:                              ;   in Loop: Header=BB1_103 Depth=1
	v_add_f64 v[72:73], v[76:77], -v[10:11]
	v_mul_f64 v[74:75], v[72:73], s[38:39]
	v_rndne_f64_e32 v[74:75], v[74:75]
	v_fma_f64 v[76:77], s[40:41], v[74:75], v[72:73]
	v_fmac_f64_e32 v[76:77], s[42:43], v[74:75]
	v_mov_b64_e32 v[94:95], v[42:43]
	v_fmac_f64_e32 v[94:95], s[44:45], v[76:77]
	v_mov_b64_e32 v[96:97], v[44:45]
	;; [unrolled: 2-line block ×9, first 2 shown]
	v_fmac_f64_e32 v[94:95], v[76:77], v[96:97]
	v_fma_f64 v[94:95], v[76:77], v[94:95], 1.0
	v_fma_f64 v[76:77], v[76:77], v[94:95], 1.0
	v_cvt_i32_f64_e32 v74, v[74:75]
	v_ldexp_f64 v[74:75], v[76:77], v74
	v_cmp_nlt_f64_e32 vcc, s[46:47], v[72:73]
	v_cmp_ngt_f64_e64 s[22:23], s[48:49], v[72:73]
	s_mov_b32 s54, s40
	v_cndmask_b32_e32 v75, v90, v75, vcc
	s_and_b64 vcc, s[22:23], vcc
	v_cndmask_b32_e64 v73, 0, v75, s[22:23]
	v_cndmask_b32_e32 v72, 0, v74, vcc
	v_add_f64 v[74:75], v[72:73], 1.0
	v_add_f64 v[76:77], v[74:75], -1.0
	v_add_f64 v[94:95], v[76:77], -v[74:75]
	v_add_f64 v[94:95], v[94:95], 1.0
	v_add_f64 v[76:77], v[72:73], -v[76:77]
	v_add_f64 v[76:77], v[76:77], v[94:95]
	v_frexp_mant_f64_e32 v[94:95], v[74:75]
	v_frexp_exp_i32_f64_e32 v93, v[74:75]
	v_cmp_gt_f64_e32 vcc, s[50:51], v[94:95]
	s_mov_b32 s56, s42
	v_cmp_ngt_f64_e64 s[22:23], -1.0, v[72:73]
	v_subbrev_co_u32_e32 v93, vcc, 0, v93, vcc
	v_sub_u32_e32 v94, 0, v93
	v_ldexp_f64 v[74:75], v[74:75], v94
	v_ldexp_f64 v[76:77], v[76:77], v94
	v_add_f64 v[94:95], v[74:75], -1.0
	v_add_f64 v[100:101], v[74:75], 1.0
	v_add_f64 v[96:97], v[94:95], 1.0
	v_add_f64 v[102:103], v[100:101], -1.0
	v_add_f64 v[96:97], v[74:75], -v[96:97]
	v_add_f64 v[74:75], v[74:75], -v[102:103]
	v_add_f64 v[74:75], v[76:77], v[74:75]
	v_add_f64 v[96:97], v[76:77], v[96:97]
	;; [unrolled: 1-line block ×3, first 2 shown]
	v_rcp_f64_e32 v[102:103], v[76:77]
	v_add_f64 v[98:99], v[94:95], v[96:97]
	v_add_f64 v[94:95], v[98:99], -v[94:95]
	v_add_f64 v[94:95], v[96:97], -v[94:95]
	;; [unrolled: 1-line block ×4, first 2 shown]
	v_fma_f64 v[96:97], -v[76:77], v[102:103], 1.0
	v_fmac_f64_e32 v[102:103], v[96:97], v[102:103]
	v_fma_f64 v[96:97], -v[76:77], v[102:103], 1.0
	v_fmac_f64_e32 v[102:103], v[96:97], v[102:103]
	v_mul_f64 v[96:97], v[98:99], v[102:103]
	v_mul_f64 v[100:101], v[76:77], v[96:97]
	v_fma_f64 v[104:105], v[96:97], v[76:77], -v[100:101]
	v_fmac_f64_e32 v[104:105], v[96:97], v[74:75]
	v_add_f64 v[106:107], v[100:101], v[104:105]
	v_add_f64 v[108:109], v[98:99], -v[106:107]
	v_add_f64 v[98:99], v[98:99], -v[108:109]
	;; [unrolled: 1-line block ×4, first 2 shown]
	v_add_f64 v[94:95], v[94:95], v[98:99]
	v_add_f64 v[98:99], v[100:101], -v[104:105]
	v_add_f64 v[94:95], v[98:99], v[94:95]
	v_add_f64 v[98:99], v[108:109], v[94:95]
	v_add_f64 v[100:101], v[108:109], -v[98:99]
	v_add_f64 v[94:95], v[94:95], v[100:101]
	v_mul_f64 v[100:101], v[102:103], v[98:99]
	v_mul_f64 v[104:105], v[76:77], v[100:101]
	v_fma_f64 v[76:77], v[100:101], v[76:77], -v[104:105]
	v_fmac_f64_e32 v[76:77], v[100:101], v[74:75]
	v_add_f64 v[74:75], v[104:105], v[76:77]
	v_add_f64 v[106:107], v[98:99], -v[74:75]
	v_add_f64 v[98:99], v[98:99], -v[106:107]
	;; [unrolled: 1-line block ×4, first 2 shown]
	v_add_f64 v[74:75], v[94:95], v[74:75]
	v_add_f64 v[76:77], v[104:105], -v[76:77]
	v_add_f64 v[74:75], v[76:77], v[74:75]
	v_add_f64 v[76:77], v[96:97], v[100:101]
	;; [unrolled: 1-line block ×3, first 2 shown]
	v_add_f64 v[94:95], v[76:77], -v[96:97]
	v_mul_f64 v[74:75], v[102:103], v[74:75]
	v_add_f64 v[94:95], v[100:101], -v[94:95]
	v_add_f64 v[74:75], v[94:95], v[74:75]
	v_add_f64 v[94:95], v[76:77], v[74:75]
	v_add_f64 v[76:77], v[94:95], -v[76:77]
	v_add_f64 v[74:75], v[74:75], -v[76:77]
	v_mul_f64 v[76:77], v[94:95], v[94:95]
	v_mov_b64_e32 v[96:97], v[60:61]
	v_fmac_f64_e32 v[96:97], s[52:53], v[76:77]
	v_mov_b64_e32 v[98:99], v[62:63]
	v_fmac_f64_e32 v[98:99], v[76:77], v[96:97]
	;; [unrolled: 2-line block ×6, first 2 shown]
	v_cvt_f64_i32_e32 v[96:97], v93
	v_mul_f64 v[100:101], v[96:97], s[54:55]
	v_fma_f64 v[102:103], v[96:97], s[54:55], -v[100:101]
	v_fmac_f64_e32 v[102:103], s[56:57], v[96:97]
	v_add_f64 v[96:97], v[100:101], v[102:103]
	v_add_f64 v[100:101], v[96:97], -v[100:101]
	v_mul_f64 v[76:77], v[94:95], v[76:77]
	v_add_f64 v[100:101], v[102:103], -v[100:101]
	v_ldexp_f64 v[102:103], v[94:95], 1
	v_mul_f64 v[76:77], v[76:77], v[98:99]
	v_add_f64 v[94:95], v[102:103], v[76:77]
	v_add_f64 v[98:99], v[94:95], -v[102:103]
	v_ldexp_f64 v[74:75], v[74:75], 1
	v_add_f64 v[76:77], v[76:77], -v[98:99]
	v_add_f64 v[74:75], v[74:75], v[76:77]
	v_add_f64 v[76:77], v[94:95], v[74:75]
	v_add_f64 v[94:95], v[76:77], -v[94:95]
	v_add_f64 v[74:75], v[74:75], -v[94:95]
	v_add_f64 v[94:95], v[96:97], v[76:77]
	v_add_f64 v[98:99], v[94:95], -v[96:97]
	v_add_f64 v[102:103], v[94:95], -v[98:99]
	;; [unrolled: 1-line block ×4, first 2 shown]
	v_add_f64 v[76:77], v[76:77], v[96:97]
	v_add_f64 v[96:97], v[100:101], v[74:75]
	v_add_f64 v[98:99], v[96:97], -v[100:101]
	v_add_f64 v[76:77], v[96:97], v[76:77]
	v_add_f64 v[102:103], v[96:97], -v[98:99]
	;; [unrolled: 2-line block ×3, first 2 shown]
	v_add_f64 v[74:75], v[74:75], -v[98:99]
	v_add_f64 v[94:95], v[96:97], -v[94:95]
	v_add_f64 v[74:75], v[74:75], v[100:101]
	v_add_f64 v[76:77], v[76:77], -v[94:95]
	v_add_f64 v[74:75], v[74:75], v[76:77]
	v_add_f64 v[74:75], v[96:97], v[74:75]
	v_cmp_neq_f64_e32 vcc, s[58:59], v[72:73]
	s_nop 1
	v_cndmask_b32_e32 v75, v90, v75, vcc
	v_cndmask_b32_e64 v75, v91, v75, s[22:23]
	v_cmp_nge_f64_e64 s[22:23], -1.0, v[72:73]
	s_and_b64 vcc, s[22:23], vcc
	v_cndmask_b32_e32 v74, 0, v74, vcc
	v_cmp_neq_f64_e32 vcc, -1.0, v[72:73]
	s_nop 1
	v_cndmask_b32_e32 v75, v92, v75, vcc
	v_add_f64 v[74:75], v[10:11], v[74:75]
.LBB1_119:                              ;   in Loop: Header=BB1_103 Depth=1
	s_or_b64 exec, exec, s[62:63]
	v_mov_b32_e32 v10, v74
	v_mov_b32_e32 v11, v75
	v_mov_b64_e32 v[72:73], v[74:75]
.LBB1_120:                              ;   in Loop: Header=BB1_103 Depth=1
	s_or_b64 exec, exec, s[60:61]
	s_waitcnt lgkmcnt(1)
	ds_bpermute_b32 v74, v83, v10
	s_waitcnt lgkmcnt(1)
	ds_bpermute_b32 v75, v83, v11
	v_cmp_le_u32_e32 vcc, v84, v13
	s_and_saveexec_b64 s[60:61], vcc
	s_cbranch_execz .LBB1_124
; %bb.121:                              ;   in Loop: Header=BB1_103 Depth=1
	s_waitcnt lgkmcnt(0)
	v_max_f64 v[10:11], v[74:75], v[74:75]
	v_max_f64 v[94:95], v[72:73], v[72:73]
	v_min_f64 v[76:77], v[10:11], v[94:95]
	v_cmp_u_f64_e32 vcc, v[74:75], v[74:75]
	v_max_f64 v[10:11], v[10:11], v[94:95]
	v_cmp_u_f64_e64 s[22:23], v[72:73], v[72:73]
	v_cndmask_b32_e32 v77, v77, v75, vcc
	v_cndmask_b32_e32 v76, v76, v74, vcc
	;; [unrolled: 1-line block ×4, first 2 shown]
	v_cndmask_b32_e64 v77, v77, v73, s[22:23]
	v_cndmask_b32_e64 v76, v76, v72, s[22:23]
	;; [unrolled: 1-line block ×4, first 2 shown]
	v_cmp_neq_f64_e32 vcc, v[76:77], v[10:11]
	v_cmp_class_f64_e64 s[22:23], v[76:77], s3
	s_or_b64 s[22:23], vcc, s[22:23]
	s_and_saveexec_b64 s[62:63], s[22:23]
	s_cbranch_execz .LBB1_123
; %bb.122:                              ;   in Loop: Header=BB1_103 Depth=1
	v_add_f64 v[72:73], v[76:77], -v[10:11]
	v_mul_f64 v[74:75], v[72:73], s[38:39]
	v_rndne_f64_e32 v[74:75], v[74:75]
	v_fma_f64 v[76:77], s[40:41], v[74:75], v[72:73]
	v_fmac_f64_e32 v[76:77], s[42:43], v[74:75]
	v_mov_b64_e32 v[94:95], v[42:43]
	v_fmac_f64_e32 v[94:95], s[44:45], v[76:77]
	v_mov_b64_e32 v[96:97], v[44:45]
	;; [unrolled: 2-line block ×9, first 2 shown]
	v_fmac_f64_e32 v[94:95], v[76:77], v[96:97]
	v_fma_f64 v[94:95], v[76:77], v[94:95], 1.0
	v_fma_f64 v[76:77], v[76:77], v[94:95], 1.0
	v_cvt_i32_f64_e32 v74, v[74:75]
	v_ldexp_f64 v[74:75], v[76:77], v74
	v_cmp_nlt_f64_e32 vcc, s[46:47], v[72:73]
	v_cmp_ngt_f64_e64 s[22:23], s[48:49], v[72:73]
	s_mov_b32 s54, s40
	v_cndmask_b32_e32 v75, v90, v75, vcc
	s_and_b64 vcc, s[22:23], vcc
	v_cndmask_b32_e64 v73, 0, v75, s[22:23]
	v_cndmask_b32_e32 v72, 0, v74, vcc
	v_add_f64 v[74:75], v[72:73], 1.0
	v_add_f64 v[76:77], v[74:75], -1.0
	v_add_f64 v[94:95], v[76:77], -v[74:75]
	v_add_f64 v[94:95], v[94:95], 1.0
	v_add_f64 v[76:77], v[72:73], -v[76:77]
	v_add_f64 v[76:77], v[76:77], v[94:95]
	v_frexp_mant_f64_e32 v[94:95], v[74:75]
	v_frexp_exp_i32_f64_e32 v93, v[74:75]
	v_cmp_gt_f64_e32 vcc, s[50:51], v[94:95]
	s_mov_b32 s56, s42
	v_cmp_ngt_f64_e64 s[22:23], -1.0, v[72:73]
	v_subbrev_co_u32_e32 v93, vcc, 0, v93, vcc
	v_sub_u32_e32 v94, 0, v93
	v_ldexp_f64 v[74:75], v[74:75], v94
	v_ldexp_f64 v[76:77], v[76:77], v94
	v_add_f64 v[94:95], v[74:75], -1.0
	v_add_f64 v[100:101], v[74:75], 1.0
	v_add_f64 v[96:97], v[94:95], 1.0
	v_add_f64 v[102:103], v[100:101], -1.0
	v_add_f64 v[96:97], v[74:75], -v[96:97]
	v_add_f64 v[74:75], v[74:75], -v[102:103]
	v_add_f64 v[74:75], v[76:77], v[74:75]
	v_add_f64 v[96:97], v[76:77], v[96:97]
	;; [unrolled: 1-line block ×3, first 2 shown]
	v_rcp_f64_e32 v[102:103], v[76:77]
	v_add_f64 v[98:99], v[94:95], v[96:97]
	v_add_f64 v[94:95], v[98:99], -v[94:95]
	v_add_f64 v[94:95], v[96:97], -v[94:95]
	;; [unrolled: 1-line block ×4, first 2 shown]
	v_fma_f64 v[96:97], -v[76:77], v[102:103], 1.0
	v_fmac_f64_e32 v[102:103], v[96:97], v[102:103]
	v_fma_f64 v[96:97], -v[76:77], v[102:103], 1.0
	v_fmac_f64_e32 v[102:103], v[96:97], v[102:103]
	v_mul_f64 v[96:97], v[98:99], v[102:103]
	v_mul_f64 v[100:101], v[76:77], v[96:97]
	v_fma_f64 v[104:105], v[96:97], v[76:77], -v[100:101]
	v_fmac_f64_e32 v[104:105], v[96:97], v[74:75]
	v_add_f64 v[106:107], v[100:101], v[104:105]
	v_add_f64 v[108:109], v[98:99], -v[106:107]
	v_add_f64 v[98:99], v[98:99], -v[108:109]
	;; [unrolled: 1-line block ×4, first 2 shown]
	v_add_f64 v[94:95], v[94:95], v[98:99]
	v_add_f64 v[98:99], v[100:101], -v[104:105]
	v_add_f64 v[94:95], v[98:99], v[94:95]
	v_add_f64 v[98:99], v[108:109], v[94:95]
	v_add_f64 v[100:101], v[108:109], -v[98:99]
	v_add_f64 v[94:95], v[94:95], v[100:101]
	v_mul_f64 v[100:101], v[102:103], v[98:99]
	v_mul_f64 v[104:105], v[76:77], v[100:101]
	v_fma_f64 v[76:77], v[100:101], v[76:77], -v[104:105]
	v_fmac_f64_e32 v[76:77], v[100:101], v[74:75]
	v_add_f64 v[74:75], v[104:105], v[76:77]
	v_add_f64 v[106:107], v[98:99], -v[74:75]
	v_add_f64 v[98:99], v[98:99], -v[106:107]
	;; [unrolled: 1-line block ×4, first 2 shown]
	v_add_f64 v[74:75], v[94:95], v[74:75]
	v_add_f64 v[76:77], v[104:105], -v[76:77]
	v_add_f64 v[74:75], v[76:77], v[74:75]
	v_add_f64 v[76:77], v[96:97], v[100:101]
	;; [unrolled: 1-line block ×3, first 2 shown]
	v_add_f64 v[94:95], v[76:77], -v[96:97]
	v_mul_f64 v[74:75], v[102:103], v[74:75]
	v_add_f64 v[94:95], v[100:101], -v[94:95]
	v_add_f64 v[74:75], v[94:95], v[74:75]
	v_add_f64 v[94:95], v[76:77], v[74:75]
	v_add_f64 v[76:77], v[94:95], -v[76:77]
	v_add_f64 v[74:75], v[74:75], -v[76:77]
	v_mul_f64 v[76:77], v[94:95], v[94:95]
	v_mov_b64_e32 v[96:97], v[60:61]
	v_fmac_f64_e32 v[96:97], s[52:53], v[76:77]
	v_mov_b64_e32 v[98:99], v[62:63]
	v_fmac_f64_e32 v[98:99], v[76:77], v[96:97]
	;; [unrolled: 2-line block ×6, first 2 shown]
	v_cvt_f64_i32_e32 v[96:97], v93
	v_mul_f64 v[100:101], v[96:97], s[54:55]
	v_fma_f64 v[102:103], v[96:97], s[54:55], -v[100:101]
	v_fmac_f64_e32 v[102:103], s[56:57], v[96:97]
	v_add_f64 v[96:97], v[100:101], v[102:103]
	v_add_f64 v[100:101], v[96:97], -v[100:101]
	v_mul_f64 v[76:77], v[94:95], v[76:77]
	v_add_f64 v[100:101], v[102:103], -v[100:101]
	v_ldexp_f64 v[102:103], v[94:95], 1
	v_mul_f64 v[76:77], v[76:77], v[98:99]
	v_add_f64 v[94:95], v[102:103], v[76:77]
	v_add_f64 v[98:99], v[94:95], -v[102:103]
	v_ldexp_f64 v[74:75], v[74:75], 1
	v_add_f64 v[76:77], v[76:77], -v[98:99]
	v_add_f64 v[74:75], v[74:75], v[76:77]
	v_add_f64 v[76:77], v[94:95], v[74:75]
	v_add_f64 v[94:95], v[76:77], -v[94:95]
	v_add_f64 v[74:75], v[74:75], -v[94:95]
	v_add_f64 v[94:95], v[96:97], v[76:77]
	v_add_f64 v[98:99], v[94:95], -v[96:97]
	v_add_f64 v[102:103], v[94:95], -v[98:99]
	;; [unrolled: 1-line block ×4, first 2 shown]
	v_add_f64 v[76:77], v[76:77], v[96:97]
	v_add_f64 v[96:97], v[100:101], v[74:75]
	v_add_f64 v[98:99], v[96:97], -v[100:101]
	v_add_f64 v[76:77], v[96:97], v[76:77]
	v_add_f64 v[102:103], v[96:97], -v[98:99]
	;; [unrolled: 2-line block ×3, first 2 shown]
	v_add_f64 v[74:75], v[74:75], -v[98:99]
	v_add_f64 v[94:95], v[96:97], -v[94:95]
	v_add_f64 v[74:75], v[74:75], v[100:101]
	v_add_f64 v[76:77], v[76:77], -v[94:95]
	v_add_f64 v[74:75], v[74:75], v[76:77]
	v_add_f64 v[74:75], v[96:97], v[74:75]
	v_cmp_neq_f64_e32 vcc, s[58:59], v[72:73]
	s_nop 1
	v_cndmask_b32_e32 v75, v90, v75, vcc
	v_cndmask_b32_e64 v75, v91, v75, s[22:23]
	v_cmp_nge_f64_e64 s[22:23], -1.0, v[72:73]
	s_and_b64 vcc, s[22:23], vcc
	v_cndmask_b32_e32 v74, 0, v74, vcc
	v_cmp_neq_f64_e32 vcc, -1.0, v[72:73]
	s_nop 1
	v_cndmask_b32_e32 v75, v92, v75, vcc
	v_add_f64 v[74:75], v[10:11], v[74:75]
.LBB1_123:                              ;   in Loop: Header=BB1_103 Depth=1
	s_or_b64 exec, exec, s[62:63]
	v_mov_b32_e32 v10, v74
	v_mov_b32_e32 v11, v75
	v_mov_b64_e32 v[72:73], v[74:75]
.LBB1_124:                              ;   in Loop: Header=BB1_103 Depth=1
	s_or_b64 exec, exec, s[60:61]
	s_waitcnt lgkmcnt(1)
	ds_bpermute_b32 v74, v85, v10
	s_waitcnt lgkmcnt(1)
	ds_bpermute_b32 v75, v85, v11
	v_cmp_le_u32_e32 vcc, v86, v13
	s_and_saveexec_b64 s[60:61], vcc
	s_cbranch_execz .LBB1_128
; %bb.125:                              ;   in Loop: Header=BB1_103 Depth=1
	s_waitcnt lgkmcnt(0)
	v_max_f64 v[10:11], v[74:75], v[74:75]
	v_max_f64 v[94:95], v[72:73], v[72:73]
	v_min_f64 v[76:77], v[10:11], v[94:95]
	v_cmp_u_f64_e32 vcc, v[74:75], v[74:75]
	v_max_f64 v[10:11], v[10:11], v[94:95]
	v_cmp_u_f64_e64 s[22:23], v[72:73], v[72:73]
	v_cndmask_b32_e32 v77, v77, v75, vcc
	v_cndmask_b32_e32 v76, v76, v74, vcc
	;; [unrolled: 1-line block ×4, first 2 shown]
	v_cndmask_b32_e64 v77, v77, v73, s[22:23]
	v_cndmask_b32_e64 v76, v76, v72, s[22:23]
	;; [unrolled: 1-line block ×4, first 2 shown]
	v_cmp_neq_f64_e32 vcc, v[76:77], v[10:11]
	v_cmp_class_f64_e64 s[22:23], v[76:77], s3
	s_or_b64 s[22:23], vcc, s[22:23]
	s_and_saveexec_b64 s[62:63], s[22:23]
	s_cbranch_execz .LBB1_127
; %bb.126:                              ;   in Loop: Header=BB1_103 Depth=1
	v_add_f64 v[72:73], v[76:77], -v[10:11]
	v_mul_f64 v[74:75], v[72:73], s[38:39]
	v_rndne_f64_e32 v[74:75], v[74:75]
	v_fma_f64 v[76:77], s[40:41], v[74:75], v[72:73]
	v_fmac_f64_e32 v[76:77], s[42:43], v[74:75]
	v_mov_b64_e32 v[94:95], v[42:43]
	v_fmac_f64_e32 v[94:95], s[44:45], v[76:77]
	v_mov_b64_e32 v[96:97], v[44:45]
	;; [unrolled: 2-line block ×9, first 2 shown]
	v_fmac_f64_e32 v[94:95], v[76:77], v[96:97]
	v_fma_f64 v[94:95], v[76:77], v[94:95], 1.0
	v_fma_f64 v[76:77], v[76:77], v[94:95], 1.0
	v_cvt_i32_f64_e32 v74, v[74:75]
	v_ldexp_f64 v[74:75], v[76:77], v74
	v_cmp_nlt_f64_e32 vcc, s[46:47], v[72:73]
	v_cmp_ngt_f64_e64 s[22:23], s[48:49], v[72:73]
	s_mov_b32 s54, s40
	v_cndmask_b32_e32 v75, v90, v75, vcc
	s_and_b64 vcc, s[22:23], vcc
	v_cndmask_b32_e64 v73, 0, v75, s[22:23]
	v_cndmask_b32_e32 v72, 0, v74, vcc
	v_add_f64 v[74:75], v[72:73], 1.0
	v_add_f64 v[76:77], v[74:75], -1.0
	v_add_f64 v[94:95], v[76:77], -v[74:75]
	v_add_f64 v[94:95], v[94:95], 1.0
	v_add_f64 v[76:77], v[72:73], -v[76:77]
	v_add_f64 v[76:77], v[76:77], v[94:95]
	v_frexp_mant_f64_e32 v[94:95], v[74:75]
	v_frexp_exp_i32_f64_e32 v93, v[74:75]
	v_cmp_gt_f64_e32 vcc, s[50:51], v[94:95]
	s_mov_b32 s56, s42
	v_cmp_ngt_f64_e64 s[22:23], -1.0, v[72:73]
	v_subbrev_co_u32_e32 v93, vcc, 0, v93, vcc
	v_sub_u32_e32 v94, 0, v93
	v_ldexp_f64 v[74:75], v[74:75], v94
	v_ldexp_f64 v[76:77], v[76:77], v94
	v_add_f64 v[94:95], v[74:75], -1.0
	v_add_f64 v[100:101], v[74:75], 1.0
	v_add_f64 v[96:97], v[94:95], 1.0
	v_add_f64 v[102:103], v[100:101], -1.0
	v_add_f64 v[96:97], v[74:75], -v[96:97]
	v_add_f64 v[74:75], v[74:75], -v[102:103]
	v_add_f64 v[74:75], v[76:77], v[74:75]
	v_add_f64 v[96:97], v[76:77], v[96:97]
	;; [unrolled: 1-line block ×3, first 2 shown]
	v_rcp_f64_e32 v[102:103], v[76:77]
	v_add_f64 v[98:99], v[94:95], v[96:97]
	v_add_f64 v[94:95], v[98:99], -v[94:95]
	v_add_f64 v[94:95], v[96:97], -v[94:95]
	v_add_f64 v[96:97], v[76:77], -v[100:101]
	v_add_f64 v[74:75], v[74:75], -v[96:97]
	v_fma_f64 v[96:97], -v[76:77], v[102:103], 1.0
	v_fmac_f64_e32 v[102:103], v[96:97], v[102:103]
	v_fma_f64 v[96:97], -v[76:77], v[102:103], 1.0
	v_fmac_f64_e32 v[102:103], v[96:97], v[102:103]
	v_mul_f64 v[96:97], v[98:99], v[102:103]
	v_mul_f64 v[100:101], v[76:77], v[96:97]
	v_fma_f64 v[104:105], v[96:97], v[76:77], -v[100:101]
	v_fmac_f64_e32 v[104:105], v[96:97], v[74:75]
	v_add_f64 v[106:107], v[100:101], v[104:105]
	v_add_f64 v[108:109], v[98:99], -v[106:107]
	v_add_f64 v[98:99], v[98:99], -v[108:109]
	;; [unrolled: 1-line block ×4, first 2 shown]
	v_add_f64 v[94:95], v[94:95], v[98:99]
	v_add_f64 v[98:99], v[100:101], -v[104:105]
	v_add_f64 v[94:95], v[98:99], v[94:95]
	v_add_f64 v[98:99], v[108:109], v[94:95]
	v_add_f64 v[100:101], v[108:109], -v[98:99]
	v_add_f64 v[94:95], v[94:95], v[100:101]
	v_mul_f64 v[100:101], v[102:103], v[98:99]
	v_mul_f64 v[104:105], v[76:77], v[100:101]
	v_fma_f64 v[76:77], v[100:101], v[76:77], -v[104:105]
	v_fmac_f64_e32 v[76:77], v[100:101], v[74:75]
	v_add_f64 v[74:75], v[104:105], v[76:77]
	v_add_f64 v[106:107], v[98:99], -v[74:75]
	v_add_f64 v[98:99], v[98:99], -v[106:107]
	;; [unrolled: 1-line block ×4, first 2 shown]
	v_add_f64 v[74:75], v[94:95], v[74:75]
	v_add_f64 v[76:77], v[104:105], -v[76:77]
	v_add_f64 v[74:75], v[76:77], v[74:75]
	v_add_f64 v[76:77], v[96:97], v[100:101]
	;; [unrolled: 1-line block ×3, first 2 shown]
	v_add_f64 v[94:95], v[76:77], -v[96:97]
	v_mul_f64 v[74:75], v[102:103], v[74:75]
	v_add_f64 v[94:95], v[100:101], -v[94:95]
	v_add_f64 v[74:75], v[94:95], v[74:75]
	v_add_f64 v[94:95], v[76:77], v[74:75]
	v_add_f64 v[76:77], v[94:95], -v[76:77]
	v_add_f64 v[74:75], v[74:75], -v[76:77]
	v_mul_f64 v[76:77], v[94:95], v[94:95]
	v_mov_b64_e32 v[96:97], v[60:61]
	v_fmac_f64_e32 v[96:97], s[52:53], v[76:77]
	v_mov_b64_e32 v[98:99], v[62:63]
	v_fmac_f64_e32 v[98:99], v[76:77], v[96:97]
	;; [unrolled: 2-line block ×6, first 2 shown]
	v_cvt_f64_i32_e32 v[96:97], v93
	v_mul_f64 v[100:101], v[96:97], s[54:55]
	v_fma_f64 v[102:103], v[96:97], s[54:55], -v[100:101]
	v_fmac_f64_e32 v[102:103], s[56:57], v[96:97]
	v_add_f64 v[96:97], v[100:101], v[102:103]
	v_add_f64 v[100:101], v[96:97], -v[100:101]
	v_mul_f64 v[76:77], v[94:95], v[76:77]
	v_add_f64 v[100:101], v[102:103], -v[100:101]
	v_ldexp_f64 v[102:103], v[94:95], 1
	v_mul_f64 v[76:77], v[76:77], v[98:99]
	v_add_f64 v[94:95], v[102:103], v[76:77]
	v_add_f64 v[98:99], v[94:95], -v[102:103]
	v_ldexp_f64 v[74:75], v[74:75], 1
	v_add_f64 v[76:77], v[76:77], -v[98:99]
	v_add_f64 v[74:75], v[74:75], v[76:77]
	v_add_f64 v[76:77], v[94:95], v[74:75]
	v_add_f64 v[94:95], v[76:77], -v[94:95]
	v_add_f64 v[74:75], v[74:75], -v[94:95]
	v_add_f64 v[94:95], v[96:97], v[76:77]
	v_add_f64 v[98:99], v[94:95], -v[96:97]
	v_add_f64 v[102:103], v[94:95], -v[98:99]
	;; [unrolled: 1-line block ×4, first 2 shown]
	v_add_f64 v[76:77], v[76:77], v[96:97]
	v_add_f64 v[96:97], v[100:101], v[74:75]
	v_add_f64 v[98:99], v[96:97], -v[100:101]
	v_add_f64 v[76:77], v[96:97], v[76:77]
	v_add_f64 v[102:103], v[96:97], -v[98:99]
	;; [unrolled: 2-line block ×3, first 2 shown]
	v_add_f64 v[74:75], v[74:75], -v[98:99]
	v_add_f64 v[94:95], v[96:97], -v[94:95]
	v_add_f64 v[74:75], v[74:75], v[100:101]
	v_add_f64 v[76:77], v[76:77], -v[94:95]
	v_add_f64 v[74:75], v[74:75], v[76:77]
	v_add_f64 v[74:75], v[96:97], v[74:75]
	v_cmp_neq_f64_e32 vcc, s[58:59], v[72:73]
	s_nop 1
	v_cndmask_b32_e32 v75, v90, v75, vcc
	v_cndmask_b32_e64 v75, v91, v75, s[22:23]
	v_cmp_nge_f64_e64 s[22:23], -1.0, v[72:73]
	s_and_b64 vcc, s[22:23], vcc
	v_cndmask_b32_e32 v74, 0, v74, vcc
	v_cmp_neq_f64_e32 vcc, -1.0, v[72:73]
	s_nop 1
	v_cndmask_b32_e32 v75, v92, v75, vcc
	v_add_f64 v[74:75], v[10:11], v[74:75]
.LBB1_127:                              ;   in Loop: Header=BB1_103 Depth=1
	s_or_b64 exec, exec, s[62:63]
	v_mov_b32_e32 v10, v74
	v_mov_b32_e32 v11, v75
	v_mov_b64_e32 v[72:73], v[74:75]
.LBB1_128:                              ;   in Loop: Header=BB1_103 Depth=1
	s_or_b64 exec, exec, s[60:61]
	s_waitcnt lgkmcnt(1)
	ds_bpermute_b32 v74, v87, v10
	s_waitcnt lgkmcnt(1)
	ds_bpermute_b32 v75, v87, v11
	v_cmp_le_u32_e32 vcc, v88, v13
	s_and_saveexec_b64 s[60:61], vcc
	s_cbranch_execz .LBB1_132
; %bb.129:                              ;   in Loop: Header=BB1_103 Depth=1
	s_waitcnt lgkmcnt(0)
	v_max_f64 v[10:11], v[74:75], v[74:75]
	v_max_f64 v[94:95], v[72:73], v[72:73]
	v_min_f64 v[76:77], v[10:11], v[94:95]
	v_cmp_u_f64_e32 vcc, v[74:75], v[74:75]
	v_max_f64 v[10:11], v[10:11], v[94:95]
	v_cmp_u_f64_e64 s[22:23], v[72:73], v[72:73]
	v_cndmask_b32_e32 v13, v77, v75, vcc
	v_cndmask_b32_e32 v76, v76, v74, vcc
	;; [unrolled: 1-line block ×4, first 2 shown]
	v_cndmask_b32_e64 v77, v13, v73, s[22:23]
	v_cndmask_b32_e64 v76, v76, v72, s[22:23]
	;; [unrolled: 1-line block ×4, first 2 shown]
	v_cmp_neq_f64_e32 vcc, v[76:77], v[10:11]
	v_cmp_class_f64_e64 s[22:23], v[76:77], s3
	s_or_b64 s[22:23], vcc, s[22:23]
	s_and_saveexec_b64 s[62:63], s[22:23]
	s_cbranch_execz .LBB1_131
; %bb.130:                              ;   in Loop: Header=BB1_103 Depth=1
	v_add_f64 v[72:73], v[76:77], -v[10:11]
	v_mul_f64 v[74:75], v[72:73], s[38:39]
	v_rndne_f64_e32 v[74:75], v[74:75]
	v_fma_f64 v[76:77], s[40:41], v[74:75], v[72:73]
	v_fmac_f64_e32 v[76:77], s[42:43], v[74:75]
	v_mov_b64_e32 v[94:95], v[42:43]
	v_fmac_f64_e32 v[94:95], s[44:45], v[76:77]
	v_mov_b64_e32 v[96:97], v[44:45]
	;; [unrolled: 2-line block ×9, first 2 shown]
	v_fmac_f64_e32 v[94:95], v[76:77], v[96:97]
	v_fma_f64 v[94:95], v[76:77], v[94:95], 1.0
	v_fma_f64 v[76:77], v[76:77], v[94:95], 1.0
	v_cvt_i32_f64_e32 v13, v[74:75]
	v_ldexp_f64 v[74:75], v[76:77], v13
	v_cmp_nlt_f64_e32 vcc, s[46:47], v[72:73]
	v_cmp_ngt_f64_e64 s[22:23], s[48:49], v[72:73]
	s_mov_b32 s54, s40
	v_cndmask_b32_e32 v13, v90, v75, vcc
	s_and_b64 vcc, s[22:23], vcc
	v_cndmask_b32_e64 v73, 0, v13, s[22:23]
	v_cndmask_b32_e32 v72, 0, v74, vcc
	v_add_f64 v[74:75], v[72:73], 1.0
	v_add_f64 v[76:77], v[74:75], -1.0
	v_add_f64 v[94:95], v[76:77], -v[74:75]
	v_add_f64 v[94:95], v[94:95], 1.0
	v_add_f64 v[76:77], v[72:73], -v[76:77]
	v_add_f64 v[76:77], v[76:77], v[94:95]
	v_frexp_mant_f64_e32 v[94:95], v[74:75]
	v_frexp_exp_i32_f64_e32 v13, v[74:75]
	v_cmp_gt_f64_e32 vcc, s[50:51], v[94:95]
	s_mov_b32 s56, s42
	v_cmp_ngt_f64_e64 s[22:23], -1.0, v[72:73]
	v_subbrev_co_u32_e32 v13, vcc, 0, v13, vcc
	v_sub_u32_e32 v93, 0, v13
	v_ldexp_f64 v[74:75], v[74:75], v93
	v_add_f64 v[94:95], v[74:75], -1.0
	v_add_f64 v[100:101], v[74:75], 1.0
	v_add_f64 v[96:97], v[94:95], 1.0
	v_add_f64 v[102:103], v[100:101], -1.0
	v_ldexp_f64 v[76:77], v[76:77], v93
	v_add_f64 v[96:97], v[74:75], -v[96:97]
	v_add_f64 v[74:75], v[74:75], -v[102:103]
	v_add_f64 v[74:75], v[76:77], v[74:75]
	v_add_f64 v[96:97], v[76:77], v[96:97]
	v_add_f64 v[76:77], v[100:101], v[74:75]
	v_rcp_f64_e32 v[102:103], v[76:77]
	v_add_f64 v[98:99], v[94:95], v[96:97]
	v_add_f64 v[94:95], v[98:99], -v[94:95]
	v_add_f64 v[94:95], v[96:97], -v[94:95]
	;; [unrolled: 1-line block ×4, first 2 shown]
	v_fma_f64 v[96:97], -v[76:77], v[102:103], 1.0
	v_fmac_f64_e32 v[102:103], v[96:97], v[102:103]
	v_fma_f64 v[96:97], -v[76:77], v[102:103], 1.0
	v_fmac_f64_e32 v[102:103], v[96:97], v[102:103]
	v_mul_f64 v[96:97], v[98:99], v[102:103]
	v_mul_f64 v[100:101], v[76:77], v[96:97]
	v_fma_f64 v[104:105], v[96:97], v[76:77], -v[100:101]
	v_fmac_f64_e32 v[104:105], v[96:97], v[74:75]
	v_add_f64 v[106:107], v[100:101], v[104:105]
	v_add_f64 v[108:109], v[98:99], -v[106:107]
	v_add_f64 v[98:99], v[98:99], -v[108:109]
	;; [unrolled: 1-line block ×4, first 2 shown]
	v_add_f64 v[94:95], v[94:95], v[98:99]
	v_add_f64 v[98:99], v[100:101], -v[104:105]
	v_add_f64 v[94:95], v[98:99], v[94:95]
	v_add_f64 v[98:99], v[108:109], v[94:95]
	v_add_f64 v[100:101], v[108:109], -v[98:99]
	v_add_f64 v[94:95], v[94:95], v[100:101]
	v_mul_f64 v[100:101], v[102:103], v[98:99]
	v_mul_f64 v[104:105], v[76:77], v[100:101]
	v_fma_f64 v[76:77], v[100:101], v[76:77], -v[104:105]
	v_fmac_f64_e32 v[76:77], v[100:101], v[74:75]
	v_add_f64 v[74:75], v[104:105], v[76:77]
	v_add_f64 v[106:107], v[98:99], -v[74:75]
	v_add_f64 v[98:99], v[98:99], -v[106:107]
	;; [unrolled: 1-line block ×4, first 2 shown]
	v_add_f64 v[74:75], v[94:95], v[74:75]
	v_add_f64 v[76:77], v[104:105], -v[76:77]
	v_add_f64 v[74:75], v[76:77], v[74:75]
	v_add_f64 v[76:77], v[96:97], v[100:101]
	;; [unrolled: 1-line block ×3, first 2 shown]
	v_add_f64 v[94:95], v[76:77], -v[96:97]
	v_mul_f64 v[74:75], v[102:103], v[74:75]
	v_add_f64 v[94:95], v[100:101], -v[94:95]
	v_add_f64 v[74:75], v[94:95], v[74:75]
	v_add_f64 v[94:95], v[76:77], v[74:75]
	v_add_f64 v[76:77], v[94:95], -v[76:77]
	v_add_f64 v[74:75], v[74:75], -v[76:77]
	v_mul_f64 v[76:77], v[94:95], v[94:95]
	v_mov_b64_e32 v[96:97], v[60:61]
	v_fmac_f64_e32 v[96:97], s[52:53], v[76:77]
	v_mov_b64_e32 v[98:99], v[62:63]
	v_fmac_f64_e32 v[98:99], v[76:77], v[96:97]
	;; [unrolled: 2-line block ×6, first 2 shown]
	v_cvt_f64_i32_e32 v[96:97], v13
	v_mul_f64 v[100:101], v[96:97], s[54:55]
	v_fma_f64 v[102:103], v[96:97], s[54:55], -v[100:101]
	v_fmac_f64_e32 v[102:103], s[56:57], v[96:97]
	v_add_f64 v[96:97], v[100:101], v[102:103]
	v_add_f64 v[100:101], v[96:97], -v[100:101]
	v_mul_f64 v[76:77], v[94:95], v[76:77]
	v_add_f64 v[100:101], v[102:103], -v[100:101]
	v_ldexp_f64 v[102:103], v[94:95], 1
	v_mul_f64 v[76:77], v[76:77], v[98:99]
	v_add_f64 v[94:95], v[102:103], v[76:77]
	v_add_f64 v[98:99], v[94:95], -v[102:103]
	v_ldexp_f64 v[74:75], v[74:75], 1
	v_add_f64 v[76:77], v[76:77], -v[98:99]
	v_add_f64 v[74:75], v[74:75], v[76:77]
	v_add_f64 v[76:77], v[94:95], v[74:75]
	v_add_f64 v[94:95], v[76:77], -v[94:95]
	v_add_f64 v[74:75], v[74:75], -v[94:95]
	v_add_f64 v[94:95], v[96:97], v[76:77]
	v_add_f64 v[98:99], v[94:95], -v[96:97]
	v_add_f64 v[102:103], v[94:95], -v[98:99]
	;; [unrolled: 1-line block ×4, first 2 shown]
	v_add_f64 v[76:77], v[76:77], v[96:97]
	v_add_f64 v[96:97], v[100:101], v[74:75]
	v_add_f64 v[98:99], v[96:97], -v[100:101]
	v_add_f64 v[76:77], v[96:97], v[76:77]
	v_add_f64 v[102:103], v[96:97], -v[98:99]
	v_add_f64 v[96:97], v[94:95], v[76:77]
	v_add_f64 v[100:101], v[100:101], -v[102:103]
	v_add_f64 v[74:75], v[74:75], -v[98:99]
	v_add_f64 v[94:95], v[96:97], -v[94:95]
	v_add_f64 v[74:75], v[74:75], v[100:101]
	v_add_f64 v[76:77], v[76:77], -v[94:95]
	v_add_f64 v[74:75], v[74:75], v[76:77]
	v_add_f64 v[74:75], v[96:97], v[74:75]
	v_cmp_neq_f64_e32 vcc, s[58:59], v[72:73]
	s_nop 1
	v_cndmask_b32_e32 v13, v90, v75, vcc
	v_cndmask_b32_e64 v13, v91, v13, s[22:23]
	v_cmp_nge_f64_e64 s[22:23], -1.0, v[72:73]
	s_and_b64 vcc, s[22:23], vcc
	v_cndmask_b32_e32 v74, 0, v74, vcc
	v_cmp_neq_f64_e32 vcc, -1.0, v[72:73]
	s_nop 1
	v_cndmask_b32_e32 v75, v92, v13, vcc
	v_add_f64 v[74:75], v[10:11], v[74:75]
.LBB1_131:                              ;   in Loop: Header=BB1_103 Depth=1
	s_or_b64 exec, exec, s[62:63]
	v_mov_b64_e32 v[72:73], v[74:75]
.LBB1_132:                              ;   in Loop: Header=BB1_103 Depth=1
	s_or_b64 exec, exec, s[60:61]
	v_max_f64 v[10:11], v[40:41], v[40:41]
	v_max_f64 v[76:77], v[72:73], v[72:73]
	s_waitcnt lgkmcnt(0)
	v_min_f64 v[74:75], v[76:77], v[10:11]
	v_cmp_u_f64_e32 vcc, v[72:73], v[72:73]
	v_max_f64 v[10:11], v[76:77], v[10:11]
	v_cmp_u_f64_e64 s[22:23], v[40:41], v[40:41]
	v_cndmask_b32_e32 v13, v74, v72, vcc
	v_cndmask_b32_e32 v74, v75, v73, vcc
	;; [unrolled: 1-line block ×4, first 2 shown]
	v_cndmask_b32_e64 v75, v74, v41, s[22:23]
	v_cndmask_b32_e64 v74, v13, v40, s[22:23]
	;; [unrolled: 1-line block ×4, first 2 shown]
	v_cmp_neq_f64_e32 vcc, v[74:75], v[10:11]
	v_cmp_class_f64_e64 s[22:23], v[74:75], s3
	s_or_b64 s[22:23], vcc, s[22:23]
	s_and_saveexec_b64 s[60:61], s[22:23]
	s_xor_b64 s[60:61], exec, s[60:61]
	s_cbranch_execz .LBB1_101
; %bb.133:                              ;   in Loop: Header=BB1_103 Depth=1
	v_add_f64 v[72:73], v[74:75], -v[10:11]
	v_mul_f64 v[74:75], v[72:73], s[38:39]
	v_rndne_f64_e32 v[74:75], v[74:75]
	v_fma_f64 v[76:77], s[40:41], v[74:75], v[72:73]
	v_fmac_f64_e32 v[76:77], s[42:43], v[74:75]
	v_mov_b64_e32 v[94:95], v[42:43]
	v_fmac_f64_e32 v[94:95], s[44:45], v[76:77]
	v_mov_b64_e32 v[96:97], v[44:45]
	;; [unrolled: 2-line block ×9, first 2 shown]
	v_fmac_f64_e32 v[94:95], v[76:77], v[96:97]
	v_fma_f64 v[94:95], v[76:77], v[94:95], 1.0
	v_fma_f64 v[76:77], v[76:77], v[94:95], 1.0
	v_cvt_i32_f64_e32 v13, v[74:75]
	v_ldexp_f64 v[74:75], v[76:77], v13
	v_cmp_nlt_f64_e32 vcc, s[46:47], v[72:73]
	v_cmp_ngt_f64_e64 s[22:23], s[48:49], v[72:73]
	s_mov_b32 s54, s40
	v_cndmask_b32_e32 v13, v90, v75, vcc
	s_and_b64 vcc, s[22:23], vcc
	v_cndmask_b32_e64 v73, 0, v13, s[22:23]
	v_cndmask_b32_e32 v72, 0, v74, vcc
	v_add_f64 v[74:75], v[72:73], 1.0
	v_add_f64 v[76:77], v[74:75], -1.0
	v_add_f64 v[94:95], v[76:77], -v[74:75]
	v_add_f64 v[94:95], v[94:95], 1.0
	v_add_f64 v[76:77], v[72:73], -v[76:77]
	v_add_f64 v[76:77], v[76:77], v[94:95]
	v_frexp_mant_f64_e32 v[94:95], v[74:75]
	v_frexp_exp_i32_f64_e32 v13, v[74:75]
	v_cmp_gt_f64_e32 vcc, s[50:51], v[94:95]
	s_mov_b32 s56, s42
	v_cmp_ngt_f64_e64 s[22:23], -1.0, v[72:73]
	v_subbrev_co_u32_e32 v13, vcc, 0, v13, vcc
	v_sub_u32_e32 v93, 0, v13
	v_ldexp_f64 v[74:75], v[74:75], v93
	v_add_f64 v[94:95], v[74:75], -1.0
	v_add_f64 v[100:101], v[74:75], 1.0
	v_add_f64 v[96:97], v[94:95], 1.0
	v_add_f64 v[102:103], v[100:101], -1.0
	v_ldexp_f64 v[76:77], v[76:77], v93
	v_add_f64 v[96:97], v[74:75], -v[96:97]
	v_add_f64 v[74:75], v[74:75], -v[102:103]
	v_add_f64 v[74:75], v[76:77], v[74:75]
	v_add_f64 v[96:97], v[76:77], v[96:97]
	;; [unrolled: 1-line block ×3, first 2 shown]
	v_rcp_f64_e32 v[102:103], v[76:77]
	v_add_f64 v[98:99], v[94:95], v[96:97]
	v_add_f64 v[94:95], v[98:99], -v[94:95]
	v_add_f64 v[94:95], v[96:97], -v[94:95]
	;; [unrolled: 1-line block ×4, first 2 shown]
	v_fma_f64 v[96:97], -v[76:77], v[102:103], 1.0
	v_fmac_f64_e32 v[102:103], v[96:97], v[102:103]
	v_fma_f64 v[96:97], -v[76:77], v[102:103], 1.0
	v_fmac_f64_e32 v[102:103], v[96:97], v[102:103]
	v_mul_f64 v[96:97], v[98:99], v[102:103]
	v_mul_f64 v[100:101], v[76:77], v[96:97]
	v_fma_f64 v[104:105], v[96:97], v[76:77], -v[100:101]
	v_fmac_f64_e32 v[104:105], v[96:97], v[74:75]
	v_add_f64 v[106:107], v[100:101], v[104:105]
	v_add_f64 v[108:109], v[98:99], -v[106:107]
	v_add_f64 v[98:99], v[98:99], -v[108:109]
	;; [unrolled: 1-line block ×4, first 2 shown]
	v_add_f64 v[94:95], v[94:95], v[98:99]
	v_add_f64 v[98:99], v[100:101], -v[104:105]
	v_add_f64 v[94:95], v[98:99], v[94:95]
	v_add_f64 v[98:99], v[108:109], v[94:95]
	v_add_f64 v[100:101], v[108:109], -v[98:99]
	v_add_f64 v[94:95], v[94:95], v[100:101]
	v_mul_f64 v[100:101], v[102:103], v[98:99]
	v_mul_f64 v[104:105], v[76:77], v[100:101]
	v_fma_f64 v[76:77], v[100:101], v[76:77], -v[104:105]
	v_fmac_f64_e32 v[76:77], v[100:101], v[74:75]
	v_add_f64 v[74:75], v[104:105], v[76:77]
	v_add_f64 v[106:107], v[98:99], -v[74:75]
	v_add_f64 v[98:99], v[98:99], -v[106:107]
	;; [unrolled: 1-line block ×4, first 2 shown]
	v_add_f64 v[74:75], v[94:95], v[74:75]
	v_add_f64 v[76:77], v[104:105], -v[76:77]
	v_add_f64 v[74:75], v[76:77], v[74:75]
	v_add_f64 v[76:77], v[96:97], v[100:101]
	;; [unrolled: 1-line block ×3, first 2 shown]
	v_add_f64 v[94:95], v[76:77], -v[96:97]
	v_mul_f64 v[74:75], v[102:103], v[74:75]
	v_add_f64 v[94:95], v[100:101], -v[94:95]
	v_add_f64 v[74:75], v[94:95], v[74:75]
	v_add_f64 v[94:95], v[76:77], v[74:75]
	v_add_f64 v[76:77], v[94:95], -v[76:77]
	v_add_f64 v[74:75], v[74:75], -v[76:77]
	v_mul_f64 v[76:77], v[94:95], v[94:95]
	v_mov_b64_e32 v[96:97], v[60:61]
	v_fmac_f64_e32 v[96:97], s[52:53], v[76:77]
	v_mov_b64_e32 v[98:99], v[62:63]
	v_fmac_f64_e32 v[98:99], v[76:77], v[96:97]
	;; [unrolled: 2-line block ×6, first 2 shown]
	v_cvt_f64_i32_e32 v[96:97], v13
	v_mul_f64 v[100:101], v[96:97], s[54:55]
	v_fma_f64 v[102:103], v[96:97], s[54:55], -v[100:101]
	v_fmac_f64_e32 v[102:103], s[56:57], v[96:97]
	v_add_f64 v[96:97], v[100:101], v[102:103]
	v_add_f64 v[100:101], v[96:97], -v[100:101]
	v_mul_f64 v[76:77], v[94:95], v[76:77]
	v_add_f64 v[100:101], v[102:103], -v[100:101]
	v_ldexp_f64 v[102:103], v[94:95], 1
	v_mul_f64 v[76:77], v[76:77], v[98:99]
	v_add_f64 v[94:95], v[102:103], v[76:77]
	v_add_f64 v[98:99], v[94:95], -v[102:103]
	v_ldexp_f64 v[74:75], v[74:75], 1
	v_add_f64 v[76:77], v[76:77], -v[98:99]
	v_add_f64 v[74:75], v[74:75], v[76:77]
	v_add_f64 v[76:77], v[94:95], v[74:75]
	v_add_f64 v[94:95], v[76:77], -v[94:95]
	v_add_f64 v[74:75], v[74:75], -v[94:95]
	v_add_f64 v[94:95], v[96:97], v[76:77]
	v_add_f64 v[98:99], v[94:95], -v[96:97]
	v_add_f64 v[102:103], v[94:95], -v[98:99]
	;; [unrolled: 1-line block ×4, first 2 shown]
	v_add_f64 v[76:77], v[76:77], v[96:97]
	v_add_f64 v[96:97], v[100:101], v[74:75]
	v_add_f64 v[98:99], v[96:97], -v[100:101]
	v_add_f64 v[76:77], v[96:97], v[76:77]
	v_add_f64 v[102:103], v[96:97], -v[98:99]
	;; [unrolled: 2-line block ×3, first 2 shown]
	v_add_f64 v[74:75], v[74:75], -v[98:99]
	v_add_f64 v[94:95], v[96:97], -v[94:95]
	v_add_f64 v[74:75], v[74:75], v[100:101]
	v_add_f64 v[76:77], v[76:77], -v[94:95]
	v_add_f64 v[74:75], v[74:75], v[76:77]
	v_add_f64 v[74:75], v[96:97], v[74:75]
	v_cmp_neq_f64_e32 vcc, s[58:59], v[72:73]
	s_nop 1
	v_cndmask_b32_e32 v13, v90, v75, vcc
	v_cndmask_b32_e64 v13, v91, v13, s[22:23]
	v_cmp_nge_f64_e64 s[22:23], -1.0, v[72:73]
	s_and_b64 vcc, s[22:23], vcc
	v_cndmask_b32_e32 v74, 0, v74, vcc
	v_cmp_neq_f64_e32 vcc, -1.0, v[72:73]
	s_nop 1
	v_cndmask_b32_e32 v75, v92, v13, vcc
	v_add_f64 v[72:73], v[10:11], v[74:75]
	s_branch .LBB1_101
.LBB1_134:
                                        ; implicit-def: $vgpr6_vgpr7_vgpr8_vgpr9_vgpr10_vgpr11_vgpr12_vgpr13_vgpr14_vgpr15_vgpr16_vgpr17_vgpr18_vgpr19_vgpr20_vgpr21
	s_load_dwordx8 s[36:43], s[0:1], 0x40
	s_cbranch_execnz .LBB1_158
	s_branch .LBB1_229
.LBB1_135:
	s_and_saveexec_b64 s[22:23], s[18:19]
	s_cbranch_execz .LBB1_139
; %bb.136:
	v_max_f64 v[8:9], v[6:7], v[6:7]
	v_max_f64 v[12:13], v[40:41], v[40:41]
	v_min_f64 v[10:11], v[12:13], v[8:9]
	v_cmp_u_f64_e32 vcc, v[40:41], v[40:41]
	v_max_f64 v[8:9], v[12:13], v[8:9]
	v_cmp_u_f64_e64 s[18:19], v[6:7], v[6:7]
	v_cndmask_b32_e32 v10, v10, v40, vcc
	v_cndmask_b32_e32 v11, v11, v41, vcc
	v_cndmask_b32_e32 v8, v8, v40, vcc
	v_cndmask_b32_e32 v9, v9, v41, vcc
	v_cndmask_b32_e64 v11, v11, v7, s[18:19]
	v_cndmask_b32_e64 v10, v10, v6, s[18:19]
	;; [unrolled: 1-line block ×4, first 2 shown]
	s_movk_i32 s3, 0x1f8
	v_cmp_neq_f64_e32 vcc, v[10:11], v[8:9]
	v_cmp_class_f64_e64 s[18:19], v[10:11], s3
	s_or_b64 s[18:19], vcc, s[18:19]
	v_mov_b64_e32 v[6:7], v[40:41]
	s_and_saveexec_b64 s[38:39], s[18:19]
	s_cbranch_execz .LBB1_138
; %bb.137:
	s_mov_b32 s18, 0x652b82fe
	v_add_f64 v[6:7], v[10:11], -v[8:9]
	s_mov_b32 s19, 0x3ff71547
	v_mul_f64 v[10:11], v[6:7], s[18:19]
	v_rndne_f64_e32 v[10:11], v[10:11]
	s_mov_b32 s41, 0xbfe62e42
	s_mov_b32 s40, 0xfefa39ef
	v_fma_f64 v[12:13], s[40:41], v[10:11], v[6:7]
	s_mov_b32 s43, 0xbc7abc9e
	s_mov_b32 s42, 0x3b39803f
	s_mov_b32 s18, 0x6a5dcb37
	v_fmac_f64_e32 v[12:13], s[42:43], v[10:11]
	v_mov_b32_e32 v38, 0xfca7ab0c
	v_mov_b32_e32 v39, 0x3e928af3
	s_mov_b32 s19, 0x3e5ade15
	v_fmac_f64_e32 v[38:39], s[18:19], v[12:13]
	v_mov_b32_e32 v42, 0x623fde64
	v_mov_b32_e32 v43, 0x3ec71dee
	v_fmac_f64_e32 v[42:43], v[12:13], v[38:39]
	v_mov_b32_e32 v38, 0x7c89e6b0
	v_mov_b32_e32 v39, 0x3efa0199
	;; [unrolled: 3-line block ×8, first 2 shown]
	s_mov_b32 s18, 0
	v_fmac_f64_e32 v[38:39], v[12:13], v[42:43]
	s_mov_b32 s19, 0x40900000
	v_fma_f64 v[38:39], v[12:13], v[38:39], 1.0
	v_cmp_nlt_f64_e32 vcc, s[18:19], v[6:7]
	s_mov_b32 s18, 0
	v_fma_f64 v[12:13], v[12:13], v[38:39], 1.0
	v_cvt_i32_f64_e32 v10, v[10:11]
	s_mov_b32 s19, 0xc090cc00
	v_ldexp_f64 v[10:11], v[12:13], v10
	v_mov_b32_e32 v31, 0x7ff00000
	v_cmp_ngt_f64_e64 s[18:19], s[18:19], v[6:7]
	v_cndmask_b32_e32 v11, v31, v11, vcc
	s_and_b64 vcc, s[18:19], vcc
	v_cndmask_b32_e64 v7, 0, v11, s[18:19]
	v_cndmask_b32_e32 v6, 0, v10, vcc
	v_add_f64 v[10:11], v[6:7], 1.0
	v_add_f64 v[12:13], v[10:11], -1.0
	v_add_f64 v[38:39], v[12:13], -v[10:11]
	v_add_f64 v[38:39], v[38:39], 1.0
	v_add_f64 v[12:13], v[6:7], -v[12:13]
	s_mov_b32 s18, 0x55555555
	v_add_f64 v[12:13], v[12:13], v[38:39]
	v_frexp_mant_f64_e32 v[38:39], v[10:11]
	s_mov_b32 s19, 0x3fe55555
	v_frexp_exp_i32_f64_e32 v42, v[10:11]
	v_cmp_gt_f64_e32 vcc, s[18:19], v[38:39]
	s_mov_b32 s18, 0xbf559e2b
	s_mov_b32 s19, 0x3fc3ab76
	v_subbrev_co_u32_e32 v56, vcc, 0, v42, vcc
	v_sub_u32_e32 v38, 0, v56
	v_ldexp_f64 v[10:11], v[10:11], v38
	v_ldexp_f64 v[12:13], v[12:13], v38
	v_add_f64 v[38:39], v[10:11], -1.0
	v_add_f64 v[46:47], v[10:11], 1.0
	v_add_f64 v[42:43], v[38:39], 1.0
	v_add_f64 v[48:49], v[46:47], -1.0
	v_add_f64 v[42:43], v[10:11], -v[42:43]
	v_add_f64 v[10:11], v[10:11], -v[48:49]
	v_add_f64 v[10:11], v[12:13], v[10:11]
	v_add_f64 v[42:43], v[12:13], v[42:43]
	;; [unrolled: 1-line block ×3, first 2 shown]
	v_rcp_f64_e32 v[48:49], v[12:13]
	v_add_f64 v[44:45], v[38:39], v[42:43]
	v_add_f64 v[38:39], v[44:45], -v[38:39]
	v_add_f64 v[38:39], v[42:43], -v[38:39]
	;; [unrolled: 1-line block ×4, first 2 shown]
	v_fma_f64 v[42:43], -v[12:13], v[48:49], 1.0
	v_fmac_f64_e32 v[48:49], v[42:43], v[48:49]
	v_fma_f64 v[42:43], -v[12:13], v[48:49], 1.0
	v_fmac_f64_e32 v[48:49], v[42:43], v[48:49]
	v_mul_f64 v[42:43], v[44:45], v[48:49]
	v_mul_f64 v[46:47], v[12:13], v[42:43]
	v_fma_f64 v[50:51], v[42:43], v[12:13], -v[46:47]
	v_fmac_f64_e32 v[50:51], v[42:43], v[10:11]
	v_add_f64 v[52:53], v[46:47], v[50:51]
	v_add_f64 v[54:55], v[44:45], -v[52:53]
	v_add_f64 v[44:45], v[44:45], -v[54:55]
	;; [unrolled: 1-line block ×4, first 2 shown]
	v_add_f64 v[38:39], v[38:39], v[44:45]
	v_add_f64 v[44:45], v[46:47], -v[50:51]
	v_add_f64 v[38:39], v[44:45], v[38:39]
	v_add_f64 v[44:45], v[54:55], v[38:39]
	v_add_f64 v[46:47], v[54:55], -v[44:45]
	v_add_f64 v[38:39], v[38:39], v[46:47]
	v_mul_f64 v[46:47], v[48:49], v[44:45]
	v_mul_f64 v[50:51], v[12:13], v[46:47]
	v_fma_f64 v[12:13], v[46:47], v[12:13], -v[50:51]
	v_fmac_f64_e32 v[12:13], v[46:47], v[10:11]
	v_add_f64 v[10:11], v[50:51], v[12:13]
	v_add_f64 v[52:53], v[44:45], -v[10:11]
	v_add_f64 v[44:45], v[44:45], -v[52:53]
	;; [unrolled: 1-line block ×4, first 2 shown]
	v_add_f64 v[10:11], v[38:39], v[10:11]
	v_add_f64 v[12:13], v[50:51], -v[12:13]
	v_add_f64 v[10:11], v[12:13], v[10:11]
	v_add_f64 v[12:13], v[42:43], v[46:47]
	;; [unrolled: 1-line block ×3, first 2 shown]
	v_add_f64 v[38:39], v[12:13], -v[42:43]
	v_mul_f64 v[10:11], v[48:49], v[10:11]
	v_add_f64 v[38:39], v[46:47], -v[38:39]
	v_add_f64 v[10:11], v[38:39], v[10:11]
	v_add_f64 v[38:39], v[12:13], v[10:11]
	v_add_f64 v[12:13], v[38:39], -v[12:13]
	v_add_f64 v[10:11], v[10:11], -v[12:13]
	v_mul_f64 v[12:13], v[38:39], v[38:39]
	v_mov_b32_e32 v42, 0x6b47b09a
	v_mov_b32_e32 v43, 0x3fc38538
	v_fmac_f64_e32 v[42:43], s[18:19], v[12:13]
	v_mov_b32_e32 v44, 0xd7f4df2e
	v_mov_b32_e32 v45, 0x3fc7474d
	v_fmac_f64_e32 v[44:45], v[12:13], v[42:43]
	;; [unrolled: 3-line block ×6, first 2 shown]
	v_cvt_f64_i32_e32 v[42:43], v56
	s_mov_b32 s41, 0x3fe62e42
	v_mul_f64 v[46:47], v[42:43], s[40:41]
	v_fma_f64 v[48:49], v[42:43], s[40:41], -v[46:47]
	s_mov_b32 s43, 0x3c7abc9e
	v_fmac_f64_e32 v[48:49], s[42:43], v[42:43]
	v_add_f64 v[42:43], v[46:47], v[48:49]
	v_add_f64 v[46:47], v[42:43], -v[46:47]
	v_mul_f64 v[12:13], v[38:39], v[12:13]
	v_add_f64 v[46:47], v[48:49], -v[46:47]
	v_ldexp_f64 v[48:49], v[38:39], 1
	v_mul_f64 v[12:13], v[12:13], v[44:45]
	v_add_f64 v[38:39], v[48:49], v[12:13]
	v_add_f64 v[44:45], v[38:39], -v[48:49]
	v_ldexp_f64 v[10:11], v[10:11], 1
	v_add_f64 v[12:13], v[12:13], -v[44:45]
	v_add_f64 v[10:11], v[10:11], v[12:13]
	v_add_f64 v[12:13], v[38:39], v[10:11]
	v_add_f64 v[38:39], v[12:13], -v[38:39]
	v_add_f64 v[10:11], v[10:11], -v[38:39]
	v_add_f64 v[38:39], v[42:43], v[12:13]
	v_add_f64 v[44:45], v[38:39], -v[42:43]
	v_add_f64 v[48:49], v[38:39], -v[44:45]
	;; [unrolled: 1-line block ×4, first 2 shown]
	v_add_f64 v[12:13], v[12:13], v[42:43]
	v_add_f64 v[42:43], v[46:47], v[10:11]
	v_add_f64 v[44:45], v[42:43], -v[46:47]
	v_add_f64 v[12:13], v[42:43], v[12:13]
	v_add_f64 v[48:49], v[42:43], -v[44:45]
	;; [unrolled: 2-line block ×3, first 2 shown]
	v_add_f64 v[10:11], v[10:11], -v[44:45]
	v_add_f64 v[38:39], v[42:43], -v[38:39]
	v_add_f64 v[10:11], v[10:11], v[46:47]
	v_add_f64 v[12:13], v[12:13], -v[38:39]
	s_mov_b32 s18, 0
	v_add_f64 v[10:11], v[10:11], v[12:13]
	s_mov_b32 s19, 0x7ff00000
	v_add_f64 v[10:11], v[42:43], v[10:11]
	v_cmp_neq_f64_e32 vcc, s[18:19], v[6:7]
	v_mov_b32_e32 v12, 0x7ff80000
	v_cmp_ngt_f64_e64 s[18:19], -1.0, v[6:7]
	v_cndmask_b32_e32 v11, v31, v11, vcc
	s_nop 0
	v_cndmask_b32_e64 v11, v12, v11, s[18:19]
	v_cmp_nge_f64_e64 s[18:19], -1.0, v[6:7]
	s_and_b64 vcc, s[18:19], vcc
	v_cndmask_b32_e32 v10, 0, v10, vcc
	v_mov_b32_e32 v12, 0xfff00000
	v_cmp_neq_f64_e32 vcc, -1.0, v[6:7]
	s_nop 1
	v_cndmask_b32_e32 v11, v12, v11, vcc
	v_add_f64 v[6:7], v[8:9], v[10:11]
.LBB1_138:
	s_or_b64 exec, exec, s[38:39]
	s_add_i32 s2, s2, 64
	s_mov_b32 s3, 0
	s_lshl_b64 s[2:3], s[2:3], 4
	s_add_u32 s2, s34, s2
	s_addc_u32 s3, s35, s3
	v_mov_b32_e32 v8, 2
	v_mov_b32_e32 v9, 0
	v_mov_b64_e32 v[10:11], s[2:3]
	;;#ASMSTART
	global_store_dwordx4 v[10:11], v[6:9] off sc1	
s_waitcnt vmcnt(0)
	;;#ASMEND
.LBB1_139:
	s_or_b64 exec, exec, s[22:23]
	s_and_b64 exec, exec, s[16:17]
; %bb.140:
	v_mov_b32_e32 v6, 0
	ds_write_b64 v6, v[40:41]
.LBB1_141:
	s_or_b64 exec, exec, s[36:37]
	v_mov_b32_e32 v6, 0
	s_waitcnt lgkmcnt(0)
	s_barrier
	ds_read_b64 v[6:7], v6
	v_mov_b64_e32 v[8:9], v[2:3]
	s_and_saveexec_b64 s[16:17], s[14:15]
	s_cbranch_execz .LBB1_145
; %bb.142:
	v_max_f64 v[8:9], v[36:37], v[36:37]
	v_min_f64 v[10:11], v[8:9], v[34:35]
	v_cmp_u_f64_e32 vcc, v[36:37], v[36:37]
	v_max_f64 v[8:9], v[8:9], v[34:35]
	s_movk_i32 s2, 0x1f8
	v_cndmask_b32_e32 v10, v10, v36, vcc
	v_cndmask_b32_e32 v11, v11, v37, vcc
	;; [unrolled: 1-line block ×4, first 2 shown]
	v_cndmask_b32_e64 v11, v11, v3, s[12:13]
	v_cndmask_b32_e64 v10, v10, v2, s[12:13]
	;; [unrolled: 1-line block ×4, first 2 shown]
	v_cmp_neq_f64_e32 vcc, v[10:11], v[8:9]
	v_cmp_class_f64_e64 s[2:3], v[10:11], s2
	s_or_b64 s[2:3], vcc, s[2:3]
	s_and_saveexec_b64 s[12:13], s[2:3]
	s_cbranch_execz .LBB1_144
; %bb.143:
	s_mov_b32 s2, 0x652b82fe
	v_add_f64 v[10:11], v[10:11], -v[8:9]
	s_mov_b32 s3, 0x3ff71547
	v_mul_f64 v[12:13], v[10:11], s[2:3]
	v_rndne_f64_e32 v[12:13], v[12:13]
	s_mov_b32 s15, 0xbfe62e42
	s_mov_b32 s14, 0xfefa39ef
	v_fma_f64 v[34:35], s[14:15], v[12:13], v[10:11]
	s_mov_b32 s19, 0xbc7abc9e
	s_mov_b32 s18, 0x3b39803f
	;; [unrolled: 1-line block ×3, first 2 shown]
	v_fmac_f64_e32 v[34:35], s[18:19], v[12:13]
	v_mov_b32_e32 v36, 0xfca7ab0c
	v_mov_b32_e32 v37, 0x3e928af3
	s_mov_b32 s3, 0x3e5ade15
	v_fmac_f64_e32 v[36:37], s[2:3], v[34:35]
	v_mov_b32_e32 v38, 0x623fde64
	v_mov_b32_e32 v39, 0x3ec71dee
	v_fmac_f64_e32 v[38:39], v[34:35], v[36:37]
	v_mov_b32_e32 v36, 0x7c89e6b0
	v_mov_b32_e32 v37, 0x3efa0199
	;; [unrolled: 3-line block ×8, first 2 shown]
	s_mov_b32 s2, 0
	v_fmac_f64_e32 v[36:37], v[34:35], v[38:39]
	s_mov_b32 s3, 0x40900000
	v_fma_f64 v[36:37], v[34:35], v[36:37], 1.0
	v_cmp_nlt_f64_e32 vcc, s[2:3], v[10:11]
	s_mov_b32 s2, 0
	v_fma_f64 v[34:35], v[34:35], v[36:37], 1.0
	v_cvt_i32_f64_e32 v12, v[12:13]
	s_mov_b32 s3, 0xc090cc00
	v_ldexp_f64 v[12:13], v[34:35], v12
	v_mov_b32_e32 v31, 0x7ff00000
	v_cmp_ngt_f64_e64 s[2:3], s[2:3], v[10:11]
	v_cndmask_b32_e32 v13, v31, v13, vcc
	s_and_b64 vcc, s[2:3], vcc
	v_cndmask_b32_e64 v11, 0, v13, s[2:3]
	v_cndmask_b32_e32 v10, 0, v12, vcc
	v_add_f64 v[12:13], v[10:11], 1.0
	v_add_f64 v[34:35], v[12:13], -1.0
	v_add_f64 v[36:37], v[34:35], -v[12:13]
	v_add_f64 v[36:37], v[36:37], 1.0
	v_add_f64 v[34:35], v[10:11], -v[34:35]
	s_mov_b32 s2, 0x55555555
	v_add_f64 v[34:35], v[34:35], v[36:37]
	v_frexp_mant_f64_e32 v[36:37], v[12:13]
	s_mov_b32 s3, 0x3fe55555
	v_frexp_exp_i32_f64_e32 v38, v[12:13]
	v_cmp_gt_f64_e32 vcc, s[2:3], v[36:37]
	s_mov_b32 s2, 0xbf559e2b
	s_mov_b32 s3, 0x3fc3ab76
	v_subbrev_co_u32_e32 v52, vcc, 0, v38, vcc
	v_sub_u32_e32 v36, 0, v52
	v_ldexp_f64 v[12:13], v[12:13], v36
	v_ldexp_f64 v[34:35], v[34:35], v36
	v_add_f64 v[36:37], v[12:13], -1.0
	v_add_f64 v[42:43], v[12:13], 1.0
	v_add_f64 v[38:39], v[36:37], 1.0
	v_add_f64 v[44:45], v[42:43], -1.0
	v_add_f64 v[38:39], v[12:13], -v[38:39]
	v_add_f64 v[12:13], v[12:13], -v[44:45]
	v_add_f64 v[12:13], v[34:35], v[12:13]
	v_add_f64 v[38:39], v[34:35], v[38:39]
	;; [unrolled: 1-line block ×3, first 2 shown]
	v_rcp_f64_e32 v[44:45], v[34:35]
	v_add_f64 v[40:41], v[36:37], v[38:39]
	v_add_f64 v[36:37], v[40:41], -v[36:37]
	v_add_f64 v[36:37], v[38:39], -v[36:37]
	;; [unrolled: 1-line block ×4, first 2 shown]
	v_fma_f64 v[38:39], -v[34:35], v[44:45], 1.0
	v_fmac_f64_e32 v[44:45], v[38:39], v[44:45]
	v_fma_f64 v[38:39], -v[34:35], v[44:45], 1.0
	v_fmac_f64_e32 v[44:45], v[38:39], v[44:45]
	v_mul_f64 v[38:39], v[40:41], v[44:45]
	v_mul_f64 v[42:43], v[34:35], v[38:39]
	v_fma_f64 v[46:47], v[38:39], v[34:35], -v[42:43]
	v_fmac_f64_e32 v[46:47], v[38:39], v[12:13]
	v_add_f64 v[48:49], v[42:43], v[46:47]
	v_add_f64 v[50:51], v[40:41], -v[48:49]
	v_add_f64 v[40:41], v[40:41], -v[50:51]
	;; [unrolled: 1-line block ×4, first 2 shown]
	v_add_f64 v[36:37], v[36:37], v[40:41]
	v_add_f64 v[40:41], v[42:43], -v[46:47]
	v_add_f64 v[36:37], v[40:41], v[36:37]
	v_add_f64 v[40:41], v[50:51], v[36:37]
	v_add_f64 v[42:43], v[50:51], -v[40:41]
	v_add_f64 v[36:37], v[36:37], v[42:43]
	v_mul_f64 v[42:43], v[44:45], v[40:41]
	v_mul_f64 v[46:47], v[34:35], v[42:43]
	v_fma_f64 v[34:35], v[42:43], v[34:35], -v[46:47]
	v_fmac_f64_e32 v[34:35], v[42:43], v[12:13]
	v_add_f64 v[12:13], v[46:47], v[34:35]
	v_add_f64 v[48:49], v[40:41], -v[12:13]
	v_add_f64 v[40:41], v[40:41], -v[48:49]
	;; [unrolled: 1-line block ×4, first 2 shown]
	v_add_f64 v[12:13], v[36:37], v[12:13]
	v_add_f64 v[34:35], v[46:47], -v[34:35]
	v_add_f64 v[12:13], v[34:35], v[12:13]
	v_add_f64 v[34:35], v[38:39], v[42:43]
	v_add_f64 v[12:13], v[48:49], v[12:13]
	v_add_f64 v[36:37], v[34:35], -v[38:39]
	v_mul_f64 v[12:13], v[44:45], v[12:13]
	v_add_f64 v[36:37], v[42:43], -v[36:37]
	v_add_f64 v[12:13], v[36:37], v[12:13]
	v_add_f64 v[36:37], v[34:35], v[12:13]
	v_add_f64 v[34:35], v[36:37], -v[34:35]
	v_add_f64 v[12:13], v[12:13], -v[34:35]
	v_mul_f64 v[34:35], v[36:37], v[36:37]
	v_mov_b32_e32 v38, 0x6b47b09a
	v_mov_b32_e32 v39, 0x3fc38538
	v_fmac_f64_e32 v[38:39], s[2:3], v[34:35]
	v_mov_b32_e32 v40, 0xd7f4df2e
	v_mov_b32_e32 v41, 0x3fc7474d
	v_fmac_f64_e32 v[40:41], v[34:35], v[38:39]
	;; [unrolled: 3-line block ×6, first 2 shown]
	v_cvt_f64_i32_e32 v[38:39], v52
	s_mov_b32 s15, 0x3fe62e42
	v_mul_f64 v[42:43], v[38:39], s[14:15]
	v_fma_f64 v[44:45], v[38:39], s[14:15], -v[42:43]
	s_mov_b32 s19, 0x3c7abc9e
	v_fmac_f64_e32 v[44:45], s[18:19], v[38:39]
	v_add_f64 v[38:39], v[42:43], v[44:45]
	v_add_f64 v[42:43], v[38:39], -v[42:43]
	v_mul_f64 v[34:35], v[36:37], v[34:35]
	v_add_f64 v[42:43], v[44:45], -v[42:43]
	v_ldexp_f64 v[44:45], v[36:37], 1
	v_mul_f64 v[34:35], v[34:35], v[40:41]
	v_add_f64 v[36:37], v[44:45], v[34:35]
	v_add_f64 v[40:41], v[36:37], -v[44:45]
	v_ldexp_f64 v[12:13], v[12:13], 1
	v_add_f64 v[34:35], v[34:35], -v[40:41]
	v_add_f64 v[12:13], v[12:13], v[34:35]
	v_add_f64 v[34:35], v[36:37], v[12:13]
	v_add_f64 v[36:37], v[34:35], -v[36:37]
	v_add_f64 v[12:13], v[12:13], -v[36:37]
	v_add_f64 v[36:37], v[38:39], v[34:35]
	v_add_f64 v[40:41], v[36:37], -v[38:39]
	v_add_f64 v[44:45], v[36:37], -v[40:41]
	v_add_f64 v[38:39], v[38:39], -v[44:45]
	v_add_f64 v[34:35], v[34:35], -v[40:41]
	v_add_f64 v[34:35], v[34:35], v[38:39]
	v_add_f64 v[38:39], v[42:43], v[12:13]
	v_add_f64 v[40:41], v[38:39], -v[42:43]
	v_add_f64 v[34:35], v[38:39], v[34:35]
	v_add_f64 v[44:45], v[38:39], -v[40:41]
	;; [unrolled: 2-line block ×3, first 2 shown]
	v_add_f64 v[12:13], v[12:13], -v[40:41]
	v_add_f64 v[36:37], v[38:39], -v[36:37]
	v_add_f64 v[12:13], v[12:13], v[42:43]
	v_add_f64 v[34:35], v[34:35], -v[36:37]
	s_mov_b32 s2, 0
	v_add_f64 v[12:13], v[12:13], v[34:35]
	s_mov_b32 s3, 0x7ff00000
	v_add_f64 v[12:13], v[38:39], v[12:13]
	v_cmp_neq_f64_e32 vcc, s[2:3], v[10:11]
	v_cmp_ngt_f64_e64 s[2:3], -1.0, v[10:11]
	s_nop 0
	v_cndmask_b32_e32 v13, v31, v13, vcc
	v_mov_b32_e32 v31, 0x7ff80000
	v_cndmask_b32_e64 v13, v31, v13, s[2:3]
	v_cmp_nge_f64_e64 s[2:3], -1.0, v[10:11]
	s_and_b64 vcc, s[2:3], vcc
	v_cndmask_b32_e32 v12, 0, v12, vcc
	v_mov_b32_e32 v31, 0xfff00000
	v_cmp_neq_f64_e32 vcc, -1.0, v[10:11]
	s_nop 1
	v_cndmask_b32_e32 v13, v31, v13, vcc
	v_add_f64 v[36:37], v[8:9], v[12:13]
.LBB1_144:
	s_or_b64 exec, exec, s[12:13]
	v_mov_b64_e32 v[8:9], v[36:37]
.LBB1_145:
	s_or_b64 exec, exec, s[16:17]
	v_max_f64 v[12:13], v[8:9], v[8:9]
	s_waitcnt lgkmcnt(0)
	v_max_f64 v[34:35], v[6:7], v[6:7]
	v_min_f64 v[10:11], v[34:35], v[12:13]
	v_cmp_u_f64_e32 vcc, v[6:7], v[6:7]
	v_max_f64 v[12:13], v[34:35], v[12:13]
	v_cmp_u_f64_e64 s[2:3], v[8:9], v[8:9]
	v_cndmask_b32_e32 v10, v10, v6, vcc
	v_cndmask_b32_e32 v11, v11, v7, vcc
	;; [unrolled: 1-line block ×4, first 2 shown]
	v_cndmask_b32_e64 v11, v11, v9, s[2:3]
	v_cndmask_b32_e64 v10, v10, v8, s[2:3]
	;; [unrolled: 1-line block ×4, first 2 shown]
	s_movk_i32 s18, 0x1f8
	v_cmp_neq_f64_e32 vcc, v[10:11], v[8:9]
	v_cmp_class_f64_e64 s[2:3], v[10:11], s18
	s_or_b64 s[2:3], vcc, s[2:3]
	s_and_saveexec_b64 s[12:13], s[2:3]
	s_cbranch_execz .LBB1_147
; %bb.146:
	s_mov_b32 s2, 0x652b82fe
	v_add_f64 v[6:7], v[10:11], -v[8:9]
	s_mov_b32 s3, 0x3ff71547
	v_mul_f64 v[10:11], v[6:7], s[2:3]
	v_rndne_f64_e32 v[10:11], v[10:11]
	s_mov_b32 s15, 0xbfe62e42
	s_mov_b32 s14, 0xfefa39ef
	v_fma_f64 v[12:13], s[14:15], v[10:11], v[6:7]
	s_mov_b32 s17, 0xbc7abc9e
	s_mov_b32 s16, 0x3b39803f
	;; [unrolled: 1-line block ×3, first 2 shown]
	v_fmac_f64_e32 v[12:13], s[16:17], v[10:11]
	v_mov_b32_e32 v34, 0xfca7ab0c
	v_mov_b32_e32 v35, 0x3e928af3
	s_mov_b32 s3, 0x3e5ade15
	v_fmac_f64_e32 v[34:35], s[2:3], v[12:13]
	v_mov_b32_e32 v36, 0x623fde64
	v_mov_b32_e32 v37, 0x3ec71dee
	v_fmac_f64_e32 v[36:37], v[12:13], v[34:35]
	v_mov_b32_e32 v34, 0x7c89e6b0
	v_mov_b32_e32 v35, 0x3efa0199
	;; [unrolled: 3-line block ×8, first 2 shown]
	s_mov_b32 s2, 0
	v_fmac_f64_e32 v[34:35], v[12:13], v[36:37]
	s_mov_b32 s3, 0x40900000
	v_fma_f64 v[34:35], v[12:13], v[34:35], 1.0
	v_cmp_nlt_f64_e32 vcc, s[2:3], v[6:7]
	s_mov_b32 s2, 0
	v_fma_f64 v[12:13], v[12:13], v[34:35], 1.0
	v_cvt_i32_f64_e32 v10, v[10:11]
	s_mov_b32 s3, 0xc090cc00
	v_ldexp_f64 v[10:11], v[12:13], v10
	v_mov_b32_e32 v31, 0x7ff00000
	v_cmp_ngt_f64_e64 s[2:3], s[2:3], v[6:7]
	v_cndmask_b32_e32 v11, v31, v11, vcc
	s_and_b64 vcc, s[2:3], vcc
	v_cndmask_b32_e64 v7, 0, v11, s[2:3]
	v_cndmask_b32_e32 v6, 0, v10, vcc
	v_add_f64 v[10:11], v[6:7], 1.0
	v_add_f64 v[12:13], v[10:11], -1.0
	v_add_f64 v[34:35], v[12:13], -v[10:11]
	v_add_f64 v[34:35], v[34:35], 1.0
	v_add_f64 v[12:13], v[6:7], -v[12:13]
	s_mov_b32 s2, 0x55555555
	v_add_f64 v[12:13], v[12:13], v[34:35]
	v_frexp_mant_f64_e32 v[34:35], v[10:11]
	s_mov_b32 s3, 0x3fe55555
	v_frexp_exp_i32_f64_e32 v36, v[10:11]
	v_cmp_gt_f64_e32 vcc, s[2:3], v[34:35]
	s_mov_b32 s2, 0xbf559e2b
	s_mov_b32 s3, 0x3fc3ab76
	v_subbrev_co_u32_e32 v50, vcc, 0, v36, vcc
	v_sub_u32_e32 v34, 0, v50
	v_ldexp_f64 v[10:11], v[10:11], v34
	v_ldexp_f64 v[12:13], v[12:13], v34
	v_add_f64 v[34:35], v[10:11], -1.0
	v_add_f64 v[40:41], v[10:11], 1.0
	v_add_f64 v[36:37], v[34:35], 1.0
	v_add_f64 v[42:43], v[40:41], -1.0
	v_add_f64 v[36:37], v[10:11], -v[36:37]
	v_add_f64 v[10:11], v[10:11], -v[42:43]
	v_add_f64 v[10:11], v[12:13], v[10:11]
	v_add_f64 v[36:37], v[12:13], v[36:37]
	;; [unrolled: 1-line block ×3, first 2 shown]
	v_rcp_f64_e32 v[42:43], v[12:13]
	v_add_f64 v[38:39], v[34:35], v[36:37]
	v_add_f64 v[34:35], v[38:39], -v[34:35]
	v_add_f64 v[34:35], v[36:37], -v[34:35]
	;; [unrolled: 1-line block ×4, first 2 shown]
	v_fma_f64 v[36:37], -v[12:13], v[42:43], 1.0
	v_fmac_f64_e32 v[42:43], v[36:37], v[42:43]
	v_fma_f64 v[36:37], -v[12:13], v[42:43], 1.0
	v_fmac_f64_e32 v[42:43], v[36:37], v[42:43]
	v_mul_f64 v[36:37], v[38:39], v[42:43]
	v_mul_f64 v[40:41], v[12:13], v[36:37]
	v_fma_f64 v[44:45], v[36:37], v[12:13], -v[40:41]
	v_fmac_f64_e32 v[44:45], v[36:37], v[10:11]
	v_add_f64 v[46:47], v[40:41], v[44:45]
	v_add_f64 v[48:49], v[38:39], -v[46:47]
	v_add_f64 v[38:39], v[38:39], -v[48:49]
	;; [unrolled: 1-line block ×4, first 2 shown]
	v_add_f64 v[34:35], v[34:35], v[38:39]
	v_add_f64 v[38:39], v[40:41], -v[44:45]
	v_add_f64 v[34:35], v[38:39], v[34:35]
	v_add_f64 v[38:39], v[48:49], v[34:35]
	v_add_f64 v[40:41], v[48:49], -v[38:39]
	v_add_f64 v[34:35], v[34:35], v[40:41]
	v_mul_f64 v[40:41], v[42:43], v[38:39]
	v_mul_f64 v[44:45], v[12:13], v[40:41]
	v_fma_f64 v[12:13], v[40:41], v[12:13], -v[44:45]
	v_fmac_f64_e32 v[12:13], v[40:41], v[10:11]
	v_add_f64 v[10:11], v[44:45], v[12:13]
	v_add_f64 v[46:47], v[38:39], -v[10:11]
	v_add_f64 v[38:39], v[38:39], -v[46:47]
	;; [unrolled: 1-line block ×4, first 2 shown]
	v_add_f64 v[10:11], v[34:35], v[10:11]
	v_add_f64 v[12:13], v[44:45], -v[12:13]
	v_add_f64 v[10:11], v[12:13], v[10:11]
	v_add_f64 v[12:13], v[36:37], v[40:41]
	;; [unrolled: 1-line block ×3, first 2 shown]
	v_add_f64 v[34:35], v[12:13], -v[36:37]
	v_mul_f64 v[10:11], v[42:43], v[10:11]
	v_add_f64 v[34:35], v[40:41], -v[34:35]
	v_add_f64 v[10:11], v[34:35], v[10:11]
	v_add_f64 v[34:35], v[12:13], v[10:11]
	v_add_f64 v[12:13], v[34:35], -v[12:13]
	v_add_f64 v[10:11], v[10:11], -v[12:13]
	v_mul_f64 v[12:13], v[34:35], v[34:35]
	v_mov_b32_e32 v36, 0x6b47b09a
	v_mov_b32_e32 v37, 0x3fc38538
	v_fmac_f64_e32 v[36:37], s[2:3], v[12:13]
	v_mov_b32_e32 v38, 0xd7f4df2e
	v_mov_b32_e32 v39, 0x3fc7474d
	v_fmac_f64_e32 v[38:39], v[12:13], v[36:37]
	;; [unrolled: 3-line block ×6, first 2 shown]
	v_cvt_f64_i32_e32 v[36:37], v50
	s_mov_b32 s15, 0x3fe62e42
	v_mul_f64 v[40:41], v[36:37], s[14:15]
	v_fma_f64 v[42:43], v[36:37], s[14:15], -v[40:41]
	s_mov_b32 s17, 0x3c7abc9e
	v_fmac_f64_e32 v[42:43], s[16:17], v[36:37]
	v_add_f64 v[36:37], v[40:41], v[42:43]
	v_add_f64 v[40:41], v[36:37], -v[40:41]
	v_mul_f64 v[12:13], v[34:35], v[12:13]
	v_add_f64 v[40:41], v[42:43], -v[40:41]
	v_ldexp_f64 v[42:43], v[34:35], 1
	v_mul_f64 v[12:13], v[12:13], v[38:39]
	v_add_f64 v[34:35], v[42:43], v[12:13]
	v_add_f64 v[38:39], v[34:35], -v[42:43]
	v_ldexp_f64 v[10:11], v[10:11], 1
	v_add_f64 v[12:13], v[12:13], -v[38:39]
	v_add_f64 v[10:11], v[10:11], v[12:13]
	v_add_f64 v[12:13], v[34:35], v[10:11]
	v_add_f64 v[34:35], v[12:13], -v[34:35]
	v_add_f64 v[10:11], v[10:11], -v[34:35]
	v_add_f64 v[34:35], v[36:37], v[12:13]
	v_add_f64 v[38:39], v[34:35], -v[36:37]
	v_add_f64 v[42:43], v[34:35], -v[38:39]
	;; [unrolled: 1-line block ×4, first 2 shown]
	v_add_f64 v[12:13], v[12:13], v[36:37]
	v_add_f64 v[36:37], v[40:41], v[10:11]
	v_add_f64 v[38:39], v[36:37], -v[40:41]
	v_add_f64 v[12:13], v[36:37], v[12:13]
	v_add_f64 v[42:43], v[36:37], -v[38:39]
	;; [unrolled: 2-line block ×3, first 2 shown]
	v_add_f64 v[10:11], v[10:11], -v[38:39]
	v_add_f64 v[34:35], v[36:37], -v[34:35]
	v_add_f64 v[10:11], v[10:11], v[40:41]
	v_add_f64 v[12:13], v[12:13], -v[34:35]
	s_mov_b32 s2, 0
	v_add_f64 v[10:11], v[10:11], v[12:13]
	s_mov_b32 s3, 0x7ff00000
	v_add_f64 v[10:11], v[36:37], v[10:11]
	v_cmp_neq_f64_e32 vcc, s[2:3], v[6:7]
	v_mov_b32_e32 v12, 0x7ff80000
	v_cmp_ngt_f64_e64 s[2:3], -1.0, v[6:7]
	v_cndmask_b32_e32 v11, v31, v11, vcc
	s_nop 0
	v_cndmask_b32_e64 v11, v12, v11, s[2:3]
	v_cmp_nge_f64_e64 s[2:3], -1.0, v[6:7]
	s_and_b64 vcc, s[2:3], vcc
	v_cndmask_b32_e32 v10, 0, v10, vcc
	v_mov_b32_e32 v12, 0xfff00000
	v_cmp_neq_f64_e32 vcc, -1.0, v[6:7]
	s_nop 1
	v_cndmask_b32_e32 v11, v12, v11, vcc
	v_add_f64 v[6:7], v[8:9], v[10:11]
.LBB1_147:
	s_or_b64 exec, exec, s[12:13]
	v_max_f64 v[8:9], v[6:7], v[6:7]
	v_min_f64 v[10:11], v[8:9], v[32:33]
	v_cmp_u_f64_e32 vcc, v[6:7], v[6:7]
	v_max_f64 v[8:9], v[8:9], v[32:33]
	s_nop 0
	v_cndmask_b32_e32 v10, v10, v6, vcc
	v_cndmask_b32_e32 v11, v11, v7, vcc
	;; [unrolled: 1-line block ×4, first 2 shown]
	v_cndmask_b32_e64 v13, v11, v5, s[20:21]
	v_cndmask_b32_e64 v12, v10, v4, s[20:21]
	;; [unrolled: 1-line block ×4, first 2 shown]
	v_cmp_neq_f64_e32 vcc, v[12:13], v[10:11]
	v_cmp_class_f64_e64 s[2:3], v[12:13], s18
	s_or_b64 s[2:3], vcc, s[2:3]
	v_mov_b64_e32 v[8:9], v[6:7]
	s_and_saveexec_b64 s[12:13], s[2:3]
	s_cbranch_execz .LBB1_149
; %bb.148:
	s_mov_b32 s2, 0x652b82fe
	v_add_f64 v[8:9], v[12:13], -v[10:11]
	s_mov_b32 s3, 0x3ff71547
	v_mul_f64 v[12:13], v[8:9], s[2:3]
	v_rndne_f64_e32 v[12:13], v[12:13]
	s_mov_b32 s15, 0xbfe62e42
	s_mov_b32 s14, 0xfefa39ef
	v_fma_f64 v[34:35], s[14:15], v[12:13], v[8:9]
	s_mov_b32 s17, 0xbc7abc9e
	s_mov_b32 s16, 0x3b39803f
	;; [unrolled: 1-line block ×3, first 2 shown]
	v_fmac_f64_e32 v[34:35], s[16:17], v[12:13]
	v_mov_b32_e32 v36, 0xfca7ab0c
	v_mov_b32_e32 v37, 0x3e928af3
	s_mov_b32 s3, 0x3e5ade15
	v_fmac_f64_e32 v[36:37], s[2:3], v[34:35]
	v_mov_b32_e32 v38, 0x623fde64
	v_mov_b32_e32 v39, 0x3ec71dee
	v_fmac_f64_e32 v[38:39], v[34:35], v[36:37]
	v_mov_b32_e32 v36, 0x7c89e6b0
	v_mov_b32_e32 v37, 0x3efa0199
	;; [unrolled: 3-line block ×8, first 2 shown]
	s_mov_b32 s2, 0
	v_fmac_f64_e32 v[36:37], v[34:35], v[38:39]
	s_mov_b32 s3, 0x40900000
	v_fma_f64 v[36:37], v[34:35], v[36:37], 1.0
	v_cmp_nlt_f64_e32 vcc, s[2:3], v[8:9]
	s_mov_b32 s2, 0
	v_fma_f64 v[34:35], v[34:35], v[36:37], 1.0
	v_cvt_i32_f64_e32 v12, v[12:13]
	s_mov_b32 s3, 0xc090cc00
	v_ldexp_f64 v[12:13], v[34:35], v12
	v_mov_b32_e32 v31, 0x7ff00000
	v_cmp_ngt_f64_e64 s[2:3], s[2:3], v[8:9]
	v_cndmask_b32_e32 v13, v31, v13, vcc
	s_and_b64 vcc, s[2:3], vcc
	v_cndmask_b32_e64 v9, 0, v13, s[2:3]
	v_cndmask_b32_e32 v8, 0, v12, vcc
	v_add_f64 v[12:13], v[8:9], 1.0
	v_add_f64 v[34:35], v[12:13], -1.0
	v_add_f64 v[36:37], v[34:35], -v[12:13]
	v_add_f64 v[36:37], v[36:37], 1.0
	v_add_f64 v[34:35], v[8:9], -v[34:35]
	s_mov_b32 s2, 0x55555555
	v_add_f64 v[34:35], v[34:35], v[36:37]
	v_frexp_mant_f64_e32 v[36:37], v[12:13]
	s_mov_b32 s3, 0x3fe55555
	v_frexp_exp_i32_f64_e32 v38, v[12:13]
	v_cmp_gt_f64_e32 vcc, s[2:3], v[36:37]
	s_mov_b32 s2, 0xbf559e2b
	s_mov_b32 s3, 0x3fc3ab76
	v_subbrev_co_u32_e32 v52, vcc, 0, v38, vcc
	v_sub_u32_e32 v36, 0, v52
	v_ldexp_f64 v[12:13], v[12:13], v36
	v_ldexp_f64 v[34:35], v[34:35], v36
	v_add_f64 v[36:37], v[12:13], -1.0
	v_add_f64 v[42:43], v[12:13], 1.0
	v_add_f64 v[38:39], v[36:37], 1.0
	v_add_f64 v[44:45], v[42:43], -1.0
	v_add_f64 v[38:39], v[12:13], -v[38:39]
	v_add_f64 v[12:13], v[12:13], -v[44:45]
	v_add_f64 v[12:13], v[34:35], v[12:13]
	v_add_f64 v[38:39], v[34:35], v[38:39]
	;; [unrolled: 1-line block ×3, first 2 shown]
	v_rcp_f64_e32 v[44:45], v[34:35]
	v_add_f64 v[40:41], v[36:37], v[38:39]
	v_add_f64 v[36:37], v[40:41], -v[36:37]
	v_add_f64 v[36:37], v[38:39], -v[36:37]
	;; [unrolled: 1-line block ×4, first 2 shown]
	v_fma_f64 v[38:39], -v[34:35], v[44:45], 1.0
	v_fmac_f64_e32 v[44:45], v[38:39], v[44:45]
	v_fma_f64 v[38:39], -v[34:35], v[44:45], 1.0
	v_fmac_f64_e32 v[44:45], v[38:39], v[44:45]
	v_mul_f64 v[38:39], v[40:41], v[44:45]
	v_mul_f64 v[42:43], v[34:35], v[38:39]
	v_fma_f64 v[46:47], v[38:39], v[34:35], -v[42:43]
	v_fmac_f64_e32 v[46:47], v[38:39], v[12:13]
	v_add_f64 v[48:49], v[42:43], v[46:47]
	v_add_f64 v[50:51], v[40:41], -v[48:49]
	v_add_f64 v[40:41], v[40:41], -v[50:51]
	;; [unrolled: 1-line block ×4, first 2 shown]
	v_add_f64 v[36:37], v[36:37], v[40:41]
	v_add_f64 v[40:41], v[42:43], -v[46:47]
	v_add_f64 v[36:37], v[40:41], v[36:37]
	v_add_f64 v[40:41], v[50:51], v[36:37]
	v_add_f64 v[42:43], v[50:51], -v[40:41]
	v_add_f64 v[36:37], v[36:37], v[42:43]
	v_mul_f64 v[42:43], v[44:45], v[40:41]
	v_mul_f64 v[46:47], v[34:35], v[42:43]
	v_fma_f64 v[34:35], v[42:43], v[34:35], -v[46:47]
	v_fmac_f64_e32 v[34:35], v[42:43], v[12:13]
	v_add_f64 v[12:13], v[46:47], v[34:35]
	v_add_f64 v[48:49], v[40:41], -v[12:13]
	v_add_f64 v[40:41], v[40:41], -v[48:49]
	;; [unrolled: 1-line block ×4, first 2 shown]
	v_add_f64 v[12:13], v[36:37], v[12:13]
	v_add_f64 v[34:35], v[46:47], -v[34:35]
	v_add_f64 v[12:13], v[34:35], v[12:13]
	v_add_f64 v[34:35], v[38:39], v[42:43]
	;; [unrolled: 1-line block ×3, first 2 shown]
	v_add_f64 v[36:37], v[34:35], -v[38:39]
	v_mul_f64 v[12:13], v[44:45], v[12:13]
	v_add_f64 v[36:37], v[42:43], -v[36:37]
	v_add_f64 v[12:13], v[36:37], v[12:13]
	v_add_f64 v[36:37], v[34:35], v[12:13]
	v_add_f64 v[34:35], v[36:37], -v[34:35]
	v_add_f64 v[12:13], v[12:13], -v[34:35]
	v_mul_f64 v[34:35], v[36:37], v[36:37]
	v_mov_b32_e32 v38, 0x6b47b09a
	v_mov_b32_e32 v39, 0x3fc38538
	v_fmac_f64_e32 v[38:39], s[2:3], v[34:35]
	v_mov_b32_e32 v40, 0xd7f4df2e
	v_mov_b32_e32 v41, 0x3fc7474d
	v_fmac_f64_e32 v[40:41], v[34:35], v[38:39]
	v_mov_b32_e32 v38, 0x16291751
	v_mov_b32_e32 v39, 0x3fcc71c0
	v_fmac_f64_e32 v[38:39], v[34:35], v[40:41]
	v_mov_b32_e32 v40, 0x9b27acf1
	v_mov_b32_e32 v41, 0x3fd24924
	v_fmac_f64_e32 v[40:41], v[34:35], v[38:39]
	v_mov_b32_e32 v38, 0x998ef7b6
	v_mov_b32_e32 v39, 0x3fd99999
	v_fmac_f64_e32 v[38:39], v[34:35], v[40:41]
	v_mov_b32_e32 v40, 0x55555780
	v_mov_b32_e32 v41, 0x3fe55555
	v_fmac_f64_e32 v[40:41], v[34:35], v[38:39]
	v_cvt_f64_i32_e32 v[38:39], v52
	s_mov_b32 s15, 0x3fe62e42
	v_mul_f64 v[42:43], v[38:39], s[14:15]
	v_fma_f64 v[44:45], v[38:39], s[14:15], -v[42:43]
	s_mov_b32 s17, 0x3c7abc9e
	v_fmac_f64_e32 v[44:45], s[16:17], v[38:39]
	v_add_f64 v[38:39], v[42:43], v[44:45]
	v_add_f64 v[42:43], v[38:39], -v[42:43]
	v_mul_f64 v[34:35], v[36:37], v[34:35]
	v_add_f64 v[42:43], v[44:45], -v[42:43]
	v_ldexp_f64 v[44:45], v[36:37], 1
	v_mul_f64 v[34:35], v[34:35], v[40:41]
	v_add_f64 v[36:37], v[44:45], v[34:35]
	v_add_f64 v[40:41], v[36:37], -v[44:45]
	v_ldexp_f64 v[12:13], v[12:13], 1
	v_add_f64 v[34:35], v[34:35], -v[40:41]
	v_add_f64 v[12:13], v[12:13], v[34:35]
	v_add_f64 v[34:35], v[36:37], v[12:13]
	v_add_f64 v[36:37], v[34:35], -v[36:37]
	v_add_f64 v[12:13], v[12:13], -v[36:37]
	v_add_f64 v[36:37], v[38:39], v[34:35]
	v_add_f64 v[40:41], v[36:37], -v[38:39]
	v_add_f64 v[44:45], v[36:37], -v[40:41]
	v_add_f64 v[38:39], v[38:39], -v[44:45]
	v_add_f64 v[34:35], v[34:35], -v[40:41]
	v_add_f64 v[34:35], v[34:35], v[38:39]
	v_add_f64 v[38:39], v[42:43], v[12:13]
	v_add_f64 v[40:41], v[38:39], -v[42:43]
	v_add_f64 v[34:35], v[38:39], v[34:35]
	v_add_f64 v[44:45], v[38:39], -v[40:41]
	;; [unrolled: 2-line block ×3, first 2 shown]
	v_add_f64 v[12:13], v[12:13], -v[40:41]
	v_add_f64 v[36:37], v[38:39], -v[36:37]
	v_add_f64 v[12:13], v[12:13], v[42:43]
	v_add_f64 v[34:35], v[34:35], -v[36:37]
	s_mov_b32 s2, 0
	v_add_f64 v[12:13], v[12:13], v[34:35]
	s_mov_b32 s3, 0x7ff00000
	v_add_f64 v[12:13], v[38:39], v[12:13]
	v_cmp_neq_f64_e32 vcc, s[2:3], v[8:9]
	v_cmp_ngt_f64_e64 s[2:3], -1.0, v[8:9]
	s_nop 0
	v_cndmask_b32_e32 v13, v31, v13, vcc
	v_mov_b32_e32 v31, 0x7ff80000
	v_cndmask_b32_e64 v13, v31, v13, s[2:3]
	v_cmp_nge_f64_e64 s[2:3], -1.0, v[8:9]
	s_and_b64 vcc, s[2:3], vcc
	v_cndmask_b32_e32 v12, 0, v12, vcc
	v_mov_b32_e32 v31, 0xfff00000
	v_cmp_neq_f64_e32 vcc, -1.0, v[8:9]
	s_nop 1
	v_cndmask_b32_e32 v13, v31, v13, vcc
	v_add_f64 v[8:9], v[10:11], v[12:13]
.LBB1_149:
	s_or_b64 exec, exec, s[12:13]
	v_max_f64 v[10:11], v[8:9], v[8:9]
	v_min_f64 v[12:13], v[10:11], v[14:15]
	v_cmp_u_f64_e32 vcc, v[8:9], v[8:9]
	v_max_f64 v[10:11], v[10:11], v[14:15]
	s_movk_i32 s16, 0x1f8
	v_cndmask_b32_e32 v12, v12, v8, vcc
	v_cndmask_b32_e32 v13, v13, v9, vcc
	;; [unrolled: 1-line block ×4, first 2 shown]
	v_cndmask_b32_e64 v35, v13, v27, s[4:5]
	v_cndmask_b32_e64 v34, v12, v26, s[4:5]
	;; [unrolled: 1-line block ×4, first 2 shown]
	v_cmp_neq_f64_e32 vcc, v[34:35], v[12:13]
	v_cmp_class_f64_e64 s[2:3], v[34:35], s16
	s_or_b64 s[2:3], vcc, s[2:3]
	v_mov_b64_e32 v[10:11], v[8:9]
	s_and_saveexec_b64 s[4:5], s[2:3]
	s_cbranch_execz .LBB1_151
; %bb.150:
	s_mov_b32 s2, 0x652b82fe
	v_add_f64 v[10:11], v[34:35], -v[12:13]
	s_mov_b32 s3, 0x3ff71547
	v_mul_f64 v[14:15], v[10:11], s[2:3]
	v_rndne_f64_e32 v[14:15], v[14:15]
	s_mov_b32 s13, 0xbfe62e42
	s_mov_b32 s12, 0xfefa39ef
	v_fma_f64 v[34:35], s[12:13], v[14:15], v[10:11]
	s_mov_b32 s15, 0xbc7abc9e
	s_mov_b32 s14, 0x3b39803f
	;; [unrolled: 1-line block ×3, first 2 shown]
	v_fmac_f64_e32 v[34:35], s[14:15], v[14:15]
	v_mov_b32_e32 v36, 0xfca7ab0c
	v_mov_b32_e32 v37, 0x3e928af3
	s_mov_b32 s3, 0x3e5ade15
	v_fmac_f64_e32 v[36:37], s[2:3], v[34:35]
	v_mov_b32_e32 v38, 0x623fde64
	v_mov_b32_e32 v39, 0x3ec71dee
	v_fmac_f64_e32 v[38:39], v[34:35], v[36:37]
	v_mov_b32_e32 v36, 0x7c89e6b0
	v_mov_b32_e32 v37, 0x3efa0199
	;; [unrolled: 3-line block ×8, first 2 shown]
	s_mov_b32 s2, 0
	v_fmac_f64_e32 v[36:37], v[34:35], v[38:39]
	s_mov_b32 s3, 0x40900000
	v_fma_f64 v[36:37], v[34:35], v[36:37], 1.0
	v_cmp_nlt_f64_e32 vcc, s[2:3], v[10:11]
	s_mov_b32 s2, 0
	v_fma_f64 v[34:35], v[34:35], v[36:37], 1.0
	v_cvt_i32_f64_e32 v14, v[14:15]
	s_mov_b32 s3, 0xc090cc00
	v_ldexp_f64 v[14:15], v[34:35], v14
	v_mov_b32_e32 v31, 0x7ff00000
	v_cmp_ngt_f64_e64 s[2:3], s[2:3], v[10:11]
	v_cndmask_b32_e32 v15, v31, v15, vcc
	s_and_b64 vcc, s[2:3], vcc
	v_cndmask_b32_e64 v11, 0, v15, s[2:3]
	v_cndmask_b32_e32 v10, 0, v14, vcc
	v_add_f64 v[14:15], v[10:11], 1.0
	v_add_f64 v[34:35], v[14:15], -1.0
	v_add_f64 v[36:37], v[34:35], -v[14:15]
	v_add_f64 v[36:37], v[36:37], 1.0
	v_add_f64 v[34:35], v[10:11], -v[34:35]
	s_mov_b32 s2, 0x55555555
	v_add_f64 v[34:35], v[34:35], v[36:37]
	v_frexp_mant_f64_e32 v[36:37], v[14:15]
	s_mov_b32 s3, 0x3fe55555
	v_frexp_exp_i32_f64_e32 v38, v[14:15]
	v_cmp_gt_f64_e32 vcc, s[2:3], v[36:37]
	s_mov_b32 s2, 0xbf559e2b
	s_mov_b32 s3, 0x3fc3ab76
	v_subbrev_co_u32_e32 v52, vcc, 0, v38, vcc
	v_sub_u32_e32 v36, 0, v52
	v_ldexp_f64 v[14:15], v[14:15], v36
	v_ldexp_f64 v[34:35], v[34:35], v36
	v_add_f64 v[36:37], v[14:15], -1.0
	v_add_f64 v[42:43], v[14:15], 1.0
	v_add_f64 v[38:39], v[36:37], 1.0
	v_add_f64 v[44:45], v[42:43], -1.0
	v_add_f64 v[38:39], v[14:15], -v[38:39]
	v_add_f64 v[14:15], v[14:15], -v[44:45]
	v_add_f64 v[14:15], v[34:35], v[14:15]
	v_add_f64 v[38:39], v[34:35], v[38:39]
	;; [unrolled: 1-line block ×3, first 2 shown]
	v_rcp_f64_e32 v[44:45], v[34:35]
	v_add_f64 v[40:41], v[36:37], v[38:39]
	v_add_f64 v[36:37], v[40:41], -v[36:37]
	v_add_f64 v[36:37], v[38:39], -v[36:37]
	;; [unrolled: 1-line block ×4, first 2 shown]
	v_fma_f64 v[38:39], -v[34:35], v[44:45], 1.0
	v_fmac_f64_e32 v[44:45], v[38:39], v[44:45]
	v_fma_f64 v[38:39], -v[34:35], v[44:45], 1.0
	v_fmac_f64_e32 v[44:45], v[38:39], v[44:45]
	v_mul_f64 v[38:39], v[40:41], v[44:45]
	v_mul_f64 v[42:43], v[34:35], v[38:39]
	v_fma_f64 v[46:47], v[38:39], v[34:35], -v[42:43]
	v_fmac_f64_e32 v[46:47], v[38:39], v[14:15]
	v_add_f64 v[48:49], v[42:43], v[46:47]
	v_add_f64 v[50:51], v[40:41], -v[48:49]
	v_add_f64 v[40:41], v[40:41], -v[50:51]
	;; [unrolled: 1-line block ×4, first 2 shown]
	v_add_f64 v[36:37], v[36:37], v[40:41]
	v_add_f64 v[40:41], v[42:43], -v[46:47]
	v_add_f64 v[36:37], v[40:41], v[36:37]
	v_add_f64 v[40:41], v[50:51], v[36:37]
	v_add_f64 v[42:43], v[50:51], -v[40:41]
	v_add_f64 v[36:37], v[36:37], v[42:43]
	v_mul_f64 v[42:43], v[44:45], v[40:41]
	v_mul_f64 v[46:47], v[34:35], v[42:43]
	v_fma_f64 v[34:35], v[42:43], v[34:35], -v[46:47]
	v_fmac_f64_e32 v[34:35], v[42:43], v[14:15]
	v_add_f64 v[14:15], v[46:47], v[34:35]
	v_add_f64 v[48:49], v[40:41], -v[14:15]
	v_add_f64 v[40:41], v[40:41], -v[48:49]
	;; [unrolled: 1-line block ×4, first 2 shown]
	v_add_f64 v[14:15], v[36:37], v[14:15]
	v_add_f64 v[34:35], v[46:47], -v[34:35]
	v_add_f64 v[14:15], v[34:35], v[14:15]
	v_add_f64 v[34:35], v[38:39], v[42:43]
	;; [unrolled: 1-line block ×3, first 2 shown]
	v_add_f64 v[36:37], v[34:35], -v[38:39]
	v_mul_f64 v[14:15], v[44:45], v[14:15]
	v_add_f64 v[36:37], v[42:43], -v[36:37]
	v_add_f64 v[14:15], v[36:37], v[14:15]
	v_add_f64 v[36:37], v[34:35], v[14:15]
	v_add_f64 v[34:35], v[36:37], -v[34:35]
	v_add_f64 v[14:15], v[14:15], -v[34:35]
	v_mul_f64 v[34:35], v[36:37], v[36:37]
	v_mov_b32_e32 v38, 0x6b47b09a
	v_mov_b32_e32 v39, 0x3fc38538
	v_fmac_f64_e32 v[38:39], s[2:3], v[34:35]
	v_mov_b32_e32 v40, 0xd7f4df2e
	v_mov_b32_e32 v41, 0x3fc7474d
	v_fmac_f64_e32 v[40:41], v[34:35], v[38:39]
	;; [unrolled: 3-line block ×6, first 2 shown]
	v_cvt_f64_i32_e32 v[38:39], v52
	s_mov_b32 s13, 0x3fe62e42
	v_mul_f64 v[42:43], v[38:39], s[12:13]
	v_fma_f64 v[44:45], v[38:39], s[12:13], -v[42:43]
	s_mov_b32 s15, 0x3c7abc9e
	v_fmac_f64_e32 v[44:45], s[14:15], v[38:39]
	v_add_f64 v[38:39], v[42:43], v[44:45]
	v_add_f64 v[42:43], v[38:39], -v[42:43]
	v_mul_f64 v[34:35], v[36:37], v[34:35]
	v_add_f64 v[42:43], v[44:45], -v[42:43]
	v_ldexp_f64 v[44:45], v[36:37], 1
	v_mul_f64 v[34:35], v[34:35], v[40:41]
	v_add_f64 v[36:37], v[44:45], v[34:35]
	v_add_f64 v[40:41], v[36:37], -v[44:45]
	v_ldexp_f64 v[14:15], v[14:15], 1
	v_add_f64 v[34:35], v[34:35], -v[40:41]
	v_add_f64 v[14:15], v[14:15], v[34:35]
	v_add_f64 v[34:35], v[36:37], v[14:15]
	v_add_f64 v[36:37], v[34:35], -v[36:37]
	v_add_f64 v[14:15], v[14:15], -v[36:37]
	v_add_f64 v[36:37], v[38:39], v[34:35]
	v_add_f64 v[40:41], v[36:37], -v[38:39]
	v_add_f64 v[44:45], v[36:37], -v[40:41]
	;; [unrolled: 1-line block ×4, first 2 shown]
	v_add_f64 v[34:35], v[34:35], v[38:39]
	v_add_f64 v[38:39], v[42:43], v[14:15]
	v_add_f64 v[40:41], v[38:39], -v[42:43]
	v_add_f64 v[34:35], v[38:39], v[34:35]
	v_add_f64 v[44:45], v[38:39], -v[40:41]
	;; [unrolled: 2-line block ×3, first 2 shown]
	v_add_f64 v[14:15], v[14:15], -v[40:41]
	v_add_f64 v[36:37], v[38:39], -v[36:37]
	v_add_f64 v[14:15], v[14:15], v[42:43]
	v_add_f64 v[34:35], v[34:35], -v[36:37]
	s_mov_b32 s2, 0
	v_add_f64 v[14:15], v[14:15], v[34:35]
	s_mov_b32 s3, 0x7ff00000
	v_add_f64 v[14:15], v[38:39], v[14:15]
	v_cmp_neq_f64_e32 vcc, s[2:3], v[10:11]
	v_cmp_ngt_f64_e64 s[2:3], -1.0, v[10:11]
	s_nop 0
	v_cndmask_b32_e32 v15, v31, v15, vcc
	v_mov_b32_e32 v31, 0x7ff80000
	v_cndmask_b32_e64 v15, v31, v15, s[2:3]
	v_cmp_nge_f64_e64 s[2:3], -1.0, v[10:11]
	s_and_b64 vcc, s[2:3], vcc
	v_cndmask_b32_e32 v14, 0, v14, vcc
	v_mov_b32_e32 v31, 0xfff00000
	v_cmp_neq_f64_e32 vcc, -1.0, v[10:11]
	s_nop 1
	v_cndmask_b32_e32 v15, v31, v15, vcc
	v_add_f64 v[10:11], v[12:13], v[14:15]
.LBB1_151:
	s_or_b64 exec, exec, s[4:5]
	v_max_f64 v[12:13], v[10:11], v[10:11]
	v_min_f64 v[14:15], v[12:13], v[16:17]
	v_cmp_u_f64_e32 vcc, v[10:11], v[10:11]
	v_max_f64 v[12:13], v[12:13], v[16:17]
	s_nop 0
	v_cndmask_b32_e32 v14, v14, v10, vcc
	v_cndmask_b32_e32 v15, v15, v11, vcc
	;; [unrolled: 1-line block ×4, first 2 shown]
	v_cndmask_b32_e64 v35, v15, v29, s[6:7]
	v_cndmask_b32_e64 v34, v14, v28, s[6:7]
	;; [unrolled: 1-line block ×4, first 2 shown]
	v_cmp_neq_f64_e32 vcc, v[34:35], v[14:15]
	v_cmp_class_f64_e64 s[2:3], v[34:35], s16
	s_or_b64 s[2:3], vcc, s[2:3]
	v_mov_b64_e32 v[12:13], v[10:11]
	s_and_saveexec_b64 s[4:5], s[2:3]
	s_cbranch_execz .LBB1_153
; %bb.152:
	s_mov_b32 s2, 0x652b82fe
	v_add_f64 v[12:13], v[34:35], -v[14:15]
	s_mov_b32 s3, 0x3ff71547
	v_mul_f64 v[16:17], v[12:13], s[2:3]
	v_rndne_f64_e32 v[16:17], v[16:17]
	s_mov_b32 s7, 0xbfe62e42
	s_mov_b32 s6, 0xfefa39ef
	v_fma_f64 v[34:35], s[6:7], v[16:17], v[12:13]
	s_mov_b32 s13, 0xbc7abc9e
	s_mov_b32 s12, 0x3b39803f
	;; [unrolled: 1-line block ×3, first 2 shown]
	v_fmac_f64_e32 v[34:35], s[12:13], v[16:17]
	v_mov_b32_e32 v36, 0xfca7ab0c
	v_mov_b32_e32 v37, 0x3e928af3
	s_mov_b32 s3, 0x3e5ade15
	v_fmac_f64_e32 v[36:37], s[2:3], v[34:35]
	v_mov_b32_e32 v38, 0x623fde64
	v_mov_b32_e32 v39, 0x3ec71dee
	v_fmac_f64_e32 v[38:39], v[34:35], v[36:37]
	v_mov_b32_e32 v36, 0x7c89e6b0
	v_mov_b32_e32 v37, 0x3efa0199
	;; [unrolled: 3-line block ×8, first 2 shown]
	s_mov_b32 s2, 0
	v_fmac_f64_e32 v[36:37], v[34:35], v[38:39]
	s_mov_b32 s3, 0x40900000
	v_fma_f64 v[36:37], v[34:35], v[36:37], 1.0
	v_cmp_nlt_f64_e32 vcc, s[2:3], v[12:13]
	s_mov_b32 s2, 0
	v_fma_f64 v[34:35], v[34:35], v[36:37], 1.0
	v_cvt_i32_f64_e32 v16, v[16:17]
	s_mov_b32 s3, 0xc090cc00
	v_ldexp_f64 v[16:17], v[34:35], v16
	v_mov_b32_e32 v31, 0x7ff00000
	v_cmp_ngt_f64_e64 s[2:3], s[2:3], v[12:13]
	v_cndmask_b32_e32 v17, v31, v17, vcc
	s_and_b64 vcc, s[2:3], vcc
	v_cndmask_b32_e64 v13, 0, v17, s[2:3]
	v_cndmask_b32_e32 v12, 0, v16, vcc
	v_add_f64 v[16:17], v[12:13], 1.0
	v_add_f64 v[34:35], v[16:17], -1.0
	v_add_f64 v[36:37], v[34:35], -v[16:17]
	v_add_f64 v[36:37], v[36:37], 1.0
	v_add_f64 v[34:35], v[12:13], -v[34:35]
	s_mov_b32 s2, 0x55555555
	v_add_f64 v[34:35], v[34:35], v[36:37]
	v_frexp_mant_f64_e32 v[36:37], v[16:17]
	s_mov_b32 s3, 0x3fe55555
	v_frexp_exp_i32_f64_e32 v38, v[16:17]
	v_cmp_gt_f64_e32 vcc, s[2:3], v[36:37]
	s_mov_b32 s2, 0xbf559e2b
	s_mov_b32 s3, 0x3fc3ab76
	v_subbrev_co_u32_e32 v52, vcc, 0, v38, vcc
	v_sub_u32_e32 v36, 0, v52
	v_ldexp_f64 v[16:17], v[16:17], v36
	v_ldexp_f64 v[34:35], v[34:35], v36
	v_add_f64 v[36:37], v[16:17], -1.0
	v_add_f64 v[42:43], v[16:17], 1.0
	v_add_f64 v[38:39], v[36:37], 1.0
	v_add_f64 v[44:45], v[42:43], -1.0
	v_add_f64 v[38:39], v[16:17], -v[38:39]
	v_add_f64 v[16:17], v[16:17], -v[44:45]
	v_add_f64 v[16:17], v[34:35], v[16:17]
	v_add_f64 v[38:39], v[34:35], v[38:39]
	;; [unrolled: 1-line block ×3, first 2 shown]
	v_rcp_f64_e32 v[44:45], v[34:35]
	v_add_f64 v[40:41], v[36:37], v[38:39]
	v_add_f64 v[36:37], v[40:41], -v[36:37]
	v_add_f64 v[36:37], v[38:39], -v[36:37]
	;; [unrolled: 1-line block ×4, first 2 shown]
	v_fma_f64 v[38:39], -v[34:35], v[44:45], 1.0
	v_fmac_f64_e32 v[44:45], v[38:39], v[44:45]
	v_fma_f64 v[38:39], -v[34:35], v[44:45], 1.0
	v_fmac_f64_e32 v[44:45], v[38:39], v[44:45]
	v_mul_f64 v[38:39], v[40:41], v[44:45]
	v_mul_f64 v[42:43], v[34:35], v[38:39]
	v_fma_f64 v[46:47], v[38:39], v[34:35], -v[42:43]
	v_fmac_f64_e32 v[46:47], v[38:39], v[16:17]
	v_add_f64 v[48:49], v[42:43], v[46:47]
	v_add_f64 v[50:51], v[40:41], -v[48:49]
	v_add_f64 v[40:41], v[40:41], -v[50:51]
	;; [unrolled: 1-line block ×4, first 2 shown]
	v_add_f64 v[36:37], v[36:37], v[40:41]
	v_add_f64 v[40:41], v[42:43], -v[46:47]
	v_add_f64 v[36:37], v[40:41], v[36:37]
	v_add_f64 v[40:41], v[50:51], v[36:37]
	v_add_f64 v[42:43], v[50:51], -v[40:41]
	v_add_f64 v[36:37], v[36:37], v[42:43]
	v_mul_f64 v[42:43], v[44:45], v[40:41]
	v_mul_f64 v[46:47], v[34:35], v[42:43]
	v_fma_f64 v[34:35], v[42:43], v[34:35], -v[46:47]
	v_fmac_f64_e32 v[34:35], v[42:43], v[16:17]
	v_add_f64 v[16:17], v[46:47], v[34:35]
	v_add_f64 v[48:49], v[40:41], -v[16:17]
	v_add_f64 v[40:41], v[40:41], -v[48:49]
	;; [unrolled: 1-line block ×4, first 2 shown]
	v_add_f64 v[16:17], v[36:37], v[16:17]
	v_add_f64 v[34:35], v[46:47], -v[34:35]
	v_add_f64 v[16:17], v[34:35], v[16:17]
	v_add_f64 v[34:35], v[38:39], v[42:43]
	;; [unrolled: 1-line block ×3, first 2 shown]
	v_add_f64 v[36:37], v[34:35], -v[38:39]
	v_mul_f64 v[16:17], v[44:45], v[16:17]
	v_add_f64 v[36:37], v[42:43], -v[36:37]
	v_add_f64 v[16:17], v[36:37], v[16:17]
	v_add_f64 v[36:37], v[34:35], v[16:17]
	v_add_f64 v[34:35], v[36:37], -v[34:35]
	v_add_f64 v[16:17], v[16:17], -v[34:35]
	v_mul_f64 v[34:35], v[36:37], v[36:37]
	v_mov_b32_e32 v38, 0x6b47b09a
	v_mov_b32_e32 v39, 0x3fc38538
	v_fmac_f64_e32 v[38:39], s[2:3], v[34:35]
	v_mov_b32_e32 v40, 0xd7f4df2e
	v_mov_b32_e32 v41, 0x3fc7474d
	v_fmac_f64_e32 v[40:41], v[34:35], v[38:39]
	;; [unrolled: 3-line block ×6, first 2 shown]
	v_cvt_f64_i32_e32 v[38:39], v52
	s_mov_b32 s7, 0x3fe62e42
	v_mul_f64 v[42:43], v[38:39], s[6:7]
	v_fma_f64 v[44:45], v[38:39], s[6:7], -v[42:43]
	s_mov_b32 s13, 0x3c7abc9e
	v_fmac_f64_e32 v[44:45], s[12:13], v[38:39]
	v_add_f64 v[38:39], v[42:43], v[44:45]
	v_add_f64 v[42:43], v[38:39], -v[42:43]
	v_mul_f64 v[34:35], v[36:37], v[34:35]
	v_add_f64 v[42:43], v[44:45], -v[42:43]
	v_ldexp_f64 v[44:45], v[36:37], 1
	v_mul_f64 v[34:35], v[34:35], v[40:41]
	v_add_f64 v[36:37], v[44:45], v[34:35]
	v_add_f64 v[40:41], v[36:37], -v[44:45]
	v_ldexp_f64 v[16:17], v[16:17], 1
	v_add_f64 v[34:35], v[34:35], -v[40:41]
	v_add_f64 v[16:17], v[16:17], v[34:35]
	v_add_f64 v[34:35], v[36:37], v[16:17]
	v_add_f64 v[36:37], v[34:35], -v[36:37]
	v_add_f64 v[16:17], v[16:17], -v[36:37]
	v_add_f64 v[36:37], v[38:39], v[34:35]
	v_add_f64 v[40:41], v[36:37], -v[38:39]
	v_add_f64 v[44:45], v[36:37], -v[40:41]
	v_add_f64 v[38:39], v[38:39], -v[44:45]
	v_add_f64 v[34:35], v[34:35], -v[40:41]
	v_add_f64 v[34:35], v[34:35], v[38:39]
	v_add_f64 v[38:39], v[42:43], v[16:17]
	v_add_f64 v[40:41], v[38:39], -v[42:43]
	v_add_f64 v[34:35], v[38:39], v[34:35]
	v_add_f64 v[44:45], v[38:39], -v[40:41]
	;; [unrolled: 2-line block ×3, first 2 shown]
	v_add_f64 v[16:17], v[16:17], -v[40:41]
	v_add_f64 v[36:37], v[38:39], -v[36:37]
	v_add_f64 v[16:17], v[16:17], v[42:43]
	v_add_f64 v[34:35], v[34:35], -v[36:37]
	s_mov_b32 s2, 0
	v_add_f64 v[16:17], v[16:17], v[34:35]
	s_mov_b32 s3, 0x7ff00000
	v_add_f64 v[16:17], v[38:39], v[16:17]
	v_cmp_neq_f64_e32 vcc, s[2:3], v[12:13]
	v_cmp_ngt_f64_e64 s[2:3], -1.0, v[12:13]
	s_nop 0
	v_cndmask_b32_e32 v17, v31, v17, vcc
	v_mov_b32_e32 v31, 0x7ff80000
	v_cndmask_b32_e64 v17, v31, v17, s[2:3]
	v_cmp_nge_f64_e64 s[2:3], -1.0, v[12:13]
	s_and_b64 vcc, s[2:3], vcc
	v_cndmask_b32_e32 v16, 0, v16, vcc
	v_mov_b32_e32 v31, 0xfff00000
	v_cmp_neq_f64_e32 vcc, -1.0, v[12:13]
	s_nop 1
	v_cndmask_b32_e32 v17, v31, v17, vcc
	v_add_f64 v[12:13], v[14:15], v[16:17]
.LBB1_153:
	s_or_b64 exec, exec, s[4:5]
	v_max_f64 v[14:15], v[12:13], v[12:13]
	v_min_f64 v[16:17], v[14:15], v[18:19]
	v_cmp_u_f64_e32 vcc, v[12:13], v[12:13]
	v_max_f64 v[14:15], v[14:15], v[18:19]
	s_movk_i32 s12, 0x1f8
	v_cndmask_b32_e32 v16, v16, v12, vcc
	v_cndmask_b32_e32 v17, v17, v13, vcc
	v_cndmask_b32_e32 v14, v14, v12, vcc
	v_cndmask_b32_e32 v15, v15, v13, vcc
	v_cndmask_b32_e64 v35, v17, v23, s[8:9]
	v_cndmask_b32_e64 v34, v16, v22, s[8:9]
	;; [unrolled: 1-line block ×4, first 2 shown]
	v_cmp_neq_f64_e32 vcc, v[34:35], v[16:17]
	v_cmp_class_f64_e64 s[2:3], v[34:35], s12
	s_or_b64 s[2:3], vcc, s[2:3]
	v_mov_b64_e32 v[14:15], v[12:13]
	s_and_saveexec_b64 s[4:5], s[2:3]
	s_cbranch_execz .LBB1_155
; %bb.154:
	s_mov_b32 s2, 0x652b82fe
	v_add_f64 v[14:15], v[34:35], -v[16:17]
	s_mov_b32 s3, 0x3ff71547
	v_mul_f64 v[18:19], v[14:15], s[2:3]
	v_rndne_f64_e32 v[18:19], v[18:19]
	s_mov_b32 s7, 0xbfe62e42
	s_mov_b32 s6, 0xfefa39ef
	v_fma_f64 v[34:35], s[6:7], v[18:19], v[14:15]
	s_mov_b32 s9, 0xbc7abc9e
	s_mov_b32 s8, 0x3b39803f
	;; [unrolled: 1-line block ×3, first 2 shown]
	v_fmac_f64_e32 v[34:35], s[8:9], v[18:19]
	v_mov_b32_e32 v36, 0xfca7ab0c
	v_mov_b32_e32 v37, 0x3e928af3
	s_mov_b32 s3, 0x3e5ade15
	v_fmac_f64_e32 v[36:37], s[2:3], v[34:35]
	v_mov_b32_e32 v38, 0x623fde64
	v_mov_b32_e32 v39, 0x3ec71dee
	v_fmac_f64_e32 v[38:39], v[34:35], v[36:37]
	v_mov_b32_e32 v36, 0x7c89e6b0
	v_mov_b32_e32 v37, 0x3efa0199
	;; [unrolled: 3-line block ×8, first 2 shown]
	s_mov_b32 s2, 0
	v_fmac_f64_e32 v[36:37], v[34:35], v[38:39]
	s_mov_b32 s3, 0x40900000
	v_fma_f64 v[36:37], v[34:35], v[36:37], 1.0
	v_cmp_nlt_f64_e32 vcc, s[2:3], v[14:15]
	s_mov_b32 s2, 0
	v_fma_f64 v[34:35], v[34:35], v[36:37], 1.0
	v_cvt_i32_f64_e32 v18, v[18:19]
	s_mov_b32 s3, 0xc090cc00
	v_ldexp_f64 v[18:19], v[34:35], v18
	v_mov_b32_e32 v31, 0x7ff00000
	v_cmp_ngt_f64_e64 s[2:3], s[2:3], v[14:15]
	v_cndmask_b32_e32 v19, v31, v19, vcc
	s_and_b64 vcc, s[2:3], vcc
	v_cndmask_b32_e64 v15, 0, v19, s[2:3]
	v_cndmask_b32_e32 v14, 0, v18, vcc
	v_add_f64 v[18:19], v[14:15], 1.0
	v_add_f64 v[34:35], v[18:19], -1.0
	v_add_f64 v[36:37], v[34:35], -v[18:19]
	v_add_f64 v[36:37], v[36:37], 1.0
	v_add_f64 v[34:35], v[14:15], -v[34:35]
	s_mov_b32 s2, 0x55555555
	v_add_f64 v[34:35], v[34:35], v[36:37]
	v_frexp_mant_f64_e32 v[36:37], v[18:19]
	s_mov_b32 s3, 0x3fe55555
	v_frexp_exp_i32_f64_e32 v38, v[18:19]
	v_cmp_gt_f64_e32 vcc, s[2:3], v[36:37]
	s_mov_b32 s2, 0xbf559e2b
	s_mov_b32 s3, 0x3fc3ab76
	v_subbrev_co_u32_e32 v52, vcc, 0, v38, vcc
	v_sub_u32_e32 v36, 0, v52
	v_ldexp_f64 v[18:19], v[18:19], v36
	v_ldexp_f64 v[34:35], v[34:35], v36
	v_add_f64 v[36:37], v[18:19], -1.0
	v_add_f64 v[42:43], v[18:19], 1.0
	v_add_f64 v[38:39], v[36:37], 1.0
	v_add_f64 v[44:45], v[42:43], -1.0
	v_add_f64 v[38:39], v[18:19], -v[38:39]
	v_add_f64 v[18:19], v[18:19], -v[44:45]
	v_add_f64 v[18:19], v[34:35], v[18:19]
	v_add_f64 v[38:39], v[34:35], v[38:39]
	;; [unrolled: 1-line block ×3, first 2 shown]
	v_rcp_f64_e32 v[44:45], v[34:35]
	v_add_f64 v[40:41], v[36:37], v[38:39]
	v_add_f64 v[36:37], v[40:41], -v[36:37]
	v_add_f64 v[36:37], v[38:39], -v[36:37]
	;; [unrolled: 1-line block ×4, first 2 shown]
	v_fma_f64 v[38:39], -v[34:35], v[44:45], 1.0
	v_fmac_f64_e32 v[44:45], v[38:39], v[44:45]
	v_fma_f64 v[38:39], -v[34:35], v[44:45], 1.0
	v_fmac_f64_e32 v[44:45], v[38:39], v[44:45]
	v_mul_f64 v[38:39], v[40:41], v[44:45]
	v_mul_f64 v[42:43], v[34:35], v[38:39]
	v_fma_f64 v[46:47], v[38:39], v[34:35], -v[42:43]
	v_fmac_f64_e32 v[46:47], v[38:39], v[18:19]
	v_add_f64 v[48:49], v[42:43], v[46:47]
	v_add_f64 v[50:51], v[40:41], -v[48:49]
	v_add_f64 v[40:41], v[40:41], -v[50:51]
	;; [unrolled: 1-line block ×4, first 2 shown]
	v_add_f64 v[36:37], v[36:37], v[40:41]
	v_add_f64 v[40:41], v[42:43], -v[46:47]
	v_add_f64 v[36:37], v[40:41], v[36:37]
	v_add_f64 v[40:41], v[50:51], v[36:37]
	v_add_f64 v[42:43], v[50:51], -v[40:41]
	v_add_f64 v[36:37], v[36:37], v[42:43]
	v_mul_f64 v[42:43], v[44:45], v[40:41]
	v_mul_f64 v[46:47], v[34:35], v[42:43]
	v_fma_f64 v[34:35], v[42:43], v[34:35], -v[46:47]
	v_fmac_f64_e32 v[34:35], v[42:43], v[18:19]
	v_add_f64 v[18:19], v[46:47], v[34:35]
	v_add_f64 v[48:49], v[40:41], -v[18:19]
	v_add_f64 v[40:41], v[40:41], -v[48:49]
	;; [unrolled: 1-line block ×4, first 2 shown]
	v_add_f64 v[18:19], v[36:37], v[18:19]
	v_add_f64 v[34:35], v[46:47], -v[34:35]
	v_add_f64 v[18:19], v[34:35], v[18:19]
	v_add_f64 v[34:35], v[38:39], v[42:43]
	;; [unrolled: 1-line block ×3, first 2 shown]
	v_add_f64 v[36:37], v[34:35], -v[38:39]
	v_mul_f64 v[18:19], v[44:45], v[18:19]
	v_add_f64 v[36:37], v[42:43], -v[36:37]
	v_add_f64 v[18:19], v[36:37], v[18:19]
	v_add_f64 v[36:37], v[34:35], v[18:19]
	v_add_f64 v[34:35], v[36:37], -v[34:35]
	v_add_f64 v[18:19], v[18:19], -v[34:35]
	v_mul_f64 v[34:35], v[36:37], v[36:37]
	v_mov_b32_e32 v38, 0x6b47b09a
	v_mov_b32_e32 v39, 0x3fc38538
	v_fmac_f64_e32 v[38:39], s[2:3], v[34:35]
	v_mov_b32_e32 v40, 0xd7f4df2e
	v_mov_b32_e32 v41, 0x3fc7474d
	v_fmac_f64_e32 v[40:41], v[34:35], v[38:39]
	;; [unrolled: 3-line block ×6, first 2 shown]
	v_cvt_f64_i32_e32 v[38:39], v52
	s_mov_b32 s7, 0x3fe62e42
	v_mul_f64 v[42:43], v[38:39], s[6:7]
	v_fma_f64 v[44:45], v[38:39], s[6:7], -v[42:43]
	s_mov_b32 s9, 0x3c7abc9e
	v_fmac_f64_e32 v[44:45], s[8:9], v[38:39]
	v_add_f64 v[38:39], v[42:43], v[44:45]
	v_add_f64 v[42:43], v[38:39], -v[42:43]
	v_mul_f64 v[34:35], v[36:37], v[34:35]
	v_add_f64 v[42:43], v[44:45], -v[42:43]
	v_ldexp_f64 v[44:45], v[36:37], 1
	v_mul_f64 v[34:35], v[34:35], v[40:41]
	v_add_f64 v[36:37], v[44:45], v[34:35]
	v_add_f64 v[40:41], v[36:37], -v[44:45]
	v_ldexp_f64 v[18:19], v[18:19], 1
	v_add_f64 v[34:35], v[34:35], -v[40:41]
	v_add_f64 v[18:19], v[18:19], v[34:35]
	v_add_f64 v[34:35], v[36:37], v[18:19]
	v_add_f64 v[36:37], v[34:35], -v[36:37]
	v_add_f64 v[18:19], v[18:19], -v[36:37]
	v_add_f64 v[36:37], v[38:39], v[34:35]
	v_add_f64 v[40:41], v[36:37], -v[38:39]
	v_add_f64 v[44:45], v[36:37], -v[40:41]
	;; [unrolled: 1-line block ×4, first 2 shown]
	v_add_f64 v[34:35], v[34:35], v[38:39]
	v_add_f64 v[38:39], v[42:43], v[18:19]
	v_add_f64 v[40:41], v[38:39], -v[42:43]
	v_add_f64 v[34:35], v[38:39], v[34:35]
	v_add_f64 v[44:45], v[38:39], -v[40:41]
	;; [unrolled: 2-line block ×3, first 2 shown]
	v_add_f64 v[18:19], v[18:19], -v[40:41]
	v_add_f64 v[36:37], v[38:39], -v[36:37]
	v_add_f64 v[18:19], v[18:19], v[42:43]
	v_add_f64 v[34:35], v[34:35], -v[36:37]
	s_mov_b32 s2, 0
	v_add_f64 v[18:19], v[18:19], v[34:35]
	s_mov_b32 s3, 0x7ff00000
	v_add_f64 v[18:19], v[38:39], v[18:19]
	v_cmp_neq_f64_e32 vcc, s[2:3], v[14:15]
	v_cmp_ngt_f64_e64 s[2:3], -1.0, v[14:15]
	s_nop 0
	v_cndmask_b32_e32 v19, v31, v19, vcc
	v_mov_b32_e32 v31, 0x7ff80000
	v_cndmask_b32_e64 v19, v31, v19, s[2:3]
	v_cmp_nge_f64_e64 s[2:3], -1.0, v[14:15]
	s_and_b64 vcc, s[2:3], vcc
	v_cndmask_b32_e32 v18, 0, v18, vcc
	v_mov_b32_e32 v31, 0xfff00000
	v_cmp_neq_f64_e32 vcc, -1.0, v[14:15]
	s_nop 1
	v_cndmask_b32_e32 v19, v31, v19, vcc
	v_add_f64 v[14:15], v[16:17], v[18:19]
.LBB1_155:
	s_or_b64 exec, exec, s[4:5]
	v_max_f64 v[16:17], v[14:15], v[14:15]
	v_min_f64 v[18:19], v[16:17], v[20:21]
	v_cmp_u_f64_e32 vcc, v[14:15], v[14:15]
	v_max_f64 v[16:17], v[16:17], v[20:21]
	s_nop 0
	v_cndmask_b32_e32 v18, v18, v14, vcc
	v_cndmask_b32_e32 v19, v19, v15, vcc
	;; [unrolled: 1-line block ×4, first 2 shown]
	v_cndmask_b32_e64 v35, v19, v25, s[10:11]
	v_cndmask_b32_e64 v34, v18, v24, s[10:11]
	;; [unrolled: 1-line block ×4, first 2 shown]
	v_cmp_neq_f64_e32 vcc, v[34:35], v[18:19]
	v_cmp_class_f64_e64 s[2:3], v[34:35], s12
	s_or_b64 s[2:3], vcc, s[2:3]
	v_mov_b64_e32 v[16:17], v[14:15]
	s_and_saveexec_b64 s[4:5], s[2:3]
	s_cbranch_execz .LBB1_157
; %bb.156:
	s_mov_b32 s2, 0x652b82fe
	v_add_f64 v[16:17], v[34:35], -v[18:19]
	s_mov_b32 s3, 0x3ff71547
	v_mul_f64 v[20:21], v[16:17], s[2:3]
	v_rndne_f64_e32 v[20:21], v[20:21]
	s_mov_b32 s7, 0xbfe62e42
	s_mov_b32 s6, 0xfefa39ef
	v_fma_f64 v[34:35], s[6:7], v[20:21], v[16:17]
	s_mov_b32 s9, 0xbc7abc9e
	s_mov_b32 s8, 0x3b39803f
	;; [unrolled: 1-line block ×3, first 2 shown]
	v_fmac_f64_e32 v[34:35], s[8:9], v[20:21]
	v_mov_b32_e32 v36, 0xfca7ab0c
	v_mov_b32_e32 v37, 0x3e928af3
	s_mov_b32 s3, 0x3e5ade15
	v_fmac_f64_e32 v[36:37], s[2:3], v[34:35]
	v_mov_b32_e32 v38, 0x623fde64
	v_mov_b32_e32 v39, 0x3ec71dee
	v_fmac_f64_e32 v[38:39], v[34:35], v[36:37]
	v_mov_b32_e32 v36, 0x7c89e6b0
	v_mov_b32_e32 v37, 0x3efa0199
	;; [unrolled: 3-line block ×8, first 2 shown]
	s_mov_b32 s2, 0
	v_fmac_f64_e32 v[36:37], v[34:35], v[38:39]
	s_mov_b32 s3, 0x40900000
	v_fma_f64 v[36:37], v[34:35], v[36:37], 1.0
	v_cmp_nlt_f64_e32 vcc, s[2:3], v[16:17]
	s_mov_b32 s2, 0
	v_fma_f64 v[34:35], v[34:35], v[36:37], 1.0
	v_cvt_i32_f64_e32 v20, v[20:21]
	s_mov_b32 s3, 0xc090cc00
	v_ldexp_f64 v[20:21], v[34:35], v20
	v_mov_b32_e32 v31, 0x7ff00000
	v_cmp_ngt_f64_e64 s[2:3], s[2:3], v[16:17]
	v_cndmask_b32_e32 v21, v31, v21, vcc
	s_and_b64 vcc, s[2:3], vcc
	v_cndmask_b32_e64 v17, 0, v21, s[2:3]
	v_cndmask_b32_e32 v16, 0, v20, vcc
	v_add_f64 v[20:21], v[16:17], 1.0
	v_add_f64 v[34:35], v[20:21], -1.0
	v_add_f64 v[36:37], v[34:35], -v[20:21]
	v_add_f64 v[36:37], v[36:37], 1.0
	v_add_f64 v[34:35], v[16:17], -v[34:35]
	s_mov_b32 s2, 0x55555555
	v_add_f64 v[34:35], v[34:35], v[36:37]
	v_frexp_mant_f64_e32 v[36:37], v[20:21]
	s_mov_b32 s3, 0x3fe55555
	v_frexp_exp_i32_f64_e32 v38, v[20:21]
	v_cmp_gt_f64_e32 vcc, s[2:3], v[36:37]
	s_mov_b32 s2, 0xbf559e2b
	s_mov_b32 s3, 0x3fc3ab76
	v_subbrev_co_u32_e32 v52, vcc, 0, v38, vcc
	v_sub_u32_e32 v36, 0, v52
	v_ldexp_f64 v[20:21], v[20:21], v36
	v_ldexp_f64 v[34:35], v[34:35], v36
	v_add_f64 v[36:37], v[20:21], -1.0
	v_add_f64 v[42:43], v[20:21], 1.0
	v_add_f64 v[38:39], v[36:37], 1.0
	v_add_f64 v[44:45], v[42:43], -1.0
	v_add_f64 v[38:39], v[20:21], -v[38:39]
	v_add_f64 v[20:21], v[20:21], -v[44:45]
	v_add_f64 v[20:21], v[34:35], v[20:21]
	v_add_f64 v[38:39], v[34:35], v[38:39]
	;; [unrolled: 1-line block ×3, first 2 shown]
	v_rcp_f64_e32 v[44:45], v[34:35]
	v_add_f64 v[40:41], v[36:37], v[38:39]
	v_add_f64 v[36:37], v[40:41], -v[36:37]
	v_add_f64 v[36:37], v[38:39], -v[36:37]
	;; [unrolled: 1-line block ×4, first 2 shown]
	v_fma_f64 v[38:39], -v[34:35], v[44:45], 1.0
	v_fmac_f64_e32 v[44:45], v[38:39], v[44:45]
	v_fma_f64 v[38:39], -v[34:35], v[44:45], 1.0
	v_fmac_f64_e32 v[44:45], v[38:39], v[44:45]
	v_mul_f64 v[38:39], v[40:41], v[44:45]
	v_mul_f64 v[42:43], v[34:35], v[38:39]
	v_fma_f64 v[46:47], v[38:39], v[34:35], -v[42:43]
	v_fmac_f64_e32 v[46:47], v[38:39], v[20:21]
	v_add_f64 v[48:49], v[42:43], v[46:47]
	v_add_f64 v[50:51], v[40:41], -v[48:49]
	v_add_f64 v[40:41], v[40:41], -v[50:51]
	v_add_f64 v[42:43], v[48:49], -v[42:43]
	v_add_f64 v[40:41], v[40:41], -v[48:49]
	v_add_f64 v[36:37], v[36:37], v[40:41]
	v_add_f64 v[40:41], v[42:43], -v[46:47]
	v_add_f64 v[36:37], v[40:41], v[36:37]
	v_add_f64 v[40:41], v[50:51], v[36:37]
	v_add_f64 v[42:43], v[50:51], -v[40:41]
	v_add_f64 v[36:37], v[36:37], v[42:43]
	v_mul_f64 v[42:43], v[44:45], v[40:41]
	v_mul_f64 v[46:47], v[34:35], v[42:43]
	v_fma_f64 v[34:35], v[42:43], v[34:35], -v[46:47]
	v_fmac_f64_e32 v[34:35], v[42:43], v[20:21]
	v_add_f64 v[20:21], v[46:47], v[34:35]
	v_add_f64 v[48:49], v[40:41], -v[20:21]
	v_add_f64 v[40:41], v[40:41], -v[48:49]
	;; [unrolled: 1-line block ×4, first 2 shown]
	v_add_f64 v[20:21], v[36:37], v[20:21]
	v_add_f64 v[34:35], v[46:47], -v[34:35]
	v_add_f64 v[20:21], v[34:35], v[20:21]
	v_add_f64 v[34:35], v[38:39], v[42:43]
	;; [unrolled: 1-line block ×3, first 2 shown]
	v_add_f64 v[36:37], v[34:35], -v[38:39]
	v_mul_f64 v[20:21], v[44:45], v[20:21]
	v_add_f64 v[36:37], v[42:43], -v[36:37]
	v_add_f64 v[20:21], v[36:37], v[20:21]
	v_add_f64 v[36:37], v[34:35], v[20:21]
	v_add_f64 v[34:35], v[36:37], -v[34:35]
	v_add_f64 v[20:21], v[20:21], -v[34:35]
	v_mul_f64 v[34:35], v[36:37], v[36:37]
	v_mov_b32_e32 v38, 0x6b47b09a
	v_mov_b32_e32 v39, 0x3fc38538
	v_fmac_f64_e32 v[38:39], s[2:3], v[34:35]
	v_mov_b32_e32 v40, 0xd7f4df2e
	v_mov_b32_e32 v41, 0x3fc7474d
	v_fmac_f64_e32 v[40:41], v[34:35], v[38:39]
	;; [unrolled: 3-line block ×6, first 2 shown]
	v_cvt_f64_i32_e32 v[38:39], v52
	s_mov_b32 s7, 0x3fe62e42
	v_mul_f64 v[42:43], v[38:39], s[6:7]
	v_fma_f64 v[44:45], v[38:39], s[6:7], -v[42:43]
	s_mov_b32 s9, 0x3c7abc9e
	v_fmac_f64_e32 v[44:45], s[8:9], v[38:39]
	v_add_f64 v[38:39], v[42:43], v[44:45]
	v_add_f64 v[42:43], v[38:39], -v[42:43]
	v_mul_f64 v[34:35], v[36:37], v[34:35]
	v_add_f64 v[42:43], v[44:45], -v[42:43]
	v_ldexp_f64 v[44:45], v[36:37], 1
	v_mul_f64 v[34:35], v[34:35], v[40:41]
	v_add_f64 v[36:37], v[44:45], v[34:35]
	v_add_f64 v[40:41], v[36:37], -v[44:45]
	v_ldexp_f64 v[20:21], v[20:21], 1
	v_add_f64 v[34:35], v[34:35], -v[40:41]
	v_add_f64 v[20:21], v[20:21], v[34:35]
	v_add_f64 v[34:35], v[36:37], v[20:21]
	v_add_f64 v[36:37], v[34:35], -v[36:37]
	v_add_f64 v[20:21], v[20:21], -v[36:37]
	v_add_f64 v[36:37], v[38:39], v[34:35]
	v_add_f64 v[40:41], v[36:37], -v[38:39]
	v_add_f64 v[44:45], v[36:37], -v[40:41]
	;; [unrolled: 1-line block ×4, first 2 shown]
	v_add_f64 v[34:35], v[34:35], v[38:39]
	v_add_f64 v[38:39], v[42:43], v[20:21]
	v_add_f64 v[40:41], v[38:39], -v[42:43]
	v_add_f64 v[34:35], v[38:39], v[34:35]
	v_add_f64 v[44:45], v[38:39], -v[40:41]
	;; [unrolled: 2-line block ×3, first 2 shown]
	v_add_f64 v[20:21], v[20:21], -v[40:41]
	v_add_f64 v[36:37], v[38:39], -v[36:37]
	v_add_f64 v[20:21], v[20:21], v[42:43]
	v_add_f64 v[34:35], v[34:35], -v[36:37]
	s_mov_b32 s2, 0
	v_add_f64 v[20:21], v[20:21], v[34:35]
	s_mov_b32 s3, 0x7ff00000
	v_add_f64 v[20:21], v[38:39], v[20:21]
	v_cmp_neq_f64_e32 vcc, s[2:3], v[16:17]
	v_cmp_ngt_f64_e64 s[2:3], -1.0, v[16:17]
	s_nop 0
	v_cndmask_b32_e32 v21, v31, v21, vcc
	v_mov_b32_e32 v31, 0x7ff80000
	v_cndmask_b32_e64 v21, v31, v21, s[2:3]
	v_cmp_nge_f64_e64 s[2:3], -1.0, v[16:17]
	s_and_b64 vcc, s[2:3], vcc
	v_cndmask_b32_e32 v20, 0, v20, vcc
	v_mov_b32_e32 v31, 0xfff00000
	v_cmp_neq_f64_e32 vcc, -1.0, v[16:17]
	s_nop 1
	v_cndmask_b32_e32 v21, v31, v21, vcc
	v_add_f64 v[16:17], v[18:19], v[20:21]
.LBB1_157:
	s_or_b64 exec, exec, s[4:5]
	s_load_dwordx8 s[36:43], s[0:1], 0x40
	s_branch .LBB1_229
.LBB1_158:
	s_waitcnt lgkmcnt(0)
	s_cmp_lg_u64 s[40:41], 0
	s_cselect_b64 s[0:1], -1, 0
	v_cmp_eq_u32_e64 s[12:13], 0, v0
	v_mov_b64_e32 v[20:21], v[16:17]
	v_cmp_ne_u32_e32 vcc, 0, v0
	s_and_b64 s[0:1], s[12:13], s[0:1]
	v_mov_b64_e32 v[18:19], v[14:15]
	v_mov_b64_e32 v[16:17], v[12:13]
	;; [unrolled: 1-line block ×7, first 2 shown]
	s_and_saveexec_b64 s[4:5], s[0:1]
	s_cbranch_execz .LBB1_162
; %bb.159:
	v_mov_b32_e32 v6, 0
	global_load_dwordx2 v[6:7], v6, s[36:37]
	v_max_f64 v[8:9], v[2:3], v[2:3]
	s_movk_i32 s2, 0x1f8
	s_waitcnt vmcnt(0)
	v_max_f64 v[10:11], v[6:7], v[6:7]
	v_min_f64 v[12:13], v[10:11], v[8:9]
	v_max_f64 v[8:9], v[10:11], v[8:9]
	v_cmp_u_f64_e64 s[0:1], v[6:7], v[6:7]
	s_nop 1
	v_cndmask_b32_e64 v10, v12, v6, s[0:1]
	v_cndmask_b32_e64 v11, v13, v7, s[0:1]
	;; [unrolled: 1-line block ×4, first 2 shown]
	v_cmp_u_f64_e64 s[0:1], v[2:3], v[2:3]
	s_nop 1
	v_cndmask_b32_e64 v9, v11, v3, s[0:1]
	v_cndmask_b32_e64 v8, v10, v2, s[0:1]
	v_cndmask_b32_e64 v3, v13, v3, s[0:1]
	v_cndmask_b32_e64 v2, v12, v2, s[0:1]
	v_cmp_neq_f64_e64 s[0:1], v[8:9], v[2:3]
	v_cmp_class_f64_e64 s[2:3], v[8:9], s2
	s_or_b64 s[0:1], s[0:1], s[2:3]
	s_and_saveexec_b64 s[6:7], s[0:1]
	s_cbranch_execz .LBB1_161
; %bb.160:
	s_mov_b32 s0, 0x652b82fe
	v_add_f64 v[6:7], v[8:9], -v[2:3]
	s_mov_b32 s1, 0x3ff71547
	v_mul_f64 v[8:9], v[6:7], s[0:1]
	v_rndne_f64_e32 v[8:9], v[8:9]
	s_mov_b32 s9, 0xbfe62e42
	s_mov_b32 s8, 0xfefa39ef
	v_fma_f64 v[10:11], s[8:9], v[8:9], v[6:7]
	s_mov_b32 s11, 0xbc7abc9e
	s_mov_b32 s10, 0x3b39803f
	;; [unrolled: 1-line block ×3, first 2 shown]
	v_fmac_f64_e32 v[10:11], s[10:11], v[8:9]
	v_mov_b32_e32 v12, 0xfca7ab0c
	v_mov_b32_e32 v13, 0x3e928af3
	s_mov_b32 s1, 0x3e5ade15
	v_fmac_f64_e32 v[12:13], s[0:1], v[10:11]
	v_mov_b32_e32 v14, 0x623fde64
	v_mov_b32_e32 v15, 0x3ec71dee
	v_fmac_f64_e32 v[14:15], v[10:11], v[12:13]
	v_mov_b32_e32 v12, 0x7c89e6b0
	v_mov_b32_e32 v13, 0x3efa0199
	;; [unrolled: 3-line block ×8, first 2 shown]
	v_fmac_f64_e32 v[12:13], v[10:11], v[14:15]
	v_fma_f64 v[12:13], v[10:11], v[12:13], 1.0
	s_mov_b32 s0, 0
	s_mov_b32 s2, 0
	v_fma_f64 v[10:11], v[10:11], v[12:13], 1.0
	v_cvt_i32_f64_e32 v8, v[8:9]
	s_mov_b32 s1, 0x40900000
	s_mov_b32 s3, 0xc090cc00
	v_ldexp_f64 v[8:9], v[10:11], v8
	v_mov_b32_e32 v31, 0x7ff00000
	v_cmp_nlt_f64_e64 s[0:1], s[0:1], v[6:7]
	v_cmp_ngt_f64_e64 s[2:3], s[2:3], v[6:7]
	s_mov_b32 s9, 0x3fe62e42
	v_cndmask_b32_e64 v9, v31, v9, s[0:1]
	s_and_b64 s[0:1], s[2:3], s[0:1]
	v_cndmask_b32_e64 v7, 0, v9, s[2:3]
	v_cndmask_b32_e64 v6, 0, v8, s[0:1]
	v_add_f64 v[8:9], v[6:7], 1.0
	v_add_f64 v[10:11], v[8:9], -1.0
	v_add_f64 v[12:13], v[10:11], -v[8:9]
	v_add_f64 v[12:13], v[12:13], 1.0
	v_add_f64 v[10:11], v[6:7], -v[10:11]
	s_mov_b32 s0, 0x55555555
	v_add_f64 v[10:11], v[10:11], v[12:13]
	v_frexp_mant_f64_e32 v[12:13], v[8:9]
	s_mov_b32 s1, 0x3fe55555
	v_frexp_exp_i32_f64_e32 v14, v[8:9]
	v_cmp_gt_f64_e64 s[0:1], s[0:1], v[12:13]
	s_mov_b32 s11, 0x3c7abc9e
	v_cmp_ngt_f64_e64 s[2:3], -1.0, v[6:7]
	v_subbrev_co_u32_e64 v40, s[0:1], 0, v14, s[0:1]
	v_sub_u32_e32 v12, 0, v40
	v_ldexp_f64 v[8:9], v[8:9], v12
	v_ldexp_f64 v[10:11], v[10:11], v12
	v_add_f64 v[12:13], v[8:9], -1.0
	v_add_f64 v[18:19], v[8:9], 1.0
	v_add_f64 v[14:15], v[12:13], 1.0
	v_add_f64 v[20:21], v[18:19], -1.0
	v_add_f64 v[14:15], v[8:9], -v[14:15]
	v_add_f64 v[8:9], v[8:9], -v[20:21]
	v_add_f64 v[8:9], v[10:11], v[8:9]
	v_add_f64 v[14:15], v[10:11], v[14:15]
	;; [unrolled: 1-line block ×3, first 2 shown]
	v_rcp_f64_e32 v[20:21], v[10:11]
	v_add_f64 v[16:17], v[12:13], v[14:15]
	v_add_f64 v[12:13], v[16:17], -v[12:13]
	v_add_f64 v[12:13], v[14:15], -v[12:13]
	;; [unrolled: 1-line block ×4, first 2 shown]
	v_fma_f64 v[14:15], -v[10:11], v[20:21], 1.0
	v_fmac_f64_e32 v[20:21], v[14:15], v[20:21]
	v_fma_f64 v[14:15], -v[10:11], v[20:21], 1.0
	v_fmac_f64_e32 v[20:21], v[14:15], v[20:21]
	v_mul_f64 v[14:15], v[16:17], v[20:21]
	v_mul_f64 v[18:19], v[10:11], v[14:15]
	v_fma_f64 v[34:35], v[14:15], v[10:11], -v[18:19]
	v_fmac_f64_e32 v[34:35], v[14:15], v[8:9]
	v_add_f64 v[36:37], v[18:19], v[34:35]
	v_add_f64 v[38:39], v[16:17], -v[36:37]
	v_add_f64 v[16:17], v[16:17], -v[38:39]
	;; [unrolled: 1-line block ×4, first 2 shown]
	v_add_f64 v[12:13], v[12:13], v[16:17]
	v_add_f64 v[16:17], v[18:19], -v[34:35]
	v_add_f64 v[12:13], v[16:17], v[12:13]
	v_add_f64 v[16:17], v[38:39], v[12:13]
	v_add_f64 v[18:19], v[38:39], -v[16:17]
	v_add_f64 v[12:13], v[12:13], v[18:19]
	v_mul_f64 v[18:19], v[20:21], v[16:17]
	v_mul_f64 v[34:35], v[10:11], v[18:19]
	v_fma_f64 v[10:11], v[18:19], v[10:11], -v[34:35]
	v_fmac_f64_e32 v[10:11], v[18:19], v[8:9]
	v_add_f64 v[8:9], v[34:35], v[10:11]
	v_add_f64 v[36:37], v[16:17], -v[8:9]
	v_add_f64 v[16:17], v[16:17], -v[36:37]
	;; [unrolled: 1-line block ×4, first 2 shown]
	v_add_f64 v[8:9], v[12:13], v[8:9]
	v_add_f64 v[10:11], v[34:35], -v[10:11]
	v_add_f64 v[8:9], v[10:11], v[8:9]
	v_add_f64 v[10:11], v[14:15], v[18:19]
	;; [unrolled: 1-line block ×3, first 2 shown]
	v_add_f64 v[12:13], v[10:11], -v[14:15]
	v_mul_f64 v[8:9], v[20:21], v[8:9]
	v_add_f64 v[12:13], v[18:19], -v[12:13]
	v_add_f64 v[8:9], v[12:13], v[8:9]
	v_add_f64 v[12:13], v[10:11], v[8:9]
	v_add_f64 v[10:11], v[12:13], -v[10:11]
	s_mov_b32 s0, 0xbf559e2b
	v_add_f64 v[8:9], v[8:9], -v[10:11]
	v_mul_f64 v[10:11], v[12:13], v[12:13]
	v_mov_b32_e32 v14, 0x6b47b09a
	v_mov_b32_e32 v15, 0x3fc38538
	s_mov_b32 s1, 0x3fc3ab76
	v_fmac_f64_e32 v[14:15], s[0:1], v[10:11]
	v_mov_b32_e32 v16, 0xd7f4df2e
	v_mov_b32_e32 v17, 0x3fc7474d
	v_fmac_f64_e32 v[16:17], v[10:11], v[14:15]
	v_mov_b32_e32 v14, 0x16291751
	v_mov_b32_e32 v15, 0x3fcc71c0
	;; [unrolled: 3-line block ×5, first 2 shown]
	v_fmac_f64_e32 v[16:17], v[10:11], v[14:15]
	v_cvt_f64_i32_e32 v[14:15], v40
	v_mul_f64 v[18:19], v[14:15], s[8:9]
	v_fma_f64 v[20:21], v[14:15], s[8:9], -v[18:19]
	v_fmac_f64_e32 v[20:21], s[10:11], v[14:15]
	v_add_f64 v[14:15], v[18:19], v[20:21]
	v_add_f64 v[18:19], v[14:15], -v[18:19]
	v_mul_f64 v[10:11], v[12:13], v[10:11]
	v_add_f64 v[18:19], v[20:21], -v[18:19]
	v_ldexp_f64 v[20:21], v[12:13], 1
	v_mul_f64 v[10:11], v[10:11], v[16:17]
	v_add_f64 v[12:13], v[20:21], v[10:11]
	v_add_f64 v[16:17], v[12:13], -v[20:21]
	v_ldexp_f64 v[8:9], v[8:9], 1
	v_add_f64 v[10:11], v[10:11], -v[16:17]
	v_add_f64 v[8:9], v[8:9], v[10:11]
	v_add_f64 v[10:11], v[12:13], v[8:9]
	v_add_f64 v[12:13], v[10:11], -v[12:13]
	v_add_f64 v[8:9], v[8:9], -v[12:13]
	v_add_f64 v[12:13], v[14:15], v[10:11]
	v_add_f64 v[16:17], v[12:13], -v[14:15]
	v_add_f64 v[20:21], v[12:13], -v[16:17]
	;; [unrolled: 1-line block ×4, first 2 shown]
	v_add_f64 v[10:11], v[10:11], v[14:15]
	v_add_f64 v[14:15], v[18:19], v[8:9]
	v_add_f64 v[16:17], v[14:15], -v[18:19]
	v_add_f64 v[10:11], v[14:15], v[10:11]
	v_add_f64 v[20:21], v[14:15], -v[16:17]
	v_add_f64 v[14:15], v[12:13], v[10:11]
	v_add_f64 v[18:19], v[18:19], -v[20:21]
	v_add_f64 v[8:9], v[8:9], -v[16:17]
	v_add_f64 v[12:13], v[14:15], -v[12:13]
	v_add_f64 v[8:9], v[8:9], v[18:19]
	v_add_f64 v[10:11], v[10:11], -v[12:13]
	s_mov_b32 s0, 0
	v_add_f64 v[8:9], v[8:9], v[10:11]
	s_mov_b32 s1, 0x7ff00000
	v_add_f64 v[8:9], v[14:15], v[8:9]
	v_cmp_neq_f64_e64 s[0:1], s[0:1], v[6:7]
	v_mov_b32_e32 v10, 0x7ff80000
	s_nop 0
	v_cndmask_b32_e64 v9, v31, v9, s[0:1]
	v_cndmask_b32_e64 v9, v10, v9, s[2:3]
	v_cmp_nge_f64_e64 s[2:3], -1.0, v[6:7]
	s_and_b64 s[0:1], s[2:3], s[0:1]
	v_cndmask_b32_e64 v8, 0, v8, s[0:1]
	v_mov_b32_e32 v10, 0xfff00000
	v_cmp_neq_f64_e64 s[0:1], -1.0, v[6:7]
	s_nop 1
	v_cndmask_b32_e64 v9, v10, v9, s[0:1]
	v_add_f64 v[6:7], v[2:3], v[8:9]
.LBB1_161:
	s_or_b64 exec, exec, s[6:7]
	v_mov_b64_e32 v[2:3], v[6:7]
.LBB1_162:
	s_or_b64 exec, exec, s[4:5]
	v_max_f64 v[20:21], v[2:3], v[2:3]
	v_min_f64 v[34:35], v[20:21], v[32:33]
	v_cmp_u_f64_e64 s[10:11], v[2:3], v[2:3]
	v_cmp_u_f64_e64 s[0:1], v[4:5], v[4:5]
	v_max_f64 v[36:37], v[20:21], v[32:33]
	v_cndmask_b32_e64 v8, v34, v2, s[10:11]
	v_cndmask_b32_e64 v9, v35, v3, s[10:11]
	;; [unrolled: 1-line block ×8, first 2 shown]
	s_movk_i32 s16, 0x1f8
	v_cmp_neq_f64_e64 s[2:3], v[10:11], v[8:9]
	v_cmp_class_f64_e64 s[4:5], v[10:11], s16
	s_or_b64 s[2:3], s[2:3], s[4:5]
	v_mov_b64_e32 v[38:39], v[2:3]
	s_and_saveexec_b64 s[6:7], s[2:3]
	s_cbranch_execz .LBB1_164
; %bb.163:
	s_mov_b32 s2, 0x652b82fe
	v_add_f64 v[10:11], v[10:11], -v[8:9]
	s_mov_b32 s3, 0x3ff71547
	v_mul_f64 v[12:13], v[10:11], s[2:3]
	v_rndne_f64_e32 v[12:13], v[12:13]
	s_mov_b32 s9, 0xbfe62e42
	s_mov_b32 s8, 0xfefa39ef
	v_fma_f64 v[14:15], s[8:9], v[12:13], v[10:11]
	s_mov_b32 s15, 0xbc7abc9e
	s_mov_b32 s14, 0x3b39803f
	s_mov_b32 s2, 0x6a5dcb37
	v_fmac_f64_e32 v[14:15], s[14:15], v[12:13]
	v_mov_b32_e32 v16, 0xfca7ab0c
	v_mov_b32_e32 v17, 0x3e928af3
	s_mov_b32 s3, 0x3e5ade15
	v_fmac_f64_e32 v[16:17], s[2:3], v[14:15]
	v_mov_b32_e32 v18, 0x623fde64
	v_mov_b32_e32 v19, 0x3ec71dee
	v_fmac_f64_e32 v[18:19], v[14:15], v[16:17]
	v_mov_b32_e32 v16, 0x7c89e6b0
	v_mov_b32_e32 v17, 0x3efa0199
	v_fmac_f64_e32 v[16:17], v[14:15], v[18:19]
	v_mov_b32_e32 v18, 0x14761f6e
	v_mov_b32_e32 v19, 0x3f2a01a0
	v_fmac_f64_e32 v[18:19], v[14:15], v[16:17]
	v_mov_b32_e32 v16, 0x1852b7b0
	v_mov_b32_e32 v17, 0x3f56c16c
	v_fmac_f64_e32 v[16:17], v[14:15], v[18:19]
	v_mov_b32_e32 v18, 0x11122322
	v_mov_b32_e32 v19, 0x3f811111
	v_fmac_f64_e32 v[18:19], v[14:15], v[16:17]
	v_mov_b32_e32 v16, 0x555502a1
	v_mov_b32_e32 v17, 0x3fa55555
	v_fmac_f64_e32 v[16:17], v[14:15], v[18:19]
	v_mov_b32_e32 v18, 0x55555511
	v_mov_b32_e32 v19, 0x3fc55555
	v_fmac_f64_e32 v[18:19], v[14:15], v[16:17]
	v_mov_b32_e32 v16, 11
	v_mov_b32_e32 v17, 0x3fe00000
	v_fmac_f64_e32 v[16:17], v[14:15], v[18:19]
	v_fma_f64 v[16:17], v[14:15], v[16:17], 1.0
	s_mov_b32 s2, 0
	s_mov_b32 s4, 0
	v_fma_f64 v[14:15], v[14:15], v[16:17], 1.0
	v_cvt_i32_f64_e32 v12, v[12:13]
	s_mov_b32 s3, 0x40900000
	s_mov_b32 s5, 0xc090cc00
	v_ldexp_f64 v[12:13], v[14:15], v12
	v_mov_b32_e32 v31, 0x7ff00000
	v_cmp_nlt_f64_e64 s[2:3], s[2:3], v[10:11]
	v_cmp_ngt_f64_e64 s[4:5], s[4:5], v[10:11]
	s_mov_b32 s9, 0x3fe62e42
	v_cndmask_b32_e64 v13, v31, v13, s[2:3]
	s_and_b64 s[2:3], s[4:5], s[2:3]
	v_cndmask_b32_e64 v11, 0, v13, s[4:5]
	v_cndmask_b32_e64 v10, 0, v12, s[2:3]
	v_add_f64 v[12:13], v[10:11], 1.0
	v_add_f64 v[14:15], v[12:13], -1.0
	v_add_f64 v[16:17], v[14:15], -v[12:13]
	v_add_f64 v[16:17], v[16:17], 1.0
	v_add_f64 v[14:15], v[10:11], -v[14:15]
	s_mov_b32 s2, 0x55555555
	v_add_f64 v[14:15], v[14:15], v[16:17]
	v_frexp_mant_f64_e32 v[16:17], v[12:13]
	s_mov_b32 s3, 0x3fe55555
	v_frexp_exp_i32_f64_e32 v18, v[12:13]
	v_cmp_gt_f64_e64 s[2:3], s[2:3], v[16:17]
	s_mov_b32 s15, 0x3c7abc9e
	v_cmp_ngt_f64_e64 s[4:5], -1.0, v[10:11]
	v_subbrev_co_u32_e64 v50, s[2:3], 0, v18, s[2:3]
	v_sub_u32_e32 v16, 0, v50
	v_ldexp_f64 v[12:13], v[12:13], v16
	v_ldexp_f64 v[14:15], v[14:15], v16
	v_add_f64 v[16:17], v[12:13], -1.0
	v_add_f64 v[40:41], v[12:13], 1.0
	v_add_f64 v[18:19], v[16:17], 1.0
	v_add_f64 v[42:43], v[40:41], -1.0
	v_add_f64 v[18:19], v[12:13], -v[18:19]
	v_add_f64 v[12:13], v[12:13], -v[42:43]
	v_add_f64 v[12:13], v[14:15], v[12:13]
	v_add_f64 v[18:19], v[14:15], v[18:19]
	;; [unrolled: 1-line block ×3, first 2 shown]
	v_rcp_f64_e32 v[42:43], v[14:15]
	v_add_f64 v[38:39], v[16:17], v[18:19]
	v_add_f64 v[16:17], v[38:39], -v[16:17]
	v_add_f64 v[16:17], v[18:19], -v[16:17]
	;; [unrolled: 1-line block ×4, first 2 shown]
	v_fma_f64 v[18:19], -v[14:15], v[42:43], 1.0
	v_fmac_f64_e32 v[42:43], v[18:19], v[42:43]
	v_fma_f64 v[18:19], -v[14:15], v[42:43], 1.0
	v_fmac_f64_e32 v[42:43], v[18:19], v[42:43]
	v_mul_f64 v[18:19], v[38:39], v[42:43]
	v_mul_f64 v[40:41], v[14:15], v[18:19]
	v_fma_f64 v[44:45], v[18:19], v[14:15], -v[40:41]
	v_fmac_f64_e32 v[44:45], v[18:19], v[12:13]
	v_add_f64 v[46:47], v[40:41], v[44:45]
	v_add_f64 v[48:49], v[38:39], -v[46:47]
	v_add_f64 v[38:39], v[38:39], -v[48:49]
	;; [unrolled: 1-line block ×4, first 2 shown]
	v_add_f64 v[16:17], v[16:17], v[38:39]
	v_add_f64 v[38:39], v[40:41], -v[44:45]
	v_add_f64 v[16:17], v[38:39], v[16:17]
	v_add_f64 v[38:39], v[48:49], v[16:17]
	v_add_f64 v[40:41], v[48:49], -v[38:39]
	v_add_f64 v[16:17], v[16:17], v[40:41]
	v_mul_f64 v[40:41], v[42:43], v[38:39]
	v_mul_f64 v[44:45], v[14:15], v[40:41]
	v_fma_f64 v[14:15], v[40:41], v[14:15], -v[44:45]
	v_fmac_f64_e32 v[14:15], v[40:41], v[12:13]
	v_add_f64 v[12:13], v[44:45], v[14:15]
	v_add_f64 v[46:47], v[38:39], -v[12:13]
	v_add_f64 v[38:39], v[38:39], -v[46:47]
	;; [unrolled: 1-line block ×4, first 2 shown]
	v_add_f64 v[12:13], v[16:17], v[12:13]
	v_add_f64 v[14:15], v[44:45], -v[14:15]
	v_add_f64 v[12:13], v[14:15], v[12:13]
	v_add_f64 v[14:15], v[18:19], v[40:41]
	;; [unrolled: 1-line block ×3, first 2 shown]
	v_add_f64 v[16:17], v[14:15], -v[18:19]
	v_mul_f64 v[12:13], v[42:43], v[12:13]
	v_add_f64 v[16:17], v[40:41], -v[16:17]
	v_add_f64 v[12:13], v[16:17], v[12:13]
	v_add_f64 v[16:17], v[14:15], v[12:13]
	v_add_f64 v[14:15], v[16:17], -v[14:15]
	s_mov_b32 s2, 0xbf559e2b
	v_add_f64 v[12:13], v[12:13], -v[14:15]
	v_mul_f64 v[14:15], v[16:17], v[16:17]
	v_mov_b32_e32 v18, 0x6b47b09a
	v_mov_b32_e32 v19, 0x3fc38538
	s_mov_b32 s3, 0x3fc3ab76
	v_fmac_f64_e32 v[18:19], s[2:3], v[14:15]
	v_mov_b32_e32 v38, 0xd7f4df2e
	v_mov_b32_e32 v39, 0x3fc7474d
	v_fmac_f64_e32 v[38:39], v[14:15], v[18:19]
	v_mov_b32_e32 v18, 0x16291751
	v_mov_b32_e32 v19, 0x3fcc71c0
	;; [unrolled: 3-line block ×5, first 2 shown]
	v_fmac_f64_e32 v[38:39], v[14:15], v[18:19]
	v_cvt_f64_i32_e32 v[18:19], v50
	v_mul_f64 v[40:41], v[18:19], s[8:9]
	v_fma_f64 v[42:43], v[18:19], s[8:9], -v[40:41]
	v_fmac_f64_e32 v[42:43], s[14:15], v[18:19]
	v_add_f64 v[18:19], v[40:41], v[42:43]
	v_add_f64 v[40:41], v[18:19], -v[40:41]
	v_mul_f64 v[14:15], v[16:17], v[14:15]
	v_add_f64 v[40:41], v[42:43], -v[40:41]
	v_ldexp_f64 v[42:43], v[16:17], 1
	v_mul_f64 v[14:15], v[14:15], v[38:39]
	v_add_f64 v[16:17], v[42:43], v[14:15]
	v_add_f64 v[38:39], v[16:17], -v[42:43]
	v_ldexp_f64 v[12:13], v[12:13], 1
	v_add_f64 v[14:15], v[14:15], -v[38:39]
	v_add_f64 v[12:13], v[12:13], v[14:15]
	v_add_f64 v[14:15], v[16:17], v[12:13]
	v_add_f64 v[16:17], v[14:15], -v[16:17]
	v_add_f64 v[12:13], v[12:13], -v[16:17]
	v_add_f64 v[16:17], v[18:19], v[14:15]
	v_add_f64 v[38:39], v[16:17], -v[18:19]
	v_add_f64 v[42:43], v[16:17], -v[38:39]
	v_add_f64 v[18:19], v[18:19], -v[42:43]
	v_add_f64 v[14:15], v[14:15], -v[38:39]
	v_add_f64 v[14:15], v[14:15], v[18:19]
	v_add_f64 v[18:19], v[40:41], v[12:13]
	v_add_f64 v[38:39], v[18:19], -v[40:41]
	v_add_f64 v[14:15], v[18:19], v[14:15]
	v_add_f64 v[42:43], v[18:19], -v[38:39]
	;; [unrolled: 2-line block ×3, first 2 shown]
	v_add_f64 v[12:13], v[12:13], -v[38:39]
	v_add_f64 v[16:17], v[18:19], -v[16:17]
	v_add_f64 v[12:13], v[12:13], v[40:41]
	v_add_f64 v[14:15], v[14:15], -v[16:17]
	s_mov_b32 s2, 0
	v_add_f64 v[12:13], v[12:13], v[14:15]
	s_mov_b32 s3, 0x7ff00000
	v_add_f64 v[12:13], v[18:19], v[12:13]
	v_cmp_neq_f64_e64 s[2:3], s[2:3], v[10:11]
	v_mov_b32_e32 v14, 0x7ff80000
	s_nop 0
	v_cndmask_b32_e64 v13, v31, v13, s[2:3]
	v_cndmask_b32_e64 v13, v14, v13, s[4:5]
	v_cmp_nge_f64_e64 s[4:5], -1.0, v[10:11]
	s_and_b64 s[2:3], s[4:5], s[2:3]
	v_cndmask_b32_e64 v12, 0, v12, s[2:3]
	v_mov_b32_e32 v14, 0xfff00000
	v_cmp_neq_f64_e64 s[2:3], -1.0, v[10:11]
	s_nop 1
	v_cndmask_b32_e64 v13, v14, v13, s[2:3]
	v_add_f64 v[38:39], v[8:9], v[12:13]
.LBB1_164:
	s_or_b64 exec, exec, s[6:7]
	v_max_f64 v[12:13], v[26:27], v[26:27]
	v_max_f64 v[8:9], v[38:39], v[38:39]
	v_min_f64 v[10:11], v[8:9], v[12:13]
	v_cmp_u_f64_e64 s[4:5], v[38:39], v[38:39]
	v_max_f64 v[8:9], v[8:9], v[12:13]
	v_cmp_u_f64_e64 s[2:3], v[26:27], v[26:27]
	v_cndmask_b32_e64 v10, v10, v38, s[4:5]
	v_cndmask_b32_e64 v11, v11, v39, s[4:5]
	;; [unrolled: 1-line block ×8, first 2 shown]
	v_cmp_neq_f64_e64 s[4:5], v[10:11], v[8:9]
	v_cmp_class_f64_e64 s[6:7], v[10:11], s16
	s_or_b64 s[4:5], s[4:5], s[6:7]
	s_and_saveexec_b64 s[8:9], s[4:5]
	s_cbranch_execz .LBB1_166
; %bb.165:
	s_mov_b32 s4, 0x652b82fe
	v_add_f64 v[10:11], v[10:11], -v[8:9]
	s_mov_b32 s5, 0x3ff71547
	v_mul_f64 v[14:15], v[10:11], s[4:5]
	v_rndne_f64_e32 v[14:15], v[14:15]
	s_mov_b32 s15, 0xbfe62e42
	s_mov_b32 s14, 0xfefa39ef
	v_fma_f64 v[16:17], s[14:15], v[14:15], v[10:11]
	s_mov_b32 s17, 0xbc7abc9e
	s_mov_b32 s16, 0x3b39803f
	;; [unrolled: 1-line block ×3, first 2 shown]
	v_fmac_f64_e32 v[16:17], s[16:17], v[14:15]
	v_mov_b32_e32 v18, 0xfca7ab0c
	v_mov_b32_e32 v19, 0x3e928af3
	s_mov_b32 s5, 0x3e5ade15
	v_fmac_f64_e32 v[18:19], s[4:5], v[16:17]
	v_mov_b32_e32 v38, 0x623fde64
	v_mov_b32_e32 v39, 0x3ec71dee
	v_fmac_f64_e32 v[38:39], v[16:17], v[18:19]
	v_mov_b32_e32 v18, 0x7c89e6b0
	v_mov_b32_e32 v19, 0x3efa0199
	;; [unrolled: 3-line block ×8, first 2 shown]
	v_fmac_f64_e32 v[18:19], v[16:17], v[38:39]
	v_fma_f64 v[18:19], v[16:17], v[18:19], 1.0
	s_mov_b32 s4, 0
	s_mov_b32 s6, 0
	v_fma_f64 v[16:17], v[16:17], v[18:19], 1.0
	v_cvt_i32_f64_e32 v14, v[14:15]
	s_mov_b32 s5, 0x40900000
	s_mov_b32 s7, 0xc090cc00
	v_ldexp_f64 v[14:15], v[16:17], v14
	v_mov_b32_e32 v31, 0x7ff00000
	v_cmp_nlt_f64_e64 s[4:5], s[4:5], v[10:11]
	v_cmp_ngt_f64_e64 s[6:7], s[6:7], v[10:11]
	s_mov_b32 s15, 0x3fe62e42
	v_cndmask_b32_e64 v15, v31, v15, s[4:5]
	s_and_b64 s[4:5], s[6:7], s[4:5]
	v_cndmask_b32_e64 v11, 0, v15, s[6:7]
	v_cndmask_b32_e64 v10, 0, v14, s[4:5]
	v_add_f64 v[14:15], v[10:11], 1.0
	v_add_f64 v[16:17], v[14:15], -1.0
	v_add_f64 v[18:19], v[16:17], -v[14:15]
	v_add_f64 v[18:19], v[18:19], 1.0
	v_add_f64 v[16:17], v[10:11], -v[16:17]
	s_mov_b32 s4, 0x55555555
	v_add_f64 v[16:17], v[16:17], v[18:19]
	v_frexp_mant_f64_e32 v[18:19], v[14:15]
	s_mov_b32 s5, 0x3fe55555
	v_frexp_exp_i32_f64_e32 v38, v[14:15]
	v_cmp_gt_f64_e64 s[4:5], s[4:5], v[18:19]
	s_mov_b32 s17, 0x3c7abc9e
	v_cmp_ngt_f64_e64 s[6:7], -1.0, v[10:11]
	v_subbrev_co_u32_e64 v52, s[4:5], 0, v38, s[4:5]
	v_sub_u32_e32 v18, 0, v52
	v_ldexp_f64 v[14:15], v[14:15], v18
	v_ldexp_f64 v[16:17], v[16:17], v18
	v_add_f64 v[18:19], v[14:15], -1.0
	v_add_f64 v[42:43], v[14:15], 1.0
	v_add_f64 v[38:39], v[18:19], 1.0
	v_add_f64 v[44:45], v[42:43], -1.0
	v_add_f64 v[38:39], v[14:15], -v[38:39]
	v_add_f64 v[14:15], v[14:15], -v[44:45]
	v_add_f64 v[14:15], v[16:17], v[14:15]
	v_add_f64 v[38:39], v[16:17], v[38:39]
	v_add_f64 v[16:17], v[42:43], v[14:15]
	v_rcp_f64_e32 v[44:45], v[16:17]
	v_add_f64 v[40:41], v[18:19], v[38:39]
	v_add_f64 v[18:19], v[40:41], -v[18:19]
	v_add_f64 v[18:19], v[38:39], -v[18:19]
	;; [unrolled: 1-line block ×4, first 2 shown]
	v_fma_f64 v[38:39], -v[16:17], v[44:45], 1.0
	v_fmac_f64_e32 v[44:45], v[38:39], v[44:45]
	v_fma_f64 v[38:39], -v[16:17], v[44:45], 1.0
	v_fmac_f64_e32 v[44:45], v[38:39], v[44:45]
	v_mul_f64 v[38:39], v[40:41], v[44:45]
	v_mul_f64 v[42:43], v[16:17], v[38:39]
	v_fma_f64 v[46:47], v[38:39], v[16:17], -v[42:43]
	v_fmac_f64_e32 v[46:47], v[38:39], v[14:15]
	v_add_f64 v[48:49], v[42:43], v[46:47]
	v_add_f64 v[50:51], v[40:41], -v[48:49]
	v_add_f64 v[40:41], v[40:41], -v[50:51]
	;; [unrolled: 1-line block ×4, first 2 shown]
	v_add_f64 v[18:19], v[18:19], v[40:41]
	v_add_f64 v[40:41], v[42:43], -v[46:47]
	v_add_f64 v[18:19], v[40:41], v[18:19]
	v_add_f64 v[40:41], v[50:51], v[18:19]
	v_add_f64 v[42:43], v[50:51], -v[40:41]
	v_add_f64 v[18:19], v[18:19], v[42:43]
	v_mul_f64 v[42:43], v[44:45], v[40:41]
	v_mul_f64 v[46:47], v[16:17], v[42:43]
	v_fma_f64 v[16:17], v[42:43], v[16:17], -v[46:47]
	v_fmac_f64_e32 v[16:17], v[42:43], v[14:15]
	v_add_f64 v[14:15], v[46:47], v[16:17]
	v_add_f64 v[48:49], v[40:41], -v[14:15]
	v_add_f64 v[40:41], v[40:41], -v[48:49]
	;; [unrolled: 1-line block ×4, first 2 shown]
	v_add_f64 v[14:15], v[18:19], v[14:15]
	v_add_f64 v[16:17], v[46:47], -v[16:17]
	v_add_f64 v[14:15], v[16:17], v[14:15]
	v_add_f64 v[16:17], v[38:39], v[42:43]
	;; [unrolled: 1-line block ×3, first 2 shown]
	v_add_f64 v[18:19], v[16:17], -v[38:39]
	v_mul_f64 v[14:15], v[44:45], v[14:15]
	v_add_f64 v[18:19], v[42:43], -v[18:19]
	v_add_f64 v[14:15], v[18:19], v[14:15]
	v_add_f64 v[18:19], v[16:17], v[14:15]
	v_add_f64 v[16:17], v[18:19], -v[16:17]
	s_mov_b32 s4, 0xbf559e2b
	v_add_f64 v[14:15], v[14:15], -v[16:17]
	v_mul_f64 v[16:17], v[18:19], v[18:19]
	v_mov_b32_e32 v38, 0x6b47b09a
	v_mov_b32_e32 v39, 0x3fc38538
	s_mov_b32 s5, 0x3fc3ab76
	v_fmac_f64_e32 v[38:39], s[4:5], v[16:17]
	v_mov_b32_e32 v40, 0xd7f4df2e
	v_mov_b32_e32 v41, 0x3fc7474d
	v_fmac_f64_e32 v[40:41], v[16:17], v[38:39]
	v_mov_b32_e32 v38, 0x16291751
	v_mov_b32_e32 v39, 0x3fcc71c0
	;; [unrolled: 3-line block ×5, first 2 shown]
	v_fmac_f64_e32 v[40:41], v[16:17], v[38:39]
	v_cvt_f64_i32_e32 v[38:39], v52
	v_mul_f64 v[42:43], v[38:39], s[14:15]
	v_fma_f64 v[44:45], v[38:39], s[14:15], -v[42:43]
	v_fmac_f64_e32 v[44:45], s[16:17], v[38:39]
	v_add_f64 v[38:39], v[42:43], v[44:45]
	v_add_f64 v[42:43], v[38:39], -v[42:43]
	v_mul_f64 v[16:17], v[18:19], v[16:17]
	v_add_f64 v[42:43], v[44:45], -v[42:43]
	v_ldexp_f64 v[44:45], v[18:19], 1
	v_mul_f64 v[16:17], v[16:17], v[40:41]
	v_add_f64 v[18:19], v[44:45], v[16:17]
	v_add_f64 v[40:41], v[18:19], -v[44:45]
	v_ldexp_f64 v[14:15], v[14:15], 1
	v_add_f64 v[16:17], v[16:17], -v[40:41]
	v_add_f64 v[14:15], v[14:15], v[16:17]
	v_add_f64 v[16:17], v[18:19], v[14:15]
	v_add_f64 v[18:19], v[16:17], -v[18:19]
	v_add_f64 v[14:15], v[14:15], -v[18:19]
	v_add_f64 v[18:19], v[38:39], v[16:17]
	v_add_f64 v[40:41], v[18:19], -v[38:39]
	v_add_f64 v[44:45], v[18:19], -v[40:41]
	;; [unrolled: 1-line block ×4, first 2 shown]
	v_add_f64 v[16:17], v[16:17], v[38:39]
	v_add_f64 v[38:39], v[42:43], v[14:15]
	v_add_f64 v[40:41], v[38:39], -v[42:43]
	v_add_f64 v[16:17], v[38:39], v[16:17]
	v_add_f64 v[44:45], v[38:39], -v[40:41]
	;; [unrolled: 2-line block ×3, first 2 shown]
	v_add_f64 v[14:15], v[14:15], -v[40:41]
	v_add_f64 v[18:19], v[38:39], -v[18:19]
	v_add_f64 v[14:15], v[14:15], v[42:43]
	v_add_f64 v[16:17], v[16:17], -v[18:19]
	s_mov_b32 s4, 0
	v_add_f64 v[14:15], v[14:15], v[16:17]
	s_mov_b32 s5, 0x7ff00000
	v_add_f64 v[14:15], v[38:39], v[14:15]
	v_cmp_neq_f64_e64 s[4:5], s[4:5], v[10:11]
	v_mov_b32_e32 v16, 0x7ff80000
	s_nop 0
	v_cndmask_b32_e64 v15, v31, v15, s[4:5]
	v_cndmask_b32_e64 v15, v16, v15, s[6:7]
	v_cmp_nge_f64_e64 s[6:7], -1.0, v[10:11]
	s_and_b64 s[4:5], s[6:7], s[4:5]
	v_cndmask_b32_e64 v14, 0, v14, s[4:5]
	v_mov_b32_e32 v16, 0xfff00000
	v_cmp_neq_f64_e64 s[4:5], -1.0, v[10:11]
	s_nop 1
	v_cndmask_b32_e64 v15, v16, v15, s[4:5]
	v_add_f64 v[38:39], v[8:9], v[14:15]
.LBB1_166:
	s_or_b64 exec, exec, s[8:9]
	v_max_f64 v[14:15], v[28:29], v[28:29]
	v_max_f64 v[8:9], v[38:39], v[38:39]
	v_min_f64 v[10:11], v[8:9], v[14:15]
	v_cmp_u_f64_e64 s[6:7], v[38:39], v[38:39]
	v_max_f64 v[8:9], v[8:9], v[14:15]
	v_cmp_u_f64_e64 s[4:5], v[28:29], v[28:29]
	v_cndmask_b32_e64 v10, v10, v38, s[6:7]
	v_cndmask_b32_e64 v11, v11, v39, s[6:7]
	;; [unrolled: 1-line block ×8, first 2 shown]
	s_movk_i32 s20, 0x1f8
	v_cmp_neq_f64_e64 s[6:7], v[10:11], v[8:9]
	v_cmp_class_f64_e64 s[8:9], v[10:11], s20
	s_or_b64 s[6:7], s[6:7], s[8:9]
	s_and_saveexec_b64 s[14:15], s[6:7]
	s_cbranch_execz .LBB1_168
; %bb.167:
	s_mov_b32 s6, 0x652b82fe
	v_add_f64 v[10:11], v[10:11], -v[8:9]
	s_mov_b32 s7, 0x3ff71547
	v_mul_f64 v[16:17], v[10:11], s[6:7]
	v_rndne_f64_e32 v[16:17], v[16:17]
	s_mov_b32 s17, 0xbfe62e42
	s_mov_b32 s16, 0xfefa39ef
	v_fma_f64 v[18:19], s[16:17], v[16:17], v[10:11]
	s_mov_b32 s19, 0xbc7abc9e
	s_mov_b32 s18, 0x3b39803f
	;; [unrolled: 1-line block ×3, first 2 shown]
	v_fmac_f64_e32 v[18:19], s[18:19], v[16:17]
	v_mov_b32_e32 v38, 0xfca7ab0c
	v_mov_b32_e32 v39, 0x3e928af3
	s_mov_b32 s7, 0x3e5ade15
	v_fmac_f64_e32 v[38:39], s[6:7], v[18:19]
	v_mov_b32_e32 v40, 0x623fde64
	v_mov_b32_e32 v41, 0x3ec71dee
	v_fmac_f64_e32 v[40:41], v[18:19], v[38:39]
	v_mov_b32_e32 v38, 0x7c89e6b0
	v_mov_b32_e32 v39, 0x3efa0199
	;; [unrolled: 3-line block ×8, first 2 shown]
	v_fmac_f64_e32 v[38:39], v[18:19], v[40:41]
	v_fma_f64 v[38:39], v[18:19], v[38:39], 1.0
	s_mov_b32 s6, 0
	s_mov_b32 s8, 0
	v_fma_f64 v[18:19], v[18:19], v[38:39], 1.0
	v_cvt_i32_f64_e32 v16, v[16:17]
	s_mov_b32 s7, 0x40900000
	s_mov_b32 s9, 0xc090cc00
	v_ldexp_f64 v[16:17], v[18:19], v16
	v_mov_b32_e32 v31, 0x7ff00000
	v_cmp_nlt_f64_e64 s[6:7], s[6:7], v[10:11]
	v_cmp_ngt_f64_e64 s[8:9], s[8:9], v[10:11]
	s_mov_b32 s17, 0x3fe62e42
	v_cndmask_b32_e64 v17, v31, v17, s[6:7]
	s_and_b64 s[6:7], s[8:9], s[6:7]
	v_cndmask_b32_e64 v11, 0, v17, s[8:9]
	v_cndmask_b32_e64 v10, 0, v16, s[6:7]
	v_add_f64 v[16:17], v[10:11], 1.0
	v_add_f64 v[18:19], v[16:17], -1.0
	v_add_f64 v[38:39], v[18:19], -v[16:17]
	v_add_f64 v[38:39], v[38:39], 1.0
	v_add_f64 v[18:19], v[10:11], -v[18:19]
	s_mov_b32 s6, 0x55555555
	v_add_f64 v[18:19], v[18:19], v[38:39]
	v_frexp_mant_f64_e32 v[38:39], v[16:17]
	s_mov_b32 s7, 0x3fe55555
	v_frexp_exp_i32_f64_e32 v40, v[16:17]
	v_cmp_gt_f64_e64 s[6:7], s[6:7], v[38:39]
	s_mov_b32 s19, 0x3c7abc9e
	v_cmp_ngt_f64_e64 s[8:9], -1.0, v[10:11]
	v_subbrev_co_u32_e64 v54, s[6:7], 0, v40, s[6:7]
	v_sub_u32_e32 v38, 0, v54
	v_ldexp_f64 v[16:17], v[16:17], v38
	v_ldexp_f64 v[18:19], v[18:19], v38
	v_add_f64 v[38:39], v[16:17], -1.0
	v_add_f64 v[44:45], v[16:17], 1.0
	v_add_f64 v[40:41], v[38:39], 1.0
	v_add_f64 v[46:47], v[44:45], -1.0
	v_add_f64 v[40:41], v[16:17], -v[40:41]
	v_add_f64 v[16:17], v[16:17], -v[46:47]
	v_add_f64 v[16:17], v[18:19], v[16:17]
	v_add_f64 v[40:41], v[18:19], v[40:41]
	;; [unrolled: 1-line block ×3, first 2 shown]
	v_rcp_f64_e32 v[46:47], v[18:19]
	v_add_f64 v[42:43], v[38:39], v[40:41]
	v_add_f64 v[38:39], v[42:43], -v[38:39]
	v_add_f64 v[38:39], v[40:41], -v[38:39]
	;; [unrolled: 1-line block ×4, first 2 shown]
	v_fma_f64 v[40:41], -v[18:19], v[46:47], 1.0
	v_fmac_f64_e32 v[46:47], v[40:41], v[46:47]
	v_fma_f64 v[40:41], -v[18:19], v[46:47], 1.0
	v_fmac_f64_e32 v[46:47], v[40:41], v[46:47]
	v_mul_f64 v[40:41], v[42:43], v[46:47]
	v_mul_f64 v[44:45], v[18:19], v[40:41]
	v_fma_f64 v[48:49], v[40:41], v[18:19], -v[44:45]
	v_fmac_f64_e32 v[48:49], v[40:41], v[16:17]
	v_add_f64 v[50:51], v[44:45], v[48:49]
	v_add_f64 v[52:53], v[42:43], -v[50:51]
	v_add_f64 v[42:43], v[42:43], -v[52:53]
	;; [unrolled: 1-line block ×4, first 2 shown]
	v_add_f64 v[38:39], v[38:39], v[42:43]
	v_add_f64 v[42:43], v[44:45], -v[48:49]
	v_add_f64 v[38:39], v[42:43], v[38:39]
	v_add_f64 v[42:43], v[52:53], v[38:39]
	v_add_f64 v[44:45], v[52:53], -v[42:43]
	v_add_f64 v[38:39], v[38:39], v[44:45]
	v_mul_f64 v[44:45], v[46:47], v[42:43]
	v_mul_f64 v[48:49], v[18:19], v[44:45]
	v_fma_f64 v[18:19], v[44:45], v[18:19], -v[48:49]
	v_fmac_f64_e32 v[18:19], v[44:45], v[16:17]
	v_add_f64 v[16:17], v[48:49], v[18:19]
	v_add_f64 v[50:51], v[42:43], -v[16:17]
	v_add_f64 v[42:43], v[42:43], -v[50:51]
	;; [unrolled: 1-line block ×4, first 2 shown]
	v_add_f64 v[16:17], v[38:39], v[16:17]
	v_add_f64 v[18:19], v[48:49], -v[18:19]
	v_add_f64 v[16:17], v[18:19], v[16:17]
	v_add_f64 v[18:19], v[40:41], v[44:45]
	v_add_f64 v[16:17], v[50:51], v[16:17]
	v_add_f64 v[38:39], v[18:19], -v[40:41]
	v_mul_f64 v[16:17], v[46:47], v[16:17]
	v_add_f64 v[38:39], v[44:45], -v[38:39]
	v_add_f64 v[16:17], v[38:39], v[16:17]
	v_add_f64 v[38:39], v[18:19], v[16:17]
	v_add_f64 v[18:19], v[38:39], -v[18:19]
	s_mov_b32 s6, 0xbf559e2b
	v_add_f64 v[16:17], v[16:17], -v[18:19]
	v_mul_f64 v[18:19], v[38:39], v[38:39]
	v_mov_b32_e32 v40, 0x6b47b09a
	v_mov_b32_e32 v41, 0x3fc38538
	s_mov_b32 s7, 0x3fc3ab76
	v_fmac_f64_e32 v[40:41], s[6:7], v[18:19]
	v_mov_b32_e32 v42, 0xd7f4df2e
	v_mov_b32_e32 v43, 0x3fc7474d
	v_fmac_f64_e32 v[42:43], v[18:19], v[40:41]
	v_mov_b32_e32 v40, 0x16291751
	v_mov_b32_e32 v41, 0x3fcc71c0
	;; [unrolled: 3-line block ×5, first 2 shown]
	v_fmac_f64_e32 v[42:43], v[18:19], v[40:41]
	v_cvt_f64_i32_e32 v[40:41], v54
	v_mul_f64 v[44:45], v[40:41], s[16:17]
	v_fma_f64 v[46:47], v[40:41], s[16:17], -v[44:45]
	v_fmac_f64_e32 v[46:47], s[18:19], v[40:41]
	v_add_f64 v[40:41], v[44:45], v[46:47]
	v_add_f64 v[44:45], v[40:41], -v[44:45]
	v_mul_f64 v[18:19], v[38:39], v[18:19]
	v_add_f64 v[44:45], v[46:47], -v[44:45]
	v_ldexp_f64 v[46:47], v[38:39], 1
	v_mul_f64 v[18:19], v[18:19], v[42:43]
	v_add_f64 v[38:39], v[46:47], v[18:19]
	v_add_f64 v[42:43], v[38:39], -v[46:47]
	v_ldexp_f64 v[16:17], v[16:17], 1
	v_add_f64 v[18:19], v[18:19], -v[42:43]
	v_add_f64 v[16:17], v[16:17], v[18:19]
	v_add_f64 v[18:19], v[38:39], v[16:17]
	v_add_f64 v[38:39], v[18:19], -v[38:39]
	v_add_f64 v[16:17], v[16:17], -v[38:39]
	v_add_f64 v[38:39], v[40:41], v[18:19]
	v_add_f64 v[42:43], v[38:39], -v[40:41]
	v_add_f64 v[46:47], v[38:39], -v[42:43]
	;; [unrolled: 1-line block ×4, first 2 shown]
	v_add_f64 v[18:19], v[18:19], v[40:41]
	v_add_f64 v[40:41], v[44:45], v[16:17]
	v_add_f64 v[42:43], v[40:41], -v[44:45]
	v_add_f64 v[18:19], v[40:41], v[18:19]
	v_add_f64 v[46:47], v[40:41], -v[42:43]
	;; [unrolled: 2-line block ×3, first 2 shown]
	v_add_f64 v[16:17], v[16:17], -v[42:43]
	v_add_f64 v[38:39], v[40:41], -v[38:39]
	v_add_f64 v[16:17], v[16:17], v[44:45]
	v_add_f64 v[18:19], v[18:19], -v[38:39]
	s_mov_b32 s6, 0
	v_add_f64 v[16:17], v[16:17], v[18:19]
	s_mov_b32 s7, 0x7ff00000
	v_add_f64 v[16:17], v[40:41], v[16:17]
	v_cmp_neq_f64_e64 s[6:7], s[6:7], v[10:11]
	v_mov_b32_e32 v18, 0x7ff80000
	s_nop 0
	v_cndmask_b32_e64 v17, v31, v17, s[6:7]
	v_cndmask_b32_e64 v17, v18, v17, s[8:9]
	v_cmp_nge_f64_e64 s[8:9], -1.0, v[10:11]
	s_and_b64 s[6:7], s[8:9], s[6:7]
	v_cndmask_b32_e64 v16, 0, v16, s[6:7]
	v_mov_b32_e32 v18, 0xfff00000
	v_cmp_neq_f64_e64 s[6:7], -1.0, v[10:11]
	s_nop 1
	v_cndmask_b32_e64 v17, v18, v17, s[6:7]
	v_add_f64 v[38:39], v[8:9], v[16:17]
.LBB1_168:
	s_or_b64 exec, exec, s[14:15]
	v_max_f64 v[16:17], v[22:23], v[22:23]
	v_max_f64 v[8:9], v[38:39], v[38:39]
	v_min_f64 v[10:11], v[8:9], v[16:17]
	v_cmp_u_f64_e64 s[8:9], v[38:39], v[38:39]
	v_max_f64 v[8:9], v[8:9], v[16:17]
	v_cmp_u_f64_e64 s[6:7], v[22:23], v[22:23]
	v_cndmask_b32_e64 v10, v10, v38, s[8:9]
	v_cndmask_b32_e64 v11, v11, v39, s[8:9]
	;; [unrolled: 1-line block ×8, first 2 shown]
	v_cmp_neq_f64_e64 s[8:9], v[10:11], v[8:9]
	v_cmp_class_f64_e64 s[14:15], v[10:11], s20
	s_or_b64 s[8:9], s[8:9], s[14:15]
	s_and_saveexec_b64 s[16:17], s[8:9]
	s_cbranch_execz .LBB1_170
; %bb.169:
	s_mov_b32 s8, 0x652b82fe
	v_add_f64 v[10:11], v[10:11], -v[8:9]
	s_mov_b32 s9, 0x3ff71547
	v_mul_f64 v[18:19], v[10:11], s[8:9]
	v_rndne_f64_e32 v[18:19], v[18:19]
	s_mov_b32 s19, 0xbfe62e42
	s_mov_b32 s18, 0xfefa39ef
	v_fma_f64 v[38:39], s[18:19], v[18:19], v[10:11]
	s_mov_b32 s21, 0xbc7abc9e
	s_mov_b32 s20, 0x3b39803f
	;; [unrolled: 1-line block ×3, first 2 shown]
	v_fmac_f64_e32 v[38:39], s[20:21], v[18:19]
	v_mov_b32_e32 v40, 0xfca7ab0c
	v_mov_b32_e32 v41, 0x3e928af3
	s_mov_b32 s9, 0x3e5ade15
	v_fmac_f64_e32 v[40:41], s[8:9], v[38:39]
	v_mov_b32_e32 v42, 0x623fde64
	v_mov_b32_e32 v43, 0x3ec71dee
	v_fmac_f64_e32 v[42:43], v[38:39], v[40:41]
	v_mov_b32_e32 v40, 0x7c89e6b0
	v_mov_b32_e32 v41, 0x3efa0199
	;; [unrolled: 3-line block ×8, first 2 shown]
	v_fmac_f64_e32 v[40:41], v[38:39], v[42:43]
	v_fma_f64 v[40:41], v[38:39], v[40:41], 1.0
	s_mov_b32 s8, 0
	s_mov_b32 s14, 0
	v_fma_f64 v[38:39], v[38:39], v[40:41], 1.0
	v_cvt_i32_f64_e32 v18, v[18:19]
	s_mov_b32 s9, 0x40900000
	s_mov_b32 s15, 0xc090cc00
	v_ldexp_f64 v[18:19], v[38:39], v18
	v_mov_b32_e32 v31, 0x7ff00000
	v_cmp_nlt_f64_e64 s[8:9], s[8:9], v[10:11]
	v_cmp_ngt_f64_e64 s[14:15], s[14:15], v[10:11]
	s_mov_b32 s19, 0x3fe62e42
	v_cndmask_b32_e64 v19, v31, v19, s[8:9]
	s_and_b64 s[8:9], s[14:15], s[8:9]
	v_cndmask_b32_e64 v11, 0, v19, s[14:15]
	v_cndmask_b32_e64 v10, 0, v18, s[8:9]
	v_add_f64 v[18:19], v[10:11], 1.0
	v_add_f64 v[38:39], v[18:19], -1.0
	v_add_f64 v[40:41], v[38:39], -v[18:19]
	v_add_f64 v[40:41], v[40:41], 1.0
	v_add_f64 v[38:39], v[10:11], -v[38:39]
	s_mov_b32 s8, 0x55555555
	v_add_f64 v[38:39], v[38:39], v[40:41]
	v_frexp_mant_f64_e32 v[40:41], v[18:19]
	s_mov_b32 s9, 0x3fe55555
	v_frexp_exp_i32_f64_e32 v42, v[18:19]
	v_cmp_gt_f64_e64 s[8:9], s[8:9], v[40:41]
	s_mov_b32 s21, 0x3c7abc9e
	v_cmp_ngt_f64_e64 s[14:15], -1.0, v[10:11]
	v_subbrev_co_u32_e64 v56, s[8:9], 0, v42, s[8:9]
	v_sub_u32_e32 v40, 0, v56
	v_ldexp_f64 v[18:19], v[18:19], v40
	v_ldexp_f64 v[38:39], v[38:39], v40
	v_add_f64 v[40:41], v[18:19], -1.0
	v_add_f64 v[46:47], v[18:19], 1.0
	v_add_f64 v[42:43], v[40:41], 1.0
	v_add_f64 v[48:49], v[46:47], -1.0
	v_add_f64 v[42:43], v[18:19], -v[42:43]
	v_add_f64 v[18:19], v[18:19], -v[48:49]
	v_add_f64 v[18:19], v[38:39], v[18:19]
	v_add_f64 v[42:43], v[38:39], v[42:43]
	v_add_f64 v[38:39], v[46:47], v[18:19]
	v_rcp_f64_e32 v[48:49], v[38:39]
	v_add_f64 v[44:45], v[40:41], v[42:43]
	v_add_f64 v[40:41], v[44:45], -v[40:41]
	v_add_f64 v[40:41], v[42:43], -v[40:41]
	v_add_f64 v[42:43], v[38:39], -v[46:47]
	v_add_f64 v[18:19], v[18:19], -v[42:43]
	v_fma_f64 v[42:43], -v[38:39], v[48:49], 1.0
	v_fmac_f64_e32 v[48:49], v[42:43], v[48:49]
	v_fma_f64 v[42:43], -v[38:39], v[48:49], 1.0
	v_fmac_f64_e32 v[48:49], v[42:43], v[48:49]
	v_mul_f64 v[42:43], v[44:45], v[48:49]
	v_mul_f64 v[46:47], v[38:39], v[42:43]
	v_fma_f64 v[50:51], v[42:43], v[38:39], -v[46:47]
	v_fmac_f64_e32 v[50:51], v[42:43], v[18:19]
	v_add_f64 v[52:53], v[46:47], v[50:51]
	v_add_f64 v[54:55], v[44:45], -v[52:53]
	v_add_f64 v[44:45], v[44:45], -v[54:55]
	;; [unrolled: 1-line block ×4, first 2 shown]
	v_add_f64 v[40:41], v[40:41], v[44:45]
	v_add_f64 v[44:45], v[46:47], -v[50:51]
	v_add_f64 v[40:41], v[44:45], v[40:41]
	v_add_f64 v[44:45], v[54:55], v[40:41]
	v_add_f64 v[46:47], v[54:55], -v[44:45]
	v_add_f64 v[40:41], v[40:41], v[46:47]
	v_mul_f64 v[46:47], v[48:49], v[44:45]
	v_mul_f64 v[50:51], v[38:39], v[46:47]
	v_fma_f64 v[38:39], v[46:47], v[38:39], -v[50:51]
	v_fmac_f64_e32 v[38:39], v[46:47], v[18:19]
	v_add_f64 v[18:19], v[50:51], v[38:39]
	v_add_f64 v[52:53], v[44:45], -v[18:19]
	v_add_f64 v[44:45], v[44:45], -v[52:53]
	;; [unrolled: 1-line block ×4, first 2 shown]
	v_add_f64 v[18:19], v[40:41], v[18:19]
	v_add_f64 v[38:39], v[50:51], -v[38:39]
	v_add_f64 v[18:19], v[38:39], v[18:19]
	v_add_f64 v[38:39], v[42:43], v[46:47]
	;; [unrolled: 1-line block ×3, first 2 shown]
	v_add_f64 v[40:41], v[38:39], -v[42:43]
	v_mul_f64 v[18:19], v[48:49], v[18:19]
	v_add_f64 v[40:41], v[46:47], -v[40:41]
	v_add_f64 v[18:19], v[40:41], v[18:19]
	v_add_f64 v[40:41], v[38:39], v[18:19]
	v_add_f64 v[38:39], v[40:41], -v[38:39]
	s_mov_b32 s8, 0xbf559e2b
	v_add_f64 v[18:19], v[18:19], -v[38:39]
	v_mul_f64 v[38:39], v[40:41], v[40:41]
	v_mov_b32_e32 v42, 0x6b47b09a
	v_mov_b32_e32 v43, 0x3fc38538
	s_mov_b32 s9, 0x3fc3ab76
	v_fmac_f64_e32 v[42:43], s[8:9], v[38:39]
	v_mov_b32_e32 v44, 0xd7f4df2e
	v_mov_b32_e32 v45, 0x3fc7474d
	v_fmac_f64_e32 v[44:45], v[38:39], v[42:43]
	v_mov_b32_e32 v42, 0x16291751
	v_mov_b32_e32 v43, 0x3fcc71c0
	;; [unrolled: 3-line block ×5, first 2 shown]
	v_fmac_f64_e32 v[44:45], v[38:39], v[42:43]
	v_cvt_f64_i32_e32 v[42:43], v56
	v_mul_f64 v[46:47], v[42:43], s[18:19]
	v_fma_f64 v[48:49], v[42:43], s[18:19], -v[46:47]
	v_fmac_f64_e32 v[48:49], s[20:21], v[42:43]
	v_add_f64 v[42:43], v[46:47], v[48:49]
	v_add_f64 v[46:47], v[42:43], -v[46:47]
	v_mul_f64 v[38:39], v[40:41], v[38:39]
	v_add_f64 v[46:47], v[48:49], -v[46:47]
	v_ldexp_f64 v[48:49], v[40:41], 1
	v_mul_f64 v[38:39], v[38:39], v[44:45]
	v_add_f64 v[40:41], v[48:49], v[38:39]
	v_add_f64 v[44:45], v[40:41], -v[48:49]
	v_ldexp_f64 v[18:19], v[18:19], 1
	v_add_f64 v[38:39], v[38:39], -v[44:45]
	v_add_f64 v[18:19], v[18:19], v[38:39]
	v_add_f64 v[38:39], v[40:41], v[18:19]
	v_add_f64 v[40:41], v[38:39], -v[40:41]
	v_add_f64 v[18:19], v[18:19], -v[40:41]
	v_add_f64 v[40:41], v[42:43], v[38:39]
	v_add_f64 v[44:45], v[40:41], -v[42:43]
	v_add_f64 v[48:49], v[40:41], -v[44:45]
	;; [unrolled: 1-line block ×4, first 2 shown]
	v_add_f64 v[38:39], v[38:39], v[42:43]
	v_add_f64 v[42:43], v[46:47], v[18:19]
	v_add_f64 v[44:45], v[42:43], -v[46:47]
	v_add_f64 v[38:39], v[42:43], v[38:39]
	v_add_f64 v[48:49], v[42:43], -v[44:45]
	;; [unrolled: 2-line block ×3, first 2 shown]
	v_add_f64 v[18:19], v[18:19], -v[44:45]
	v_add_f64 v[40:41], v[42:43], -v[40:41]
	v_add_f64 v[18:19], v[18:19], v[46:47]
	v_add_f64 v[38:39], v[38:39], -v[40:41]
	s_mov_b32 s8, 0
	v_add_f64 v[18:19], v[18:19], v[38:39]
	s_mov_b32 s9, 0x7ff00000
	v_add_f64 v[18:19], v[42:43], v[18:19]
	v_cmp_neq_f64_e64 s[8:9], s[8:9], v[10:11]
	s_nop 1
	v_cndmask_b32_e64 v19, v31, v19, s[8:9]
	v_mov_b32_e32 v31, 0x7ff80000
	v_cndmask_b32_e64 v19, v31, v19, s[14:15]
	v_cmp_nge_f64_e64 s[14:15], -1.0, v[10:11]
	s_and_b64 s[8:9], s[14:15], s[8:9]
	v_cndmask_b32_e64 v18, 0, v18, s[8:9]
	v_mov_b32_e32 v31, 0xfff00000
	v_cmp_neq_f64_e64 s[8:9], -1.0, v[10:11]
	s_nop 1
	v_cndmask_b32_e64 v19, v31, v19, s[8:9]
	v_add_f64 v[38:39], v[8:9], v[18:19]
.LBB1_170:
	s_or_b64 exec, exec, s[16:17]
	v_max_f64 v[18:19], v[24:25], v[24:25]
	v_max_f64 v[8:9], v[38:39], v[38:39]
	v_min_f64 v[10:11], v[8:9], v[18:19]
	v_cmp_u_f64_e64 s[14:15], v[38:39], v[38:39]
	v_max_f64 v[8:9], v[8:9], v[18:19]
	v_cmp_u_f64_e64 s[8:9], v[24:25], v[24:25]
	v_cndmask_b32_e64 v10, v10, v38, s[14:15]
	v_cndmask_b32_e64 v11, v11, v39, s[14:15]
	;; [unrolled: 1-line block ×8, first 2 shown]
	s_movk_i32 s16, 0x1f8
	v_cmp_neq_f64_e64 s[14:15], v[10:11], v[8:9]
	v_cmp_class_f64_e64 s[16:17], v[10:11], s16
	s_or_b64 s[14:15], s[14:15], s[16:17]
	s_and_saveexec_b64 s[18:19], s[14:15]
	s_cbranch_execz .LBB1_172
; %bb.171:
	s_mov_b32 s14, 0x652b82fe
	v_add_f64 v[10:11], v[10:11], -v[8:9]
	s_mov_b32 s15, 0x3ff71547
	v_mul_f64 v[38:39], v[10:11], s[14:15]
	v_rndne_f64_e32 v[38:39], v[38:39]
	s_mov_b32 s21, 0xbfe62e42
	s_mov_b32 s20, 0xfefa39ef
	v_fma_f64 v[40:41], s[20:21], v[38:39], v[10:11]
	s_mov_b32 s23, 0xbc7abc9e
	s_mov_b32 s22, 0x3b39803f
	;; [unrolled: 1-line block ×3, first 2 shown]
	v_fmac_f64_e32 v[40:41], s[22:23], v[38:39]
	v_mov_b32_e32 v42, 0xfca7ab0c
	v_mov_b32_e32 v43, 0x3e928af3
	s_mov_b32 s15, 0x3e5ade15
	v_fmac_f64_e32 v[42:43], s[14:15], v[40:41]
	v_mov_b32_e32 v44, 0x623fde64
	v_mov_b32_e32 v45, 0x3ec71dee
	v_fmac_f64_e32 v[44:45], v[40:41], v[42:43]
	v_mov_b32_e32 v42, 0x7c89e6b0
	v_mov_b32_e32 v43, 0x3efa0199
	;; [unrolled: 3-line block ×8, first 2 shown]
	v_fmac_f64_e32 v[42:43], v[40:41], v[44:45]
	v_fma_f64 v[42:43], v[40:41], v[42:43], 1.0
	s_mov_b32 s14, 0
	s_mov_b32 s16, 0
	v_fma_f64 v[40:41], v[40:41], v[42:43], 1.0
	v_cvt_i32_f64_e32 v31, v[38:39]
	s_mov_b32 s15, 0x40900000
	s_mov_b32 s17, 0xc090cc00
	v_ldexp_f64 v[38:39], v[40:41], v31
	v_mov_b32_e32 v31, 0x7ff00000
	v_cmp_nlt_f64_e64 s[14:15], s[14:15], v[10:11]
	v_cmp_ngt_f64_e64 s[16:17], s[16:17], v[10:11]
	s_mov_b32 s21, 0x3fe62e42
	v_cndmask_b32_e64 v39, v31, v39, s[14:15]
	s_and_b64 s[14:15], s[16:17], s[14:15]
	v_cndmask_b32_e64 v11, 0, v39, s[16:17]
	v_cndmask_b32_e64 v10, 0, v38, s[14:15]
	v_add_f64 v[38:39], v[10:11], 1.0
	v_add_f64 v[40:41], v[38:39], -1.0
	v_add_f64 v[42:43], v[40:41], -v[38:39]
	v_add_f64 v[42:43], v[42:43], 1.0
	v_add_f64 v[40:41], v[10:11], -v[40:41]
	s_mov_b32 s14, 0x55555555
	v_add_f64 v[40:41], v[40:41], v[42:43]
	v_frexp_mant_f64_e32 v[42:43], v[38:39]
	s_mov_b32 s15, 0x3fe55555
	v_frexp_exp_i32_f64_e32 v44, v[38:39]
	v_cmp_gt_f64_e64 s[14:15], s[14:15], v[42:43]
	s_mov_b32 s23, 0x3c7abc9e
	v_cmp_ngt_f64_e64 s[16:17], -1.0, v[10:11]
	v_subbrev_co_u32_e64 v58, s[14:15], 0, v44, s[14:15]
	v_sub_u32_e32 v42, 0, v58
	v_ldexp_f64 v[38:39], v[38:39], v42
	v_ldexp_f64 v[40:41], v[40:41], v42
	v_add_f64 v[42:43], v[38:39], -1.0
	v_add_f64 v[48:49], v[38:39], 1.0
	v_add_f64 v[44:45], v[42:43], 1.0
	v_add_f64 v[50:51], v[48:49], -1.0
	v_add_f64 v[44:45], v[38:39], -v[44:45]
	v_add_f64 v[38:39], v[38:39], -v[50:51]
	v_add_f64 v[38:39], v[40:41], v[38:39]
	v_add_f64 v[44:45], v[40:41], v[44:45]
	;; [unrolled: 1-line block ×3, first 2 shown]
	v_rcp_f64_e32 v[50:51], v[40:41]
	v_add_f64 v[46:47], v[42:43], v[44:45]
	v_add_f64 v[42:43], v[46:47], -v[42:43]
	v_add_f64 v[42:43], v[44:45], -v[42:43]
	;; [unrolled: 1-line block ×4, first 2 shown]
	v_fma_f64 v[44:45], -v[40:41], v[50:51], 1.0
	v_fmac_f64_e32 v[50:51], v[44:45], v[50:51]
	v_fma_f64 v[44:45], -v[40:41], v[50:51], 1.0
	v_fmac_f64_e32 v[50:51], v[44:45], v[50:51]
	v_mul_f64 v[44:45], v[46:47], v[50:51]
	v_mul_f64 v[48:49], v[40:41], v[44:45]
	v_fma_f64 v[52:53], v[44:45], v[40:41], -v[48:49]
	v_fmac_f64_e32 v[52:53], v[44:45], v[38:39]
	v_add_f64 v[54:55], v[48:49], v[52:53]
	v_add_f64 v[56:57], v[46:47], -v[54:55]
	v_add_f64 v[46:47], v[46:47], -v[56:57]
	;; [unrolled: 1-line block ×4, first 2 shown]
	v_add_f64 v[42:43], v[42:43], v[46:47]
	v_add_f64 v[46:47], v[48:49], -v[52:53]
	v_add_f64 v[42:43], v[46:47], v[42:43]
	v_add_f64 v[46:47], v[56:57], v[42:43]
	v_add_f64 v[48:49], v[56:57], -v[46:47]
	v_add_f64 v[42:43], v[42:43], v[48:49]
	v_mul_f64 v[48:49], v[50:51], v[46:47]
	v_mul_f64 v[52:53], v[40:41], v[48:49]
	v_fma_f64 v[40:41], v[48:49], v[40:41], -v[52:53]
	v_fmac_f64_e32 v[40:41], v[48:49], v[38:39]
	v_add_f64 v[38:39], v[52:53], v[40:41]
	v_add_f64 v[54:55], v[46:47], -v[38:39]
	v_add_f64 v[46:47], v[46:47], -v[54:55]
	v_add_f64 v[52:53], v[38:39], -v[52:53]
	v_add_f64 v[38:39], v[46:47], -v[38:39]
	v_add_f64 v[38:39], v[42:43], v[38:39]
	v_add_f64 v[40:41], v[52:53], -v[40:41]
	v_add_f64 v[38:39], v[40:41], v[38:39]
	v_add_f64 v[40:41], v[44:45], v[48:49]
	;; [unrolled: 1-line block ×3, first 2 shown]
	v_add_f64 v[42:43], v[40:41], -v[44:45]
	v_mul_f64 v[38:39], v[50:51], v[38:39]
	v_add_f64 v[42:43], v[48:49], -v[42:43]
	v_add_f64 v[38:39], v[42:43], v[38:39]
	v_add_f64 v[42:43], v[40:41], v[38:39]
	v_add_f64 v[40:41], v[42:43], -v[40:41]
	s_mov_b32 s14, 0xbf559e2b
	v_add_f64 v[38:39], v[38:39], -v[40:41]
	v_mul_f64 v[40:41], v[42:43], v[42:43]
	v_mov_b32_e32 v44, 0x6b47b09a
	v_mov_b32_e32 v45, 0x3fc38538
	s_mov_b32 s15, 0x3fc3ab76
	v_fmac_f64_e32 v[44:45], s[14:15], v[40:41]
	v_mov_b32_e32 v46, 0xd7f4df2e
	v_mov_b32_e32 v47, 0x3fc7474d
	v_fmac_f64_e32 v[46:47], v[40:41], v[44:45]
	v_mov_b32_e32 v44, 0x16291751
	v_mov_b32_e32 v45, 0x3fcc71c0
	;; [unrolled: 3-line block ×5, first 2 shown]
	v_fmac_f64_e32 v[46:47], v[40:41], v[44:45]
	v_cvt_f64_i32_e32 v[44:45], v58
	v_mul_f64 v[48:49], v[44:45], s[20:21]
	v_fma_f64 v[50:51], v[44:45], s[20:21], -v[48:49]
	v_fmac_f64_e32 v[50:51], s[22:23], v[44:45]
	v_add_f64 v[44:45], v[48:49], v[50:51]
	v_add_f64 v[48:49], v[44:45], -v[48:49]
	v_mul_f64 v[40:41], v[42:43], v[40:41]
	v_add_f64 v[48:49], v[50:51], -v[48:49]
	v_ldexp_f64 v[50:51], v[42:43], 1
	v_mul_f64 v[40:41], v[40:41], v[46:47]
	v_add_f64 v[42:43], v[50:51], v[40:41]
	v_add_f64 v[46:47], v[42:43], -v[50:51]
	v_ldexp_f64 v[38:39], v[38:39], 1
	v_add_f64 v[40:41], v[40:41], -v[46:47]
	v_add_f64 v[38:39], v[38:39], v[40:41]
	v_add_f64 v[40:41], v[42:43], v[38:39]
	v_add_f64 v[42:43], v[40:41], -v[42:43]
	v_add_f64 v[38:39], v[38:39], -v[42:43]
	v_add_f64 v[42:43], v[44:45], v[40:41]
	v_add_f64 v[46:47], v[42:43], -v[44:45]
	v_add_f64 v[50:51], v[42:43], -v[46:47]
	;; [unrolled: 1-line block ×4, first 2 shown]
	v_add_f64 v[40:41], v[40:41], v[44:45]
	v_add_f64 v[44:45], v[48:49], v[38:39]
	v_add_f64 v[46:47], v[44:45], -v[48:49]
	v_add_f64 v[40:41], v[44:45], v[40:41]
	v_add_f64 v[50:51], v[44:45], -v[46:47]
	;; [unrolled: 2-line block ×3, first 2 shown]
	v_add_f64 v[38:39], v[38:39], -v[46:47]
	v_add_f64 v[42:43], v[44:45], -v[42:43]
	v_add_f64 v[38:39], v[38:39], v[48:49]
	v_add_f64 v[40:41], v[40:41], -v[42:43]
	s_mov_b32 s14, 0
	v_add_f64 v[38:39], v[38:39], v[40:41]
	s_mov_b32 s15, 0x7ff00000
	v_add_f64 v[38:39], v[44:45], v[38:39]
	v_cmp_neq_f64_e64 s[14:15], s[14:15], v[10:11]
	s_nop 1
	v_cndmask_b32_e64 v31, v31, v39, s[14:15]
	v_mov_b32_e32 v39, 0x7ff80000
	v_cndmask_b32_e64 v31, v39, v31, s[16:17]
	v_cmp_nge_f64_e64 s[16:17], -1.0, v[10:11]
	s_and_b64 s[14:15], s[16:17], s[14:15]
	v_cndmask_b32_e64 v38, 0, v38, s[14:15]
	v_mov_b32_e32 v39, 0xfff00000
	v_cmp_neq_f64_e64 s[14:15], -1.0, v[10:11]
	s_nop 1
	v_cndmask_b32_e64 v39, v39, v31, s[14:15]
	v_add_f64 v[38:39], v[8:9], v[38:39]
.LBB1_172:
	s_or_b64 exec, exec, s[18:19]
	v_lshrrev_b32_e32 v8, 2, v0
	v_and_b32_e32 v8, 56, v8
	v_lshl_add_u32 v8, v0, 3, v8
	v_cmp_gt_u32_e64 s[14:15], 64, v0
	ds_write_b64 v8, v[38:39]
	s_waitcnt lgkmcnt(0)
	s_barrier
	s_and_saveexec_b64 s[20:21], s[14:15]
	s_cbranch_execz .LBB1_212
; %bb.173:
	v_and_b32_e32 v8, 0xf8, v0
	v_lshlrev_b32_e32 v9, 5, v0
	v_add_u32_e32 v31, v8, v9
	ds_read2_b64 v[8:11], v31 offset1:1
	s_movk_i32 s44, 0x1f8
	s_waitcnt lgkmcnt(0)
	v_max_f64 v[42:43], v[10:11], v[10:11]
	v_max_f64 v[40:41], v[8:9], v[8:9]
	v_min_f64 v[44:45], v[40:41], v[42:43]
	v_cmp_u_f64_e64 s[14:15], v[8:9], v[8:9]
	v_max_f64 v[42:43], v[40:41], v[42:43]
	v_cmp_u_f64_e64 s[16:17], v[10:11], v[10:11]
	v_cndmask_b32_e64 v44, v44, v8, s[14:15]
	v_cndmask_b32_e64 v45, v45, v9, s[14:15]
	;; [unrolled: 1-line block ×8, first 2 shown]
	v_cmp_neq_f64_e64 s[16:17], v[44:45], v[42:43]
	v_cmp_class_f64_e64 s[18:19], v[44:45], s44
	s_or_b64 s[16:17], s[16:17], s[18:19]
	v_mov_b64_e32 v[10:11], v[8:9]
	s_and_saveexec_b64 s[22:23], s[16:17]
	s_cbranch_execz .LBB1_175
; %bb.174:
	s_mov_b32 s16, 0x652b82fe
	v_add_f64 v[10:11], v[44:45], -v[42:43]
	s_mov_b32 s17, 0x3ff71547
	v_mul_f64 v[44:45], v[10:11], s[16:17]
	v_rndne_f64_e32 v[44:45], v[44:45]
	s_mov_b32 s37, 0xbfe62e42
	s_mov_b32 s36, 0xfefa39ef
	v_fma_f64 v[46:47], s[36:37], v[44:45], v[10:11]
	s_mov_b32 s41, 0xbc7abc9e
	s_mov_b32 s40, 0x3b39803f
	s_mov_b32 s16, 0x6a5dcb37
	v_fmac_f64_e32 v[46:47], s[40:41], v[44:45]
	v_mov_b32_e32 v48, 0xfca7ab0c
	v_mov_b32_e32 v49, 0x3e928af3
	s_mov_b32 s17, 0x3e5ade15
	v_fmac_f64_e32 v[48:49], s[16:17], v[46:47]
	v_mov_b32_e32 v50, 0x623fde64
	v_mov_b32_e32 v51, 0x3ec71dee
	v_fmac_f64_e32 v[50:51], v[46:47], v[48:49]
	v_mov_b32_e32 v48, 0x7c89e6b0
	v_mov_b32_e32 v49, 0x3efa0199
	;; [unrolled: 3-line block ×8, first 2 shown]
	v_fmac_f64_e32 v[48:49], v[46:47], v[50:51]
	v_fma_f64 v[48:49], v[46:47], v[48:49], 1.0
	s_mov_b32 s16, 0
	s_mov_b32 s18, 0
	v_fma_f64 v[46:47], v[46:47], v[48:49], 1.0
	v_cvt_i32_f64_e32 v44, v[44:45]
	s_mov_b32 s17, 0x40900000
	s_mov_b32 s19, 0xc090cc00
	v_ldexp_f64 v[44:45], v[46:47], v44
	v_mov_b32_e32 v64, 0x7ff00000
	v_cmp_nlt_f64_e64 s[16:17], s[16:17], v[10:11]
	v_cmp_ngt_f64_e64 s[18:19], s[18:19], v[10:11]
	s_mov_b32 s37, 0x3fe62e42
	v_cndmask_b32_e64 v45, v64, v45, s[16:17]
	s_and_b64 s[16:17], s[18:19], s[16:17]
	v_cndmask_b32_e64 v11, 0, v45, s[18:19]
	v_cndmask_b32_e64 v10, 0, v44, s[16:17]
	v_add_f64 v[44:45], v[10:11], 1.0
	v_add_f64 v[46:47], v[44:45], -1.0
	v_add_f64 v[48:49], v[46:47], -v[44:45]
	v_add_f64 v[48:49], v[48:49], 1.0
	v_add_f64 v[46:47], v[10:11], -v[46:47]
	s_mov_b32 s16, 0x55555555
	v_add_f64 v[46:47], v[46:47], v[48:49]
	v_frexp_mant_f64_e32 v[48:49], v[44:45]
	s_mov_b32 s17, 0x3fe55555
	v_frexp_exp_i32_f64_e32 v50, v[44:45]
	v_cmp_gt_f64_e64 s[16:17], s[16:17], v[48:49]
	s_mov_b32 s41, 0x3c7abc9e
	v_cmp_ngt_f64_e64 s[18:19], -1.0, v[10:11]
	v_subbrev_co_u32_e64 v65, s[16:17], 0, v50, s[16:17]
	v_sub_u32_e32 v48, 0, v65
	v_ldexp_f64 v[44:45], v[44:45], v48
	v_ldexp_f64 v[46:47], v[46:47], v48
	v_add_f64 v[48:49], v[44:45], -1.0
	v_add_f64 v[54:55], v[44:45], 1.0
	v_add_f64 v[50:51], v[48:49], 1.0
	v_add_f64 v[56:57], v[54:55], -1.0
	v_add_f64 v[50:51], v[44:45], -v[50:51]
	v_add_f64 v[44:45], v[44:45], -v[56:57]
	v_add_f64 v[44:45], v[46:47], v[44:45]
	v_add_f64 v[50:51], v[46:47], v[50:51]
	;; [unrolled: 1-line block ×3, first 2 shown]
	v_rcp_f64_e32 v[56:57], v[46:47]
	v_add_f64 v[52:53], v[48:49], v[50:51]
	v_add_f64 v[48:49], v[52:53], -v[48:49]
	v_add_f64 v[48:49], v[50:51], -v[48:49]
	;; [unrolled: 1-line block ×4, first 2 shown]
	v_fma_f64 v[50:51], -v[46:47], v[56:57], 1.0
	v_fmac_f64_e32 v[56:57], v[50:51], v[56:57]
	v_fma_f64 v[50:51], -v[46:47], v[56:57], 1.0
	v_fmac_f64_e32 v[56:57], v[50:51], v[56:57]
	v_mul_f64 v[50:51], v[52:53], v[56:57]
	v_mul_f64 v[54:55], v[46:47], v[50:51]
	v_fma_f64 v[58:59], v[50:51], v[46:47], -v[54:55]
	v_fmac_f64_e32 v[58:59], v[50:51], v[44:45]
	v_add_f64 v[60:61], v[54:55], v[58:59]
	v_add_f64 v[62:63], v[52:53], -v[60:61]
	v_add_f64 v[52:53], v[52:53], -v[62:63]
	;; [unrolled: 1-line block ×4, first 2 shown]
	v_add_f64 v[48:49], v[48:49], v[52:53]
	v_add_f64 v[52:53], v[54:55], -v[58:59]
	v_add_f64 v[48:49], v[52:53], v[48:49]
	v_add_f64 v[52:53], v[62:63], v[48:49]
	v_add_f64 v[54:55], v[62:63], -v[52:53]
	v_add_f64 v[48:49], v[48:49], v[54:55]
	v_mul_f64 v[54:55], v[56:57], v[52:53]
	v_mul_f64 v[58:59], v[46:47], v[54:55]
	v_fma_f64 v[46:47], v[54:55], v[46:47], -v[58:59]
	v_fmac_f64_e32 v[46:47], v[54:55], v[44:45]
	v_add_f64 v[44:45], v[58:59], v[46:47]
	v_add_f64 v[60:61], v[52:53], -v[44:45]
	v_add_f64 v[52:53], v[52:53], -v[60:61]
	;; [unrolled: 1-line block ×4, first 2 shown]
	v_add_f64 v[44:45], v[48:49], v[44:45]
	v_add_f64 v[46:47], v[58:59], -v[46:47]
	v_add_f64 v[44:45], v[46:47], v[44:45]
	v_add_f64 v[46:47], v[50:51], v[54:55]
	;; [unrolled: 1-line block ×3, first 2 shown]
	v_add_f64 v[48:49], v[46:47], -v[50:51]
	v_mul_f64 v[44:45], v[56:57], v[44:45]
	v_add_f64 v[48:49], v[54:55], -v[48:49]
	v_add_f64 v[44:45], v[48:49], v[44:45]
	v_add_f64 v[48:49], v[46:47], v[44:45]
	v_add_f64 v[46:47], v[48:49], -v[46:47]
	s_mov_b32 s16, 0xbf559e2b
	v_add_f64 v[44:45], v[44:45], -v[46:47]
	v_mul_f64 v[46:47], v[48:49], v[48:49]
	v_mov_b32_e32 v50, 0x6b47b09a
	v_mov_b32_e32 v51, 0x3fc38538
	s_mov_b32 s17, 0x3fc3ab76
	v_fmac_f64_e32 v[50:51], s[16:17], v[46:47]
	v_mov_b32_e32 v52, 0xd7f4df2e
	v_mov_b32_e32 v53, 0x3fc7474d
	v_fmac_f64_e32 v[52:53], v[46:47], v[50:51]
	v_mov_b32_e32 v50, 0x16291751
	v_mov_b32_e32 v51, 0x3fcc71c0
	;; [unrolled: 3-line block ×5, first 2 shown]
	v_fmac_f64_e32 v[52:53], v[46:47], v[50:51]
	v_cvt_f64_i32_e32 v[50:51], v65
	v_mul_f64 v[54:55], v[50:51], s[36:37]
	v_fma_f64 v[56:57], v[50:51], s[36:37], -v[54:55]
	v_fmac_f64_e32 v[56:57], s[40:41], v[50:51]
	v_add_f64 v[50:51], v[54:55], v[56:57]
	v_add_f64 v[54:55], v[50:51], -v[54:55]
	v_mul_f64 v[46:47], v[48:49], v[46:47]
	v_add_f64 v[54:55], v[56:57], -v[54:55]
	v_ldexp_f64 v[56:57], v[48:49], 1
	v_mul_f64 v[46:47], v[46:47], v[52:53]
	v_add_f64 v[48:49], v[56:57], v[46:47]
	v_add_f64 v[52:53], v[48:49], -v[56:57]
	v_ldexp_f64 v[44:45], v[44:45], 1
	v_add_f64 v[46:47], v[46:47], -v[52:53]
	v_add_f64 v[44:45], v[44:45], v[46:47]
	v_add_f64 v[46:47], v[48:49], v[44:45]
	v_add_f64 v[48:49], v[46:47], -v[48:49]
	v_add_f64 v[44:45], v[44:45], -v[48:49]
	v_add_f64 v[48:49], v[50:51], v[46:47]
	v_add_f64 v[52:53], v[48:49], -v[50:51]
	v_add_f64 v[56:57], v[48:49], -v[52:53]
	;; [unrolled: 1-line block ×4, first 2 shown]
	v_add_f64 v[46:47], v[46:47], v[50:51]
	v_add_f64 v[50:51], v[54:55], v[44:45]
	v_add_f64 v[52:53], v[50:51], -v[54:55]
	v_add_f64 v[46:47], v[50:51], v[46:47]
	v_add_f64 v[56:57], v[50:51], -v[52:53]
	;; [unrolled: 2-line block ×3, first 2 shown]
	v_add_f64 v[44:45], v[44:45], -v[52:53]
	v_add_f64 v[48:49], v[50:51], -v[48:49]
	v_add_f64 v[44:45], v[44:45], v[54:55]
	v_add_f64 v[46:47], v[46:47], -v[48:49]
	s_mov_b32 s16, 0
	v_add_f64 v[44:45], v[44:45], v[46:47]
	s_mov_b32 s17, 0x7ff00000
	v_add_f64 v[44:45], v[50:51], v[44:45]
	v_cmp_neq_f64_e64 s[16:17], s[16:17], v[10:11]
	v_mov_b32_e32 v46, 0x7ff80000
	s_nop 0
	v_cndmask_b32_e64 v45, v64, v45, s[16:17]
	v_cndmask_b32_e64 v45, v46, v45, s[18:19]
	v_cmp_nge_f64_e64 s[18:19], -1.0, v[10:11]
	s_and_b64 s[16:17], s[18:19], s[16:17]
	v_cndmask_b32_e64 v44, 0, v44, s[16:17]
	v_mov_b32_e32 v46, 0xfff00000
	v_cmp_neq_f64_e64 s[16:17], -1.0, v[10:11]
	s_nop 1
	v_cndmask_b32_e64 v45, v46, v45, s[16:17]
	v_add_f64 v[10:11], v[42:43], v[44:45]
.LBB1_175:
	s_or_b64 exec, exec, s[22:23]
	ds_read_b64 v[42:43], v31 offset:16
	v_max_f64 v[46:47], v[10:11], v[10:11]
	v_cmp_u_f64_e64 s[16:17], v[10:11], v[10:11]
	s_waitcnt lgkmcnt(0)
	v_max_f64 v[48:49], v[42:43], v[42:43]
	v_min_f64 v[44:45], v[46:47], v[48:49]
	v_max_f64 v[46:47], v[46:47], v[48:49]
	v_cndmask_b32_e64 v44, v44, v10, s[16:17]
	v_cndmask_b32_e64 v45, v45, v11, s[16:17]
	v_cmp_u_f64_e64 s[18:19], v[42:43], v[42:43]
	v_cndmask_b32_e64 v46, v46, v10, s[16:17]
	v_cndmask_b32_e64 v47, v47, v11, s[16:17]
	;; [unrolled: 1-line block ×6, first 2 shown]
	v_cmp_neq_f64_e64 s[16:17], v[44:45], v[42:43]
	v_cmp_class_f64_e64 s[18:19], v[44:45], s44
	s_or_b64 s[16:17], s[16:17], s[18:19]
	s_and_saveexec_b64 s[22:23], s[16:17]
	s_cbranch_execz .LBB1_177
; %bb.176:
	s_mov_b32 s16, 0x652b82fe
	v_add_f64 v[10:11], v[44:45], -v[42:43]
	s_mov_b32 s17, 0x3ff71547
	v_mul_f64 v[44:45], v[10:11], s[16:17]
	v_rndne_f64_e32 v[44:45], v[44:45]
	s_mov_b32 s37, 0xbfe62e42
	s_mov_b32 s36, 0xfefa39ef
	v_fma_f64 v[46:47], s[36:37], v[44:45], v[10:11]
	s_mov_b32 s41, 0xbc7abc9e
	s_mov_b32 s40, 0x3b39803f
	s_mov_b32 s16, 0x6a5dcb37
	v_fmac_f64_e32 v[46:47], s[40:41], v[44:45]
	v_mov_b32_e32 v48, 0xfca7ab0c
	v_mov_b32_e32 v49, 0x3e928af3
	s_mov_b32 s17, 0x3e5ade15
	v_fmac_f64_e32 v[48:49], s[16:17], v[46:47]
	v_mov_b32_e32 v50, 0x623fde64
	v_mov_b32_e32 v51, 0x3ec71dee
	v_fmac_f64_e32 v[50:51], v[46:47], v[48:49]
	v_mov_b32_e32 v48, 0x7c89e6b0
	v_mov_b32_e32 v49, 0x3efa0199
	;; [unrolled: 3-line block ×8, first 2 shown]
	v_fmac_f64_e32 v[48:49], v[46:47], v[50:51]
	v_fma_f64 v[48:49], v[46:47], v[48:49], 1.0
	s_mov_b32 s16, 0
	s_mov_b32 s18, 0
	v_fma_f64 v[46:47], v[46:47], v[48:49], 1.0
	v_cvt_i32_f64_e32 v44, v[44:45]
	s_mov_b32 s17, 0x40900000
	s_mov_b32 s19, 0xc090cc00
	v_ldexp_f64 v[44:45], v[46:47], v44
	v_mov_b32_e32 v64, 0x7ff00000
	v_cmp_nlt_f64_e64 s[16:17], s[16:17], v[10:11]
	v_cmp_ngt_f64_e64 s[18:19], s[18:19], v[10:11]
	s_mov_b32 s37, 0x3fe62e42
	v_cndmask_b32_e64 v45, v64, v45, s[16:17]
	s_and_b64 s[16:17], s[18:19], s[16:17]
	v_cndmask_b32_e64 v11, 0, v45, s[18:19]
	v_cndmask_b32_e64 v10, 0, v44, s[16:17]
	v_add_f64 v[44:45], v[10:11], 1.0
	v_add_f64 v[46:47], v[44:45], -1.0
	v_add_f64 v[48:49], v[46:47], -v[44:45]
	v_add_f64 v[48:49], v[48:49], 1.0
	v_add_f64 v[46:47], v[10:11], -v[46:47]
	s_mov_b32 s16, 0x55555555
	v_add_f64 v[46:47], v[46:47], v[48:49]
	v_frexp_mant_f64_e32 v[48:49], v[44:45]
	s_mov_b32 s17, 0x3fe55555
	v_frexp_exp_i32_f64_e32 v50, v[44:45]
	v_cmp_gt_f64_e64 s[16:17], s[16:17], v[48:49]
	s_mov_b32 s41, 0x3c7abc9e
	v_cmp_ngt_f64_e64 s[18:19], -1.0, v[10:11]
	v_subbrev_co_u32_e64 v65, s[16:17], 0, v50, s[16:17]
	v_sub_u32_e32 v48, 0, v65
	v_ldexp_f64 v[44:45], v[44:45], v48
	v_ldexp_f64 v[46:47], v[46:47], v48
	v_add_f64 v[48:49], v[44:45], -1.0
	v_add_f64 v[54:55], v[44:45], 1.0
	v_add_f64 v[50:51], v[48:49], 1.0
	v_add_f64 v[56:57], v[54:55], -1.0
	v_add_f64 v[50:51], v[44:45], -v[50:51]
	v_add_f64 v[44:45], v[44:45], -v[56:57]
	v_add_f64 v[44:45], v[46:47], v[44:45]
	v_add_f64 v[50:51], v[46:47], v[50:51]
	;; [unrolled: 1-line block ×3, first 2 shown]
	v_rcp_f64_e32 v[56:57], v[46:47]
	v_add_f64 v[52:53], v[48:49], v[50:51]
	v_add_f64 v[48:49], v[52:53], -v[48:49]
	v_add_f64 v[48:49], v[50:51], -v[48:49]
	;; [unrolled: 1-line block ×4, first 2 shown]
	v_fma_f64 v[50:51], -v[46:47], v[56:57], 1.0
	v_fmac_f64_e32 v[56:57], v[50:51], v[56:57]
	v_fma_f64 v[50:51], -v[46:47], v[56:57], 1.0
	v_fmac_f64_e32 v[56:57], v[50:51], v[56:57]
	v_mul_f64 v[50:51], v[52:53], v[56:57]
	v_mul_f64 v[54:55], v[46:47], v[50:51]
	v_fma_f64 v[58:59], v[50:51], v[46:47], -v[54:55]
	v_fmac_f64_e32 v[58:59], v[50:51], v[44:45]
	v_add_f64 v[60:61], v[54:55], v[58:59]
	v_add_f64 v[62:63], v[52:53], -v[60:61]
	v_add_f64 v[52:53], v[52:53], -v[62:63]
	;; [unrolled: 1-line block ×4, first 2 shown]
	v_add_f64 v[48:49], v[48:49], v[52:53]
	v_add_f64 v[52:53], v[54:55], -v[58:59]
	v_add_f64 v[48:49], v[52:53], v[48:49]
	v_add_f64 v[52:53], v[62:63], v[48:49]
	v_add_f64 v[54:55], v[62:63], -v[52:53]
	v_add_f64 v[48:49], v[48:49], v[54:55]
	v_mul_f64 v[54:55], v[56:57], v[52:53]
	v_mul_f64 v[58:59], v[46:47], v[54:55]
	v_fma_f64 v[46:47], v[54:55], v[46:47], -v[58:59]
	v_fmac_f64_e32 v[46:47], v[54:55], v[44:45]
	v_add_f64 v[44:45], v[58:59], v[46:47]
	v_add_f64 v[60:61], v[52:53], -v[44:45]
	v_add_f64 v[52:53], v[52:53], -v[60:61]
	;; [unrolled: 1-line block ×4, first 2 shown]
	v_add_f64 v[44:45], v[48:49], v[44:45]
	v_add_f64 v[46:47], v[58:59], -v[46:47]
	v_add_f64 v[44:45], v[46:47], v[44:45]
	v_add_f64 v[46:47], v[50:51], v[54:55]
	;; [unrolled: 1-line block ×3, first 2 shown]
	v_add_f64 v[48:49], v[46:47], -v[50:51]
	v_mul_f64 v[44:45], v[56:57], v[44:45]
	v_add_f64 v[48:49], v[54:55], -v[48:49]
	v_add_f64 v[44:45], v[48:49], v[44:45]
	v_add_f64 v[48:49], v[46:47], v[44:45]
	v_add_f64 v[46:47], v[48:49], -v[46:47]
	s_mov_b32 s16, 0xbf559e2b
	v_add_f64 v[44:45], v[44:45], -v[46:47]
	v_mul_f64 v[46:47], v[48:49], v[48:49]
	v_mov_b32_e32 v50, 0x6b47b09a
	v_mov_b32_e32 v51, 0x3fc38538
	s_mov_b32 s17, 0x3fc3ab76
	v_fmac_f64_e32 v[50:51], s[16:17], v[46:47]
	v_mov_b32_e32 v52, 0xd7f4df2e
	v_mov_b32_e32 v53, 0x3fc7474d
	v_fmac_f64_e32 v[52:53], v[46:47], v[50:51]
	v_mov_b32_e32 v50, 0x16291751
	v_mov_b32_e32 v51, 0x3fcc71c0
	;; [unrolled: 3-line block ×5, first 2 shown]
	v_fmac_f64_e32 v[52:53], v[46:47], v[50:51]
	v_cvt_f64_i32_e32 v[50:51], v65
	v_mul_f64 v[54:55], v[50:51], s[36:37]
	v_fma_f64 v[56:57], v[50:51], s[36:37], -v[54:55]
	v_fmac_f64_e32 v[56:57], s[40:41], v[50:51]
	v_add_f64 v[50:51], v[54:55], v[56:57]
	v_add_f64 v[54:55], v[50:51], -v[54:55]
	v_mul_f64 v[46:47], v[48:49], v[46:47]
	v_add_f64 v[54:55], v[56:57], -v[54:55]
	v_ldexp_f64 v[56:57], v[48:49], 1
	v_mul_f64 v[46:47], v[46:47], v[52:53]
	v_add_f64 v[48:49], v[56:57], v[46:47]
	v_add_f64 v[52:53], v[48:49], -v[56:57]
	v_ldexp_f64 v[44:45], v[44:45], 1
	v_add_f64 v[46:47], v[46:47], -v[52:53]
	v_add_f64 v[44:45], v[44:45], v[46:47]
	v_add_f64 v[46:47], v[48:49], v[44:45]
	v_add_f64 v[48:49], v[46:47], -v[48:49]
	v_add_f64 v[44:45], v[44:45], -v[48:49]
	v_add_f64 v[48:49], v[50:51], v[46:47]
	v_add_f64 v[52:53], v[48:49], -v[50:51]
	v_add_f64 v[56:57], v[48:49], -v[52:53]
	;; [unrolled: 1-line block ×4, first 2 shown]
	v_add_f64 v[46:47], v[46:47], v[50:51]
	v_add_f64 v[50:51], v[54:55], v[44:45]
	v_add_f64 v[52:53], v[50:51], -v[54:55]
	v_add_f64 v[46:47], v[50:51], v[46:47]
	v_add_f64 v[56:57], v[50:51], -v[52:53]
	;; [unrolled: 2-line block ×3, first 2 shown]
	v_add_f64 v[44:45], v[44:45], -v[52:53]
	v_add_f64 v[48:49], v[50:51], -v[48:49]
	v_add_f64 v[44:45], v[44:45], v[54:55]
	v_add_f64 v[46:47], v[46:47], -v[48:49]
	s_mov_b32 s16, 0
	v_add_f64 v[44:45], v[44:45], v[46:47]
	s_mov_b32 s17, 0x7ff00000
	v_add_f64 v[44:45], v[50:51], v[44:45]
	v_cmp_neq_f64_e64 s[16:17], s[16:17], v[10:11]
	v_mov_b32_e32 v46, 0x7ff80000
	s_nop 0
	v_cndmask_b32_e64 v45, v64, v45, s[16:17]
	v_cndmask_b32_e64 v45, v46, v45, s[18:19]
	v_cmp_nge_f64_e64 s[18:19], -1.0, v[10:11]
	s_and_b64 s[16:17], s[18:19], s[16:17]
	v_cndmask_b32_e64 v44, 0, v44, s[16:17]
	v_mov_b32_e32 v46, 0xfff00000
	v_cmp_neq_f64_e64 s[16:17], -1.0, v[10:11]
	s_nop 1
	v_cndmask_b32_e64 v45, v46, v45, s[16:17]
	v_add_f64 v[10:11], v[42:43], v[44:45]
.LBB1_177:
	s_or_b64 exec, exec, s[22:23]
	ds_read_b64 v[42:43], v31 offset:24
	v_max_f64 v[46:47], v[10:11], v[10:11]
	v_cmp_u_f64_e64 s[16:17], v[10:11], v[10:11]
	s_waitcnt lgkmcnt(0)
	v_max_f64 v[48:49], v[42:43], v[42:43]
	v_min_f64 v[44:45], v[46:47], v[48:49]
	v_max_f64 v[46:47], v[46:47], v[48:49]
	v_cndmask_b32_e64 v44, v44, v10, s[16:17]
	v_cndmask_b32_e64 v45, v45, v11, s[16:17]
	v_cmp_u_f64_e64 s[18:19], v[42:43], v[42:43]
	v_cndmask_b32_e64 v46, v46, v10, s[16:17]
	v_cndmask_b32_e64 v47, v47, v11, s[16:17]
	;; [unrolled: 1-line block ×6, first 2 shown]
	s_movk_i32 s18, 0x1f8
	v_cmp_neq_f64_e64 s[16:17], v[44:45], v[42:43]
	v_cmp_class_f64_e64 s[18:19], v[44:45], s18
	s_or_b64 s[16:17], s[16:17], s[18:19]
	s_and_saveexec_b64 s[22:23], s[16:17]
	s_cbranch_execz .LBB1_179
; %bb.178:
	s_mov_b32 s16, 0x652b82fe
	v_add_f64 v[10:11], v[44:45], -v[42:43]
	s_mov_b32 s17, 0x3ff71547
	v_mul_f64 v[44:45], v[10:11], s[16:17]
	v_rndne_f64_e32 v[44:45], v[44:45]
	s_mov_b32 s37, 0xbfe62e42
	s_mov_b32 s36, 0xfefa39ef
	v_fma_f64 v[46:47], s[36:37], v[44:45], v[10:11]
	s_mov_b32 s41, 0xbc7abc9e
	s_mov_b32 s40, 0x3b39803f
	;; [unrolled: 1-line block ×3, first 2 shown]
	v_fmac_f64_e32 v[46:47], s[40:41], v[44:45]
	v_mov_b32_e32 v48, 0xfca7ab0c
	v_mov_b32_e32 v49, 0x3e928af3
	s_mov_b32 s17, 0x3e5ade15
	v_fmac_f64_e32 v[48:49], s[16:17], v[46:47]
	v_mov_b32_e32 v50, 0x623fde64
	v_mov_b32_e32 v51, 0x3ec71dee
	v_fmac_f64_e32 v[50:51], v[46:47], v[48:49]
	v_mov_b32_e32 v48, 0x7c89e6b0
	v_mov_b32_e32 v49, 0x3efa0199
	;; [unrolled: 3-line block ×8, first 2 shown]
	v_fmac_f64_e32 v[48:49], v[46:47], v[50:51]
	v_fma_f64 v[48:49], v[46:47], v[48:49], 1.0
	s_mov_b32 s16, 0
	s_mov_b32 s18, 0
	v_fma_f64 v[46:47], v[46:47], v[48:49], 1.0
	v_cvt_i32_f64_e32 v44, v[44:45]
	s_mov_b32 s17, 0x40900000
	s_mov_b32 s19, 0xc090cc00
	v_ldexp_f64 v[44:45], v[46:47], v44
	v_mov_b32_e32 v64, 0x7ff00000
	v_cmp_nlt_f64_e64 s[16:17], s[16:17], v[10:11]
	v_cmp_ngt_f64_e64 s[18:19], s[18:19], v[10:11]
	s_mov_b32 s37, 0x3fe62e42
	v_cndmask_b32_e64 v45, v64, v45, s[16:17]
	s_and_b64 s[16:17], s[18:19], s[16:17]
	v_cndmask_b32_e64 v11, 0, v45, s[18:19]
	v_cndmask_b32_e64 v10, 0, v44, s[16:17]
	v_add_f64 v[44:45], v[10:11], 1.0
	v_add_f64 v[46:47], v[44:45], -1.0
	v_add_f64 v[48:49], v[46:47], -v[44:45]
	v_add_f64 v[48:49], v[48:49], 1.0
	v_add_f64 v[46:47], v[10:11], -v[46:47]
	s_mov_b32 s16, 0x55555555
	v_add_f64 v[46:47], v[46:47], v[48:49]
	v_frexp_mant_f64_e32 v[48:49], v[44:45]
	s_mov_b32 s17, 0x3fe55555
	v_frexp_exp_i32_f64_e32 v50, v[44:45]
	v_cmp_gt_f64_e64 s[16:17], s[16:17], v[48:49]
	s_mov_b32 s41, 0x3c7abc9e
	v_cmp_ngt_f64_e64 s[18:19], -1.0, v[10:11]
	v_subbrev_co_u32_e64 v65, s[16:17], 0, v50, s[16:17]
	v_sub_u32_e32 v48, 0, v65
	v_ldexp_f64 v[44:45], v[44:45], v48
	v_ldexp_f64 v[46:47], v[46:47], v48
	v_add_f64 v[48:49], v[44:45], -1.0
	v_add_f64 v[54:55], v[44:45], 1.0
	v_add_f64 v[50:51], v[48:49], 1.0
	v_add_f64 v[56:57], v[54:55], -1.0
	v_add_f64 v[50:51], v[44:45], -v[50:51]
	v_add_f64 v[44:45], v[44:45], -v[56:57]
	v_add_f64 v[44:45], v[46:47], v[44:45]
	v_add_f64 v[50:51], v[46:47], v[50:51]
	;; [unrolled: 1-line block ×3, first 2 shown]
	v_rcp_f64_e32 v[56:57], v[46:47]
	v_add_f64 v[52:53], v[48:49], v[50:51]
	v_add_f64 v[48:49], v[52:53], -v[48:49]
	v_add_f64 v[48:49], v[50:51], -v[48:49]
	;; [unrolled: 1-line block ×4, first 2 shown]
	v_fma_f64 v[50:51], -v[46:47], v[56:57], 1.0
	v_fmac_f64_e32 v[56:57], v[50:51], v[56:57]
	v_fma_f64 v[50:51], -v[46:47], v[56:57], 1.0
	v_fmac_f64_e32 v[56:57], v[50:51], v[56:57]
	v_mul_f64 v[50:51], v[52:53], v[56:57]
	v_mul_f64 v[54:55], v[46:47], v[50:51]
	v_fma_f64 v[58:59], v[50:51], v[46:47], -v[54:55]
	v_fmac_f64_e32 v[58:59], v[50:51], v[44:45]
	v_add_f64 v[60:61], v[54:55], v[58:59]
	v_add_f64 v[62:63], v[52:53], -v[60:61]
	v_add_f64 v[52:53], v[52:53], -v[62:63]
	;; [unrolled: 1-line block ×4, first 2 shown]
	v_add_f64 v[48:49], v[48:49], v[52:53]
	v_add_f64 v[52:53], v[54:55], -v[58:59]
	v_add_f64 v[48:49], v[52:53], v[48:49]
	v_add_f64 v[52:53], v[62:63], v[48:49]
	v_add_f64 v[54:55], v[62:63], -v[52:53]
	v_add_f64 v[48:49], v[48:49], v[54:55]
	v_mul_f64 v[54:55], v[56:57], v[52:53]
	v_mul_f64 v[58:59], v[46:47], v[54:55]
	v_fma_f64 v[46:47], v[54:55], v[46:47], -v[58:59]
	v_fmac_f64_e32 v[46:47], v[54:55], v[44:45]
	v_add_f64 v[44:45], v[58:59], v[46:47]
	v_add_f64 v[60:61], v[52:53], -v[44:45]
	v_add_f64 v[52:53], v[52:53], -v[60:61]
	v_add_f64 v[58:59], v[44:45], -v[58:59]
	v_add_f64 v[44:45], v[52:53], -v[44:45]
	v_add_f64 v[44:45], v[48:49], v[44:45]
	v_add_f64 v[46:47], v[58:59], -v[46:47]
	v_add_f64 v[44:45], v[46:47], v[44:45]
	v_add_f64 v[46:47], v[50:51], v[54:55]
	;; [unrolled: 1-line block ×3, first 2 shown]
	v_add_f64 v[48:49], v[46:47], -v[50:51]
	v_mul_f64 v[44:45], v[56:57], v[44:45]
	v_add_f64 v[48:49], v[54:55], -v[48:49]
	v_add_f64 v[44:45], v[48:49], v[44:45]
	v_add_f64 v[48:49], v[46:47], v[44:45]
	v_add_f64 v[46:47], v[48:49], -v[46:47]
	s_mov_b32 s16, 0xbf559e2b
	v_add_f64 v[44:45], v[44:45], -v[46:47]
	v_mul_f64 v[46:47], v[48:49], v[48:49]
	v_mov_b32_e32 v50, 0x6b47b09a
	v_mov_b32_e32 v51, 0x3fc38538
	s_mov_b32 s17, 0x3fc3ab76
	v_fmac_f64_e32 v[50:51], s[16:17], v[46:47]
	v_mov_b32_e32 v52, 0xd7f4df2e
	v_mov_b32_e32 v53, 0x3fc7474d
	v_fmac_f64_e32 v[52:53], v[46:47], v[50:51]
	v_mov_b32_e32 v50, 0x16291751
	v_mov_b32_e32 v51, 0x3fcc71c0
	;; [unrolled: 3-line block ×5, first 2 shown]
	v_fmac_f64_e32 v[52:53], v[46:47], v[50:51]
	v_cvt_f64_i32_e32 v[50:51], v65
	v_mul_f64 v[54:55], v[50:51], s[36:37]
	v_fma_f64 v[56:57], v[50:51], s[36:37], -v[54:55]
	v_fmac_f64_e32 v[56:57], s[40:41], v[50:51]
	v_add_f64 v[50:51], v[54:55], v[56:57]
	v_add_f64 v[54:55], v[50:51], -v[54:55]
	v_mul_f64 v[46:47], v[48:49], v[46:47]
	v_add_f64 v[54:55], v[56:57], -v[54:55]
	v_ldexp_f64 v[56:57], v[48:49], 1
	v_mul_f64 v[46:47], v[46:47], v[52:53]
	v_add_f64 v[48:49], v[56:57], v[46:47]
	v_add_f64 v[52:53], v[48:49], -v[56:57]
	v_ldexp_f64 v[44:45], v[44:45], 1
	v_add_f64 v[46:47], v[46:47], -v[52:53]
	v_add_f64 v[44:45], v[44:45], v[46:47]
	v_add_f64 v[46:47], v[48:49], v[44:45]
	v_add_f64 v[48:49], v[46:47], -v[48:49]
	v_add_f64 v[44:45], v[44:45], -v[48:49]
	v_add_f64 v[48:49], v[50:51], v[46:47]
	v_add_f64 v[52:53], v[48:49], -v[50:51]
	v_add_f64 v[56:57], v[48:49], -v[52:53]
	;; [unrolled: 1-line block ×4, first 2 shown]
	v_add_f64 v[46:47], v[46:47], v[50:51]
	v_add_f64 v[50:51], v[54:55], v[44:45]
	v_add_f64 v[52:53], v[50:51], -v[54:55]
	v_add_f64 v[46:47], v[50:51], v[46:47]
	v_add_f64 v[56:57], v[50:51], -v[52:53]
	;; [unrolled: 2-line block ×3, first 2 shown]
	v_add_f64 v[44:45], v[44:45], -v[52:53]
	v_add_f64 v[48:49], v[50:51], -v[48:49]
	v_add_f64 v[44:45], v[44:45], v[54:55]
	v_add_f64 v[46:47], v[46:47], -v[48:49]
	s_mov_b32 s16, 0
	v_add_f64 v[44:45], v[44:45], v[46:47]
	s_mov_b32 s17, 0x7ff00000
	v_add_f64 v[44:45], v[50:51], v[44:45]
	v_cmp_neq_f64_e64 s[16:17], s[16:17], v[10:11]
	v_mov_b32_e32 v46, 0x7ff80000
	s_nop 0
	v_cndmask_b32_e64 v45, v64, v45, s[16:17]
	v_cndmask_b32_e64 v45, v46, v45, s[18:19]
	v_cmp_nge_f64_e64 s[18:19], -1.0, v[10:11]
	s_and_b64 s[16:17], s[18:19], s[16:17]
	v_cndmask_b32_e64 v44, 0, v44, s[16:17]
	v_mov_b32_e32 v46, 0xfff00000
	v_cmp_neq_f64_e64 s[16:17], -1.0, v[10:11]
	s_nop 1
	v_cndmask_b32_e64 v45, v46, v45, s[16:17]
	v_add_f64 v[10:11], v[42:43], v[44:45]
.LBB1_179:
	s_or_b64 exec, exec, s[22:23]
	v_mbcnt_lo_u32_b32 v42, -1, 0
	v_mbcnt_hi_u32_b32 v46, -1, v42
	v_and_b32_e32 v47, 15, v46
	v_mov_b32_dpp v42, v10 row_shr:1 row_mask:0xf bank_mask:0xf
	v_mov_b32_dpp v43, v11 row_shr:1 row_mask:0xf bank_mask:0xf
	v_cmp_ne_u32_e64 s[16:17], 0, v47
	v_mov_b32_e32 v44, v10
	v_mov_b32_e32 v45, v11
	s_and_saveexec_b64 s[18:19], s[16:17]
	s_xor_b64 s[22:23], exec, s[18:19]
	s_cbranch_execz .LBB1_183
; %bb.180:
	v_max_f64 v[48:49], v[42:43], v[42:43]
	v_max_f64 v[50:51], v[10:11], v[10:11]
	v_min_f64 v[44:45], v[48:49], v[50:51]
	v_cmp_u_f64_e64 s[16:17], v[42:43], v[42:43]
	v_max_f64 v[48:49], v[48:49], v[50:51]
	v_cmp_u_f64_e64 s[18:19], v[10:11], v[10:11]
	v_cndmask_b32_e64 v45, v45, v43, s[16:17]
	v_cndmask_b32_e64 v44, v44, v42, s[16:17]
	;; [unrolled: 1-line block ×8, first 2 shown]
	s_movk_i32 s18, 0x1f8
	v_cmp_neq_f64_e64 s[16:17], v[44:45], v[10:11]
	v_cmp_class_f64_e64 s[18:19], v[44:45], s18
	s_or_b64 s[16:17], s[16:17], s[18:19]
	s_and_saveexec_b64 s[36:37], s[16:17]
	s_cbranch_execz .LBB1_182
; %bb.181:
	s_mov_b32 s16, 0x652b82fe
	v_add_f64 v[42:43], v[44:45], -v[10:11]
	s_mov_b32 s17, 0x3ff71547
	v_mul_f64 v[44:45], v[42:43], s[16:17]
	v_rndne_f64_e32 v[44:45], v[44:45]
	s_mov_b32 s41, 0xbfe62e42
	s_mov_b32 s40, 0xfefa39ef
	v_fma_f64 v[48:49], s[40:41], v[44:45], v[42:43]
	s_mov_b32 s45, 0xbc7abc9e
	s_mov_b32 s44, 0x3b39803f
	;; [unrolled: 1-line block ×3, first 2 shown]
	v_fmac_f64_e32 v[48:49], s[44:45], v[44:45]
	v_mov_b32_e32 v50, 0xfca7ab0c
	v_mov_b32_e32 v51, 0x3e928af3
	s_mov_b32 s17, 0x3e5ade15
	v_fmac_f64_e32 v[50:51], s[16:17], v[48:49]
	v_mov_b32_e32 v52, 0x623fde64
	v_mov_b32_e32 v53, 0x3ec71dee
	v_fmac_f64_e32 v[52:53], v[48:49], v[50:51]
	v_mov_b32_e32 v50, 0x7c89e6b0
	v_mov_b32_e32 v51, 0x3efa0199
	;; [unrolled: 3-line block ×8, first 2 shown]
	v_fmac_f64_e32 v[50:51], v[48:49], v[52:53]
	v_fma_f64 v[50:51], v[48:49], v[50:51], 1.0
	s_mov_b32 s16, 0
	s_mov_b32 s18, 0
	v_fma_f64 v[48:49], v[48:49], v[50:51], 1.0
	v_cvt_i32_f64_e32 v44, v[44:45]
	s_mov_b32 s17, 0x40900000
	s_mov_b32 s19, 0xc090cc00
	v_ldexp_f64 v[44:45], v[48:49], v44
	v_mov_b32_e32 v66, 0x7ff00000
	v_cmp_nlt_f64_e64 s[16:17], s[16:17], v[42:43]
	v_cmp_ngt_f64_e64 s[18:19], s[18:19], v[42:43]
	s_mov_b32 s41, 0x3fe62e42
	v_cndmask_b32_e64 v45, v66, v45, s[16:17]
	s_and_b64 s[16:17], s[18:19], s[16:17]
	v_cndmask_b32_e64 v43, 0, v45, s[18:19]
	v_cndmask_b32_e64 v42, 0, v44, s[16:17]
	v_add_f64 v[44:45], v[42:43], 1.0
	v_add_f64 v[48:49], v[44:45], -1.0
	v_add_f64 v[50:51], v[48:49], -v[44:45]
	v_add_f64 v[50:51], v[50:51], 1.0
	v_add_f64 v[48:49], v[42:43], -v[48:49]
	s_mov_b32 s16, 0x55555555
	v_add_f64 v[48:49], v[48:49], v[50:51]
	v_frexp_mant_f64_e32 v[50:51], v[44:45]
	s_mov_b32 s17, 0x3fe55555
	v_frexp_exp_i32_f64_e32 v52, v[44:45]
	v_cmp_gt_f64_e64 s[16:17], s[16:17], v[50:51]
	s_mov_b32 s45, 0x3c7abc9e
	v_cmp_ngt_f64_e64 s[18:19], -1.0, v[42:43]
	v_subbrev_co_u32_e64 v67, s[16:17], 0, v52, s[16:17]
	v_sub_u32_e32 v50, 0, v67
	v_ldexp_f64 v[44:45], v[44:45], v50
	v_ldexp_f64 v[48:49], v[48:49], v50
	v_add_f64 v[50:51], v[44:45], -1.0
	v_add_f64 v[56:57], v[44:45], 1.0
	v_add_f64 v[52:53], v[50:51], 1.0
	v_add_f64 v[58:59], v[56:57], -1.0
	v_add_f64 v[52:53], v[44:45], -v[52:53]
	v_add_f64 v[44:45], v[44:45], -v[58:59]
	v_add_f64 v[44:45], v[48:49], v[44:45]
	v_add_f64 v[52:53], v[48:49], v[52:53]
	;; [unrolled: 1-line block ×3, first 2 shown]
	v_rcp_f64_e32 v[58:59], v[48:49]
	v_add_f64 v[54:55], v[50:51], v[52:53]
	v_add_f64 v[50:51], v[54:55], -v[50:51]
	v_add_f64 v[50:51], v[52:53], -v[50:51]
	;; [unrolled: 1-line block ×4, first 2 shown]
	v_fma_f64 v[52:53], -v[48:49], v[58:59], 1.0
	v_fmac_f64_e32 v[58:59], v[52:53], v[58:59]
	v_fma_f64 v[52:53], -v[48:49], v[58:59], 1.0
	v_fmac_f64_e32 v[58:59], v[52:53], v[58:59]
	v_mul_f64 v[52:53], v[54:55], v[58:59]
	v_mul_f64 v[56:57], v[48:49], v[52:53]
	v_fma_f64 v[60:61], v[52:53], v[48:49], -v[56:57]
	v_fmac_f64_e32 v[60:61], v[52:53], v[44:45]
	v_add_f64 v[62:63], v[56:57], v[60:61]
	v_add_f64 v[64:65], v[54:55], -v[62:63]
	v_add_f64 v[54:55], v[54:55], -v[64:65]
	v_add_f64 v[56:57], v[62:63], -v[56:57]
	v_add_f64 v[54:55], v[54:55], -v[62:63]
	v_add_f64 v[50:51], v[50:51], v[54:55]
	v_add_f64 v[54:55], v[56:57], -v[60:61]
	v_add_f64 v[50:51], v[54:55], v[50:51]
	v_add_f64 v[54:55], v[64:65], v[50:51]
	v_add_f64 v[56:57], v[64:65], -v[54:55]
	v_add_f64 v[50:51], v[50:51], v[56:57]
	v_mul_f64 v[56:57], v[58:59], v[54:55]
	v_mul_f64 v[60:61], v[48:49], v[56:57]
	v_fma_f64 v[48:49], v[56:57], v[48:49], -v[60:61]
	v_fmac_f64_e32 v[48:49], v[56:57], v[44:45]
	v_add_f64 v[44:45], v[60:61], v[48:49]
	v_add_f64 v[62:63], v[54:55], -v[44:45]
	v_add_f64 v[54:55], v[54:55], -v[62:63]
	;; [unrolled: 1-line block ×4, first 2 shown]
	v_add_f64 v[44:45], v[50:51], v[44:45]
	v_add_f64 v[48:49], v[60:61], -v[48:49]
	v_add_f64 v[44:45], v[48:49], v[44:45]
	v_add_f64 v[48:49], v[52:53], v[56:57]
	;; [unrolled: 1-line block ×3, first 2 shown]
	v_add_f64 v[50:51], v[48:49], -v[52:53]
	v_mul_f64 v[44:45], v[58:59], v[44:45]
	v_add_f64 v[50:51], v[56:57], -v[50:51]
	v_add_f64 v[44:45], v[50:51], v[44:45]
	v_add_f64 v[50:51], v[48:49], v[44:45]
	v_add_f64 v[48:49], v[50:51], -v[48:49]
	s_mov_b32 s16, 0xbf559e2b
	v_add_f64 v[44:45], v[44:45], -v[48:49]
	v_mul_f64 v[48:49], v[50:51], v[50:51]
	v_mov_b32_e32 v52, 0x6b47b09a
	v_mov_b32_e32 v53, 0x3fc38538
	s_mov_b32 s17, 0x3fc3ab76
	v_fmac_f64_e32 v[52:53], s[16:17], v[48:49]
	v_mov_b32_e32 v54, 0xd7f4df2e
	v_mov_b32_e32 v55, 0x3fc7474d
	v_fmac_f64_e32 v[54:55], v[48:49], v[52:53]
	v_mov_b32_e32 v52, 0x16291751
	v_mov_b32_e32 v53, 0x3fcc71c0
	;; [unrolled: 3-line block ×5, first 2 shown]
	v_fmac_f64_e32 v[54:55], v[48:49], v[52:53]
	v_cvt_f64_i32_e32 v[52:53], v67
	v_mul_f64 v[56:57], v[52:53], s[40:41]
	v_fma_f64 v[58:59], v[52:53], s[40:41], -v[56:57]
	v_fmac_f64_e32 v[58:59], s[44:45], v[52:53]
	v_add_f64 v[52:53], v[56:57], v[58:59]
	v_add_f64 v[56:57], v[52:53], -v[56:57]
	v_mul_f64 v[48:49], v[50:51], v[48:49]
	v_add_f64 v[56:57], v[58:59], -v[56:57]
	v_ldexp_f64 v[58:59], v[50:51], 1
	v_mul_f64 v[48:49], v[48:49], v[54:55]
	v_add_f64 v[50:51], v[58:59], v[48:49]
	v_add_f64 v[54:55], v[50:51], -v[58:59]
	v_ldexp_f64 v[44:45], v[44:45], 1
	v_add_f64 v[48:49], v[48:49], -v[54:55]
	v_add_f64 v[44:45], v[44:45], v[48:49]
	v_add_f64 v[48:49], v[50:51], v[44:45]
	v_add_f64 v[50:51], v[48:49], -v[50:51]
	v_add_f64 v[44:45], v[44:45], -v[50:51]
	v_add_f64 v[50:51], v[52:53], v[48:49]
	v_add_f64 v[54:55], v[50:51], -v[52:53]
	v_add_f64 v[58:59], v[50:51], -v[54:55]
	;; [unrolled: 1-line block ×4, first 2 shown]
	v_add_f64 v[48:49], v[48:49], v[52:53]
	v_add_f64 v[52:53], v[56:57], v[44:45]
	v_add_f64 v[54:55], v[52:53], -v[56:57]
	v_add_f64 v[48:49], v[52:53], v[48:49]
	v_add_f64 v[58:59], v[52:53], -v[54:55]
	;; [unrolled: 2-line block ×3, first 2 shown]
	v_add_f64 v[44:45], v[44:45], -v[54:55]
	v_add_f64 v[50:51], v[52:53], -v[50:51]
	v_add_f64 v[44:45], v[44:45], v[56:57]
	v_add_f64 v[48:49], v[48:49], -v[50:51]
	s_mov_b32 s16, 0
	v_add_f64 v[44:45], v[44:45], v[48:49]
	s_mov_b32 s17, 0x7ff00000
	v_add_f64 v[44:45], v[52:53], v[44:45]
	v_cmp_neq_f64_e64 s[16:17], s[16:17], v[42:43]
	v_mov_b32_e32 v48, 0x7ff80000
	s_nop 0
	v_cndmask_b32_e64 v45, v66, v45, s[16:17]
	v_cndmask_b32_e64 v45, v48, v45, s[18:19]
	v_cmp_nge_f64_e64 s[18:19], -1.0, v[42:43]
	s_and_b64 s[16:17], s[18:19], s[16:17]
	v_cndmask_b32_e64 v44, 0, v44, s[16:17]
	v_mov_b32_e32 v48, 0xfff00000
	v_cmp_neq_f64_e64 s[16:17], -1.0, v[42:43]
	s_nop 1
	v_cndmask_b32_e64 v45, v48, v45, s[16:17]
	v_add_f64 v[42:43], v[10:11], v[44:45]
.LBB1_182:
	s_or_b64 exec, exec, s[36:37]
	v_mov_b32_e32 v44, v42
	v_mov_b32_e32 v45, v43
	v_mov_b64_e32 v[10:11], v[42:43]
.LBB1_183:
	s_or_b64 exec, exec, s[22:23]
	v_mov_b32_dpp v42, v44 row_shr:2 row_mask:0xf bank_mask:0xf
	v_mov_b32_dpp v43, v45 row_shr:2 row_mask:0xf bank_mask:0xf
	v_cmp_lt_u32_e64 s[16:17], 1, v47
	s_and_saveexec_b64 s[22:23], s[16:17]
	s_cbranch_execz .LBB1_187
; %bb.184:
	v_max_f64 v[48:49], v[42:43], v[42:43]
	v_max_f64 v[50:51], v[10:11], v[10:11]
	v_min_f64 v[44:45], v[48:49], v[50:51]
	v_cmp_u_f64_e64 s[16:17], v[42:43], v[42:43]
	v_max_f64 v[48:49], v[48:49], v[50:51]
	v_cmp_u_f64_e64 s[18:19], v[10:11], v[10:11]
	v_cndmask_b32_e64 v45, v45, v43, s[16:17]
	v_cndmask_b32_e64 v44, v44, v42, s[16:17]
	;; [unrolled: 1-line block ×8, first 2 shown]
	s_movk_i32 s18, 0x1f8
	v_cmp_neq_f64_e64 s[16:17], v[44:45], v[10:11]
	v_cmp_class_f64_e64 s[18:19], v[44:45], s18
	s_or_b64 s[16:17], s[16:17], s[18:19]
	s_and_saveexec_b64 s[36:37], s[16:17]
	s_cbranch_execz .LBB1_186
; %bb.185:
	s_mov_b32 s16, 0x652b82fe
	v_add_f64 v[42:43], v[44:45], -v[10:11]
	s_mov_b32 s17, 0x3ff71547
	v_mul_f64 v[44:45], v[42:43], s[16:17]
	v_rndne_f64_e32 v[44:45], v[44:45]
	s_mov_b32 s41, 0xbfe62e42
	s_mov_b32 s40, 0xfefa39ef
	v_fma_f64 v[48:49], s[40:41], v[44:45], v[42:43]
	s_mov_b32 s45, 0xbc7abc9e
	s_mov_b32 s44, 0x3b39803f
	s_mov_b32 s16, 0x6a5dcb37
	v_fmac_f64_e32 v[48:49], s[44:45], v[44:45]
	v_mov_b32_e32 v50, 0xfca7ab0c
	v_mov_b32_e32 v51, 0x3e928af3
	s_mov_b32 s17, 0x3e5ade15
	v_fmac_f64_e32 v[50:51], s[16:17], v[48:49]
	v_mov_b32_e32 v52, 0x623fde64
	v_mov_b32_e32 v53, 0x3ec71dee
	v_fmac_f64_e32 v[52:53], v[48:49], v[50:51]
	v_mov_b32_e32 v50, 0x7c89e6b0
	v_mov_b32_e32 v51, 0x3efa0199
	;; [unrolled: 3-line block ×8, first 2 shown]
	v_fmac_f64_e32 v[50:51], v[48:49], v[52:53]
	v_fma_f64 v[50:51], v[48:49], v[50:51], 1.0
	s_mov_b32 s16, 0
	s_mov_b32 s18, 0
	v_fma_f64 v[48:49], v[48:49], v[50:51], 1.0
	v_cvt_i32_f64_e32 v44, v[44:45]
	s_mov_b32 s17, 0x40900000
	s_mov_b32 s19, 0xc090cc00
	v_ldexp_f64 v[44:45], v[48:49], v44
	v_mov_b32_e32 v66, 0x7ff00000
	v_cmp_nlt_f64_e64 s[16:17], s[16:17], v[42:43]
	v_cmp_ngt_f64_e64 s[18:19], s[18:19], v[42:43]
	s_mov_b32 s41, 0x3fe62e42
	v_cndmask_b32_e64 v45, v66, v45, s[16:17]
	s_and_b64 s[16:17], s[18:19], s[16:17]
	v_cndmask_b32_e64 v43, 0, v45, s[18:19]
	v_cndmask_b32_e64 v42, 0, v44, s[16:17]
	v_add_f64 v[44:45], v[42:43], 1.0
	v_add_f64 v[48:49], v[44:45], -1.0
	v_add_f64 v[50:51], v[48:49], -v[44:45]
	v_add_f64 v[50:51], v[50:51], 1.0
	v_add_f64 v[48:49], v[42:43], -v[48:49]
	s_mov_b32 s16, 0x55555555
	v_add_f64 v[48:49], v[48:49], v[50:51]
	v_frexp_mant_f64_e32 v[50:51], v[44:45]
	s_mov_b32 s17, 0x3fe55555
	v_frexp_exp_i32_f64_e32 v52, v[44:45]
	v_cmp_gt_f64_e64 s[16:17], s[16:17], v[50:51]
	s_mov_b32 s45, 0x3c7abc9e
	v_cmp_ngt_f64_e64 s[18:19], -1.0, v[42:43]
	v_subbrev_co_u32_e64 v67, s[16:17], 0, v52, s[16:17]
	v_sub_u32_e32 v50, 0, v67
	v_ldexp_f64 v[44:45], v[44:45], v50
	v_ldexp_f64 v[48:49], v[48:49], v50
	v_add_f64 v[50:51], v[44:45], -1.0
	v_add_f64 v[56:57], v[44:45], 1.0
	v_add_f64 v[52:53], v[50:51], 1.0
	v_add_f64 v[58:59], v[56:57], -1.0
	v_add_f64 v[52:53], v[44:45], -v[52:53]
	v_add_f64 v[44:45], v[44:45], -v[58:59]
	v_add_f64 v[44:45], v[48:49], v[44:45]
	v_add_f64 v[52:53], v[48:49], v[52:53]
	;; [unrolled: 1-line block ×3, first 2 shown]
	v_rcp_f64_e32 v[58:59], v[48:49]
	v_add_f64 v[54:55], v[50:51], v[52:53]
	v_add_f64 v[50:51], v[54:55], -v[50:51]
	v_add_f64 v[50:51], v[52:53], -v[50:51]
	;; [unrolled: 1-line block ×4, first 2 shown]
	v_fma_f64 v[52:53], -v[48:49], v[58:59], 1.0
	v_fmac_f64_e32 v[58:59], v[52:53], v[58:59]
	v_fma_f64 v[52:53], -v[48:49], v[58:59], 1.0
	v_fmac_f64_e32 v[58:59], v[52:53], v[58:59]
	v_mul_f64 v[52:53], v[54:55], v[58:59]
	v_mul_f64 v[56:57], v[48:49], v[52:53]
	v_fma_f64 v[60:61], v[52:53], v[48:49], -v[56:57]
	v_fmac_f64_e32 v[60:61], v[52:53], v[44:45]
	v_add_f64 v[62:63], v[56:57], v[60:61]
	v_add_f64 v[64:65], v[54:55], -v[62:63]
	v_add_f64 v[54:55], v[54:55], -v[64:65]
	;; [unrolled: 1-line block ×4, first 2 shown]
	v_add_f64 v[50:51], v[50:51], v[54:55]
	v_add_f64 v[54:55], v[56:57], -v[60:61]
	v_add_f64 v[50:51], v[54:55], v[50:51]
	v_add_f64 v[54:55], v[64:65], v[50:51]
	v_add_f64 v[56:57], v[64:65], -v[54:55]
	v_add_f64 v[50:51], v[50:51], v[56:57]
	v_mul_f64 v[56:57], v[58:59], v[54:55]
	v_mul_f64 v[60:61], v[48:49], v[56:57]
	v_fma_f64 v[48:49], v[56:57], v[48:49], -v[60:61]
	v_fmac_f64_e32 v[48:49], v[56:57], v[44:45]
	v_add_f64 v[44:45], v[60:61], v[48:49]
	v_add_f64 v[62:63], v[54:55], -v[44:45]
	v_add_f64 v[54:55], v[54:55], -v[62:63]
	;; [unrolled: 1-line block ×4, first 2 shown]
	v_add_f64 v[44:45], v[50:51], v[44:45]
	v_add_f64 v[48:49], v[60:61], -v[48:49]
	v_add_f64 v[44:45], v[48:49], v[44:45]
	v_add_f64 v[48:49], v[52:53], v[56:57]
	;; [unrolled: 1-line block ×3, first 2 shown]
	v_add_f64 v[50:51], v[48:49], -v[52:53]
	v_mul_f64 v[44:45], v[58:59], v[44:45]
	v_add_f64 v[50:51], v[56:57], -v[50:51]
	v_add_f64 v[44:45], v[50:51], v[44:45]
	v_add_f64 v[50:51], v[48:49], v[44:45]
	v_add_f64 v[48:49], v[50:51], -v[48:49]
	s_mov_b32 s16, 0xbf559e2b
	v_add_f64 v[44:45], v[44:45], -v[48:49]
	v_mul_f64 v[48:49], v[50:51], v[50:51]
	v_mov_b32_e32 v52, 0x6b47b09a
	v_mov_b32_e32 v53, 0x3fc38538
	s_mov_b32 s17, 0x3fc3ab76
	v_fmac_f64_e32 v[52:53], s[16:17], v[48:49]
	v_mov_b32_e32 v54, 0xd7f4df2e
	v_mov_b32_e32 v55, 0x3fc7474d
	v_fmac_f64_e32 v[54:55], v[48:49], v[52:53]
	v_mov_b32_e32 v52, 0x16291751
	v_mov_b32_e32 v53, 0x3fcc71c0
	;; [unrolled: 3-line block ×5, first 2 shown]
	v_fmac_f64_e32 v[54:55], v[48:49], v[52:53]
	v_cvt_f64_i32_e32 v[52:53], v67
	v_mul_f64 v[56:57], v[52:53], s[40:41]
	v_fma_f64 v[58:59], v[52:53], s[40:41], -v[56:57]
	v_fmac_f64_e32 v[58:59], s[44:45], v[52:53]
	v_add_f64 v[52:53], v[56:57], v[58:59]
	v_add_f64 v[56:57], v[52:53], -v[56:57]
	v_mul_f64 v[48:49], v[50:51], v[48:49]
	v_add_f64 v[56:57], v[58:59], -v[56:57]
	v_ldexp_f64 v[58:59], v[50:51], 1
	v_mul_f64 v[48:49], v[48:49], v[54:55]
	v_add_f64 v[50:51], v[58:59], v[48:49]
	v_add_f64 v[54:55], v[50:51], -v[58:59]
	v_ldexp_f64 v[44:45], v[44:45], 1
	v_add_f64 v[48:49], v[48:49], -v[54:55]
	v_add_f64 v[44:45], v[44:45], v[48:49]
	v_add_f64 v[48:49], v[50:51], v[44:45]
	v_add_f64 v[50:51], v[48:49], -v[50:51]
	v_add_f64 v[44:45], v[44:45], -v[50:51]
	v_add_f64 v[50:51], v[52:53], v[48:49]
	v_add_f64 v[54:55], v[50:51], -v[52:53]
	v_add_f64 v[58:59], v[50:51], -v[54:55]
	;; [unrolled: 1-line block ×4, first 2 shown]
	v_add_f64 v[48:49], v[48:49], v[52:53]
	v_add_f64 v[52:53], v[56:57], v[44:45]
	v_add_f64 v[54:55], v[52:53], -v[56:57]
	v_add_f64 v[48:49], v[52:53], v[48:49]
	v_add_f64 v[58:59], v[52:53], -v[54:55]
	;; [unrolled: 2-line block ×3, first 2 shown]
	v_add_f64 v[44:45], v[44:45], -v[54:55]
	v_add_f64 v[50:51], v[52:53], -v[50:51]
	v_add_f64 v[44:45], v[44:45], v[56:57]
	v_add_f64 v[48:49], v[48:49], -v[50:51]
	s_mov_b32 s16, 0
	v_add_f64 v[44:45], v[44:45], v[48:49]
	s_mov_b32 s17, 0x7ff00000
	v_add_f64 v[44:45], v[52:53], v[44:45]
	v_cmp_neq_f64_e64 s[16:17], s[16:17], v[42:43]
	v_mov_b32_e32 v48, 0x7ff80000
	s_nop 0
	v_cndmask_b32_e64 v45, v66, v45, s[16:17]
	v_cndmask_b32_e64 v45, v48, v45, s[18:19]
	v_cmp_nge_f64_e64 s[18:19], -1.0, v[42:43]
	s_and_b64 s[16:17], s[18:19], s[16:17]
	v_cndmask_b32_e64 v44, 0, v44, s[16:17]
	v_mov_b32_e32 v48, 0xfff00000
	v_cmp_neq_f64_e64 s[16:17], -1.0, v[42:43]
	s_nop 1
	v_cndmask_b32_e64 v45, v48, v45, s[16:17]
	v_add_f64 v[42:43], v[10:11], v[44:45]
.LBB1_186:
	s_or_b64 exec, exec, s[36:37]
	v_mov_b64_e32 v[10:11], v[42:43]
	v_mov_b32_e32 v44, v42
	v_mov_b32_e32 v45, v43
.LBB1_187:
	s_or_b64 exec, exec, s[22:23]
	v_mov_b32_dpp v42, v44 row_shr:4 row_mask:0xf bank_mask:0xf
	v_mov_b32_dpp v43, v45 row_shr:4 row_mask:0xf bank_mask:0xf
	v_cmp_lt_u32_e64 s[16:17], 3, v47
	s_and_saveexec_b64 s[22:23], s[16:17]
	s_cbranch_execz .LBB1_191
; %bb.188:
	v_max_f64 v[48:49], v[42:43], v[42:43]
	v_max_f64 v[50:51], v[10:11], v[10:11]
	v_min_f64 v[44:45], v[48:49], v[50:51]
	v_cmp_u_f64_e64 s[16:17], v[42:43], v[42:43]
	v_max_f64 v[48:49], v[48:49], v[50:51]
	v_cmp_u_f64_e64 s[18:19], v[10:11], v[10:11]
	v_cndmask_b32_e64 v45, v45, v43, s[16:17]
	v_cndmask_b32_e64 v44, v44, v42, s[16:17]
	;; [unrolled: 1-line block ×8, first 2 shown]
	s_movk_i32 s18, 0x1f8
	v_cmp_neq_f64_e64 s[16:17], v[44:45], v[10:11]
	v_cmp_class_f64_e64 s[18:19], v[44:45], s18
	s_or_b64 s[16:17], s[16:17], s[18:19]
	s_and_saveexec_b64 s[36:37], s[16:17]
	s_cbranch_execz .LBB1_190
; %bb.189:
	s_mov_b32 s16, 0x652b82fe
	v_add_f64 v[42:43], v[44:45], -v[10:11]
	s_mov_b32 s17, 0x3ff71547
	v_mul_f64 v[44:45], v[42:43], s[16:17]
	v_rndne_f64_e32 v[44:45], v[44:45]
	s_mov_b32 s41, 0xbfe62e42
	s_mov_b32 s40, 0xfefa39ef
	v_fma_f64 v[48:49], s[40:41], v[44:45], v[42:43]
	s_mov_b32 s45, 0xbc7abc9e
	s_mov_b32 s44, 0x3b39803f
	;; [unrolled: 1-line block ×3, first 2 shown]
	v_fmac_f64_e32 v[48:49], s[44:45], v[44:45]
	v_mov_b32_e32 v50, 0xfca7ab0c
	v_mov_b32_e32 v51, 0x3e928af3
	s_mov_b32 s17, 0x3e5ade15
	v_fmac_f64_e32 v[50:51], s[16:17], v[48:49]
	v_mov_b32_e32 v52, 0x623fde64
	v_mov_b32_e32 v53, 0x3ec71dee
	v_fmac_f64_e32 v[52:53], v[48:49], v[50:51]
	v_mov_b32_e32 v50, 0x7c89e6b0
	v_mov_b32_e32 v51, 0x3efa0199
	;; [unrolled: 3-line block ×8, first 2 shown]
	v_fmac_f64_e32 v[50:51], v[48:49], v[52:53]
	v_fma_f64 v[50:51], v[48:49], v[50:51], 1.0
	s_mov_b32 s16, 0
	s_mov_b32 s18, 0
	v_fma_f64 v[48:49], v[48:49], v[50:51], 1.0
	v_cvt_i32_f64_e32 v44, v[44:45]
	s_mov_b32 s17, 0x40900000
	s_mov_b32 s19, 0xc090cc00
	v_ldexp_f64 v[44:45], v[48:49], v44
	v_mov_b32_e32 v66, 0x7ff00000
	v_cmp_nlt_f64_e64 s[16:17], s[16:17], v[42:43]
	v_cmp_ngt_f64_e64 s[18:19], s[18:19], v[42:43]
	s_mov_b32 s41, 0x3fe62e42
	v_cndmask_b32_e64 v45, v66, v45, s[16:17]
	s_and_b64 s[16:17], s[18:19], s[16:17]
	v_cndmask_b32_e64 v43, 0, v45, s[18:19]
	v_cndmask_b32_e64 v42, 0, v44, s[16:17]
	v_add_f64 v[44:45], v[42:43], 1.0
	v_add_f64 v[48:49], v[44:45], -1.0
	v_add_f64 v[50:51], v[48:49], -v[44:45]
	v_add_f64 v[50:51], v[50:51], 1.0
	v_add_f64 v[48:49], v[42:43], -v[48:49]
	s_mov_b32 s16, 0x55555555
	v_add_f64 v[48:49], v[48:49], v[50:51]
	v_frexp_mant_f64_e32 v[50:51], v[44:45]
	s_mov_b32 s17, 0x3fe55555
	v_frexp_exp_i32_f64_e32 v52, v[44:45]
	v_cmp_gt_f64_e64 s[16:17], s[16:17], v[50:51]
	s_mov_b32 s45, 0x3c7abc9e
	v_cmp_ngt_f64_e64 s[18:19], -1.0, v[42:43]
	v_subbrev_co_u32_e64 v67, s[16:17], 0, v52, s[16:17]
	v_sub_u32_e32 v50, 0, v67
	v_ldexp_f64 v[44:45], v[44:45], v50
	v_ldexp_f64 v[48:49], v[48:49], v50
	v_add_f64 v[50:51], v[44:45], -1.0
	v_add_f64 v[56:57], v[44:45], 1.0
	v_add_f64 v[52:53], v[50:51], 1.0
	v_add_f64 v[58:59], v[56:57], -1.0
	v_add_f64 v[52:53], v[44:45], -v[52:53]
	v_add_f64 v[44:45], v[44:45], -v[58:59]
	v_add_f64 v[44:45], v[48:49], v[44:45]
	v_add_f64 v[52:53], v[48:49], v[52:53]
	v_add_f64 v[48:49], v[56:57], v[44:45]
	v_rcp_f64_e32 v[58:59], v[48:49]
	v_add_f64 v[54:55], v[50:51], v[52:53]
	v_add_f64 v[50:51], v[54:55], -v[50:51]
	v_add_f64 v[50:51], v[52:53], -v[50:51]
	;; [unrolled: 1-line block ×4, first 2 shown]
	v_fma_f64 v[52:53], -v[48:49], v[58:59], 1.0
	v_fmac_f64_e32 v[58:59], v[52:53], v[58:59]
	v_fma_f64 v[52:53], -v[48:49], v[58:59], 1.0
	v_fmac_f64_e32 v[58:59], v[52:53], v[58:59]
	v_mul_f64 v[52:53], v[54:55], v[58:59]
	v_mul_f64 v[56:57], v[48:49], v[52:53]
	v_fma_f64 v[60:61], v[52:53], v[48:49], -v[56:57]
	v_fmac_f64_e32 v[60:61], v[52:53], v[44:45]
	v_add_f64 v[62:63], v[56:57], v[60:61]
	v_add_f64 v[64:65], v[54:55], -v[62:63]
	v_add_f64 v[54:55], v[54:55], -v[64:65]
	;; [unrolled: 1-line block ×4, first 2 shown]
	v_add_f64 v[50:51], v[50:51], v[54:55]
	v_add_f64 v[54:55], v[56:57], -v[60:61]
	v_add_f64 v[50:51], v[54:55], v[50:51]
	v_add_f64 v[54:55], v[64:65], v[50:51]
	v_add_f64 v[56:57], v[64:65], -v[54:55]
	v_add_f64 v[50:51], v[50:51], v[56:57]
	v_mul_f64 v[56:57], v[58:59], v[54:55]
	v_mul_f64 v[60:61], v[48:49], v[56:57]
	v_fma_f64 v[48:49], v[56:57], v[48:49], -v[60:61]
	v_fmac_f64_e32 v[48:49], v[56:57], v[44:45]
	v_add_f64 v[44:45], v[60:61], v[48:49]
	v_add_f64 v[62:63], v[54:55], -v[44:45]
	v_add_f64 v[54:55], v[54:55], -v[62:63]
	;; [unrolled: 1-line block ×4, first 2 shown]
	v_add_f64 v[44:45], v[50:51], v[44:45]
	v_add_f64 v[48:49], v[60:61], -v[48:49]
	v_add_f64 v[44:45], v[48:49], v[44:45]
	v_add_f64 v[48:49], v[52:53], v[56:57]
	;; [unrolled: 1-line block ×3, first 2 shown]
	v_add_f64 v[50:51], v[48:49], -v[52:53]
	v_mul_f64 v[44:45], v[58:59], v[44:45]
	v_add_f64 v[50:51], v[56:57], -v[50:51]
	v_add_f64 v[44:45], v[50:51], v[44:45]
	v_add_f64 v[50:51], v[48:49], v[44:45]
	v_add_f64 v[48:49], v[50:51], -v[48:49]
	s_mov_b32 s16, 0xbf559e2b
	v_add_f64 v[44:45], v[44:45], -v[48:49]
	v_mul_f64 v[48:49], v[50:51], v[50:51]
	v_mov_b32_e32 v52, 0x6b47b09a
	v_mov_b32_e32 v53, 0x3fc38538
	s_mov_b32 s17, 0x3fc3ab76
	v_fmac_f64_e32 v[52:53], s[16:17], v[48:49]
	v_mov_b32_e32 v54, 0xd7f4df2e
	v_mov_b32_e32 v55, 0x3fc7474d
	v_fmac_f64_e32 v[54:55], v[48:49], v[52:53]
	v_mov_b32_e32 v52, 0x16291751
	v_mov_b32_e32 v53, 0x3fcc71c0
	;; [unrolled: 3-line block ×5, first 2 shown]
	v_fmac_f64_e32 v[54:55], v[48:49], v[52:53]
	v_cvt_f64_i32_e32 v[52:53], v67
	v_mul_f64 v[56:57], v[52:53], s[40:41]
	v_fma_f64 v[58:59], v[52:53], s[40:41], -v[56:57]
	v_fmac_f64_e32 v[58:59], s[44:45], v[52:53]
	v_add_f64 v[52:53], v[56:57], v[58:59]
	v_add_f64 v[56:57], v[52:53], -v[56:57]
	v_mul_f64 v[48:49], v[50:51], v[48:49]
	v_add_f64 v[56:57], v[58:59], -v[56:57]
	v_ldexp_f64 v[58:59], v[50:51], 1
	v_mul_f64 v[48:49], v[48:49], v[54:55]
	v_add_f64 v[50:51], v[58:59], v[48:49]
	v_add_f64 v[54:55], v[50:51], -v[58:59]
	v_ldexp_f64 v[44:45], v[44:45], 1
	v_add_f64 v[48:49], v[48:49], -v[54:55]
	v_add_f64 v[44:45], v[44:45], v[48:49]
	v_add_f64 v[48:49], v[50:51], v[44:45]
	v_add_f64 v[50:51], v[48:49], -v[50:51]
	v_add_f64 v[44:45], v[44:45], -v[50:51]
	v_add_f64 v[50:51], v[52:53], v[48:49]
	v_add_f64 v[54:55], v[50:51], -v[52:53]
	v_add_f64 v[58:59], v[50:51], -v[54:55]
	v_add_f64 v[52:53], v[52:53], -v[58:59]
	v_add_f64 v[48:49], v[48:49], -v[54:55]
	v_add_f64 v[48:49], v[48:49], v[52:53]
	v_add_f64 v[52:53], v[56:57], v[44:45]
	v_add_f64 v[54:55], v[52:53], -v[56:57]
	v_add_f64 v[48:49], v[52:53], v[48:49]
	v_add_f64 v[58:59], v[52:53], -v[54:55]
	;; [unrolled: 2-line block ×3, first 2 shown]
	v_add_f64 v[44:45], v[44:45], -v[54:55]
	v_add_f64 v[50:51], v[52:53], -v[50:51]
	v_add_f64 v[44:45], v[44:45], v[56:57]
	v_add_f64 v[48:49], v[48:49], -v[50:51]
	s_mov_b32 s16, 0
	v_add_f64 v[44:45], v[44:45], v[48:49]
	s_mov_b32 s17, 0x7ff00000
	v_add_f64 v[44:45], v[52:53], v[44:45]
	v_cmp_neq_f64_e64 s[16:17], s[16:17], v[42:43]
	v_mov_b32_e32 v48, 0x7ff80000
	s_nop 0
	v_cndmask_b32_e64 v45, v66, v45, s[16:17]
	v_cndmask_b32_e64 v45, v48, v45, s[18:19]
	v_cmp_nge_f64_e64 s[18:19], -1.0, v[42:43]
	s_and_b64 s[16:17], s[18:19], s[16:17]
	v_cndmask_b32_e64 v44, 0, v44, s[16:17]
	v_mov_b32_e32 v48, 0xfff00000
	v_cmp_neq_f64_e64 s[16:17], -1.0, v[42:43]
	s_nop 1
	v_cndmask_b32_e64 v45, v48, v45, s[16:17]
	v_add_f64 v[42:43], v[10:11], v[44:45]
.LBB1_190:
	s_or_b64 exec, exec, s[36:37]
	v_mov_b64_e32 v[10:11], v[42:43]
	v_mov_b32_e32 v44, v42
	v_mov_b32_e32 v45, v43
.LBB1_191:
	s_or_b64 exec, exec, s[22:23]
	v_mov_b32_dpp v42, v44 row_shr:8 row_mask:0xf bank_mask:0xf
	v_mov_b32_dpp v43, v45 row_shr:8 row_mask:0xf bank_mask:0xf
	v_cmp_lt_u32_e64 s[16:17], 7, v47
	s_and_saveexec_b64 s[22:23], s[16:17]
	s_cbranch_execz .LBB1_195
; %bb.192:
	v_max_f64 v[48:49], v[42:43], v[42:43]
	v_max_f64 v[50:51], v[10:11], v[10:11]
	v_min_f64 v[44:45], v[48:49], v[50:51]
	v_cmp_u_f64_e64 s[16:17], v[42:43], v[42:43]
	v_max_f64 v[48:49], v[48:49], v[50:51]
	v_cmp_u_f64_e64 s[18:19], v[10:11], v[10:11]
	v_cndmask_b32_e64 v45, v45, v43, s[16:17]
	v_cndmask_b32_e64 v44, v44, v42, s[16:17]
	;; [unrolled: 1-line block ×8, first 2 shown]
	s_movk_i32 s18, 0x1f8
	v_cmp_neq_f64_e64 s[16:17], v[44:45], v[10:11]
	v_cmp_class_f64_e64 s[18:19], v[44:45], s18
	s_or_b64 s[16:17], s[16:17], s[18:19]
	s_and_saveexec_b64 s[36:37], s[16:17]
	s_cbranch_execz .LBB1_194
; %bb.193:
	s_mov_b32 s16, 0x652b82fe
	v_add_f64 v[42:43], v[44:45], -v[10:11]
	s_mov_b32 s17, 0x3ff71547
	v_mul_f64 v[44:45], v[42:43], s[16:17]
	v_rndne_f64_e32 v[44:45], v[44:45]
	s_mov_b32 s41, 0xbfe62e42
	s_mov_b32 s40, 0xfefa39ef
	v_fma_f64 v[48:49], s[40:41], v[44:45], v[42:43]
	s_mov_b32 s45, 0xbc7abc9e
	s_mov_b32 s44, 0x3b39803f
	;; [unrolled: 1-line block ×3, first 2 shown]
	v_fmac_f64_e32 v[48:49], s[44:45], v[44:45]
	v_mov_b32_e32 v50, 0xfca7ab0c
	v_mov_b32_e32 v51, 0x3e928af3
	s_mov_b32 s17, 0x3e5ade15
	v_fmac_f64_e32 v[50:51], s[16:17], v[48:49]
	v_mov_b32_e32 v52, 0x623fde64
	v_mov_b32_e32 v53, 0x3ec71dee
	v_fmac_f64_e32 v[52:53], v[48:49], v[50:51]
	v_mov_b32_e32 v50, 0x7c89e6b0
	v_mov_b32_e32 v51, 0x3efa0199
	;; [unrolled: 3-line block ×8, first 2 shown]
	v_fmac_f64_e32 v[50:51], v[48:49], v[52:53]
	v_fma_f64 v[50:51], v[48:49], v[50:51], 1.0
	s_mov_b32 s16, 0
	s_mov_b32 s18, 0
	v_fma_f64 v[48:49], v[48:49], v[50:51], 1.0
	v_cvt_i32_f64_e32 v44, v[44:45]
	s_mov_b32 s17, 0x40900000
	s_mov_b32 s19, 0xc090cc00
	v_ldexp_f64 v[44:45], v[48:49], v44
	v_mov_b32_e32 v47, 0x7ff00000
	v_cmp_nlt_f64_e64 s[16:17], s[16:17], v[42:43]
	v_cmp_ngt_f64_e64 s[18:19], s[18:19], v[42:43]
	s_mov_b32 s41, 0x3fe62e42
	v_cndmask_b32_e64 v45, v47, v45, s[16:17]
	s_and_b64 s[16:17], s[18:19], s[16:17]
	v_cndmask_b32_e64 v43, 0, v45, s[18:19]
	v_cndmask_b32_e64 v42, 0, v44, s[16:17]
	v_add_f64 v[44:45], v[42:43], 1.0
	v_add_f64 v[48:49], v[44:45], -1.0
	v_add_f64 v[50:51], v[48:49], -v[44:45]
	v_add_f64 v[50:51], v[50:51], 1.0
	v_add_f64 v[48:49], v[42:43], -v[48:49]
	s_mov_b32 s16, 0x55555555
	v_add_f64 v[48:49], v[48:49], v[50:51]
	v_frexp_mant_f64_e32 v[50:51], v[44:45]
	s_mov_b32 s17, 0x3fe55555
	v_frexp_exp_i32_f64_e32 v52, v[44:45]
	v_cmp_gt_f64_e64 s[16:17], s[16:17], v[50:51]
	s_mov_b32 s45, 0x3c7abc9e
	v_cmp_ngt_f64_e64 s[18:19], -1.0, v[42:43]
	v_subbrev_co_u32_e64 v66, s[16:17], 0, v52, s[16:17]
	v_sub_u32_e32 v50, 0, v66
	v_ldexp_f64 v[44:45], v[44:45], v50
	v_ldexp_f64 v[48:49], v[48:49], v50
	v_add_f64 v[50:51], v[44:45], -1.0
	v_add_f64 v[56:57], v[44:45], 1.0
	v_add_f64 v[52:53], v[50:51], 1.0
	v_add_f64 v[58:59], v[56:57], -1.0
	v_add_f64 v[52:53], v[44:45], -v[52:53]
	v_add_f64 v[44:45], v[44:45], -v[58:59]
	v_add_f64 v[44:45], v[48:49], v[44:45]
	v_add_f64 v[52:53], v[48:49], v[52:53]
	;; [unrolled: 1-line block ×3, first 2 shown]
	v_rcp_f64_e32 v[58:59], v[48:49]
	v_add_f64 v[54:55], v[50:51], v[52:53]
	v_add_f64 v[50:51], v[54:55], -v[50:51]
	v_add_f64 v[50:51], v[52:53], -v[50:51]
	;; [unrolled: 1-line block ×4, first 2 shown]
	v_fma_f64 v[52:53], -v[48:49], v[58:59], 1.0
	v_fmac_f64_e32 v[58:59], v[52:53], v[58:59]
	v_fma_f64 v[52:53], -v[48:49], v[58:59], 1.0
	v_fmac_f64_e32 v[58:59], v[52:53], v[58:59]
	v_mul_f64 v[52:53], v[54:55], v[58:59]
	v_mul_f64 v[56:57], v[48:49], v[52:53]
	v_fma_f64 v[60:61], v[52:53], v[48:49], -v[56:57]
	v_fmac_f64_e32 v[60:61], v[52:53], v[44:45]
	v_add_f64 v[62:63], v[56:57], v[60:61]
	v_add_f64 v[64:65], v[54:55], -v[62:63]
	v_add_f64 v[54:55], v[54:55], -v[64:65]
	;; [unrolled: 1-line block ×4, first 2 shown]
	v_add_f64 v[50:51], v[50:51], v[54:55]
	v_add_f64 v[54:55], v[56:57], -v[60:61]
	v_add_f64 v[50:51], v[54:55], v[50:51]
	v_add_f64 v[54:55], v[64:65], v[50:51]
	v_add_f64 v[56:57], v[64:65], -v[54:55]
	v_add_f64 v[50:51], v[50:51], v[56:57]
	v_mul_f64 v[56:57], v[58:59], v[54:55]
	v_mul_f64 v[60:61], v[48:49], v[56:57]
	v_fma_f64 v[48:49], v[56:57], v[48:49], -v[60:61]
	v_fmac_f64_e32 v[48:49], v[56:57], v[44:45]
	v_add_f64 v[44:45], v[60:61], v[48:49]
	v_add_f64 v[62:63], v[54:55], -v[44:45]
	v_add_f64 v[54:55], v[54:55], -v[62:63]
	;; [unrolled: 1-line block ×4, first 2 shown]
	v_add_f64 v[44:45], v[50:51], v[44:45]
	v_add_f64 v[48:49], v[60:61], -v[48:49]
	v_add_f64 v[44:45], v[48:49], v[44:45]
	v_add_f64 v[48:49], v[52:53], v[56:57]
	;; [unrolled: 1-line block ×3, first 2 shown]
	v_add_f64 v[50:51], v[48:49], -v[52:53]
	v_mul_f64 v[44:45], v[58:59], v[44:45]
	v_add_f64 v[50:51], v[56:57], -v[50:51]
	v_add_f64 v[44:45], v[50:51], v[44:45]
	v_add_f64 v[50:51], v[48:49], v[44:45]
	v_add_f64 v[48:49], v[50:51], -v[48:49]
	s_mov_b32 s16, 0xbf559e2b
	v_add_f64 v[44:45], v[44:45], -v[48:49]
	v_mul_f64 v[48:49], v[50:51], v[50:51]
	v_mov_b32_e32 v52, 0x6b47b09a
	v_mov_b32_e32 v53, 0x3fc38538
	s_mov_b32 s17, 0x3fc3ab76
	v_fmac_f64_e32 v[52:53], s[16:17], v[48:49]
	v_mov_b32_e32 v54, 0xd7f4df2e
	v_mov_b32_e32 v55, 0x3fc7474d
	v_fmac_f64_e32 v[54:55], v[48:49], v[52:53]
	v_mov_b32_e32 v52, 0x16291751
	v_mov_b32_e32 v53, 0x3fcc71c0
	;; [unrolled: 3-line block ×5, first 2 shown]
	v_fmac_f64_e32 v[54:55], v[48:49], v[52:53]
	v_cvt_f64_i32_e32 v[52:53], v66
	v_mul_f64 v[56:57], v[52:53], s[40:41]
	v_fma_f64 v[58:59], v[52:53], s[40:41], -v[56:57]
	v_fmac_f64_e32 v[58:59], s[44:45], v[52:53]
	v_add_f64 v[52:53], v[56:57], v[58:59]
	v_add_f64 v[56:57], v[52:53], -v[56:57]
	v_mul_f64 v[48:49], v[50:51], v[48:49]
	v_add_f64 v[56:57], v[58:59], -v[56:57]
	v_ldexp_f64 v[58:59], v[50:51], 1
	v_mul_f64 v[48:49], v[48:49], v[54:55]
	v_add_f64 v[50:51], v[58:59], v[48:49]
	v_add_f64 v[54:55], v[50:51], -v[58:59]
	v_ldexp_f64 v[44:45], v[44:45], 1
	v_add_f64 v[48:49], v[48:49], -v[54:55]
	v_add_f64 v[44:45], v[44:45], v[48:49]
	v_add_f64 v[48:49], v[50:51], v[44:45]
	v_add_f64 v[50:51], v[48:49], -v[50:51]
	v_add_f64 v[44:45], v[44:45], -v[50:51]
	v_add_f64 v[50:51], v[52:53], v[48:49]
	v_add_f64 v[54:55], v[50:51], -v[52:53]
	v_add_f64 v[58:59], v[50:51], -v[54:55]
	;; [unrolled: 1-line block ×4, first 2 shown]
	v_add_f64 v[48:49], v[48:49], v[52:53]
	v_add_f64 v[52:53], v[56:57], v[44:45]
	v_add_f64 v[54:55], v[52:53], -v[56:57]
	v_add_f64 v[48:49], v[52:53], v[48:49]
	v_add_f64 v[58:59], v[52:53], -v[54:55]
	;; [unrolled: 2-line block ×3, first 2 shown]
	v_add_f64 v[44:45], v[44:45], -v[54:55]
	v_add_f64 v[50:51], v[52:53], -v[50:51]
	v_add_f64 v[44:45], v[44:45], v[56:57]
	v_add_f64 v[48:49], v[48:49], -v[50:51]
	s_mov_b32 s16, 0
	v_add_f64 v[44:45], v[44:45], v[48:49]
	s_mov_b32 s17, 0x7ff00000
	v_add_f64 v[44:45], v[52:53], v[44:45]
	v_cmp_neq_f64_e64 s[16:17], s[16:17], v[42:43]
	s_nop 1
	v_cndmask_b32_e64 v45, v47, v45, s[16:17]
	v_mov_b32_e32 v47, 0x7ff80000
	v_cndmask_b32_e64 v45, v47, v45, s[18:19]
	v_cmp_nge_f64_e64 s[18:19], -1.0, v[42:43]
	s_and_b64 s[16:17], s[18:19], s[16:17]
	v_cndmask_b32_e64 v44, 0, v44, s[16:17]
	v_mov_b32_e32 v47, 0xfff00000
	v_cmp_neq_f64_e64 s[16:17], -1.0, v[42:43]
	s_nop 1
	v_cndmask_b32_e64 v45, v47, v45, s[16:17]
	v_add_f64 v[42:43], v[10:11], v[44:45]
.LBB1_194:
	s_or_b64 exec, exec, s[36:37]
	v_mov_b64_e32 v[10:11], v[42:43]
	v_mov_b32_e32 v44, v42
	v_mov_b32_e32 v45, v43
.LBB1_195:
	s_or_b64 exec, exec, s[22:23]
	v_and_b32_e32 v47, 16, v46
	v_mov_b32_dpp v42, v44 row_bcast:15 row_mask:0xf bank_mask:0xf
	v_mov_b32_dpp v43, v45 row_bcast:15 row_mask:0xf bank_mask:0xf
	v_cmp_ne_u32_e64 s[16:17], 0, v47
	s_and_saveexec_b64 s[22:23], s[16:17]
	s_cbranch_execz .LBB1_199
; %bb.196:
	v_max_f64 v[48:49], v[42:43], v[42:43]
	v_max_f64 v[50:51], v[10:11], v[10:11]
	v_min_f64 v[44:45], v[48:49], v[50:51]
	v_cmp_u_f64_e64 s[16:17], v[42:43], v[42:43]
	v_max_f64 v[48:49], v[48:49], v[50:51]
	v_cmp_u_f64_e64 s[18:19], v[10:11], v[10:11]
	v_cndmask_b32_e64 v45, v45, v43, s[16:17]
	v_cndmask_b32_e64 v44, v44, v42, s[16:17]
	;; [unrolled: 1-line block ×8, first 2 shown]
	s_movk_i32 s18, 0x1f8
	v_cmp_neq_f64_e64 s[16:17], v[44:45], v[10:11]
	v_cmp_class_f64_e64 s[18:19], v[44:45], s18
	s_or_b64 s[16:17], s[16:17], s[18:19]
	s_and_saveexec_b64 s[36:37], s[16:17]
	s_cbranch_execz .LBB1_198
; %bb.197:
	s_mov_b32 s16, 0x652b82fe
	v_add_f64 v[42:43], v[44:45], -v[10:11]
	s_mov_b32 s17, 0x3ff71547
	v_mul_f64 v[44:45], v[42:43], s[16:17]
	v_rndne_f64_e32 v[44:45], v[44:45]
	s_mov_b32 s41, 0xbfe62e42
	s_mov_b32 s40, 0xfefa39ef
	v_fma_f64 v[48:49], s[40:41], v[44:45], v[42:43]
	s_mov_b32 s45, 0xbc7abc9e
	s_mov_b32 s44, 0x3b39803f
	;; [unrolled: 1-line block ×3, first 2 shown]
	v_fmac_f64_e32 v[48:49], s[44:45], v[44:45]
	v_mov_b32_e32 v50, 0xfca7ab0c
	v_mov_b32_e32 v51, 0x3e928af3
	s_mov_b32 s17, 0x3e5ade15
	v_fmac_f64_e32 v[50:51], s[16:17], v[48:49]
	v_mov_b32_e32 v52, 0x623fde64
	v_mov_b32_e32 v53, 0x3ec71dee
	v_fmac_f64_e32 v[52:53], v[48:49], v[50:51]
	v_mov_b32_e32 v50, 0x7c89e6b0
	v_mov_b32_e32 v51, 0x3efa0199
	v_fmac_f64_e32 v[50:51], v[48:49], v[52:53]
	v_mov_b32_e32 v52, 0x14761f6e
	v_mov_b32_e32 v53, 0x3f2a01a0
	v_fmac_f64_e32 v[52:53], v[48:49], v[50:51]
	v_mov_b32_e32 v50, 0x1852b7b0
	v_mov_b32_e32 v51, 0x3f56c16c
	v_fmac_f64_e32 v[50:51], v[48:49], v[52:53]
	v_mov_b32_e32 v52, 0x11122322
	v_mov_b32_e32 v53, 0x3f811111
	v_fmac_f64_e32 v[52:53], v[48:49], v[50:51]
	v_mov_b32_e32 v50, 0x555502a1
	v_mov_b32_e32 v51, 0x3fa55555
	v_fmac_f64_e32 v[50:51], v[48:49], v[52:53]
	v_mov_b32_e32 v52, 0x55555511
	v_mov_b32_e32 v53, 0x3fc55555
	v_fmac_f64_e32 v[52:53], v[48:49], v[50:51]
	v_mov_b32_e32 v50, 11
	v_mov_b32_e32 v51, 0x3fe00000
	v_fmac_f64_e32 v[50:51], v[48:49], v[52:53]
	v_fma_f64 v[50:51], v[48:49], v[50:51], 1.0
	s_mov_b32 s16, 0
	s_mov_b32 s18, 0
	v_fma_f64 v[48:49], v[48:49], v[50:51], 1.0
	v_cvt_i32_f64_e32 v44, v[44:45]
	s_mov_b32 s17, 0x40900000
	s_mov_b32 s19, 0xc090cc00
	v_ldexp_f64 v[44:45], v[48:49], v44
	v_mov_b32_e32 v47, 0x7ff00000
	v_cmp_nlt_f64_e64 s[16:17], s[16:17], v[42:43]
	v_cmp_ngt_f64_e64 s[18:19], s[18:19], v[42:43]
	s_mov_b32 s41, 0x3fe62e42
	v_cndmask_b32_e64 v45, v47, v45, s[16:17]
	s_and_b64 s[16:17], s[18:19], s[16:17]
	v_cndmask_b32_e64 v43, 0, v45, s[18:19]
	v_cndmask_b32_e64 v42, 0, v44, s[16:17]
	v_add_f64 v[44:45], v[42:43], 1.0
	v_add_f64 v[48:49], v[44:45], -1.0
	v_add_f64 v[50:51], v[48:49], -v[44:45]
	v_add_f64 v[50:51], v[50:51], 1.0
	v_add_f64 v[48:49], v[42:43], -v[48:49]
	s_mov_b32 s16, 0x55555555
	v_add_f64 v[48:49], v[48:49], v[50:51]
	v_frexp_mant_f64_e32 v[50:51], v[44:45]
	s_mov_b32 s17, 0x3fe55555
	v_frexp_exp_i32_f64_e32 v52, v[44:45]
	v_cmp_gt_f64_e64 s[16:17], s[16:17], v[50:51]
	s_mov_b32 s45, 0x3c7abc9e
	v_cmp_ngt_f64_e64 s[18:19], -1.0, v[42:43]
	v_subbrev_co_u32_e64 v66, s[16:17], 0, v52, s[16:17]
	v_sub_u32_e32 v50, 0, v66
	v_ldexp_f64 v[44:45], v[44:45], v50
	v_ldexp_f64 v[48:49], v[48:49], v50
	v_add_f64 v[50:51], v[44:45], -1.0
	v_add_f64 v[56:57], v[44:45], 1.0
	v_add_f64 v[52:53], v[50:51], 1.0
	v_add_f64 v[58:59], v[56:57], -1.0
	v_add_f64 v[52:53], v[44:45], -v[52:53]
	v_add_f64 v[44:45], v[44:45], -v[58:59]
	v_add_f64 v[44:45], v[48:49], v[44:45]
	v_add_f64 v[52:53], v[48:49], v[52:53]
	;; [unrolled: 1-line block ×3, first 2 shown]
	v_rcp_f64_e32 v[58:59], v[48:49]
	v_add_f64 v[54:55], v[50:51], v[52:53]
	v_add_f64 v[50:51], v[54:55], -v[50:51]
	v_add_f64 v[50:51], v[52:53], -v[50:51]
	;; [unrolled: 1-line block ×4, first 2 shown]
	v_fma_f64 v[52:53], -v[48:49], v[58:59], 1.0
	v_fmac_f64_e32 v[58:59], v[52:53], v[58:59]
	v_fma_f64 v[52:53], -v[48:49], v[58:59], 1.0
	v_fmac_f64_e32 v[58:59], v[52:53], v[58:59]
	v_mul_f64 v[52:53], v[54:55], v[58:59]
	v_mul_f64 v[56:57], v[48:49], v[52:53]
	v_fma_f64 v[60:61], v[52:53], v[48:49], -v[56:57]
	v_fmac_f64_e32 v[60:61], v[52:53], v[44:45]
	v_add_f64 v[62:63], v[56:57], v[60:61]
	v_add_f64 v[64:65], v[54:55], -v[62:63]
	v_add_f64 v[54:55], v[54:55], -v[64:65]
	;; [unrolled: 1-line block ×4, first 2 shown]
	v_add_f64 v[50:51], v[50:51], v[54:55]
	v_add_f64 v[54:55], v[56:57], -v[60:61]
	v_add_f64 v[50:51], v[54:55], v[50:51]
	v_add_f64 v[54:55], v[64:65], v[50:51]
	v_add_f64 v[56:57], v[64:65], -v[54:55]
	v_add_f64 v[50:51], v[50:51], v[56:57]
	v_mul_f64 v[56:57], v[58:59], v[54:55]
	v_mul_f64 v[60:61], v[48:49], v[56:57]
	v_fma_f64 v[48:49], v[56:57], v[48:49], -v[60:61]
	v_fmac_f64_e32 v[48:49], v[56:57], v[44:45]
	v_add_f64 v[44:45], v[60:61], v[48:49]
	v_add_f64 v[62:63], v[54:55], -v[44:45]
	v_add_f64 v[54:55], v[54:55], -v[62:63]
	;; [unrolled: 1-line block ×4, first 2 shown]
	v_add_f64 v[44:45], v[50:51], v[44:45]
	v_add_f64 v[48:49], v[60:61], -v[48:49]
	v_add_f64 v[44:45], v[48:49], v[44:45]
	v_add_f64 v[48:49], v[52:53], v[56:57]
	;; [unrolled: 1-line block ×3, first 2 shown]
	v_add_f64 v[50:51], v[48:49], -v[52:53]
	v_mul_f64 v[44:45], v[58:59], v[44:45]
	v_add_f64 v[50:51], v[56:57], -v[50:51]
	v_add_f64 v[44:45], v[50:51], v[44:45]
	v_add_f64 v[50:51], v[48:49], v[44:45]
	v_add_f64 v[48:49], v[50:51], -v[48:49]
	s_mov_b32 s16, 0xbf559e2b
	v_add_f64 v[44:45], v[44:45], -v[48:49]
	v_mul_f64 v[48:49], v[50:51], v[50:51]
	v_mov_b32_e32 v52, 0x6b47b09a
	v_mov_b32_e32 v53, 0x3fc38538
	s_mov_b32 s17, 0x3fc3ab76
	v_fmac_f64_e32 v[52:53], s[16:17], v[48:49]
	v_mov_b32_e32 v54, 0xd7f4df2e
	v_mov_b32_e32 v55, 0x3fc7474d
	v_fmac_f64_e32 v[54:55], v[48:49], v[52:53]
	v_mov_b32_e32 v52, 0x16291751
	v_mov_b32_e32 v53, 0x3fcc71c0
	;; [unrolled: 3-line block ×5, first 2 shown]
	v_fmac_f64_e32 v[54:55], v[48:49], v[52:53]
	v_cvt_f64_i32_e32 v[52:53], v66
	v_mul_f64 v[56:57], v[52:53], s[40:41]
	v_fma_f64 v[58:59], v[52:53], s[40:41], -v[56:57]
	v_fmac_f64_e32 v[58:59], s[44:45], v[52:53]
	v_add_f64 v[52:53], v[56:57], v[58:59]
	v_add_f64 v[56:57], v[52:53], -v[56:57]
	v_mul_f64 v[48:49], v[50:51], v[48:49]
	v_add_f64 v[56:57], v[58:59], -v[56:57]
	v_ldexp_f64 v[58:59], v[50:51], 1
	v_mul_f64 v[48:49], v[48:49], v[54:55]
	v_add_f64 v[50:51], v[58:59], v[48:49]
	v_add_f64 v[54:55], v[50:51], -v[58:59]
	v_ldexp_f64 v[44:45], v[44:45], 1
	v_add_f64 v[48:49], v[48:49], -v[54:55]
	v_add_f64 v[44:45], v[44:45], v[48:49]
	v_add_f64 v[48:49], v[50:51], v[44:45]
	v_add_f64 v[50:51], v[48:49], -v[50:51]
	v_add_f64 v[44:45], v[44:45], -v[50:51]
	v_add_f64 v[50:51], v[52:53], v[48:49]
	v_add_f64 v[54:55], v[50:51], -v[52:53]
	v_add_f64 v[58:59], v[50:51], -v[54:55]
	;; [unrolled: 1-line block ×4, first 2 shown]
	v_add_f64 v[48:49], v[48:49], v[52:53]
	v_add_f64 v[52:53], v[56:57], v[44:45]
	v_add_f64 v[54:55], v[52:53], -v[56:57]
	v_add_f64 v[48:49], v[52:53], v[48:49]
	v_add_f64 v[58:59], v[52:53], -v[54:55]
	;; [unrolled: 2-line block ×3, first 2 shown]
	v_add_f64 v[44:45], v[44:45], -v[54:55]
	v_add_f64 v[50:51], v[52:53], -v[50:51]
	v_add_f64 v[44:45], v[44:45], v[56:57]
	v_add_f64 v[48:49], v[48:49], -v[50:51]
	s_mov_b32 s16, 0
	v_add_f64 v[44:45], v[44:45], v[48:49]
	s_mov_b32 s17, 0x7ff00000
	v_add_f64 v[44:45], v[52:53], v[44:45]
	v_cmp_neq_f64_e64 s[16:17], s[16:17], v[42:43]
	s_nop 1
	v_cndmask_b32_e64 v45, v47, v45, s[16:17]
	v_mov_b32_e32 v47, 0x7ff80000
	v_cndmask_b32_e64 v45, v47, v45, s[18:19]
	v_cmp_nge_f64_e64 s[18:19], -1.0, v[42:43]
	s_and_b64 s[16:17], s[18:19], s[16:17]
	v_cndmask_b32_e64 v44, 0, v44, s[16:17]
	v_mov_b32_e32 v47, 0xfff00000
	v_cmp_neq_f64_e64 s[16:17], -1.0, v[42:43]
	s_nop 1
	v_cndmask_b32_e64 v45, v47, v45, s[16:17]
	v_add_f64 v[42:43], v[10:11], v[44:45]
.LBB1_198:
	s_or_b64 exec, exec, s[36:37]
	v_mov_b32_e32 v44, v42
	v_mov_b32_e32 v45, v43
	v_mov_b64_e32 v[10:11], v[42:43]
.LBB1_199:
	s_or_b64 exec, exec, s[22:23]
	v_mov_b32_dpp v42, v44 row_bcast:31 row_mask:0xf bank_mask:0xf
	v_mov_b32_dpp v43, v45 row_bcast:31 row_mask:0xf bank_mask:0xf
	v_cmp_lt_u32_e64 s[16:17], 31, v46
	s_and_saveexec_b64 s[22:23], s[16:17]
	s_cbranch_execz .LBB1_203
; %bb.200:
	v_max_f64 v[48:49], v[42:43], v[42:43]
	v_max_f64 v[50:51], v[10:11], v[10:11]
	v_min_f64 v[44:45], v[48:49], v[50:51]
	v_cmp_u_f64_e64 s[16:17], v[42:43], v[42:43]
	v_max_f64 v[48:49], v[48:49], v[50:51]
	v_cmp_u_f64_e64 s[18:19], v[10:11], v[10:11]
	v_cndmask_b32_e64 v45, v45, v43, s[16:17]
	v_cndmask_b32_e64 v44, v44, v42, s[16:17]
	;; [unrolled: 1-line block ×8, first 2 shown]
	s_movk_i32 s18, 0x1f8
	v_cmp_neq_f64_e64 s[16:17], v[44:45], v[10:11]
	v_cmp_class_f64_e64 s[18:19], v[44:45], s18
	s_or_b64 s[16:17], s[16:17], s[18:19]
	s_and_saveexec_b64 s[36:37], s[16:17]
	s_cbranch_execz .LBB1_202
; %bb.201:
	s_mov_b32 s16, 0x652b82fe
	v_add_f64 v[42:43], v[44:45], -v[10:11]
	s_mov_b32 s17, 0x3ff71547
	v_mul_f64 v[44:45], v[42:43], s[16:17]
	v_rndne_f64_e32 v[44:45], v[44:45]
	s_mov_b32 s41, 0xbfe62e42
	s_mov_b32 s40, 0xfefa39ef
	v_fma_f64 v[48:49], s[40:41], v[44:45], v[42:43]
	s_mov_b32 s45, 0xbc7abc9e
	s_mov_b32 s44, 0x3b39803f
	;; [unrolled: 1-line block ×3, first 2 shown]
	v_fmac_f64_e32 v[48:49], s[44:45], v[44:45]
	v_mov_b32_e32 v50, 0xfca7ab0c
	v_mov_b32_e32 v51, 0x3e928af3
	s_mov_b32 s17, 0x3e5ade15
	v_fmac_f64_e32 v[50:51], s[16:17], v[48:49]
	v_mov_b32_e32 v52, 0x623fde64
	v_mov_b32_e32 v53, 0x3ec71dee
	v_fmac_f64_e32 v[52:53], v[48:49], v[50:51]
	v_mov_b32_e32 v50, 0x7c89e6b0
	v_mov_b32_e32 v51, 0x3efa0199
	;; [unrolled: 3-line block ×8, first 2 shown]
	v_fmac_f64_e32 v[50:51], v[48:49], v[52:53]
	v_fma_f64 v[50:51], v[48:49], v[50:51], 1.0
	s_mov_b32 s16, 0
	s_mov_b32 s18, 0
	v_fma_f64 v[48:49], v[48:49], v[50:51], 1.0
	v_cvt_i32_f64_e32 v44, v[44:45]
	s_mov_b32 s17, 0x40900000
	s_mov_b32 s19, 0xc090cc00
	v_ldexp_f64 v[44:45], v[48:49], v44
	v_mov_b32_e32 v47, 0x7ff00000
	v_cmp_nlt_f64_e64 s[16:17], s[16:17], v[42:43]
	v_cmp_ngt_f64_e64 s[18:19], s[18:19], v[42:43]
	s_mov_b32 s41, 0x3fe62e42
	v_cndmask_b32_e64 v45, v47, v45, s[16:17]
	s_and_b64 s[16:17], s[18:19], s[16:17]
	v_cndmask_b32_e64 v43, 0, v45, s[18:19]
	v_cndmask_b32_e64 v42, 0, v44, s[16:17]
	v_add_f64 v[44:45], v[42:43], 1.0
	v_add_f64 v[48:49], v[44:45], -1.0
	v_add_f64 v[50:51], v[48:49], -v[44:45]
	v_add_f64 v[50:51], v[50:51], 1.0
	v_add_f64 v[48:49], v[42:43], -v[48:49]
	s_mov_b32 s16, 0x55555555
	v_add_f64 v[48:49], v[48:49], v[50:51]
	v_frexp_mant_f64_e32 v[50:51], v[44:45]
	s_mov_b32 s17, 0x3fe55555
	v_frexp_exp_i32_f64_e32 v52, v[44:45]
	v_cmp_gt_f64_e64 s[16:17], s[16:17], v[50:51]
	s_mov_b32 s45, 0x3c7abc9e
	v_cmp_ngt_f64_e64 s[18:19], -1.0, v[42:43]
	v_subbrev_co_u32_e64 v66, s[16:17], 0, v52, s[16:17]
	v_sub_u32_e32 v50, 0, v66
	v_ldexp_f64 v[44:45], v[44:45], v50
	v_ldexp_f64 v[48:49], v[48:49], v50
	v_add_f64 v[50:51], v[44:45], -1.0
	v_add_f64 v[56:57], v[44:45], 1.0
	v_add_f64 v[52:53], v[50:51], 1.0
	v_add_f64 v[58:59], v[56:57], -1.0
	v_add_f64 v[52:53], v[44:45], -v[52:53]
	v_add_f64 v[44:45], v[44:45], -v[58:59]
	v_add_f64 v[44:45], v[48:49], v[44:45]
	v_add_f64 v[52:53], v[48:49], v[52:53]
	;; [unrolled: 1-line block ×3, first 2 shown]
	v_rcp_f64_e32 v[58:59], v[48:49]
	v_add_f64 v[54:55], v[50:51], v[52:53]
	v_add_f64 v[50:51], v[54:55], -v[50:51]
	v_add_f64 v[50:51], v[52:53], -v[50:51]
	;; [unrolled: 1-line block ×4, first 2 shown]
	v_fma_f64 v[52:53], -v[48:49], v[58:59], 1.0
	v_fmac_f64_e32 v[58:59], v[52:53], v[58:59]
	v_fma_f64 v[52:53], -v[48:49], v[58:59], 1.0
	v_fmac_f64_e32 v[58:59], v[52:53], v[58:59]
	v_mul_f64 v[52:53], v[54:55], v[58:59]
	v_mul_f64 v[56:57], v[48:49], v[52:53]
	v_fma_f64 v[60:61], v[52:53], v[48:49], -v[56:57]
	v_fmac_f64_e32 v[60:61], v[52:53], v[44:45]
	v_add_f64 v[62:63], v[56:57], v[60:61]
	v_add_f64 v[64:65], v[54:55], -v[62:63]
	v_add_f64 v[54:55], v[54:55], -v[64:65]
	;; [unrolled: 1-line block ×4, first 2 shown]
	v_add_f64 v[50:51], v[50:51], v[54:55]
	v_add_f64 v[54:55], v[56:57], -v[60:61]
	v_add_f64 v[50:51], v[54:55], v[50:51]
	v_add_f64 v[54:55], v[64:65], v[50:51]
	v_add_f64 v[56:57], v[64:65], -v[54:55]
	v_add_f64 v[50:51], v[50:51], v[56:57]
	v_mul_f64 v[56:57], v[58:59], v[54:55]
	v_mul_f64 v[60:61], v[48:49], v[56:57]
	v_fma_f64 v[48:49], v[56:57], v[48:49], -v[60:61]
	v_fmac_f64_e32 v[48:49], v[56:57], v[44:45]
	v_add_f64 v[44:45], v[60:61], v[48:49]
	v_add_f64 v[62:63], v[54:55], -v[44:45]
	v_add_f64 v[54:55], v[54:55], -v[62:63]
	;; [unrolled: 1-line block ×4, first 2 shown]
	v_add_f64 v[44:45], v[50:51], v[44:45]
	v_add_f64 v[48:49], v[60:61], -v[48:49]
	v_add_f64 v[44:45], v[48:49], v[44:45]
	v_add_f64 v[48:49], v[52:53], v[56:57]
	;; [unrolled: 1-line block ×3, first 2 shown]
	v_add_f64 v[50:51], v[48:49], -v[52:53]
	v_mul_f64 v[44:45], v[58:59], v[44:45]
	v_add_f64 v[50:51], v[56:57], -v[50:51]
	v_add_f64 v[44:45], v[50:51], v[44:45]
	v_add_f64 v[50:51], v[48:49], v[44:45]
	v_add_f64 v[48:49], v[50:51], -v[48:49]
	s_mov_b32 s16, 0xbf559e2b
	v_add_f64 v[44:45], v[44:45], -v[48:49]
	v_mul_f64 v[48:49], v[50:51], v[50:51]
	v_mov_b32_e32 v52, 0x6b47b09a
	v_mov_b32_e32 v53, 0x3fc38538
	s_mov_b32 s17, 0x3fc3ab76
	v_fmac_f64_e32 v[52:53], s[16:17], v[48:49]
	v_mov_b32_e32 v54, 0xd7f4df2e
	v_mov_b32_e32 v55, 0x3fc7474d
	v_fmac_f64_e32 v[54:55], v[48:49], v[52:53]
	v_mov_b32_e32 v52, 0x16291751
	v_mov_b32_e32 v53, 0x3fcc71c0
	;; [unrolled: 3-line block ×5, first 2 shown]
	v_fmac_f64_e32 v[54:55], v[48:49], v[52:53]
	v_cvt_f64_i32_e32 v[52:53], v66
	v_mul_f64 v[56:57], v[52:53], s[40:41]
	v_fma_f64 v[58:59], v[52:53], s[40:41], -v[56:57]
	v_fmac_f64_e32 v[58:59], s[44:45], v[52:53]
	v_add_f64 v[52:53], v[56:57], v[58:59]
	v_add_f64 v[56:57], v[52:53], -v[56:57]
	v_mul_f64 v[48:49], v[50:51], v[48:49]
	v_add_f64 v[56:57], v[58:59], -v[56:57]
	v_ldexp_f64 v[58:59], v[50:51], 1
	v_mul_f64 v[48:49], v[48:49], v[54:55]
	v_add_f64 v[50:51], v[58:59], v[48:49]
	v_add_f64 v[54:55], v[50:51], -v[58:59]
	v_ldexp_f64 v[44:45], v[44:45], 1
	v_add_f64 v[48:49], v[48:49], -v[54:55]
	v_add_f64 v[44:45], v[44:45], v[48:49]
	v_add_f64 v[48:49], v[50:51], v[44:45]
	v_add_f64 v[50:51], v[48:49], -v[50:51]
	v_add_f64 v[44:45], v[44:45], -v[50:51]
	v_add_f64 v[50:51], v[52:53], v[48:49]
	v_add_f64 v[54:55], v[50:51], -v[52:53]
	v_add_f64 v[58:59], v[50:51], -v[54:55]
	;; [unrolled: 1-line block ×4, first 2 shown]
	v_add_f64 v[48:49], v[48:49], v[52:53]
	v_add_f64 v[52:53], v[56:57], v[44:45]
	v_add_f64 v[54:55], v[52:53], -v[56:57]
	v_add_f64 v[48:49], v[52:53], v[48:49]
	v_add_f64 v[58:59], v[52:53], -v[54:55]
	v_add_f64 v[52:53], v[50:51], v[48:49]
	v_add_f64 v[56:57], v[56:57], -v[58:59]
	v_add_f64 v[44:45], v[44:45], -v[54:55]
	v_add_f64 v[50:51], v[52:53], -v[50:51]
	v_add_f64 v[44:45], v[44:45], v[56:57]
	v_add_f64 v[48:49], v[48:49], -v[50:51]
	s_mov_b32 s16, 0
	v_add_f64 v[44:45], v[44:45], v[48:49]
	s_mov_b32 s17, 0x7ff00000
	v_add_f64 v[44:45], v[52:53], v[44:45]
	v_cmp_neq_f64_e64 s[16:17], s[16:17], v[42:43]
	s_nop 1
	v_cndmask_b32_e64 v45, v47, v45, s[16:17]
	v_mov_b32_e32 v47, 0x7ff80000
	v_cndmask_b32_e64 v45, v47, v45, s[18:19]
	v_cmp_nge_f64_e64 s[18:19], -1.0, v[42:43]
	s_and_b64 s[16:17], s[18:19], s[16:17]
	v_cndmask_b32_e64 v44, 0, v44, s[16:17]
	v_mov_b32_e32 v47, 0xfff00000
	v_cmp_neq_f64_e64 s[16:17], -1.0, v[42:43]
	s_nop 1
	v_cndmask_b32_e64 v45, v47, v45, s[16:17]
	v_add_f64 v[42:43], v[10:11], v[44:45]
.LBB1_202:
	s_or_b64 exec, exec, s[36:37]
	v_mov_b64_e32 v[10:11], v[42:43]
.LBB1_203:
	s_or_b64 exec, exec, s[22:23]
	v_add_u32_e32 v42, -1, v46
	v_and_b32_e32 v43, 64, v46
	v_cmp_lt_i32_e64 s[16:17], v42, v43
	s_movk_i32 s40, 0x1f8
	s_nop 0
	v_cndmask_b32_e64 v42, v42, v46, s[16:17]
	v_lshlrev_b32_e32 v42, 2, v42
	ds_bpermute_b32 v10, v42, v10
	ds_bpermute_b32 v11, v42, v11
	s_waitcnt lgkmcnt(0)
	v_max_f64 v[44:45], v[10:11], v[10:11]
	v_min_f64 v[42:43], v[44:45], v[40:41]
	v_cmp_u_f64_e64 s[16:17], v[10:11], v[10:11]
	v_max_f64 v[40:41], v[44:45], v[40:41]
	s_nop 0
	v_cndmask_b32_e64 v42, v42, v10, s[16:17]
	v_cndmask_b32_e64 v43, v43, v11, s[16:17]
	;; [unrolled: 1-line block ×8, first 2 shown]
	v_cmp_neq_f64_e64 s[14:15], v[42:43], v[8:9]
	v_cmp_class_f64_e64 s[16:17], v[42:43], s40
	s_or_b64 s[14:15], s[14:15], s[16:17]
	s_and_saveexec_b64 s[18:19], s[14:15]
	s_cbranch_execz .LBB1_205
; %bb.204:
	s_mov_b32 s14, 0x652b82fe
	v_add_f64 v[10:11], v[42:43], -v[8:9]
	s_mov_b32 s15, 0x3ff71547
	v_mul_f64 v[40:41], v[10:11], s[14:15]
	v_rndne_f64_e32 v[40:41], v[40:41]
	s_mov_b32 s23, 0xbfe62e42
	s_mov_b32 s22, 0xfefa39ef
	v_fma_f64 v[42:43], s[22:23], v[40:41], v[10:11]
	s_mov_b32 s37, 0xbc7abc9e
	s_mov_b32 s36, 0x3b39803f
	;; [unrolled: 1-line block ×3, first 2 shown]
	v_fmac_f64_e32 v[42:43], s[36:37], v[40:41]
	v_mov_b32_e32 v44, 0xfca7ab0c
	v_mov_b32_e32 v45, 0x3e928af3
	s_mov_b32 s15, 0x3e5ade15
	v_fmac_f64_e32 v[44:45], s[14:15], v[42:43]
	v_mov_b32_e32 v46, 0x623fde64
	v_mov_b32_e32 v47, 0x3ec71dee
	v_fmac_f64_e32 v[46:47], v[42:43], v[44:45]
	v_mov_b32_e32 v44, 0x7c89e6b0
	v_mov_b32_e32 v45, 0x3efa0199
	;; [unrolled: 3-line block ×8, first 2 shown]
	v_fmac_f64_e32 v[44:45], v[42:43], v[46:47]
	v_fma_f64 v[44:45], v[42:43], v[44:45], 1.0
	s_mov_b32 s14, 0
	s_mov_b32 s16, 0
	v_fma_f64 v[42:43], v[42:43], v[44:45], 1.0
	v_cvt_i32_f64_e32 v40, v[40:41]
	s_mov_b32 s15, 0x40900000
	s_mov_b32 s17, 0xc090cc00
	v_ldexp_f64 v[40:41], v[42:43], v40
	v_mov_b32_e32 v60, 0x7ff00000
	v_cmp_nlt_f64_e64 s[14:15], s[14:15], v[10:11]
	v_cmp_ngt_f64_e64 s[16:17], s[16:17], v[10:11]
	s_mov_b32 s23, 0x3fe62e42
	v_cndmask_b32_e64 v41, v60, v41, s[14:15]
	s_and_b64 s[14:15], s[16:17], s[14:15]
	v_cndmask_b32_e64 v11, 0, v41, s[16:17]
	v_cndmask_b32_e64 v10, 0, v40, s[14:15]
	v_add_f64 v[40:41], v[10:11], 1.0
	v_add_f64 v[42:43], v[40:41], -1.0
	v_add_f64 v[44:45], v[42:43], -v[40:41]
	v_add_f64 v[44:45], v[44:45], 1.0
	v_add_f64 v[42:43], v[10:11], -v[42:43]
	s_mov_b32 s14, 0x55555555
	v_add_f64 v[42:43], v[42:43], v[44:45]
	v_frexp_mant_f64_e32 v[44:45], v[40:41]
	s_mov_b32 s15, 0x3fe55555
	v_frexp_exp_i32_f64_e32 v46, v[40:41]
	v_cmp_gt_f64_e64 s[14:15], s[14:15], v[44:45]
	s_mov_b32 s37, 0x3c7abc9e
	v_cmp_ngt_f64_e64 s[16:17], -1.0, v[10:11]
	v_subbrev_co_u32_e64 v61, s[14:15], 0, v46, s[14:15]
	v_sub_u32_e32 v44, 0, v61
	v_ldexp_f64 v[40:41], v[40:41], v44
	v_ldexp_f64 v[42:43], v[42:43], v44
	v_add_f64 v[44:45], v[40:41], -1.0
	v_add_f64 v[50:51], v[40:41], 1.0
	v_add_f64 v[46:47], v[44:45], 1.0
	v_add_f64 v[52:53], v[50:51], -1.0
	v_add_f64 v[46:47], v[40:41], -v[46:47]
	v_add_f64 v[40:41], v[40:41], -v[52:53]
	v_add_f64 v[40:41], v[42:43], v[40:41]
	v_add_f64 v[46:47], v[42:43], v[46:47]
	;; [unrolled: 1-line block ×3, first 2 shown]
	v_rcp_f64_e32 v[52:53], v[42:43]
	v_add_f64 v[48:49], v[44:45], v[46:47]
	v_add_f64 v[44:45], v[48:49], -v[44:45]
	v_add_f64 v[44:45], v[46:47], -v[44:45]
	;; [unrolled: 1-line block ×4, first 2 shown]
	v_fma_f64 v[46:47], -v[42:43], v[52:53], 1.0
	v_fmac_f64_e32 v[52:53], v[46:47], v[52:53]
	v_fma_f64 v[46:47], -v[42:43], v[52:53], 1.0
	v_fmac_f64_e32 v[52:53], v[46:47], v[52:53]
	v_mul_f64 v[46:47], v[48:49], v[52:53]
	v_mul_f64 v[50:51], v[42:43], v[46:47]
	v_fma_f64 v[54:55], v[46:47], v[42:43], -v[50:51]
	v_fmac_f64_e32 v[54:55], v[46:47], v[40:41]
	v_add_f64 v[56:57], v[50:51], v[54:55]
	v_add_f64 v[58:59], v[48:49], -v[56:57]
	v_add_f64 v[48:49], v[48:49], -v[58:59]
	;; [unrolled: 1-line block ×4, first 2 shown]
	v_add_f64 v[44:45], v[44:45], v[48:49]
	v_add_f64 v[48:49], v[50:51], -v[54:55]
	v_add_f64 v[44:45], v[48:49], v[44:45]
	v_add_f64 v[48:49], v[58:59], v[44:45]
	v_add_f64 v[50:51], v[58:59], -v[48:49]
	v_add_f64 v[44:45], v[44:45], v[50:51]
	v_mul_f64 v[50:51], v[52:53], v[48:49]
	v_mul_f64 v[54:55], v[42:43], v[50:51]
	v_fma_f64 v[42:43], v[50:51], v[42:43], -v[54:55]
	v_fmac_f64_e32 v[42:43], v[50:51], v[40:41]
	v_add_f64 v[40:41], v[54:55], v[42:43]
	v_add_f64 v[56:57], v[48:49], -v[40:41]
	v_add_f64 v[48:49], v[48:49], -v[56:57]
	;; [unrolled: 1-line block ×4, first 2 shown]
	v_add_f64 v[40:41], v[44:45], v[40:41]
	v_add_f64 v[42:43], v[54:55], -v[42:43]
	v_add_f64 v[40:41], v[42:43], v[40:41]
	v_add_f64 v[42:43], v[46:47], v[50:51]
	;; [unrolled: 1-line block ×3, first 2 shown]
	v_add_f64 v[44:45], v[42:43], -v[46:47]
	v_mul_f64 v[40:41], v[52:53], v[40:41]
	v_add_f64 v[44:45], v[50:51], -v[44:45]
	v_add_f64 v[40:41], v[44:45], v[40:41]
	v_add_f64 v[44:45], v[42:43], v[40:41]
	v_add_f64 v[42:43], v[44:45], -v[42:43]
	s_mov_b32 s14, 0xbf559e2b
	v_add_f64 v[40:41], v[40:41], -v[42:43]
	v_mul_f64 v[42:43], v[44:45], v[44:45]
	v_mov_b32_e32 v46, 0x6b47b09a
	v_mov_b32_e32 v47, 0x3fc38538
	s_mov_b32 s15, 0x3fc3ab76
	v_fmac_f64_e32 v[46:47], s[14:15], v[42:43]
	v_mov_b32_e32 v48, 0xd7f4df2e
	v_mov_b32_e32 v49, 0x3fc7474d
	v_fmac_f64_e32 v[48:49], v[42:43], v[46:47]
	v_mov_b32_e32 v46, 0x16291751
	v_mov_b32_e32 v47, 0x3fcc71c0
	;; [unrolled: 3-line block ×5, first 2 shown]
	v_fmac_f64_e32 v[48:49], v[42:43], v[46:47]
	v_cvt_f64_i32_e32 v[46:47], v61
	v_mul_f64 v[50:51], v[46:47], s[22:23]
	v_fma_f64 v[52:53], v[46:47], s[22:23], -v[50:51]
	v_fmac_f64_e32 v[52:53], s[36:37], v[46:47]
	v_add_f64 v[46:47], v[50:51], v[52:53]
	v_add_f64 v[50:51], v[46:47], -v[50:51]
	v_mul_f64 v[42:43], v[44:45], v[42:43]
	v_add_f64 v[50:51], v[52:53], -v[50:51]
	v_ldexp_f64 v[52:53], v[44:45], 1
	v_mul_f64 v[42:43], v[42:43], v[48:49]
	v_add_f64 v[44:45], v[52:53], v[42:43]
	v_add_f64 v[48:49], v[44:45], -v[52:53]
	v_ldexp_f64 v[40:41], v[40:41], 1
	v_add_f64 v[42:43], v[42:43], -v[48:49]
	v_add_f64 v[40:41], v[40:41], v[42:43]
	v_add_f64 v[42:43], v[44:45], v[40:41]
	v_add_f64 v[44:45], v[42:43], -v[44:45]
	v_add_f64 v[40:41], v[40:41], -v[44:45]
	v_add_f64 v[44:45], v[46:47], v[42:43]
	v_add_f64 v[48:49], v[44:45], -v[46:47]
	v_add_f64 v[52:53], v[44:45], -v[48:49]
	;; [unrolled: 1-line block ×4, first 2 shown]
	v_add_f64 v[42:43], v[42:43], v[46:47]
	v_add_f64 v[46:47], v[50:51], v[40:41]
	v_add_f64 v[48:49], v[46:47], -v[50:51]
	v_add_f64 v[42:43], v[46:47], v[42:43]
	v_add_f64 v[52:53], v[46:47], -v[48:49]
	;; [unrolled: 2-line block ×3, first 2 shown]
	v_add_f64 v[40:41], v[40:41], -v[48:49]
	v_add_f64 v[44:45], v[46:47], -v[44:45]
	v_add_f64 v[40:41], v[40:41], v[50:51]
	v_add_f64 v[42:43], v[42:43], -v[44:45]
	s_mov_b32 s14, 0
	v_add_f64 v[40:41], v[40:41], v[42:43]
	s_mov_b32 s15, 0x7ff00000
	v_add_f64 v[40:41], v[46:47], v[40:41]
	v_cmp_neq_f64_e64 s[14:15], s[14:15], v[10:11]
	v_mov_b32_e32 v42, 0x7ff80000
	s_nop 0
	v_cndmask_b32_e64 v41, v60, v41, s[14:15]
	v_cndmask_b32_e64 v41, v42, v41, s[16:17]
	v_cmp_nge_f64_e64 s[16:17], -1.0, v[10:11]
	s_and_b64 s[14:15], s[16:17], s[14:15]
	v_cndmask_b32_e64 v40, 0, v40, s[14:15]
	v_mov_b32_e32 v42, 0xfff00000
	v_cmp_neq_f64_e64 s[14:15], -1.0, v[10:11]
	s_nop 1
	v_cndmask_b32_e64 v41, v42, v41, s[14:15]
	v_add_f64 v[10:11], v[8:9], v[40:41]
.LBB1_205:
	s_or_b64 exec, exec, s[18:19]
	v_cndmask_b32_e64 v11, v11, v39, s[12:13]
	v_cndmask_b32_e64 v10, v10, v38, s[12:13]
	; wave barrier
	ds_write_b64 v31, v[10:11]
	; wave barrier
	ds_read_b64 v[8:9], v31 offset:8
	v_max_f64 v[40:41], v[10:11], v[10:11]
	v_cmp_u_f64_e64 s[12:13], v[10:11], v[10:11]
	s_waitcnt lgkmcnt(0)
	v_max_f64 v[42:43], v[8:9], v[8:9]
	v_min_f64 v[38:39], v[40:41], v[42:43]
	v_max_f64 v[40:41], v[40:41], v[42:43]
	v_cndmask_b32_e64 v38, v38, v10, s[12:13]
	v_cndmask_b32_e64 v39, v39, v11, s[12:13]
	v_cmp_u_f64_e64 s[14:15], v[8:9], v[8:9]
	v_cndmask_b32_e64 v40, v40, v10, s[12:13]
	v_cndmask_b32_e64 v41, v41, v11, s[12:13]
	;; [unrolled: 1-line block ×6, first 2 shown]
	v_cmp_neq_f64_e64 s[12:13], v[38:39], v[8:9]
	v_cmp_class_f64_e64 s[14:15], v[38:39], s40
	s_or_b64 s[12:13], s[12:13], s[14:15]
	s_and_saveexec_b64 s[16:17], s[12:13]
	s_cbranch_execz .LBB1_207
; %bb.206:
	s_mov_b32 s12, 0x652b82fe
	v_add_f64 v[10:11], v[38:39], -v[8:9]
	s_mov_b32 s13, 0x3ff71547
	v_mul_f64 v[38:39], v[10:11], s[12:13]
	v_rndne_f64_e32 v[38:39], v[38:39]
	s_mov_b32 s19, 0xbfe62e42
	s_mov_b32 s18, 0xfefa39ef
	v_fma_f64 v[40:41], s[18:19], v[38:39], v[10:11]
	s_mov_b32 s23, 0xbc7abc9e
	s_mov_b32 s22, 0x3b39803f
	;; [unrolled: 1-line block ×3, first 2 shown]
	v_fmac_f64_e32 v[40:41], s[22:23], v[38:39]
	v_mov_b32_e32 v42, 0xfca7ab0c
	v_mov_b32_e32 v43, 0x3e928af3
	s_mov_b32 s13, 0x3e5ade15
	v_fmac_f64_e32 v[42:43], s[12:13], v[40:41]
	v_mov_b32_e32 v44, 0x623fde64
	v_mov_b32_e32 v45, 0x3ec71dee
	v_fmac_f64_e32 v[44:45], v[40:41], v[42:43]
	v_mov_b32_e32 v42, 0x7c89e6b0
	v_mov_b32_e32 v43, 0x3efa0199
	;; [unrolled: 3-line block ×8, first 2 shown]
	v_fmac_f64_e32 v[42:43], v[40:41], v[44:45]
	v_fma_f64 v[42:43], v[40:41], v[42:43], 1.0
	s_mov_b32 s12, 0
	s_mov_b32 s14, 0
	v_fma_f64 v[40:41], v[40:41], v[42:43], 1.0
	v_cvt_i32_f64_e32 v38, v[38:39]
	s_mov_b32 s13, 0x40900000
	s_mov_b32 s15, 0xc090cc00
	v_ldexp_f64 v[38:39], v[40:41], v38
	v_mov_b32_e32 v58, 0x7ff00000
	v_cmp_nlt_f64_e64 s[12:13], s[12:13], v[10:11]
	v_cmp_ngt_f64_e64 s[14:15], s[14:15], v[10:11]
	s_mov_b32 s19, 0x3fe62e42
	v_cndmask_b32_e64 v39, v58, v39, s[12:13]
	s_and_b64 s[12:13], s[14:15], s[12:13]
	v_cndmask_b32_e64 v11, 0, v39, s[14:15]
	v_cndmask_b32_e64 v10, 0, v38, s[12:13]
	v_add_f64 v[38:39], v[10:11], 1.0
	v_add_f64 v[40:41], v[38:39], -1.0
	v_add_f64 v[42:43], v[40:41], -v[38:39]
	v_add_f64 v[42:43], v[42:43], 1.0
	v_add_f64 v[40:41], v[10:11], -v[40:41]
	s_mov_b32 s12, 0x55555555
	v_add_f64 v[40:41], v[40:41], v[42:43]
	v_frexp_mant_f64_e32 v[42:43], v[38:39]
	s_mov_b32 s13, 0x3fe55555
	v_frexp_exp_i32_f64_e32 v44, v[38:39]
	v_cmp_gt_f64_e64 s[12:13], s[12:13], v[42:43]
	s_mov_b32 s23, 0x3c7abc9e
	v_cmp_ngt_f64_e64 s[14:15], -1.0, v[10:11]
	v_subbrev_co_u32_e64 v59, s[12:13], 0, v44, s[12:13]
	v_sub_u32_e32 v42, 0, v59
	v_ldexp_f64 v[38:39], v[38:39], v42
	v_ldexp_f64 v[40:41], v[40:41], v42
	v_add_f64 v[42:43], v[38:39], -1.0
	v_add_f64 v[48:49], v[38:39], 1.0
	v_add_f64 v[44:45], v[42:43], 1.0
	v_add_f64 v[50:51], v[48:49], -1.0
	v_add_f64 v[44:45], v[38:39], -v[44:45]
	v_add_f64 v[38:39], v[38:39], -v[50:51]
	v_add_f64 v[38:39], v[40:41], v[38:39]
	v_add_f64 v[44:45], v[40:41], v[44:45]
	;; [unrolled: 1-line block ×3, first 2 shown]
	v_rcp_f64_e32 v[50:51], v[40:41]
	v_add_f64 v[46:47], v[42:43], v[44:45]
	v_add_f64 v[42:43], v[46:47], -v[42:43]
	v_add_f64 v[42:43], v[44:45], -v[42:43]
	;; [unrolled: 1-line block ×4, first 2 shown]
	v_fma_f64 v[44:45], -v[40:41], v[50:51], 1.0
	v_fmac_f64_e32 v[50:51], v[44:45], v[50:51]
	v_fma_f64 v[44:45], -v[40:41], v[50:51], 1.0
	v_fmac_f64_e32 v[50:51], v[44:45], v[50:51]
	v_mul_f64 v[44:45], v[46:47], v[50:51]
	v_mul_f64 v[48:49], v[40:41], v[44:45]
	v_fma_f64 v[52:53], v[44:45], v[40:41], -v[48:49]
	v_fmac_f64_e32 v[52:53], v[44:45], v[38:39]
	v_add_f64 v[54:55], v[48:49], v[52:53]
	v_add_f64 v[56:57], v[46:47], -v[54:55]
	v_add_f64 v[46:47], v[46:47], -v[56:57]
	;; [unrolled: 1-line block ×4, first 2 shown]
	v_add_f64 v[42:43], v[42:43], v[46:47]
	v_add_f64 v[46:47], v[48:49], -v[52:53]
	v_add_f64 v[42:43], v[46:47], v[42:43]
	v_add_f64 v[46:47], v[56:57], v[42:43]
	v_add_f64 v[48:49], v[56:57], -v[46:47]
	v_add_f64 v[42:43], v[42:43], v[48:49]
	v_mul_f64 v[48:49], v[50:51], v[46:47]
	v_mul_f64 v[52:53], v[40:41], v[48:49]
	v_fma_f64 v[40:41], v[48:49], v[40:41], -v[52:53]
	v_fmac_f64_e32 v[40:41], v[48:49], v[38:39]
	v_add_f64 v[38:39], v[52:53], v[40:41]
	v_add_f64 v[54:55], v[46:47], -v[38:39]
	v_add_f64 v[46:47], v[46:47], -v[54:55]
	;; [unrolled: 1-line block ×4, first 2 shown]
	v_add_f64 v[38:39], v[42:43], v[38:39]
	v_add_f64 v[40:41], v[52:53], -v[40:41]
	v_add_f64 v[38:39], v[40:41], v[38:39]
	v_add_f64 v[40:41], v[44:45], v[48:49]
	;; [unrolled: 1-line block ×3, first 2 shown]
	v_add_f64 v[42:43], v[40:41], -v[44:45]
	v_mul_f64 v[38:39], v[50:51], v[38:39]
	v_add_f64 v[42:43], v[48:49], -v[42:43]
	v_add_f64 v[38:39], v[42:43], v[38:39]
	v_add_f64 v[42:43], v[40:41], v[38:39]
	v_add_f64 v[40:41], v[42:43], -v[40:41]
	s_mov_b32 s12, 0xbf559e2b
	v_add_f64 v[38:39], v[38:39], -v[40:41]
	v_mul_f64 v[40:41], v[42:43], v[42:43]
	v_mov_b32_e32 v44, 0x6b47b09a
	v_mov_b32_e32 v45, 0x3fc38538
	s_mov_b32 s13, 0x3fc3ab76
	v_fmac_f64_e32 v[44:45], s[12:13], v[40:41]
	v_mov_b32_e32 v46, 0xd7f4df2e
	v_mov_b32_e32 v47, 0x3fc7474d
	v_fmac_f64_e32 v[46:47], v[40:41], v[44:45]
	v_mov_b32_e32 v44, 0x16291751
	v_mov_b32_e32 v45, 0x3fcc71c0
	v_fmac_f64_e32 v[44:45], v[40:41], v[46:47]
	v_mov_b32_e32 v46, 0x9b27acf1
	v_mov_b32_e32 v47, 0x3fd24924
	v_fmac_f64_e32 v[46:47], v[40:41], v[44:45]
	v_mov_b32_e32 v44, 0x998ef7b6
	v_mov_b32_e32 v45, 0x3fd99999
	v_fmac_f64_e32 v[44:45], v[40:41], v[46:47]
	v_mov_b32_e32 v46, 0x55555780
	v_mov_b32_e32 v47, 0x3fe55555
	v_fmac_f64_e32 v[46:47], v[40:41], v[44:45]
	v_cvt_f64_i32_e32 v[44:45], v59
	v_mul_f64 v[48:49], v[44:45], s[18:19]
	v_fma_f64 v[50:51], v[44:45], s[18:19], -v[48:49]
	v_fmac_f64_e32 v[50:51], s[22:23], v[44:45]
	v_add_f64 v[44:45], v[48:49], v[50:51]
	v_add_f64 v[48:49], v[44:45], -v[48:49]
	v_mul_f64 v[40:41], v[42:43], v[40:41]
	v_add_f64 v[48:49], v[50:51], -v[48:49]
	v_ldexp_f64 v[50:51], v[42:43], 1
	v_mul_f64 v[40:41], v[40:41], v[46:47]
	v_add_f64 v[42:43], v[50:51], v[40:41]
	v_add_f64 v[46:47], v[42:43], -v[50:51]
	v_ldexp_f64 v[38:39], v[38:39], 1
	v_add_f64 v[40:41], v[40:41], -v[46:47]
	v_add_f64 v[38:39], v[38:39], v[40:41]
	v_add_f64 v[40:41], v[42:43], v[38:39]
	v_add_f64 v[42:43], v[40:41], -v[42:43]
	v_add_f64 v[38:39], v[38:39], -v[42:43]
	v_add_f64 v[42:43], v[44:45], v[40:41]
	v_add_f64 v[46:47], v[42:43], -v[44:45]
	v_add_f64 v[50:51], v[42:43], -v[46:47]
	;; [unrolled: 1-line block ×4, first 2 shown]
	v_add_f64 v[40:41], v[40:41], v[44:45]
	v_add_f64 v[44:45], v[48:49], v[38:39]
	v_add_f64 v[46:47], v[44:45], -v[48:49]
	v_add_f64 v[40:41], v[44:45], v[40:41]
	v_add_f64 v[50:51], v[44:45], -v[46:47]
	;; [unrolled: 2-line block ×3, first 2 shown]
	v_add_f64 v[38:39], v[38:39], -v[46:47]
	v_add_f64 v[42:43], v[44:45], -v[42:43]
	v_add_f64 v[38:39], v[38:39], v[48:49]
	v_add_f64 v[40:41], v[40:41], -v[42:43]
	s_mov_b32 s12, 0
	v_add_f64 v[38:39], v[38:39], v[40:41]
	s_mov_b32 s13, 0x7ff00000
	v_add_f64 v[38:39], v[44:45], v[38:39]
	v_cmp_neq_f64_e64 s[12:13], s[12:13], v[10:11]
	v_mov_b32_e32 v40, 0x7ff80000
	s_nop 0
	v_cndmask_b32_e64 v39, v58, v39, s[12:13]
	v_cndmask_b32_e64 v39, v40, v39, s[14:15]
	v_cmp_nge_f64_e64 s[14:15], -1.0, v[10:11]
	s_and_b64 s[12:13], s[14:15], s[12:13]
	v_cndmask_b32_e64 v38, 0, v38, s[12:13]
	v_mov_b32_e32 v40, 0xfff00000
	v_cmp_neq_f64_e64 s[12:13], -1.0, v[10:11]
	s_nop 1
	v_cndmask_b32_e64 v39, v40, v39, s[12:13]
	v_add_f64 v[10:11], v[8:9], v[38:39]
.LBB1_207:
	s_or_b64 exec, exec, s[16:17]
	ds_read_b64 v[8:9], v31 offset:16
	v_max_f64 v[40:41], v[10:11], v[10:11]
	v_cmp_u_f64_e64 s[12:13], v[10:11], v[10:11]
	s_movk_i32 s36, 0x1f8
	ds_write_b64 v31, v[10:11] offset:8
	s_waitcnt lgkmcnt(1)
	v_max_f64 v[42:43], v[8:9], v[8:9]
	v_min_f64 v[38:39], v[40:41], v[42:43]
	v_max_f64 v[40:41], v[40:41], v[42:43]
	v_cndmask_b32_e64 v38, v38, v10, s[12:13]
	v_cndmask_b32_e64 v39, v39, v11, s[12:13]
	v_cmp_u_f64_e64 s[14:15], v[8:9], v[8:9]
	v_cndmask_b32_e64 v40, v40, v10, s[12:13]
	v_cndmask_b32_e64 v41, v41, v11, s[12:13]
	;; [unrolled: 1-line block ×6, first 2 shown]
	v_cmp_neq_f64_e64 s[12:13], v[38:39], v[8:9]
	v_cmp_class_f64_e64 s[14:15], v[38:39], s36
	s_or_b64 s[12:13], s[12:13], s[14:15]
	s_and_saveexec_b64 s[16:17], s[12:13]
	s_cbranch_execz .LBB1_209
; %bb.208:
	s_mov_b32 s12, 0x652b82fe
	v_add_f64 v[10:11], v[38:39], -v[8:9]
	s_mov_b32 s13, 0x3ff71547
	v_mul_f64 v[38:39], v[10:11], s[12:13]
	v_rndne_f64_e32 v[38:39], v[38:39]
	s_mov_b32 s19, 0xbfe62e42
	s_mov_b32 s18, 0xfefa39ef
	v_fma_f64 v[40:41], s[18:19], v[38:39], v[10:11]
	s_mov_b32 s23, 0xbc7abc9e
	s_mov_b32 s22, 0x3b39803f
	;; [unrolled: 1-line block ×3, first 2 shown]
	v_fmac_f64_e32 v[40:41], s[22:23], v[38:39]
	v_mov_b32_e32 v42, 0xfca7ab0c
	v_mov_b32_e32 v43, 0x3e928af3
	s_mov_b32 s13, 0x3e5ade15
	v_fmac_f64_e32 v[42:43], s[12:13], v[40:41]
	v_mov_b32_e32 v44, 0x623fde64
	v_mov_b32_e32 v45, 0x3ec71dee
	v_fmac_f64_e32 v[44:45], v[40:41], v[42:43]
	v_mov_b32_e32 v42, 0x7c89e6b0
	v_mov_b32_e32 v43, 0x3efa0199
	;; [unrolled: 3-line block ×8, first 2 shown]
	v_fmac_f64_e32 v[42:43], v[40:41], v[44:45]
	v_fma_f64 v[42:43], v[40:41], v[42:43], 1.0
	s_mov_b32 s12, 0
	s_mov_b32 s14, 0
	v_fma_f64 v[40:41], v[40:41], v[42:43], 1.0
	v_cvt_i32_f64_e32 v38, v[38:39]
	s_mov_b32 s13, 0x40900000
	s_mov_b32 s15, 0xc090cc00
	v_ldexp_f64 v[38:39], v[40:41], v38
	v_mov_b32_e32 v58, 0x7ff00000
	v_cmp_nlt_f64_e64 s[12:13], s[12:13], v[10:11]
	v_cmp_ngt_f64_e64 s[14:15], s[14:15], v[10:11]
	s_mov_b32 s19, 0x3fe62e42
	v_cndmask_b32_e64 v39, v58, v39, s[12:13]
	s_and_b64 s[12:13], s[14:15], s[12:13]
	v_cndmask_b32_e64 v11, 0, v39, s[14:15]
	v_cndmask_b32_e64 v10, 0, v38, s[12:13]
	v_add_f64 v[38:39], v[10:11], 1.0
	v_add_f64 v[40:41], v[38:39], -1.0
	v_add_f64 v[42:43], v[40:41], -v[38:39]
	v_add_f64 v[42:43], v[42:43], 1.0
	v_add_f64 v[40:41], v[10:11], -v[40:41]
	s_mov_b32 s12, 0x55555555
	v_add_f64 v[40:41], v[40:41], v[42:43]
	v_frexp_mant_f64_e32 v[42:43], v[38:39]
	s_mov_b32 s13, 0x3fe55555
	v_frexp_exp_i32_f64_e32 v44, v[38:39]
	v_cmp_gt_f64_e64 s[12:13], s[12:13], v[42:43]
	s_mov_b32 s23, 0x3c7abc9e
	v_cmp_ngt_f64_e64 s[14:15], -1.0, v[10:11]
	v_subbrev_co_u32_e64 v59, s[12:13], 0, v44, s[12:13]
	v_sub_u32_e32 v42, 0, v59
	v_ldexp_f64 v[38:39], v[38:39], v42
	v_ldexp_f64 v[40:41], v[40:41], v42
	v_add_f64 v[42:43], v[38:39], -1.0
	v_add_f64 v[48:49], v[38:39], 1.0
	v_add_f64 v[44:45], v[42:43], 1.0
	v_add_f64 v[50:51], v[48:49], -1.0
	v_add_f64 v[44:45], v[38:39], -v[44:45]
	v_add_f64 v[38:39], v[38:39], -v[50:51]
	v_add_f64 v[38:39], v[40:41], v[38:39]
	v_add_f64 v[44:45], v[40:41], v[44:45]
	;; [unrolled: 1-line block ×3, first 2 shown]
	v_rcp_f64_e32 v[50:51], v[40:41]
	v_add_f64 v[46:47], v[42:43], v[44:45]
	v_add_f64 v[42:43], v[46:47], -v[42:43]
	v_add_f64 v[42:43], v[44:45], -v[42:43]
	;; [unrolled: 1-line block ×4, first 2 shown]
	v_fma_f64 v[44:45], -v[40:41], v[50:51], 1.0
	v_fmac_f64_e32 v[50:51], v[44:45], v[50:51]
	v_fma_f64 v[44:45], -v[40:41], v[50:51], 1.0
	v_fmac_f64_e32 v[50:51], v[44:45], v[50:51]
	v_mul_f64 v[44:45], v[46:47], v[50:51]
	v_mul_f64 v[48:49], v[40:41], v[44:45]
	v_fma_f64 v[52:53], v[44:45], v[40:41], -v[48:49]
	v_fmac_f64_e32 v[52:53], v[44:45], v[38:39]
	v_add_f64 v[54:55], v[48:49], v[52:53]
	v_add_f64 v[56:57], v[46:47], -v[54:55]
	v_add_f64 v[46:47], v[46:47], -v[56:57]
	;; [unrolled: 1-line block ×4, first 2 shown]
	v_add_f64 v[42:43], v[42:43], v[46:47]
	v_add_f64 v[46:47], v[48:49], -v[52:53]
	v_add_f64 v[42:43], v[46:47], v[42:43]
	v_add_f64 v[46:47], v[56:57], v[42:43]
	v_add_f64 v[48:49], v[56:57], -v[46:47]
	v_add_f64 v[42:43], v[42:43], v[48:49]
	v_mul_f64 v[48:49], v[50:51], v[46:47]
	v_mul_f64 v[52:53], v[40:41], v[48:49]
	v_fma_f64 v[40:41], v[48:49], v[40:41], -v[52:53]
	v_fmac_f64_e32 v[40:41], v[48:49], v[38:39]
	v_add_f64 v[38:39], v[52:53], v[40:41]
	v_add_f64 v[54:55], v[46:47], -v[38:39]
	v_add_f64 v[46:47], v[46:47], -v[54:55]
	;; [unrolled: 1-line block ×4, first 2 shown]
	v_add_f64 v[38:39], v[42:43], v[38:39]
	v_add_f64 v[40:41], v[52:53], -v[40:41]
	v_add_f64 v[38:39], v[40:41], v[38:39]
	v_add_f64 v[40:41], v[44:45], v[48:49]
	;; [unrolled: 1-line block ×3, first 2 shown]
	v_add_f64 v[42:43], v[40:41], -v[44:45]
	v_mul_f64 v[38:39], v[50:51], v[38:39]
	v_add_f64 v[42:43], v[48:49], -v[42:43]
	v_add_f64 v[38:39], v[42:43], v[38:39]
	v_add_f64 v[42:43], v[40:41], v[38:39]
	v_add_f64 v[40:41], v[42:43], -v[40:41]
	s_mov_b32 s12, 0xbf559e2b
	v_add_f64 v[38:39], v[38:39], -v[40:41]
	v_mul_f64 v[40:41], v[42:43], v[42:43]
	v_mov_b32_e32 v44, 0x6b47b09a
	v_mov_b32_e32 v45, 0x3fc38538
	s_mov_b32 s13, 0x3fc3ab76
	v_fmac_f64_e32 v[44:45], s[12:13], v[40:41]
	v_mov_b32_e32 v46, 0xd7f4df2e
	v_mov_b32_e32 v47, 0x3fc7474d
	v_fmac_f64_e32 v[46:47], v[40:41], v[44:45]
	v_mov_b32_e32 v44, 0x16291751
	v_mov_b32_e32 v45, 0x3fcc71c0
	;; [unrolled: 3-line block ×5, first 2 shown]
	v_fmac_f64_e32 v[46:47], v[40:41], v[44:45]
	v_cvt_f64_i32_e32 v[44:45], v59
	v_mul_f64 v[48:49], v[44:45], s[18:19]
	v_fma_f64 v[50:51], v[44:45], s[18:19], -v[48:49]
	v_fmac_f64_e32 v[50:51], s[22:23], v[44:45]
	v_add_f64 v[44:45], v[48:49], v[50:51]
	v_add_f64 v[48:49], v[44:45], -v[48:49]
	v_mul_f64 v[40:41], v[42:43], v[40:41]
	v_add_f64 v[48:49], v[50:51], -v[48:49]
	v_ldexp_f64 v[50:51], v[42:43], 1
	v_mul_f64 v[40:41], v[40:41], v[46:47]
	v_add_f64 v[42:43], v[50:51], v[40:41]
	v_add_f64 v[46:47], v[42:43], -v[50:51]
	v_ldexp_f64 v[38:39], v[38:39], 1
	v_add_f64 v[40:41], v[40:41], -v[46:47]
	v_add_f64 v[38:39], v[38:39], v[40:41]
	v_add_f64 v[40:41], v[42:43], v[38:39]
	v_add_f64 v[42:43], v[40:41], -v[42:43]
	v_add_f64 v[38:39], v[38:39], -v[42:43]
	v_add_f64 v[42:43], v[44:45], v[40:41]
	v_add_f64 v[46:47], v[42:43], -v[44:45]
	v_add_f64 v[50:51], v[42:43], -v[46:47]
	;; [unrolled: 1-line block ×4, first 2 shown]
	v_add_f64 v[40:41], v[40:41], v[44:45]
	v_add_f64 v[44:45], v[48:49], v[38:39]
	v_add_f64 v[46:47], v[44:45], -v[48:49]
	v_add_f64 v[40:41], v[44:45], v[40:41]
	v_add_f64 v[50:51], v[44:45], -v[46:47]
	;; [unrolled: 2-line block ×3, first 2 shown]
	v_add_f64 v[38:39], v[38:39], -v[46:47]
	v_add_f64 v[42:43], v[44:45], -v[42:43]
	v_add_f64 v[38:39], v[38:39], v[48:49]
	v_add_f64 v[40:41], v[40:41], -v[42:43]
	s_mov_b32 s12, 0
	v_add_f64 v[38:39], v[38:39], v[40:41]
	s_mov_b32 s13, 0x7ff00000
	v_add_f64 v[38:39], v[44:45], v[38:39]
	v_cmp_neq_f64_e64 s[12:13], s[12:13], v[10:11]
	v_mov_b32_e32 v40, 0x7ff80000
	s_nop 0
	v_cndmask_b32_e64 v39, v58, v39, s[12:13]
	v_cndmask_b32_e64 v39, v40, v39, s[14:15]
	v_cmp_nge_f64_e64 s[14:15], -1.0, v[10:11]
	s_and_b64 s[12:13], s[14:15], s[12:13]
	v_cndmask_b32_e64 v38, 0, v38, s[12:13]
	v_mov_b32_e32 v40, 0xfff00000
	v_cmp_neq_f64_e64 s[12:13], -1.0, v[10:11]
	s_nop 1
	v_cndmask_b32_e64 v39, v40, v39, s[12:13]
	v_add_f64 v[10:11], v[8:9], v[38:39]
.LBB1_209:
	s_or_b64 exec, exec, s[16:17]
	ds_read_b64 v[8:9], v31 offset:24
	v_max_f64 v[40:41], v[10:11], v[10:11]
	v_cmp_u_f64_e64 s[12:13], v[10:11], v[10:11]
	ds_write_b64 v31, v[10:11] offset:16
	s_waitcnt lgkmcnt(1)
	v_max_f64 v[42:43], v[8:9], v[8:9]
	v_min_f64 v[38:39], v[40:41], v[42:43]
	v_max_f64 v[40:41], v[40:41], v[42:43]
	v_cndmask_b32_e64 v38, v38, v10, s[12:13]
	v_cndmask_b32_e64 v39, v39, v11, s[12:13]
	v_cmp_u_f64_e64 s[14:15], v[8:9], v[8:9]
	v_cndmask_b32_e64 v40, v40, v10, s[12:13]
	v_cndmask_b32_e64 v41, v41, v11, s[12:13]
	;; [unrolled: 1-line block ×6, first 2 shown]
	v_cmp_neq_f64_e64 s[12:13], v[38:39], v[8:9]
	v_cmp_class_f64_e64 s[14:15], v[38:39], s36
	s_or_b64 s[12:13], s[12:13], s[14:15]
	s_and_saveexec_b64 s[16:17], s[12:13]
	s_cbranch_execz .LBB1_211
; %bb.210:
	s_mov_b32 s12, 0x652b82fe
	v_add_f64 v[10:11], v[38:39], -v[8:9]
	s_mov_b32 s13, 0x3ff71547
	v_mul_f64 v[38:39], v[10:11], s[12:13]
	v_rndne_f64_e32 v[38:39], v[38:39]
	s_mov_b32 s19, 0xbfe62e42
	s_mov_b32 s18, 0xfefa39ef
	v_fma_f64 v[40:41], s[18:19], v[38:39], v[10:11]
	s_mov_b32 s23, 0xbc7abc9e
	s_mov_b32 s22, 0x3b39803f
	;; [unrolled: 1-line block ×3, first 2 shown]
	v_fmac_f64_e32 v[40:41], s[22:23], v[38:39]
	v_mov_b32_e32 v42, 0xfca7ab0c
	v_mov_b32_e32 v43, 0x3e928af3
	s_mov_b32 s13, 0x3e5ade15
	v_fmac_f64_e32 v[42:43], s[12:13], v[40:41]
	v_mov_b32_e32 v44, 0x623fde64
	v_mov_b32_e32 v45, 0x3ec71dee
	v_fmac_f64_e32 v[44:45], v[40:41], v[42:43]
	v_mov_b32_e32 v42, 0x7c89e6b0
	v_mov_b32_e32 v43, 0x3efa0199
	;; [unrolled: 3-line block ×8, first 2 shown]
	v_fmac_f64_e32 v[42:43], v[40:41], v[44:45]
	v_fma_f64 v[42:43], v[40:41], v[42:43], 1.0
	s_mov_b32 s12, 0
	s_mov_b32 s14, 0
	v_fma_f64 v[40:41], v[40:41], v[42:43], 1.0
	v_cvt_i32_f64_e32 v38, v[38:39]
	s_mov_b32 s13, 0x40900000
	s_mov_b32 s15, 0xc090cc00
	v_ldexp_f64 v[38:39], v[40:41], v38
	v_mov_b32_e32 v58, 0x7ff00000
	v_cmp_nlt_f64_e64 s[12:13], s[12:13], v[10:11]
	v_cmp_ngt_f64_e64 s[14:15], s[14:15], v[10:11]
	s_mov_b32 s19, 0x3fe62e42
	v_cndmask_b32_e64 v39, v58, v39, s[12:13]
	s_and_b64 s[12:13], s[14:15], s[12:13]
	v_cndmask_b32_e64 v11, 0, v39, s[14:15]
	v_cndmask_b32_e64 v10, 0, v38, s[12:13]
	v_add_f64 v[38:39], v[10:11], 1.0
	v_add_f64 v[40:41], v[38:39], -1.0
	v_add_f64 v[42:43], v[40:41], -v[38:39]
	v_add_f64 v[42:43], v[42:43], 1.0
	v_add_f64 v[40:41], v[10:11], -v[40:41]
	s_mov_b32 s12, 0x55555555
	v_add_f64 v[40:41], v[40:41], v[42:43]
	v_frexp_mant_f64_e32 v[42:43], v[38:39]
	s_mov_b32 s13, 0x3fe55555
	v_frexp_exp_i32_f64_e32 v44, v[38:39]
	v_cmp_gt_f64_e64 s[12:13], s[12:13], v[42:43]
	s_mov_b32 s23, 0x3c7abc9e
	v_cmp_ngt_f64_e64 s[14:15], -1.0, v[10:11]
	v_subbrev_co_u32_e64 v59, s[12:13], 0, v44, s[12:13]
	v_sub_u32_e32 v42, 0, v59
	v_ldexp_f64 v[38:39], v[38:39], v42
	v_ldexp_f64 v[40:41], v[40:41], v42
	v_add_f64 v[42:43], v[38:39], -1.0
	v_add_f64 v[48:49], v[38:39], 1.0
	v_add_f64 v[44:45], v[42:43], 1.0
	v_add_f64 v[50:51], v[48:49], -1.0
	v_add_f64 v[44:45], v[38:39], -v[44:45]
	v_add_f64 v[38:39], v[38:39], -v[50:51]
	v_add_f64 v[38:39], v[40:41], v[38:39]
	v_add_f64 v[44:45], v[40:41], v[44:45]
	;; [unrolled: 1-line block ×3, first 2 shown]
	v_rcp_f64_e32 v[50:51], v[40:41]
	v_add_f64 v[46:47], v[42:43], v[44:45]
	v_add_f64 v[42:43], v[46:47], -v[42:43]
	v_add_f64 v[42:43], v[44:45], -v[42:43]
	;; [unrolled: 1-line block ×4, first 2 shown]
	v_fma_f64 v[44:45], -v[40:41], v[50:51], 1.0
	v_fmac_f64_e32 v[50:51], v[44:45], v[50:51]
	v_fma_f64 v[44:45], -v[40:41], v[50:51], 1.0
	v_fmac_f64_e32 v[50:51], v[44:45], v[50:51]
	v_mul_f64 v[44:45], v[46:47], v[50:51]
	v_mul_f64 v[48:49], v[40:41], v[44:45]
	v_fma_f64 v[52:53], v[44:45], v[40:41], -v[48:49]
	v_fmac_f64_e32 v[52:53], v[44:45], v[38:39]
	v_add_f64 v[54:55], v[48:49], v[52:53]
	v_add_f64 v[56:57], v[46:47], -v[54:55]
	v_add_f64 v[46:47], v[46:47], -v[56:57]
	;; [unrolled: 1-line block ×4, first 2 shown]
	v_add_f64 v[42:43], v[42:43], v[46:47]
	v_add_f64 v[46:47], v[48:49], -v[52:53]
	v_add_f64 v[42:43], v[46:47], v[42:43]
	v_add_f64 v[46:47], v[56:57], v[42:43]
	v_add_f64 v[48:49], v[56:57], -v[46:47]
	v_add_f64 v[42:43], v[42:43], v[48:49]
	v_mul_f64 v[48:49], v[50:51], v[46:47]
	v_mul_f64 v[52:53], v[40:41], v[48:49]
	v_fma_f64 v[40:41], v[48:49], v[40:41], -v[52:53]
	v_fmac_f64_e32 v[40:41], v[48:49], v[38:39]
	v_add_f64 v[38:39], v[52:53], v[40:41]
	v_add_f64 v[54:55], v[46:47], -v[38:39]
	v_add_f64 v[46:47], v[46:47], -v[54:55]
	;; [unrolled: 1-line block ×4, first 2 shown]
	v_add_f64 v[38:39], v[42:43], v[38:39]
	v_add_f64 v[40:41], v[52:53], -v[40:41]
	v_add_f64 v[38:39], v[40:41], v[38:39]
	v_add_f64 v[40:41], v[44:45], v[48:49]
	;; [unrolled: 1-line block ×3, first 2 shown]
	v_add_f64 v[42:43], v[40:41], -v[44:45]
	v_mul_f64 v[38:39], v[50:51], v[38:39]
	v_add_f64 v[42:43], v[48:49], -v[42:43]
	v_add_f64 v[38:39], v[42:43], v[38:39]
	v_add_f64 v[42:43], v[40:41], v[38:39]
	v_add_f64 v[40:41], v[42:43], -v[40:41]
	s_mov_b32 s12, 0xbf559e2b
	v_add_f64 v[38:39], v[38:39], -v[40:41]
	v_mul_f64 v[40:41], v[42:43], v[42:43]
	v_mov_b32_e32 v44, 0x6b47b09a
	v_mov_b32_e32 v45, 0x3fc38538
	s_mov_b32 s13, 0x3fc3ab76
	v_fmac_f64_e32 v[44:45], s[12:13], v[40:41]
	v_mov_b32_e32 v46, 0xd7f4df2e
	v_mov_b32_e32 v47, 0x3fc7474d
	v_fmac_f64_e32 v[46:47], v[40:41], v[44:45]
	v_mov_b32_e32 v44, 0x16291751
	v_mov_b32_e32 v45, 0x3fcc71c0
	;; [unrolled: 3-line block ×5, first 2 shown]
	v_fmac_f64_e32 v[46:47], v[40:41], v[44:45]
	v_cvt_f64_i32_e32 v[44:45], v59
	v_mul_f64 v[48:49], v[44:45], s[18:19]
	v_fma_f64 v[50:51], v[44:45], s[18:19], -v[48:49]
	v_fmac_f64_e32 v[50:51], s[22:23], v[44:45]
	v_add_f64 v[44:45], v[48:49], v[50:51]
	v_add_f64 v[48:49], v[44:45], -v[48:49]
	v_mul_f64 v[40:41], v[42:43], v[40:41]
	v_add_f64 v[48:49], v[50:51], -v[48:49]
	v_ldexp_f64 v[50:51], v[42:43], 1
	v_mul_f64 v[40:41], v[40:41], v[46:47]
	v_add_f64 v[42:43], v[50:51], v[40:41]
	v_add_f64 v[46:47], v[42:43], -v[50:51]
	v_ldexp_f64 v[38:39], v[38:39], 1
	v_add_f64 v[40:41], v[40:41], -v[46:47]
	v_add_f64 v[38:39], v[38:39], v[40:41]
	v_add_f64 v[40:41], v[42:43], v[38:39]
	v_add_f64 v[42:43], v[40:41], -v[42:43]
	v_add_f64 v[38:39], v[38:39], -v[42:43]
	v_add_f64 v[42:43], v[44:45], v[40:41]
	v_add_f64 v[46:47], v[42:43], -v[44:45]
	v_add_f64 v[50:51], v[42:43], -v[46:47]
	v_add_f64 v[44:45], v[44:45], -v[50:51]
	v_add_f64 v[40:41], v[40:41], -v[46:47]
	v_add_f64 v[40:41], v[40:41], v[44:45]
	v_add_f64 v[44:45], v[48:49], v[38:39]
	v_add_f64 v[46:47], v[44:45], -v[48:49]
	v_add_f64 v[40:41], v[44:45], v[40:41]
	v_add_f64 v[50:51], v[44:45], -v[46:47]
	;; [unrolled: 2-line block ×3, first 2 shown]
	v_add_f64 v[38:39], v[38:39], -v[46:47]
	v_add_f64 v[42:43], v[44:45], -v[42:43]
	v_add_f64 v[38:39], v[38:39], v[48:49]
	v_add_f64 v[40:41], v[40:41], -v[42:43]
	s_mov_b32 s12, 0
	v_add_f64 v[38:39], v[38:39], v[40:41]
	s_mov_b32 s13, 0x7ff00000
	v_add_f64 v[38:39], v[44:45], v[38:39]
	v_cmp_neq_f64_e64 s[12:13], s[12:13], v[10:11]
	v_mov_b32_e32 v40, 0x7ff80000
	s_nop 0
	v_cndmask_b32_e64 v39, v58, v39, s[12:13]
	v_cndmask_b32_e64 v39, v40, v39, s[14:15]
	v_cmp_nge_f64_e64 s[14:15], -1.0, v[10:11]
	s_and_b64 s[12:13], s[14:15], s[12:13]
	v_cndmask_b32_e64 v38, 0, v38, s[12:13]
	v_mov_b32_e32 v40, 0xfff00000
	v_cmp_neq_f64_e64 s[12:13], -1.0, v[10:11]
	s_nop 1
	v_cndmask_b32_e64 v39, v40, v39, s[12:13]
	v_add_f64 v[10:11], v[8:9], v[38:39]
.LBB1_211:
	s_or_b64 exec, exec, s[16:17]
	ds_write_b64 v31, v[10:11] offset:24
.LBB1_212:
	s_or_b64 exec, exec, s[20:21]
	s_waitcnt lgkmcnt(0)
	s_barrier
	s_and_saveexec_b64 s[12:13], vcc
	s_cbranch_execz .LBB1_216
; %bb.213:
	v_add_u32_e32 v6, -1, v0
	v_lshrrev_b32_e32 v7, 2, v6
	v_and_b32_e32 v7, 0x3ffffff8, v7
	v_lshl_add_u32 v6, v6, 3, v7
	ds_read_b64 v[6:7], v6
	s_waitcnt lgkmcnt(0)
	v_max_f64 v[8:9], v[6:7], v[6:7]
	v_min_f64 v[10:11], v[8:9], v[20:21]
	v_max_f64 v[20:21], v[8:9], v[20:21]
	v_cmp_u_f64_e32 vcc, v[6:7], v[6:7]
	s_nop 1
	v_cndmask_b32_e32 v8, v10, v6, vcc
	v_cndmask_b32_e32 v9, v11, v7, vcc
	v_cndmask_b32_e32 v10, v20, v6, vcc
	v_cndmask_b32_e32 v11, v21, v7, vcc
	v_cndmask_b32_e64 v9, v9, v3, s[10:11]
	v_cndmask_b32_e64 v8, v8, v2, s[10:11]
	;; [unrolled: 1-line block ×4, first 2 shown]
	s_movk_i32 s10, 0x1f8
	v_cmp_neq_f64_e32 vcc, v[8:9], v[2:3]
	v_cmp_class_f64_e64 s[10:11], v[8:9], s10
	s_or_b64 s[10:11], vcc, s[10:11]
	s_and_saveexec_b64 s[14:15], s[10:11]
	s_cbranch_execz .LBB1_215
; %bb.214:
	s_mov_b32 s10, 0x652b82fe
	v_add_f64 v[6:7], v[8:9], -v[2:3]
	s_mov_b32 s11, 0x3ff71547
	v_mul_f64 v[8:9], v[6:7], s[10:11]
	v_rndne_f64_e32 v[8:9], v[8:9]
	s_mov_b32 s17, 0xbfe62e42
	s_mov_b32 s16, 0xfefa39ef
	v_fma_f64 v[10:11], s[16:17], v[8:9], v[6:7]
	s_mov_b32 s19, 0xbc7abc9e
	s_mov_b32 s18, 0x3b39803f
	;; [unrolled: 1-line block ×3, first 2 shown]
	v_fmac_f64_e32 v[10:11], s[18:19], v[8:9]
	v_mov_b32_e32 v20, 0xfca7ab0c
	v_mov_b32_e32 v21, 0x3e928af3
	s_mov_b32 s11, 0x3e5ade15
	v_fmac_f64_e32 v[20:21], s[10:11], v[10:11]
	v_mov_b32_e32 v34, 0x623fde64
	v_mov_b32_e32 v35, 0x3ec71dee
	v_fmac_f64_e32 v[34:35], v[10:11], v[20:21]
	v_mov_b32_e32 v20, 0x7c89e6b0
	v_mov_b32_e32 v21, 0x3efa0199
	;; [unrolled: 3-line block ×8, first 2 shown]
	s_mov_b32 s10, 0
	v_fmac_f64_e32 v[20:21], v[10:11], v[34:35]
	s_mov_b32 s11, 0x40900000
	v_fma_f64 v[20:21], v[10:11], v[20:21], 1.0
	v_cmp_nlt_f64_e32 vcc, s[10:11], v[6:7]
	s_mov_b32 s10, 0
	v_fma_f64 v[10:11], v[10:11], v[20:21], 1.0
	v_cvt_i32_f64_e32 v8, v[8:9]
	s_mov_b32 s11, 0xc090cc00
	v_ldexp_f64 v[8:9], v[10:11], v8
	v_mov_b32_e32 v31, 0x7ff00000
	v_cmp_ngt_f64_e64 s[10:11], s[10:11], v[6:7]
	v_cndmask_b32_e32 v9, v31, v9, vcc
	s_and_b64 vcc, s[10:11], vcc
	v_cndmask_b32_e64 v7, 0, v9, s[10:11]
	v_cndmask_b32_e32 v6, 0, v8, vcc
	v_add_f64 v[8:9], v[6:7], 1.0
	v_add_f64 v[10:11], v[8:9], -1.0
	v_add_f64 v[20:21], v[10:11], -v[8:9]
	v_add_f64 v[20:21], v[20:21], 1.0
	v_add_f64 v[10:11], v[6:7], -v[10:11]
	s_mov_b32 s10, 0x55555555
	v_add_f64 v[10:11], v[10:11], v[20:21]
	v_frexp_mant_f64_e32 v[20:21], v[8:9]
	s_mov_b32 s11, 0x3fe55555
	v_frexp_exp_i32_f64_e32 v34, v[8:9]
	v_cmp_gt_f64_e32 vcc, s[10:11], v[20:21]
	s_mov_b32 s10, 0xbf559e2b
	s_mov_b32 s11, 0x3fc3ab76
	v_subbrev_co_u32_e32 v48, vcc, 0, v34, vcc
	v_sub_u32_e32 v20, 0, v48
	v_ldexp_f64 v[8:9], v[8:9], v20
	v_ldexp_f64 v[10:11], v[10:11], v20
	v_add_f64 v[20:21], v[8:9], -1.0
	v_add_f64 v[38:39], v[8:9], 1.0
	v_add_f64 v[34:35], v[20:21], 1.0
	v_add_f64 v[40:41], v[38:39], -1.0
	v_add_f64 v[34:35], v[8:9], -v[34:35]
	v_add_f64 v[8:9], v[8:9], -v[40:41]
	v_add_f64 v[8:9], v[10:11], v[8:9]
	v_add_f64 v[34:35], v[10:11], v[34:35]
	;; [unrolled: 1-line block ×3, first 2 shown]
	v_rcp_f64_e32 v[40:41], v[10:11]
	v_add_f64 v[36:37], v[20:21], v[34:35]
	v_add_f64 v[20:21], v[36:37], -v[20:21]
	v_add_f64 v[20:21], v[34:35], -v[20:21]
	;; [unrolled: 1-line block ×4, first 2 shown]
	v_fma_f64 v[34:35], -v[10:11], v[40:41], 1.0
	v_fmac_f64_e32 v[40:41], v[34:35], v[40:41]
	v_fma_f64 v[34:35], -v[10:11], v[40:41], 1.0
	v_fmac_f64_e32 v[40:41], v[34:35], v[40:41]
	v_mul_f64 v[34:35], v[36:37], v[40:41]
	v_mul_f64 v[38:39], v[10:11], v[34:35]
	v_fma_f64 v[42:43], v[34:35], v[10:11], -v[38:39]
	v_fmac_f64_e32 v[42:43], v[34:35], v[8:9]
	v_add_f64 v[44:45], v[38:39], v[42:43]
	v_add_f64 v[46:47], v[36:37], -v[44:45]
	v_add_f64 v[36:37], v[36:37], -v[46:47]
	;; [unrolled: 1-line block ×4, first 2 shown]
	v_add_f64 v[20:21], v[20:21], v[36:37]
	v_add_f64 v[36:37], v[38:39], -v[42:43]
	v_add_f64 v[20:21], v[36:37], v[20:21]
	v_add_f64 v[36:37], v[46:47], v[20:21]
	v_add_f64 v[38:39], v[46:47], -v[36:37]
	v_add_f64 v[20:21], v[20:21], v[38:39]
	v_mul_f64 v[38:39], v[40:41], v[36:37]
	v_mul_f64 v[42:43], v[10:11], v[38:39]
	v_fma_f64 v[10:11], v[38:39], v[10:11], -v[42:43]
	v_fmac_f64_e32 v[10:11], v[38:39], v[8:9]
	v_add_f64 v[8:9], v[42:43], v[10:11]
	v_add_f64 v[44:45], v[36:37], -v[8:9]
	v_add_f64 v[36:37], v[36:37], -v[44:45]
	;; [unrolled: 1-line block ×4, first 2 shown]
	v_add_f64 v[8:9], v[20:21], v[8:9]
	v_add_f64 v[10:11], v[42:43], -v[10:11]
	v_add_f64 v[8:9], v[10:11], v[8:9]
	v_add_f64 v[10:11], v[34:35], v[38:39]
	;; [unrolled: 1-line block ×3, first 2 shown]
	v_add_f64 v[20:21], v[10:11], -v[34:35]
	v_mul_f64 v[8:9], v[40:41], v[8:9]
	v_add_f64 v[20:21], v[38:39], -v[20:21]
	v_add_f64 v[8:9], v[20:21], v[8:9]
	v_add_f64 v[20:21], v[10:11], v[8:9]
	v_add_f64 v[10:11], v[20:21], -v[10:11]
	v_add_f64 v[8:9], v[8:9], -v[10:11]
	v_mul_f64 v[10:11], v[20:21], v[20:21]
	v_mov_b32_e32 v34, 0x6b47b09a
	v_mov_b32_e32 v35, 0x3fc38538
	v_fmac_f64_e32 v[34:35], s[10:11], v[10:11]
	v_mov_b32_e32 v36, 0xd7f4df2e
	v_mov_b32_e32 v37, 0x3fc7474d
	v_fmac_f64_e32 v[36:37], v[10:11], v[34:35]
	;; [unrolled: 3-line block ×6, first 2 shown]
	v_cvt_f64_i32_e32 v[34:35], v48
	s_mov_b32 s17, 0x3fe62e42
	v_mul_f64 v[38:39], v[34:35], s[16:17]
	v_fma_f64 v[40:41], v[34:35], s[16:17], -v[38:39]
	s_mov_b32 s19, 0x3c7abc9e
	v_fmac_f64_e32 v[40:41], s[18:19], v[34:35]
	v_add_f64 v[34:35], v[38:39], v[40:41]
	v_add_f64 v[38:39], v[34:35], -v[38:39]
	v_mul_f64 v[10:11], v[20:21], v[10:11]
	v_add_f64 v[38:39], v[40:41], -v[38:39]
	v_ldexp_f64 v[40:41], v[20:21], 1
	v_mul_f64 v[10:11], v[10:11], v[36:37]
	v_add_f64 v[20:21], v[40:41], v[10:11]
	v_add_f64 v[36:37], v[20:21], -v[40:41]
	v_ldexp_f64 v[8:9], v[8:9], 1
	v_add_f64 v[10:11], v[10:11], -v[36:37]
	v_add_f64 v[8:9], v[8:9], v[10:11]
	v_add_f64 v[10:11], v[20:21], v[8:9]
	v_add_f64 v[20:21], v[10:11], -v[20:21]
	v_add_f64 v[8:9], v[8:9], -v[20:21]
	v_add_f64 v[20:21], v[34:35], v[10:11]
	v_add_f64 v[36:37], v[20:21], -v[34:35]
	v_add_f64 v[40:41], v[20:21], -v[36:37]
	;; [unrolled: 1-line block ×4, first 2 shown]
	v_add_f64 v[10:11], v[10:11], v[34:35]
	v_add_f64 v[34:35], v[38:39], v[8:9]
	v_add_f64 v[36:37], v[34:35], -v[38:39]
	v_add_f64 v[10:11], v[34:35], v[10:11]
	v_add_f64 v[40:41], v[34:35], -v[36:37]
	;; [unrolled: 2-line block ×3, first 2 shown]
	v_add_f64 v[8:9], v[8:9], -v[36:37]
	v_add_f64 v[20:21], v[34:35], -v[20:21]
	v_add_f64 v[8:9], v[8:9], v[38:39]
	v_add_f64 v[10:11], v[10:11], -v[20:21]
	s_mov_b32 s10, 0
	v_add_f64 v[8:9], v[8:9], v[10:11]
	s_mov_b32 s11, 0x7ff00000
	v_add_f64 v[8:9], v[34:35], v[8:9]
	v_cmp_neq_f64_e32 vcc, s[10:11], v[6:7]
	v_mov_b32_e32 v10, 0x7ff80000
	v_cmp_ngt_f64_e64 s[10:11], -1.0, v[6:7]
	v_cndmask_b32_e32 v9, v31, v9, vcc
	s_nop 0
	v_cndmask_b32_e64 v9, v10, v9, s[10:11]
	v_cmp_nge_f64_e64 s[10:11], -1.0, v[6:7]
	s_and_b64 vcc, s[10:11], vcc
	v_cndmask_b32_e32 v8, 0, v8, vcc
	v_mov_b32_e32 v10, 0xfff00000
	v_cmp_neq_f64_e32 vcc, -1.0, v[6:7]
	s_nop 1
	v_cndmask_b32_e32 v9, v10, v9, vcc
	v_add_f64 v[6:7], v[2:3], v[8:9]
.LBB1_215:
	s_or_b64 exec, exec, s[14:15]
	v_max_f64 v[2:3], v[6:7], v[6:7]
	v_min_f64 v[34:35], v[2:3], v[32:33]
	v_max_f64 v[36:37], v[2:3], v[32:33]
	v_mov_b64_e32 v[2:3], v[6:7]
	;;#ASMSTART
	;;#ASMEND
.LBB1_216:
	s_or_b64 exec, exec, s[12:13]
	v_cmp_u_f64_e32 vcc, v[2:3], v[2:3]
	s_movk_i32 s16, 0x1f8
	s_nop 0
	v_cndmask_b32_e32 v8, v34, v2, vcc
	v_cndmask_b32_e32 v9, v35, v3, vcc
	;; [unrolled: 1-line block ×4, first 2 shown]
	v_cndmask_b32_e64 v9, v9, v5, s[0:1]
	v_cndmask_b32_e64 v8, v8, v4, s[0:1]
	;; [unrolled: 1-line block ×4, first 2 shown]
	v_cmp_neq_f64_e32 vcc, v[8:9], v[4:5]
	v_cmp_class_f64_e64 s[0:1], v[8:9], s16
	s_or_b64 s[0:1], vcc, s[0:1]
	s_and_saveexec_b64 s[10:11], s[0:1]
	s_cbranch_execz .LBB1_218
; %bb.217:
	s_mov_b32 s0, 0x652b82fe
	v_add_f64 v[2:3], v[8:9], -v[4:5]
	s_mov_b32 s1, 0x3ff71547
	v_mul_f64 v[8:9], v[2:3], s[0:1]
	v_rndne_f64_e32 v[8:9], v[8:9]
	s_mov_b32 s13, 0xbfe62e42
	s_mov_b32 s12, 0xfefa39ef
	v_fma_f64 v[10:11], s[12:13], v[8:9], v[2:3]
	s_mov_b32 s15, 0xbc7abc9e
	s_mov_b32 s14, 0x3b39803f
	;; [unrolled: 1-line block ×3, first 2 shown]
	v_fmac_f64_e32 v[10:11], s[14:15], v[8:9]
	v_mov_b32_e32 v20, 0xfca7ab0c
	v_mov_b32_e32 v21, 0x3e928af3
	s_mov_b32 s1, 0x3e5ade15
	v_fmac_f64_e32 v[20:21], s[0:1], v[10:11]
	v_mov_b32_e32 v32, 0x623fde64
	v_mov_b32_e32 v33, 0x3ec71dee
	v_fmac_f64_e32 v[32:33], v[10:11], v[20:21]
	v_mov_b32_e32 v20, 0x7c89e6b0
	v_mov_b32_e32 v21, 0x3efa0199
	;; [unrolled: 3-line block ×8, first 2 shown]
	s_mov_b32 s0, 0
	v_fmac_f64_e32 v[20:21], v[10:11], v[32:33]
	s_mov_b32 s1, 0x40900000
	v_fma_f64 v[20:21], v[10:11], v[20:21], 1.0
	v_cmp_nlt_f64_e32 vcc, s[0:1], v[2:3]
	s_mov_b32 s0, 0
	v_fma_f64 v[10:11], v[10:11], v[20:21], 1.0
	v_cvt_i32_f64_e32 v8, v[8:9]
	s_mov_b32 s1, 0xc090cc00
	v_ldexp_f64 v[8:9], v[10:11], v8
	v_mov_b32_e32 v31, 0x7ff00000
	v_cmp_ngt_f64_e64 s[0:1], s[0:1], v[2:3]
	v_cndmask_b32_e32 v9, v31, v9, vcc
	s_and_b64 vcc, s[0:1], vcc
	v_cndmask_b32_e64 v3, 0, v9, s[0:1]
	v_cndmask_b32_e32 v2, 0, v8, vcc
	v_add_f64 v[8:9], v[2:3], 1.0
	v_add_f64 v[10:11], v[8:9], -1.0
	v_add_f64 v[20:21], v[10:11], -v[8:9]
	v_add_f64 v[20:21], v[20:21], 1.0
	v_add_f64 v[10:11], v[2:3], -v[10:11]
	s_mov_b32 s0, 0x55555555
	v_add_f64 v[10:11], v[10:11], v[20:21]
	v_frexp_mant_f64_e32 v[20:21], v[8:9]
	s_mov_b32 s1, 0x3fe55555
	v_frexp_exp_i32_f64_e32 v32, v[8:9]
	v_cmp_gt_f64_e32 vcc, s[0:1], v[20:21]
	s_mov_b32 s0, 0xbf559e2b
	s_mov_b32 s1, 0x3fc3ab76
	v_subbrev_co_u32_e32 v46, vcc, 0, v32, vcc
	v_sub_u32_e32 v20, 0, v46
	v_ldexp_f64 v[8:9], v[8:9], v20
	v_ldexp_f64 v[10:11], v[10:11], v20
	v_add_f64 v[20:21], v[8:9], -1.0
	v_add_f64 v[36:37], v[8:9], 1.0
	v_add_f64 v[32:33], v[20:21], 1.0
	v_add_f64 v[38:39], v[36:37], -1.0
	v_add_f64 v[32:33], v[8:9], -v[32:33]
	v_add_f64 v[8:9], v[8:9], -v[38:39]
	v_add_f64 v[8:9], v[10:11], v[8:9]
	v_add_f64 v[32:33], v[10:11], v[32:33]
	;; [unrolled: 1-line block ×3, first 2 shown]
	v_rcp_f64_e32 v[38:39], v[10:11]
	v_add_f64 v[34:35], v[20:21], v[32:33]
	v_add_f64 v[20:21], v[34:35], -v[20:21]
	v_add_f64 v[20:21], v[32:33], -v[20:21]
	;; [unrolled: 1-line block ×4, first 2 shown]
	v_fma_f64 v[32:33], -v[10:11], v[38:39], 1.0
	v_fmac_f64_e32 v[38:39], v[32:33], v[38:39]
	v_fma_f64 v[32:33], -v[10:11], v[38:39], 1.0
	v_fmac_f64_e32 v[38:39], v[32:33], v[38:39]
	v_mul_f64 v[32:33], v[34:35], v[38:39]
	v_mul_f64 v[36:37], v[10:11], v[32:33]
	v_fma_f64 v[40:41], v[32:33], v[10:11], -v[36:37]
	v_fmac_f64_e32 v[40:41], v[32:33], v[8:9]
	v_add_f64 v[42:43], v[36:37], v[40:41]
	v_add_f64 v[44:45], v[34:35], -v[42:43]
	v_add_f64 v[34:35], v[34:35], -v[44:45]
	;; [unrolled: 1-line block ×4, first 2 shown]
	v_add_f64 v[20:21], v[20:21], v[34:35]
	v_add_f64 v[34:35], v[36:37], -v[40:41]
	v_add_f64 v[20:21], v[34:35], v[20:21]
	v_add_f64 v[34:35], v[44:45], v[20:21]
	v_add_f64 v[36:37], v[44:45], -v[34:35]
	v_add_f64 v[20:21], v[20:21], v[36:37]
	v_mul_f64 v[36:37], v[38:39], v[34:35]
	v_mul_f64 v[40:41], v[10:11], v[36:37]
	v_fma_f64 v[10:11], v[36:37], v[10:11], -v[40:41]
	v_fmac_f64_e32 v[10:11], v[36:37], v[8:9]
	v_add_f64 v[8:9], v[40:41], v[10:11]
	v_add_f64 v[42:43], v[34:35], -v[8:9]
	v_add_f64 v[34:35], v[34:35], -v[42:43]
	;; [unrolled: 1-line block ×4, first 2 shown]
	v_add_f64 v[8:9], v[20:21], v[8:9]
	v_add_f64 v[10:11], v[40:41], -v[10:11]
	v_add_f64 v[8:9], v[10:11], v[8:9]
	v_add_f64 v[10:11], v[32:33], v[36:37]
	v_add_f64 v[8:9], v[42:43], v[8:9]
	v_add_f64 v[20:21], v[10:11], -v[32:33]
	v_mul_f64 v[8:9], v[38:39], v[8:9]
	v_add_f64 v[20:21], v[36:37], -v[20:21]
	v_add_f64 v[8:9], v[20:21], v[8:9]
	v_add_f64 v[20:21], v[10:11], v[8:9]
	v_add_f64 v[10:11], v[20:21], -v[10:11]
	v_add_f64 v[8:9], v[8:9], -v[10:11]
	v_mul_f64 v[10:11], v[20:21], v[20:21]
	v_mov_b32_e32 v32, 0x6b47b09a
	v_mov_b32_e32 v33, 0x3fc38538
	v_fmac_f64_e32 v[32:33], s[0:1], v[10:11]
	v_mov_b32_e32 v34, 0xd7f4df2e
	v_mov_b32_e32 v35, 0x3fc7474d
	v_fmac_f64_e32 v[34:35], v[10:11], v[32:33]
	;; [unrolled: 3-line block ×6, first 2 shown]
	v_cvt_f64_i32_e32 v[32:33], v46
	s_mov_b32 s13, 0x3fe62e42
	v_mul_f64 v[36:37], v[32:33], s[12:13]
	v_fma_f64 v[38:39], v[32:33], s[12:13], -v[36:37]
	s_mov_b32 s15, 0x3c7abc9e
	v_fmac_f64_e32 v[38:39], s[14:15], v[32:33]
	v_add_f64 v[32:33], v[36:37], v[38:39]
	v_add_f64 v[36:37], v[32:33], -v[36:37]
	v_mul_f64 v[10:11], v[20:21], v[10:11]
	v_add_f64 v[36:37], v[38:39], -v[36:37]
	v_ldexp_f64 v[38:39], v[20:21], 1
	v_mul_f64 v[10:11], v[10:11], v[34:35]
	v_add_f64 v[20:21], v[38:39], v[10:11]
	v_add_f64 v[34:35], v[20:21], -v[38:39]
	v_ldexp_f64 v[8:9], v[8:9], 1
	v_add_f64 v[10:11], v[10:11], -v[34:35]
	v_add_f64 v[8:9], v[8:9], v[10:11]
	v_add_f64 v[10:11], v[20:21], v[8:9]
	v_add_f64 v[20:21], v[10:11], -v[20:21]
	v_add_f64 v[8:9], v[8:9], -v[20:21]
	v_add_f64 v[20:21], v[32:33], v[10:11]
	v_add_f64 v[34:35], v[20:21], -v[32:33]
	v_add_f64 v[38:39], v[20:21], -v[34:35]
	;; [unrolled: 1-line block ×4, first 2 shown]
	v_add_f64 v[10:11], v[10:11], v[32:33]
	v_add_f64 v[32:33], v[36:37], v[8:9]
	v_add_f64 v[34:35], v[32:33], -v[36:37]
	v_add_f64 v[10:11], v[32:33], v[10:11]
	v_add_f64 v[38:39], v[32:33], -v[34:35]
	;; [unrolled: 2-line block ×3, first 2 shown]
	v_add_f64 v[8:9], v[8:9], -v[34:35]
	v_add_f64 v[20:21], v[32:33], -v[20:21]
	v_add_f64 v[8:9], v[8:9], v[36:37]
	v_add_f64 v[10:11], v[10:11], -v[20:21]
	s_mov_b32 s0, 0
	v_add_f64 v[8:9], v[8:9], v[10:11]
	s_mov_b32 s1, 0x7ff00000
	v_add_f64 v[8:9], v[32:33], v[8:9]
	v_cmp_neq_f64_e32 vcc, s[0:1], v[2:3]
	v_mov_b32_e32 v10, 0x7ff80000
	v_cmp_ngt_f64_e64 s[0:1], -1.0, v[2:3]
	v_cndmask_b32_e32 v9, v31, v9, vcc
	s_nop 0
	v_cndmask_b32_e64 v9, v10, v9, s[0:1]
	v_cmp_nge_f64_e64 s[0:1], -1.0, v[2:3]
	s_and_b64 vcc, s[0:1], vcc
	v_cndmask_b32_e32 v8, 0, v8, vcc
	v_mov_b32_e32 v10, 0xfff00000
	v_cmp_neq_f64_e32 vcc, -1.0, v[2:3]
	s_nop 1
	v_cndmask_b32_e32 v9, v10, v9, vcc
	v_add_f64 v[2:3], v[4:5], v[8:9]
.LBB1_218:
	s_or_b64 exec, exec, s[10:11]
	v_max_f64 v[4:5], v[2:3], v[2:3]
	v_min_f64 v[8:9], v[4:5], v[12:13]
	v_cmp_u_f64_e32 vcc, v[2:3], v[2:3]
	v_max_f64 v[4:5], v[4:5], v[12:13]
	v_mov_b64_e32 v[10:11], v[2:3]
	v_cndmask_b32_e32 v8, v8, v2, vcc
	v_cndmask_b32_e32 v9, v9, v3, vcc
	;; [unrolled: 1-line block ×4, first 2 shown]
	v_cndmask_b32_e64 v9, v9, v27, s[2:3]
	v_cndmask_b32_e64 v8, v8, v26, s[2:3]
	;; [unrolled: 1-line block ×4, first 2 shown]
	v_cmp_neq_f64_e32 vcc, v[8:9], v[4:5]
	v_cmp_class_f64_e64 s[0:1], v[8:9], s16
	s_or_b64 s[0:1], vcc, s[0:1]
	s_and_saveexec_b64 s[2:3], s[0:1]
	s_cbranch_execz .LBB1_220
; %bb.219:
	s_mov_b32 s0, 0x652b82fe
	v_add_f64 v[8:9], v[8:9], -v[4:5]
	s_mov_b32 s1, 0x3ff71547
	v_mul_f64 v[10:11], v[8:9], s[0:1]
	v_rndne_f64_e32 v[10:11], v[10:11]
	s_mov_b32 s11, 0xbfe62e42
	s_mov_b32 s10, 0xfefa39ef
	v_fma_f64 v[12:13], s[10:11], v[10:11], v[8:9]
	s_mov_b32 s13, 0xbc7abc9e
	s_mov_b32 s12, 0x3b39803f
	;; [unrolled: 1-line block ×3, first 2 shown]
	v_fmac_f64_e32 v[12:13], s[12:13], v[10:11]
	v_mov_b32_e32 v20, 0xfca7ab0c
	v_mov_b32_e32 v21, 0x3e928af3
	s_mov_b32 s1, 0x3e5ade15
	v_fmac_f64_e32 v[20:21], s[0:1], v[12:13]
	v_mov_b32_e32 v26, 0x623fde64
	v_mov_b32_e32 v27, 0x3ec71dee
	v_fmac_f64_e32 v[26:27], v[12:13], v[20:21]
	v_mov_b32_e32 v20, 0x7c89e6b0
	v_mov_b32_e32 v21, 0x3efa0199
	;; [unrolled: 3-line block ×8, first 2 shown]
	s_mov_b32 s0, 0
	v_fmac_f64_e32 v[20:21], v[12:13], v[26:27]
	s_mov_b32 s1, 0x40900000
	v_fma_f64 v[20:21], v[12:13], v[20:21], 1.0
	v_cmp_nlt_f64_e32 vcc, s[0:1], v[8:9]
	s_mov_b32 s0, 0
	v_fma_f64 v[12:13], v[12:13], v[20:21], 1.0
	v_cvt_i32_f64_e32 v10, v[10:11]
	s_mov_b32 s1, 0xc090cc00
	v_ldexp_f64 v[10:11], v[12:13], v10
	v_mov_b32_e32 v31, 0x7ff00000
	v_cmp_ngt_f64_e64 s[0:1], s[0:1], v[8:9]
	v_cndmask_b32_e32 v11, v31, v11, vcc
	s_and_b64 vcc, s[0:1], vcc
	v_cndmask_b32_e64 v9, 0, v11, s[0:1]
	v_cndmask_b32_e32 v8, 0, v10, vcc
	v_add_f64 v[10:11], v[8:9], 1.0
	v_add_f64 v[12:13], v[10:11], -1.0
	v_add_f64 v[20:21], v[12:13], -v[10:11]
	v_add_f64 v[20:21], v[20:21], 1.0
	v_add_f64 v[12:13], v[8:9], -v[12:13]
	s_mov_b32 s0, 0x55555555
	v_add_f64 v[12:13], v[12:13], v[20:21]
	v_frexp_mant_f64_e32 v[20:21], v[10:11]
	s_mov_b32 s1, 0x3fe55555
	v_frexp_exp_i32_f64_e32 v26, v[10:11]
	v_cmp_gt_f64_e32 vcc, s[0:1], v[20:21]
	s_mov_b32 s0, 0xbf559e2b
	s_mov_b32 s1, 0x3fc3ab76
	v_subbrev_co_u32_e32 v44, vcc, 0, v26, vcc
	v_sub_u32_e32 v20, 0, v44
	v_ldexp_f64 v[10:11], v[10:11], v20
	v_ldexp_f64 v[12:13], v[12:13], v20
	v_add_f64 v[20:21], v[10:11], -1.0
	v_add_f64 v[34:35], v[10:11], 1.0
	v_add_f64 v[26:27], v[20:21], 1.0
	v_add_f64 v[36:37], v[34:35], -1.0
	v_add_f64 v[26:27], v[10:11], -v[26:27]
	v_add_f64 v[10:11], v[10:11], -v[36:37]
	v_add_f64 v[10:11], v[12:13], v[10:11]
	v_add_f64 v[26:27], v[12:13], v[26:27]
	;; [unrolled: 1-line block ×3, first 2 shown]
	v_rcp_f64_e32 v[36:37], v[12:13]
	v_add_f64 v[32:33], v[20:21], v[26:27]
	v_add_f64 v[20:21], v[32:33], -v[20:21]
	v_add_f64 v[20:21], v[26:27], -v[20:21]
	;; [unrolled: 1-line block ×4, first 2 shown]
	v_fma_f64 v[26:27], -v[12:13], v[36:37], 1.0
	v_fmac_f64_e32 v[36:37], v[26:27], v[36:37]
	v_fma_f64 v[26:27], -v[12:13], v[36:37], 1.0
	v_fmac_f64_e32 v[36:37], v[26:27], v[36:37]
	v_mul_f64 v[26:27], v[32:33], v[36:37]
	v_mul_f64 v[34:35], v[12:13], v[26:27]
	v_fma_f64 v[38:39], v[26:27], v[12:13], -v[34:35]
	v_fmac_f64_e32 v[38:39], v[26:27], v[10:11]
	v_add_f64 v[40:41], v[34:35], v[38:39]
	v_add_f64 v[42:43], v[32:33], -v[40:41]
	v_add_f64 v[32:33], v[32:33], -v[42:43]
	;; [unrolled: 1-line block ×4, first 2 shown]
	v_add_f64 v[20:21], v[20:21], v[32:33]
	v_add_f64 v[32:33], v[34:35], -v[38:39]
	v_add_f64 v[20:21], v[32:33], v[20:21]
	v_add_f64 v[32:33], v[42:43], v[20:21]
	v_add_f64 v[34:35], v[42:43], -v[32:33]
	v_add_f64 v[20:21], v[20:21], v[34:35]
	v_mul_f64 v[34:35], v[36:37], v[32:33]
	v_mul_f64 v[38:39], v[12:13], v[34:35]
	v_fma_f64 v[12:13], v[34:35], v[12:13], -v[38:39]
	v_fmac_f64_e32 v[12:13], v[34:35], v[10:11]
	v_add_f64 v[10:11], v[38:39], v[12:13]
	v_add_f64 v[40:41], v[32:33], -v[10:11]
	v_add_f64 v[32:33], v[32:33], -v[40:41]
	;; [unrolled: 1-line block ×4, first 2 shown]
	v_add_f64 v[10:11], v[20:21], v[10:11]
	v_add_f64 v[12:13], v[38:39], -v[12:13]
	v_add_f64 v[10:11], v[12:13], v[10:11]
	v_add_f64 v[12:13], v[26:27], v[34:35]
	v_add_f64 v[10:11], v[40:41], v[10:11]
	v_add_f64 v[20:21], v[12:13], -v[26:27]
	v_mul_f64 v[10:11], v[36:37], v[10:11]
	v_add_f64 v[20:21], v[34:35], -v[20:21]
	v_add_f64 v[10:11], v[20:21], v[10:11]
	v_add_f64 v[20:21], v[12:13], v[10:11]
	v_add_f64 v[12:13], v[20:21], -v[12:13]
	v_add_f64 v[10:11], v[10:11], -v[12:13]
	v_mul_f64 v[12:13], v[20:21], v[20:21]
	v_mov_b32_e32 v26, 0x6b47b09a
	v_mov_b32_e32 v27, 0x3fc38538
	v_fmac_f64_e32 v[26:27], s[0:1], v[12:13]
	v_mov_b32_e32 v32, 0xd7f4df2e
	v_mov_b32_e32 v33, 0x3fc7474d
	v_fmac_f64_e32 v[32:33], v[12:13], v[26:27]
	v_mov_b32_e32 v26, 0x16291751
	v_mov_b32_e32 v27, 0x3fcc71c0
	v_fmac_f64_e32 v[26:27], v[12:13], v[32:33]
	v_mov_b32_e32 v32, 0x9b27acf1
	v_mov_b32_e32 v33, 0x3fd24924
	v_fmac_f64_e32 v[32:33], v[12:13], v[26:27]
	v_mov_b32_e32 v26, 0x998ef7b6
	v_mov_b32_e32 v27, 0x3fd99999
	v_fmac_f64_e32 v[26:27], v[12:13], v[32:33]
	v_mov_b32_e32 v32, 0x55555780
	v_mov_b32_e32 v33, 0x3fe55555
	v_fmac_f64_e32 v[32:33], v[12:13], v[26:27]
	v_cvt_f64_i32_e32 v[26:27], v44
	s_mov_b32 s11, 0x3fe62e42
	v_mul_f64 v[34:35], v[26:27], s[10:11]
	v_fma_f64 v[36:37], v[26:27], s[10:11], -v[34:35]
	s_mov_b32 s13, 0x3c7abc9e
	v_fmac_f64_e32 v[36:37], s[12:13], v[26:27]
	v_add_f64 v[26:27], v[34:35], v[36:37]
	v_add_f64 v[34:35], v[26:27], -v[34:35]
	v_mul_f64 v[12:13], v[20:21], v[12:13]
	v_add_f64 v[34:35], v[36:37], -v[34:35]
	v_ldexp_f64 v[36:37], v[20:21], 1
	v_mul_f64 v[12:13], v[12:13], v[32:33]
	v_add_f64 v[20:21], v[36:37], v[12:13]
	v_add_f64 v[32:33], v[20:21], -v[36:37]
	v_ldexp_f64 v[10:11], v[10:11], 1
	v_add_f64 v[12:13], v[12:13], -v[32:33]
	v_add_f64 v[10:11], v[10:11], v[12:13]
	v_add_f64 v[12:13], v[20:21], v[10:11]
	v_add_f64 v[20:21], v[12:13], -v[20:21]
	v_add_f64 v[10:11], v[10:11], -v[20:21]
	v_add_f64 v[20:21], v[26:27], v[12:13]
	v_add_f64 v[32:33], v[20:21], -v[26:27]
	v_add_f64 v[36:37], v[20:21], -v[32:33]
	;; [unrolled: 1-line block ×4, first 2 shown]
	v_add_f64 v[12:13], v[12:13], v[26:27]
	v_add_f64 v[26:27], v[34:35], v[10:11]
	v_add_f64 v[32:33], v[26:27], -v[34:35]
	v_add_f64 v[12:13], v[26:27], v[12:13]
	v_add_f64 v[36:37], v[26:27], -v[32:33]
	;; [unrolled: 2-line block ×3, first 2 shown]
	v_add_f64 v[10:11], v[10:11], -v[32:33]
	v_add_f64 v[20:21], v[26:27], -v[20:21]
	v_add_f64 v[10:11], v[10:11], v[34:35]
	v_add_f64 v[12:13], v[12:13], -v[20:21]
	s_mov_b32 s0, 0
	v_add_f64 v[10:11], v[10:11], v[12:13]
	s_mov_b32 s1, 0x7ff00000
	v_add_f64 v[10:11], v[26:27], v[10:11]
	v_cmp_neq_f64_e32 vcc, s[0:1], v[8:9]
	v_mov_b32_e32 v12, 0x7ff80000
	v_cmp_ngt_f64_e64 s[0:1], -1.0, v[8:9]
	v_cndmask_b32_e32 v11, v31, v11, vcc
	s_nop 0
	v_cndmask_b32_e64 v11, v12, v11, s[0:1]
	v_cmp_nge_f64_e64 s[0:1], -1.0, v[8:9]
	s_and_b64 vcc, s[0:1], vcc
	v_cndmask_b32_e32 v10, 0, v10, vcc
	v_mov_b32_e32 v12, 0xfff00000
	v_cmp_neq_f64_e32 vcc, -1.0, v[8:9]
	s_nop 1
	v_cndmask_b32_e32 v11, v12, v11, vcc
	v_add_f64 v[10:11], v[4:5], v[10:11]
.LBB1_220:
	s_or_b64 exec, exec, s[2:3]
	v_max_f64 v[4:5], v[10:11], v[10:11]
	v_min_f64 v[8:9], v[4:5], v[14:15]
	v_cmp_u_f64_e32 vcc, v[10:11], v[10:11]
	v_max_f64 v[4:5], v[4:5], v[14:15]
	s_movk_i32 s12, 0x1f8
	v_cndmask_b32_e32 v8, v8, v10, vcc
	v_cndmask_b32_e32 v9, v9, v11, vcc
	;; [unrolled: 1-line block ×4, first 2 shown]
	v_cndmask_b32_e64 v9, v9, v29, s[4:5]
	v_cndmask_b32_e64 v8, v8, v28, s[4:5]
	;; [unrolled: 1-line block ×4, first 2 shown]
	v_cmp_neq_f64_e32 vcc, v[8:9], v[4:5]
	v_cmp_class_f64_e64 s[0:1], v[8:9], s12
	s_or_b64 s[0:1], vcc, s[0:1]
	v_mov_b64_e32 v[12:13], v[10:11]
	s_and_saveexec_b64 s[2:3], s[0:1]
	s_cbranch_execz .LBB1_222
; %bb.221:
	s_mov_b32 s0, 0x652b82fe
	v_add_f64 v[8:9], v[8:9], -v[4:5]
	s_mov_b32 s1, 0x3ff71547
	v_mul_f64 v[12:13], v[8:9], s[0:1]
	v_rndne_f64_e32 v[12:13], v[12:13]
	s_mov_b32 s5, 0xbfe62e42
	s_mov_b32 s4, 0xfefa39ef
	v_fma_f64 v[14:15], s[4:5], v[12:13], v[8:9]
	s_mov_b32 s11, 0xbc7abc9e
	s_mov_b32 s10, 0x3b39803f
	s_mov_b32 s0, 0x6a5dcb37
	v_fmac_f64_e32 v[14:15], s[10:11], v[12:13]
	v_mov_b32_e32 v20, 0xfca7ab0c
	v_mov_b32_e32 v21, 0x3e928af3
	s_mov_b32 s1, 0x3e5ade15
	v_fmac_f64_e32 v[20:21], s[0:1], v[14:15]
	v_mov_b32_e32 v26, 0x623fde64
	v_mov_b32_e32 v27, 0x3ec71dee
	v_fmac_f64_e32 v[26:27], v[14:15], v[20:21]
	v_mov_b32_e32 v20, 0x7c89e6b0
	v_mov_b32_e32 v21, 0x3efa0199
	;; [unrolled: 3-line block ×8, first 2 shown]
	s_mov_b32 s0, 0
	v_fmac_f64_e32 v[20:21], v[14:15], v[26:27]
	s_mov_b32 s1, 0x40900000
	v_fma_f64 v[20:21], v[14:15], v[20:21], 1.0
	v_cmp_nlt_f64_e32 vcc, s[0:1], v[8:9]
	s_mov_b32 s0, 0
	v_fma_f64 v[14:15], v[14:15], v[20:21], 1.0
	v_cvt_i32_f64_e32 v12, v[12:13]
	s_mov_b32 s1, 0xc090cc00
	v_ldexp_f64 v[12:13], v[14:15], v12
	v_mov_b32_e32 v31, 0x7ff00000
	v_cmp_ngt_f64_e64 s[0:1], s[0:1], v[8:9]
	v_cndmask_b32_e32 v13, v31, v13, vcc
	s_and_b64 vcc, s[0:1], vcc
	v_cndmask_b32_e64 v9, 0, v13, s[0:1]
	v_cndmask_b32_e32 v8, 0, v12, vcc
	v_add_f64 v[12:13], v[8:9], 1.0
	v_add_f64 v[14:15], v[12:13], -1.0
	v_add_f64 v[20:21], v[14:15], -v[12:13]
	v_add_f64 v[20:21], v[20:21], 1.0
	v_add_f64 v[14:15], v[8:9], -v[14:15]
	s_mov_b32 s0, 0x55555555
	v_add_f64 v[14:15], v[14:15], v[20:21]
	v_frexp_mant_f64_e32 v[20:21], v[12:13]
	s_mov_b32 s1, 0x3fe55555
	v_frexp_exp_i32_f64_e32 v26, v[12:13]
	v_cmp_gt_f64_e32 vcc, s[0:1], v[20:21]
	s_mov_b32 s0, 0xbf559e2b
	s_mov_b32 s1, 0x3fc3ab76
	v_subbrev_co_u32_e32 v42, vcc, 0, v26, vcc
	v_sub_u32_e32 v20, 0, v42
	v_ldexp_f64 v[12:13], v[12:13], v20
	v_ldexp_f64 v[14:15], v[14:15], v20
	v_add_f64 v[20:21], v[12:13], -1.0
	v_add_f64 v[32:33], v[12:13], 1.0
	v_add_f64 v[26:27], v[20:21], 1.0
	v_add_f64 v[34:35], v[32:33], -1.0
	v_add_f64 v[26:27], v[12:13], -v[26:27]
	v_add_f64 v[12:13], v[12:13], -v[34:35]
	v_add_f64 v[12:13], v[14:15], v[12:13]
	v_add_f64 v[26:27], v[14:15], v[26:27]
	;; [unrolled: 1-line block ×3, first 2 shown]
	v_rcp_f64_e32 v[34:35], v[14:15]
	v_add_f64 v[28:29], v[20:21], v[26:27]
	v_add_f64 v[20:21], v[28:29], -v[20:21]
	v_add_f64 v[20:21], v[26:27], -v[20:21]
	;; [unrolled: 1-line block ×4, first 2 shown]
	v_fma_f64 v[26:27], -v[14:15], v[34:35], 1.0
	v_fmac_f64_e32 v[34:35], v[26:27], v[34:35]
	v_fma_f64 v[26:27], -v[14:15], v[34:35], 1.0
	v_fmac_f64_e32 v[34:35], v[26:27], v[34:35]
	v_mul_f64 v[26:27], v[28:29], v[34:35]
	v_mul_f64 v[32:33], v[14:15], v[26:27]
	v_fma_f64 v[36:37], v[26:27], v[14:15], -v[32:33]
	v_fmac_f64_e32 v[36:37], v[26:27], v[12:13]
	v_add_f64 v[38:39], v[32:33], v[36:37]
	v_add_f64 v[40:41], v[28:29], -v[38:39]
	v_add_f64 v[28:29], v[28:29], -v[40:41]
	;; [unrolled: 1-line block ×4, first 2 shown]
	v_add_f64 v[20:21], v[20:21], v[28:29]
	v_add_f64 v[28:29], v[32:33], -v[36:37]
	v_add_f64 v[20:21], v[28:29], v[20:21]
	v_add_f64 v[28:29], v[40:41], v[20:21]
	v_add_f64 v[32:33], v[40:41], -v[28:29]
	v_add_f64 v[20:21], v[20:21], v[32:33]
	v_mul_f64 v[32:33], v[34:35], v[28:29]
	v_mul_f64 v[36:37], v[14:15], v[32:33]
	v_fma_f64 v[14:15], v[32:33], v[14:15], -v[36:37]
	v_fmac_f64_e32 v[14:15], v[32:33], v[12:13]
	v_add_f64 v[12:13], v[36:37], v[14:15]
	v_add_f64 v[38:39], v[28:29], -v[12:13]
	v_add_f64 v[28:29], v[28:29], -v[38:39]
	;; [unrolled: 1-line block ×4, first 2 shown]
	v_add_f64 v[12:13], v[20:21], v[12:13]
	v_add_f64 v[14:15], v[36:37], -v[14:15]
	v_add_f64 v[12:13], v[14:15], v[12:13]
	v_add_f64 v[14:15], v[26:27], v[32:33]
	;; [unrolled: 1-line block ×3, first 2 shown]
	v_add_f64 v[20:21], v[14:15], -v[26:27]
	v_mul_f64 v[12:13], v[34:35], v[12:13]
	v_add_f64 v[20:21], v[32:33], -v[20:21]
	v_add_f64 v[12:13], v[20:21], v[12:13]
	v_add_f64 v[20:21], v[14:15], v[12:13]
	v_add_f64 v[14:15], v[20:21], -v[14:15]
	v_add_f64 v[12:13], v[12:13], -v[14:15]
	v_mul_f64 v[14:15], v[20:21], v[20:21]
	v_mov_b32_e32 v26, 0x6b47b09a
	v_mov_b32_e32 v27, 0x3fc38538
	v_fmac_f64_e32 v[26:27], s[0:1], v[14:15]
	v_mov_b32_e32 v28, 0xd7f4df2e
	v_mov_b32_e32 v29, 0x3fc7474d
	v_fmac_f64_e32 v[28:29], v[14:15], v[26:27]
	;; [unrolled: 3-line block ×6, first 2 shown]
	v_cvt_f64_i32_e32 v[26:27], v42
	s_mov_b32 s5, 0x3fe62e42
	v_mul_f64 v[32:33], v[26:27], s[4:5]
	v_fma_f64 v[34:35], v[26:27], s[4:5], -v[32:33]
	s_mov_b32 s11, 0x3c7abc9e
	v_fmac_f64_e32 v[34:35], s[10:11], v[26:27]
	v_add_f64 v[26:27], v[32:33], v[34:35]
	v_add_f64 v[32:33], v[26:27], -v[32:33]
	v_mul_f64 v[14:15], v[20:21], v[14:15]
	v_add_f64 v[32:33], v[34:35], -v[32:33]
	v_ldexp_f64 v[34:35], v[20:21], 1
	v_mul_f64 v[14:15], v[14:15], v[28:29]
	v_add_f64 v[20:21], v[34:35], v[14:15]
	v_add_f64 v[28:29], v[20:21], -v[34:35]
	v_ldexp_f64 v[12:13], v[12:13], 1
	v_add_f64 v[14:15], v[14:15], -v[28:29]
	v_add_f64 v[12:13], v[12:13], v[14:15]
	v_add_f64 v[14:15], v[20:21], v[12:13]
	v_add_f64 v[20:21], v[14:15], -v[20:21]
	v_add_f64 v[12:13], v[12:13], -v[20:21]
	v_add_f64 v[20:21], v[26:27], v[14:15]
	v_add_f64 v[28:29], v[20:21], -v[26:27]
	v_add_f64 v[34:35], v[20:21], -v[28:29]
	;; [unrolled: 1-line block ×4, first 2 shown]
	v_add_f64 v[14:15], v[14:15], v[26:27]
	v_add_f64 v[26:27], v[32:33], v[12:13]
	v_add_f64 v[28:29], v[26:27], -v[32:33]
	v_add_f64 v[14:15], v[26:27], v[14:15]
	v_add_f64 v[34:35], v[26:27], -v[28:29]
	;; [unrolled: 2-line block ×3, first 2 shown]
	v_add_f64 v[12:13], v[12:13], -v[28:29]
	v_add_f64 v[20:21], v[26:27], -v[20:21]
	v_add_f64 v[12:13], v[12:13], v[32:33]
	v_add_f64 v[14:15], v[14:15], -v[20:21]
	s_mov_b32 s0, 0
	v_add_f64 v[12:13], v[12:13], v[14:15]
	s_mov_b32 s1, 0x7ff00000
	v_add_f64 v[12:13], v[26:27], v[12:13]
	v_cmp_neq_f64_e32 vcc, s[0:1], v[8:9]
	v_mov_b32_e32 v14, 0x7ff80000
	v_cmp_ngt_f64_e64 s[0:1], -1.0, v[8:9]
	v_cndmask_b32_e32 v13, v31, v13, vcc
	s_nop 0
	v_cndmask_b32_e64 v13, v14, v13, s[0:1]
	v_cmp_nge_f64_e64 s[0:1], -1.0, v[8:9]
	s_and_b64 vcc, s[0:1], vcc
	v_cndmask_b32_e32 v12, 0, v12, vcc
	v_mov_b32_e32 v14, 0xfff00000
	v_cmp_neq_f64_e32 vcc, -1.0, v[8:9]
	s_nop 1
	v_cndmask_b32_e32 v13, v14, v13, vcc
	v_add_f64 v[12:13], v[4:5], v[12:13]
.LBB1_222:
	s_or_b64 exec, exec, s[2:3]
	v_max_f64 v[4:5], v[12:13], v[12:13]
	v_min_f64 v[8:9], v[4:5], v[16:17]
	v_cmp_u_f64_e32 vcc, v[12:13], v[12:13]
	v_max_f64 v[4:5], v[4:5], v[16:17]
	v_mov_b64_e32 v[14:15], v[12:13]
	v_cndmask_b32_e32 v8, v8, v12, vcc
	v_cndmask_b32_e32 v9, v9, v13, vcc
	v_cndmask_b32_e32 v4, v4, v12, vcc
	v_cndmask_b32_e32 v5, v5, v13, vcc
	v_cndmask_b32_e64 v9, v9, v23, s[6:7]
	v_cndmask_b32_e64 v8, v8, v22, s[6:7]
	;; [unrolled: 1-line block ×4, first 2 shown]
	v_cmp_neq_f64_e32 vcc, v[8:9], v[4:5]
	v_cmp_class_f64_e64 s[0:1], v[8:9], s12
	s_or_b64 s[0:1], vcc, s[0:1]
	s_and_saveexec_b64 s[2:3], s[0:1]
	s_cbranch_execz .LBB1_224
; %bb.223:
	s_mov_b32 s0, 0x652b82fe
	v_add_f64 v[8:9], v[8:9], -v[4:5]
	s_mov_b32 s1, 0x3ff71547
	v_mul_f64 v[14:15], v[8:9], s[0:1]
	v_rndne_f64_e32 v[14:15], v[14:15]
	s_mov_b32 s5, 0xbfe62e42
	s_mov_b32 s4, 0xfefa39ef
	v_fma_f64 v[16:17], s[4:5], v[14:15], v[8:9]
	s_mov_b32 s7, 0xbc7abc9e
	s_mov_b32 s6, 0x3b39803f
	;; [unrolled: 1-line block ×3, first 2 shown]
	v_fmac_f64_e32 v[16:17], s[6:7], v[14:15]
	v_mov_b32_e32 v20, 0xfca7ab0c
	v_mov_b32_e32 v21, 0x3e928af3
	s_mov_b32 s1, 0x3e5ade15
	v_fmac_f64_e32 v[20:21], s[0:1], v[16:17]
	v_mov_b32_e32 v22, 0x623fde64
	v_mov_b32_e32 v23, 0x3ec71dee
	v_fmac_f64_e32 v[22:23], v[16:17], v[20:21]
	v_mov_b32_e32 v20, 0x7c89e6b0
	v_mov_b32_e32 v21, 0x3efa0199
	;; [unrolled: 3-line block ×8, first 2 shown]
	s_mov_b32 s0, 0
	v_fmac_f64_e32 v[20:21], v[16:17], v[22:23]
	s_mov_b32 s1, 0x40900000
	v_fma_f64 v[20:21], v[16:17], v[20:21], 1.0
	v_cmp_nlt_f64_e32 vcc, s[0:1], v[8:9]
	s_mov_b32 s0, 0
	v_fma_f64 v[16:17], v[16:17], v[20:21], 1.0
	v_cvt_i32_f64_e32 v14, v[14:15]
	s_mov_b32 s1, 0xc090cc00
	v_ldexp_f64 v[14:15], v[16:17], v14
	v_mov_b32_e32 v31, 0x7ff00000
	v_cmp_ngt_f64_e64 s[0:1], s[0:1], v[8:9]
	v_cndmask_b32_e32 v15, v31, v15, vcc
	s_and_b64 vcc, s[0:1], vcc
	v_cndmask_b32_e64 v9, 0, v15, s[0:1]
	v_cndmask_b32_e32 v8, 0, v14, vcc
	v_add_f64 v[14:15], v[8:9], 1.0
	v_add_f64 v[16:17], v[14:15], -1.0
	v_add_f64 v[20:21], v[16:17], -v[14:15]
	v_add_f64 v[20:21], v[20:21], 1.0
	v_add_f64 v[16:17], v[8:9], -v[16:17]
	s_mov_b32 s0, 0x55555555
	v_add_f64 v[16:17], v[16:17], v[20:21]
	v_frexp_mant_f64_e32 v[20:21], v[14:15]
	s_mov_b32 s1, 0x3fe55555
	v_frexp_exp_i32_f64_e32 v22, v[14:15]
	v_cmp_gt_f64_e32 vcc, s[0:1], v[20:21]
	s_mov_b32 s0, 0xbf559e2b
	s_mov_b32 s1, 0x3fc3ab76
	v_subbrev_co_u32_e32 v40, vcc, 0, v22, vcc
	v_sub_u32_e32 v20, 0, v40
	v_ldexp_f64 v[14:15], v[14:15], v20
	v_ldexp_f64 v[16:17], v[16:17], v20
	v_add_f64 v[20:21], v[14:15], -1.0
	v_add_f64 v[28:29], v[14:15], 1.0
	v_add_f64 v[22:23], v[20:21], 1.0
	v_add_f64 v[32:33], v[28:29], -1.0
	v_add_f64 v[22:23], v[14:15], -v[22:23]
	v_add_f64 v[14:15], v[14:15], -v[32:33]
	v_add_f64 v[14:15], v[16:17], v[14:15]
	v_add_f64 v[22:23], v[16:17], v[22:23]
	;; [unrolled: 1-line block ×3, first 2 shown]
	v_rcp_f64_e32 v[32:33], v[16:17]
	v_add_f64 v[26:27], v[20:21], v[22:23]
	v_add_f64 v[20:21], v[26:27], -v[20:21]
	v_add_f64 v[20:21], v[22:23], -v[20:21]
	;; [unrolled: 1-line block ×4, first 2 shown]
	v_fma_f64 v[22:23], -v[16:17], v[32:33], 1.0
	v_fmac_f64_e32 v[32:33], v[22:23], v[32:33]
	v_fma_f64 v[22:23], -v[16:17], v[32:33], 1.0
	v_fmac_f64_e32 v[32:33], v[22:23], v[32:33]
	v_mul_f64 v[22:23], v[26:27], v[32:33]
	v_mul_f64 v[28:29], v[16:17], v[22:23]
	v_fma_f64 v[34:35], v[22:23], v[16:17], -v[28:29]
	v_fmac_f64_e32 v[34:35], v[22:23], v[14:15]
	v_add_f64 v[36:37], v[28:29], v[34:35]
	v_add_f64 v[38:39], v[26:27], -v[36:37]
	v_add_f64 v[26:27], v[26:27], -v[38:39]
	;; [unrolled: 1-line block ×4, first 2 shown]
	v_add_f64 v[20:21], v[20:21], v[26:27]
	v_add_f64 v[26:27], v[28:29], -v[34:35]
	v_add_f64 v[20:21], v[26:27], v[20:21]
	v_add_f64 v[26:27], v[38:39], v[20:21]
	v_add_f64 v[28:29], v[38:39], -v[26:27]
	v_add_f64 v[20:21], v[20:21], v[28:29]
	v_mul_f64 v[28:29], v[32:33], v[26:27]
	v_mul_f64 v[34:35], v[16:17], v[28:29]
	v_fma_f64 v[16:17], v[28:29], v[16:17], -v[34:35]
	v_fmac_f64_e32 v[16:17], v[28:29], v[14:15]
	v_add_f64 v[14:15], v[34:35], v[16:17]
	v_add_f64 v[36:37], v[26:27], -v[14:15]
	v_add_f64 v[26:27], v[26:27], -v[36:37]
	;; [unrolled: 1-line block ×4, first 2 shown]
	v_add_f64 v[14:15], v[20:21], v[14:15]
	v_add_f64 v[16:17], v[34:35], -v[16:17]
	v_add_f64 v[14:15], v[16:17], v[14:15]
	v_add_f64 v[16:17], v[22:23], v[28:29]
	;; [unrolled: 1-line block ×3, first 2 shown]
	v_add_f64 v[20:21], v[16:17], -v[22:23]
	v_mul_f64 v[14:15], v[32:33], v[14:15]
	v_add_f64 v[20:21], v[28:29], -v[20:21]
	v_add_f64 v[14:15], v[20:21], v[14:15]
	v_add_f64 v[20:21], v[16:17], v[14:15]
	v_add_f64 v[16:17], v[20:21], -v[16:17]
	v_add_f64 v[14:15], v[14:15], -v[16:17]
	v_mul_f64 v[16:17], v[20:21], v[20:21]
	v_mov_b32_e32 v22, 0x6b47b09a
	v_mov_b32_e32 v23, 0x3fc38538
	v_fmac_f64_e32 v[22:23], s[0:1], v[16:17]
	v_mov_b32_e32 v26, 0xd7f4df2e
	v_mov_b32_e32 v27, 0x3fc7474d
	v_fmac_f64_e32 v[26:27], v[16:17], v[22:23]
	;; [unrolled: 3-line block ×6, first 2 shown]
	v_cvt_f64_i32_e32 v[22:23], v40
	s_mov_b32 s5, 0x3fe62e42
	v_mul_f64 v[28:29], v[22:23], s[4:5]
	v_fma_f64 v[32:33], v[22:23], s[4:5], -v[28:29]
	s_mov_b32 s7, 0x3c7abc9e
	v_fmac_f64_e32 v[32:33], s[6:7], v[22:23]
	v_add_f64 v[22:23], v[28:29], v[32:33]
	v_add_f64 v[28:29], v[22:23], -v[28:29]
	v_mul_f64 v[16:17], v[20:21], v[16:17]
	v_add_f64 v[28:29], v[32:33], -v[28:29]
	v_ldexp_f64 v[32:33], v[20:21], 1
	v_mul_f64 v[16:17], v[16:17], v[26:27]
	v_add_f64 v[20:21], v[32:33], v[16:17]
	v_add_f64 v[26:27], v[20:21], -v[32:33]
	v_ldexp_f64 v[14:15], v[14:15], 1
	v_add_f64 v[16:17], v[16:17], -v[26:27]
	v_add_f64 v[14:15], v[14:15], v[16:17]
	v_add_f64 v[16:17], v[20:21], v[14:15]
	v_add_f64 v[20:21], v[16:17], -v[20:21]
	v_add_f64 v[14:15], v[14:15], -v[20:21]
	v_add_f64 v[20:21], v[22:23], v[16:17]
	v_add_f64 v[26:27], v[20:21], -v[22:23]
	v_add_f64 v[32:33], v[20:21], -v[26:27]
	v_add_f64 v[22:23], v[22:23], -v[32:33]
	v_add_f64 v[16:17], v[16:17], -v[26:27]
	v_add_f64 v[16:17], v[16:17], v[22:23]
	v_add_f64 v[22:23], v[28:29], v[14:15]
	v_add_f64 v[26:27], v[22:23], -v[28:29]
	v_add_f64 v[16:17], v[22:23], v[16:17]
	v_add_f64 v[32:33], v[22:23], -v[26:27]
	;; [unrolled: 2-line block ×3, first 2 shown]
	v_add_f64 v[14:15], v[14:15], -v[26:27]
	v_add_f64 v[20:21], v[22:23], -v[20:21]
	v_add_f64 v[14:15], v[14:15], v[28:29]
	v_add_f64 v[16:17], v[16:17], -v[20:21]
	s_mov_b32 s0, 0
	v_add_f64 v[14:15], v[14:15], v[16:17]
	s_mov_b32 s1, 0x7ff00000
	v_add_f64 v[14:15], v[22:23], v[14:15]
	v_cmp_neq_f64_e32 vcc, s[0:1], v[8:9]
	v_mov_b32_e32 v16, 0x7ff80000
	v_cmp_ngt_f64_e64 s[0:1], -1.0, v[8:9]
	v_cndmask_b32_e32 v15, v31, v15, vcc
	s_nop 0
	v_cndmask_b32_e64 v15, v16, v15, s[0:1]
	v_cmp_nge_f64_e64 s[0:1], -1.0, v[8:9]
	s_and_b64 vcc, s[0:1], vcc
	v_cndmask_b32_e32 v14, 0, v14, vcc
	v_mov_b32_e32 v16, 0xfff00000
	v_cmp_neq_f64_e32 vcc, -1.0, v[8:9]
	s_nop 1
	v_cndmask_b32_e32 v15, v16, v15, vcc
	v_add_f64 v[14:15], v[4:5], v[14:15]
.LBB1_224:
	s_or_b64 exec, exec, s[2:3]
	v_max_f64 v[4:5], v[14:15], v[14:15]
	v_min_f64 v[8:9], v[4:5], v[18:19]
	v_cmp_u_f64_e32 vcc, v[14:15], v[14:15]
	v_max_f64 v[4:5], v[4:5], v[18:19]
	s_movk_i32 s0, 0x1f8
	v_cndmask_b32_e32 v8, v8, v14, vcc
	v_cndmask_b32_e32 v9, v9, v15, vcc
	;; [unrolled: 1-line block ×4, first 2 shown]
	v_cndmask_b32_e64 v9, v9, v25, s[8:9]
	v_cndmask_b32_e64 v8, v8, v24, s[8:9]
	;; [unrolled: 1-line block ×4, first 2 shown]
	v_cmp_neq_f64_e32 vcc, v[8:9], v[4:5]
	v_cmp_class_f64_e64 s[0:1], v[8:9], s0
	s_or_b64 s[0:1], vcc, s[0:1]
	v_mov_b64_e32 v[16:17], v[14:15]
	s_and_saveexec_b64 s[2:3], s[0:1]
	s_cbranch_execz .LBB1_226
; %bb.225:
	s_mov_b32 s0, 0x652b82fe
	v_add_f64 v[8:9], v[8:9], -v[4:5]
	s_mov_b32 s1, 0x3ff71547
	v_mul_f64 v[16:17], v[8:9], s[0:1]
	v_rndne_f64_e32 v[16:17], v[16:17]
	s_mov_b32 s5, 0xbfe62e42
	s_mov_b32 s4, 0xfefa39ef
	v_fma_f64 v[18:19], s[4:5], v[16:17], v[8:9]
	s_mov_b32 s7, 0xbc7abc9e
	s_mov_b32 s6, 0x3b39803f
	;; [unrolled: 1-line block ×3, first 2 shown]
	v_fmac_f64_e32 v[18:19], s[6:7], v[16:17]
	v_mov_b32_e32 v20, 0xfca7ab0c
	v_mov_b32_e32 v21, 0x3e928af3
	s_mov_b32 s1, 0x3e5ade15
	v_fmac_f64_e32 v[20:21], s[0:1], v[18:19]
	v_mov_b32_e32 v22, 0x623fde64
	v_mov_b32_e32 v23, 0x3ec71dee
	v_fmac_f64_e32 v[22:23], v[18:19], v[20:21]
	v_mov_b32_e32 v20, 0x7c89e6b0
	v_mov_b32_e32 v21, 0x3efa0199
	;; [unrolled: 3-line block ×8, first 2 shown]
	s_mov_b32 s0, 0
	v_fmac_f64_e32 v[20:21], v[18:19], v[22:23]
	s_mov_b32 s1, 0x40900000
	v_fma_f64 v[20:21], v[18:19], v[20:21], 1.0
	v_cmp_nlt_f64_e32 vcc, s[0:1], v[8:9]
	s_mov_b32 s0, 0
	v_fma_f64 v[18:19], v[18:19], v[20:21], 1.0
	v_cvt_i32_f64_e32 v16, v[16:17]
	s_mov_b32 s1, 0xc090cc00
	v_ldexp_f64 v[16:17], v[18:19], v16
	v_mov_b32_e32 v31, 0x7ff00000
	v_cmp_ngt_f64_e64 s[0:1], s[0:1], v[8:9]
	v_cndmask_b32_e32 v17, v31, v17, vcc
	s_and_b64 vcc, s[0:1], vcc
	v_cndmask_b32_e64 v9, 0, v17, s[0:1]
	v_cndmask_b32_e32 v8, 0, v16, vcc
	v_add_f64 v[16:17], v[8:9], 1.0
	v_add_f64 v[18:19], v[16:17], -1.0
	v_add_f64 v[20:21], v[18:19], -v[16:17]
	v_add_f64 v[20:21], v[20:21], 1.0
	v_add_f64 v[18:19], v[8:9], -v[18:19]
	s_mov_b32 s0, 0x55555555
	v_add_f64 v[18:19], v[18:19], v[20:21]
	v_frexp_mant_f64_e32 v[20:21], v[16:17]
	s_mov_b32 s1, 0x3fe55555
	v_frexp_exp_i32_f64_e32 v22, v[16:17]
	v_cmp_gt_f64_e32 vcc, s[0:1], v[20:21]
	s_mov_b32 s0, 0xbf559e2b
	s_mov_b32 s1, 0x3fc3ab76
	v_subbrev_co_u32_e32 v38, vcc, 0, v22, vcc
	v_sub_u32_e32 v20, 0, v38
	v_ldexp_f64 v[16:17], v[16:17], v20
	v_ldexp_f64 v[18:19], v[18:19], v20
	v_add_f64 v[20:21], v[16:17], -1.0
	v_add_f64 v[26:27], v[16:17], 1.0
	v_add_f64 v[22:23], v[20:21], 1.0
	v_add_f64 v[28:29], v[26:27], -1.0
	v_add_f64 v[22:23], v[16:17], -v[22:23]
	v_add_f64 v[16:17], v[16:17], -v[28:29]
	v_add_f64 v[16:17], v[18:19], v[16:17]
	v_add_f64 v[22:23], v[18:19], v[22:23]
	;; [unrolled: 1-line block ×3, first 2 shown]
	v_rcp_f64_e32 v[28:29], v[18:19]
	v_add_f64 v[24:25], v[20:21], v[22:23]
	v_add_f64 v[20:21], v[24:25], -v[20:21]
	v_add_f64 v[20:21], v[22:23], -v[20:21]
	;; [unrolled: 1-line block ×4, first 2 shown]
	v_fma_f64 v[22:23], -v[18:19], v[28:29], 1.0
	v_fmac_f64_e32 v[28:29], v[22:23], v[28:29]
	v_fma_f64 v[22:23], -v[18:19], v[28:29], 1.0
	v_fmac_f64_e32 v[28:29], v[22:23], v[28:29]
	v_mul_f64 v[22:23], v[24:25], v[28:29]
	v_mul_f64 v[26:27], v[18:19], v[22:23]
	v_fma_f64 v[32:33], v[22:23], v[18:19], -v[26:27]
	v_fmac_f64_e32 v[32:33], v[22:23], v[16:17]
	v_add_f64 v[34:35], v[26:27], v[32:33]
	v_add_f64 v[36:37], v[24:25], -v[34:35]
	v_add_f64 v[24:25], v[24:25], -v[36:37]
	;; [unrolled: 1-line block ×4, first 2 shown]
	v_add_f64 v[20:21], v[20:21], v[24:25]
	v_add_f64 v[24:25], v[26:27], -v[32:33]
	v_add_f64 v[20:21], v[24:25], v[20:21]
	v_add_f64 v[24:25], v[36:37], v[20:21]
	v_add_f64 v[26:27], v[36:37], -v[24:25]
	v_add_f64 v[20:21], v[20:21], v[26:27]
	v_mul_f64 v[26:27], v[28:29], v[24:25]
	v_mul_f64 v[32:33], v[18:19], v[26:27]
	v_fma_f64 v[18:19], v[26:27], v[18:19], -v[32:33]
	v_fmac_f64_e32 v[18:19], v[26:27], v[16:17]
	v_add_f64 v[16:17], v[32:33], v[18:19]
	v_add_f64 v[34:35], v[24:25], -v[16:17]
	v_add_f64 v[24:25], v[24:25], -v[34:35]
	v_add_f64 v[32:33], v[16:17], -v[32:33]
	v_add_f64 v[16:17], v[24:25], -v[16:17]
	v_add_f64 v[16:17], v[20:21], v[16:17]
	v_add_f64 v[18:19], v[32:33], -v[18:19]
	v_add_f64 v[16:17], v[18:19], v[16:17]
	v_add_f64 v[18:19], v[22:23], v[26:27]
	;; [unrolled: 1-line block ×3, first 2 shown]
	v_add_f64 v[20:21], v[18:19], -v[22:23]
	v_mul_f64 v[16:17], v[28:29], v[16:17]
	v_add_f64 v[20:21], v[26:27], -v[20:21]
	v_add_f64 v[16:17], v[20:21], v[16:17]
	v_add_f64 v[20:21], v[18:19], v[16:17]
	v_add_f64 v[18:19], v[20:21], -v[18:19]
	v_add_f64 v[16:17], v[16:17], -v[18:19]
	v_mul_f64 v[18:19], v[20:21], v[20:21]
	v_mov_b32_e32 v22, 0x6b47b09a
	v_mov_b32_e32 v23, 0x3fc38538
	v_fmac_f64_e32 v[22:23], s[0:1], v[18:19]
	v_mov_b32_e32 v24, 0xd7f4df2e
	v_mov_b32_e32 v25, 0x3fc7474d
	v_fmac_f64_e32 v[24:25], v[18:19], v[22:23]
	;; [unrolled: 3-line block ×6, first 2 shown]
	v_cvt_f64_i32_e32 v[22:23], v38
	s_mov_b32 s5, 0x3fe62e42
	v_mul_f64 v[26:27], v[22:23], s[4:5]
	v_fma_f64 v[28:29], v[22:23], s[4:5], -v[26:27]
	s_mov_b32 s7, 0x3c7abc9e
	v_fmac_f64_e32 v[28:29], s[6:7], v[22:23]
	v_add_f64 v[22:23], v[26:27], v[28:29]
	v_add_f64 v[26:27], v[22:23], -v[26:27]
	v_mul_f64 v[18:19], v[20:21], v[18:19]
	v_add_f64 v[26:27], v[28:29], -v[26:27]
	v_ldexp_f64 v[28:29], v[20:21], 1
	v_mul_f64 v[18:19], v[18:19], v[24:25]
	v_add_f64 v[20:21], v[28:29], v[18:19]
	v_add_f64 v[24:25], v[20:21], -v[28:29]
	v_ldexp_f64 v[16:17], v[16:17], 1
	v_add_f64 v[18:19], v[18:19], -v[24:25]
	v_add_f64 v[16:17], v[16:17], v[18:19]
	v_add_f64 v[18:19], v[20:21], v[16:17]
	v_add_f64 v[20:21], v[18:19], -v[20:21]
	v_add_f64 v[16:17], v[16:17], -v[20:21]
	v_add_f64 v[20:21], v[22:23], v[18:19]
	v_add_f64 v[24:25], v[20:21], -v[22:23]
	v_add_f64 v[28:29], v[20:21], -v[24:25]
	;; [unrolled: 1-line block ×4, first 2 shown]
	v_add_f64 v[18:19], v[18:19], v[22:23]
	v_add_f64 v[22:23], v[26:27], v[16:17]
	v_add_f64 v[24:25], v[22:23], -v[26:27]
	v_add_f64 v[18:19], v[22:23], v[18:19]
	v_add_f64 v[28:29], v[22:23], -v[24:25]
	;; [unrolled: 2-line block ×3, first 2 shown]
	v_add_f64 v[16:17], v[16:17], -v[24:25]
	v_add_f64 v[20:21], v[22:23], -v[20:21]
	v_add_f64 v[16:17], v[16:17], v[26:27]
	v_add_f64 v[18:19], v[18:19], -v[20:21]
	s_mov_b32 s0, 0
	v_add_f64 v[16:17], v[16:17], v[18:19]
	s_mov_b32 s1, 0x7ff00000
	v_add_f64 v[16:17], v[22:23], v[16:17]
	v_cmp_neq_f64_e32 vcc, s[0:1], v[8:9]
	v_mov_b32_e32 v18, 0x7ff80000
	v_cmp_ngt_f64_e64 s[0:1], -1.0, v[8:9]
	v_cndmask_b32_e32 v17, v31, v17, vcc
	s_nop 0
	v_cndmask_b32_e64 v17, v18, v17, s[0:1]
	v_cmp_nge_f64_e64 s[0:1], -1.0, v[8:9]
	s_and_b64 vcc, s[0:1], vcc
	v_cndmask_b32_e32 v16, 0, v16, vcc
	v_mov_b32_e32 v18, 0xfff00000
	v_cmp_neq_f64_e32 vcc, -1.0, v[8:9]
	s_nop 1
	v_cndmask_b32_e32 v17, v18, v17, vcc
	v_add_f64 v[16:17], v[4:5], v[16:17]
.LBB1_226:
	s_or_b64 exec, exec, s[2:3]
	s_movk_i32 s0, 0xff
	v_cmp_eq_u32_e32 vcc, s0, v0
	s_and_saveexec_b64 s[0:1], vcc
	s_cbranch_execz .LBB1_228
; %bb.227:
	s_add_u32 s2, s34, 0x400
	s_addc_u32 s3, s35, 0
	v_mov_b32_e32 v18, 2
	v_mov_b32_e32 v19, 0
	v_mov_b64_e32 v[4:5], s[2:3]
	;;#ASMSTART
	global_store_dwordx4 v[4:5], v[16:19] off sc1	
s_waitcnt vmcnt(0)
	;;#ASMEND
.LBB1_228:
	s_or_b64 exec, exec, s[0:1]
	v_mov_b32_e32 v8, v2
	v_mov_b32_e32 v9, v3
.LBB1_229:
	s_add_u32 s0, s24, s28
	s_addc_u32 s1, s25, s29
	s_add_u32 s0, s0, s30
	s_addc_u32 s1, s1, s31
	s_mov_b64 s[2:3], -1
	s_and_b64 vcc, exec, s[26:27]
	s_waitcnt lgkmcnt(0)
	s_barrier
	s_cbranch_vccz .LBB1_231
; %bb.230:
	ds_write_b128 v1, v[6:9]
	ds_write_b128 v1, v[10:13] offset:16
	ds_write_b128 v1, v[14:17] offset:32
	s_waitcnt lgkmcnt(0)
	s_barrier
	ds_read2st64_b64 v[2:5], v30 offset1:4
	ds_read2st64_b64 v[18:21], v30 offset0:8 offset1:12
	ds_read2st64_b64 v[22:25], v30 offset0:16 offset1:20
	v_mov_b32_e32 v31, 0
	v_lshl_add_u64 v[26:27], s[0:1], 0, v[30:31]
	s_waitcnt lgkmcnt(2)
	global_store_dwordx2 v30, v[2:3], s[0:1]
	global_store_dwordx2 v30, v[4:5], s[0:1] offset:2048
	v_add_co_u32_e32 v2, vcc, 0x1000, v26
	s_mov_b64 s[2:3], 0
	s_nop 0
	v_addc_co_u32_e32 v3, vcc, 0, v27, vcc
	s_waitcnt lgkmcnt(1)
	global_store_dwordx2 v[2:3], v[18:19], off
	global_store_dwordx2 v[2:3], v[20:21], off offset:2048
	v_add_co_u32_e32 v2, vcc, 0x2000, v26
	s_nop 1
	v_addc_co_u32_e32 v3, vcc, 0, v27, vcc
	s_waitcnt lgkmcnt(0)
	global_store_dwordx2 v[2:3], v[22:23], off
	global_store_dwordx2 v[2:3], v[24:25], off offset:2048
.LBB1_231:
	s_andn2_b64 vcc, exec, s[2:3]
	s_cbranch_vccnz .LBB1_264
; %bb.232:
	ds_write_b128 v1, v[6:9]
	ds_write_b128 v1, v[10:13] offset:16
	ds_write_b128 v1, v[14:17] offset:32
	s_waitcnt lgkmcnt(0)
	s_barrier
	ds_read2st64_b64 v[4:7], v30 offset1:4
	ds_read2st64_b64 v[8:11], v30 offset0:8 offset1:12
	ds_read2st64_b64 v[12:15], v30 offset0:16 offset1:20
	v_mov_b32_e32 v31, 0
	v_lshl_add_u64 v[2:3], s[0:1], 0, v[30:31]
	v_cmp_gt_u32_e32 vcc, s33, v0
	s_and_saveexec_b64 s[0:1], vcc
	s_cbranch_execz .LBB1_234
; %bb.233:
	s_waitcnt lgkmcnt(2)
	global_store_dwordx2 v[2:3], v[4:5], off
.LBB1_234:
	s_or_b64 exec, exec, s[0:1]
	v_or_b32_e32 v1, 0x100, v0
	v_cmp_gt_u32_e32 vcc, s33, v1
	s_and_saveexec_b64 s[0:1], vcc
	s_cbranch_execz .LBB1_236
; %bb.235:
	s_waitcnt lgkmcnt(2)
	global_store_dwordx2 v[2:3], v[6:7], off offset:2048
.LBB1_236:
	s_or_b64 exec, exec, s[0:1]
	v_or_b32_e32 v1, 0x200, v0
	v_cmp_gt_u32_e32 vcc, s33, v1
	s_and_saveexec_b64 s[0:1], vcc
	s_cbranch_execz .LBB1_238
; %bb.237:
	v_add_co_u32_e32 v16, vcc, 0x1000, v2
	s_nop 1
	v_addc_co_u32_e32 v17, vcc, 0, v3, vcc
	s_waitcnt lgkmcnt(1)
	global_store_dwordx2 v[16:17], v[8:9], off
.LBB1_238:
	s_or_b64 exec, exec, s[0:1]
	v_or_b32_e32 v1, 0x300, v0
	v_cmp_gt_u32_e32 vcc, s33, v1
	s_and_saveexec_b64 s[0:1], vcc
	s_cbranch_execz .LBB1_240
; %bb.239:
	v_add_co_u32_e32 v16, vcc, 0x1000, v2
	s_nop 1
	v_addc_co_u32_e32 v17, vcc, 0, v3, vcc
	s_waitcnt lgkmcnt(1)
	global_store_dwordx2 v[16:17], v[10:11], off offset:2048
.LBB1_240:
	s_or_b64 exec, exec, s[0:1]
	v_or_b32_e32 v1, 0x400, v0
	v_cmp_gt_u32_e32 vcc, s33, v1
	s_and_saveexec_b64 s[0:1], vcc
	s_cbranch_execz .LBB1_242
; %bb.241:
	v_add_co_u32_e32 v16, vcc, 0x2000, v2
	s_nop 1
	v_addc_co_u32_e32 v17, vcc, 0, v3, vcc
	s_waitcnt lgkmcnt(0)
	global_store_dwordx2 v[16:17], v[12:13], off
.LBB1_242:
	s_or_b64 exec, exec, s[0:1]
	v_or_b32_e32 v1, 0x500, v0
	v_cmp_gt_u32_e32 vcc, s33, v1
	s_and_saveexec_b64 s[0:1], vcc
	s_cbranch_execz .LBB1_244
; %bb.243:
	v_add_co_u32_e32 v2, vcc, 0x2000, v2
	s_nop 1
	v_addc_co_u32_e32 v3, vcc, 0, v3, vcc
	s_waitcnt lgkmcnt(0)
	global_store_dwordx2 v[2:3], v[14:15], off offset:2048
.LBB1_244:
	s_or_b64 exec, exec, s[0:1]
	v_cmp_lt_u64_e64 s[0:1], s[42:43], 2
	s_and_b64 vcc, exec, s[0:1]
	s_cbranch_vccnz .LBB1_264
; %bb.245:
	s_add_u32 s0, s33, -1
	s_addc_u32 s1, s64, -1
	s_mul_i32 s5, s1, 0xaaaaaaab
	s_mul_hi_u32 s6, s0, 0xaaaaaaab
	s_mul_hi_u32 s4, s1, 0xaaaaaaab
	s_add_u32 s5, s5, s6
	s_mul_i32 s3, s0, 0xaaaaaaaa
	s_addc_u32 s4, s4, 0
	s_mul_hi_u32 s2, s0, 0xaaaaaaaa
	s_add_u32 s3, s3, s5
	s_addc_u32 s2, s2, 0
	s_add_u32 s2, s4, s2
	s_addc_u32 s3, 0, 0
	s_mul_i32 s5, s1, 0xaaaaaaaa
	s_mul_hi_u32 s4, s1, 0xaaaaaaaa
	s_add_u32 s2, s5, s2
	s_addc_u32 s3, s4, s3
	v_mov_b32_e32 v1, v31
	s_lshr_b64 s[2:3], s[2:3], 2
	v_cmp_eq_u64_e32 vcc, s[2:3], v[0:1]
	s_and_saveexec_b64 s[2:3], vcc
	s_cbranch_execz .LBB1_264
; %bb.246:
	v_mul_hi_u32_u24_e32 v1, 6, v0
	v_mul_u32_u24_e32 v0, 6, v0
	v_mov_b32_e32 v2, s1
	v_sub_co_u32_e32 v0, vcc, s0, v0
	s_nop 1
	v_subb_co_u32_e32 v1, vcc, v2, v1, vcc
	v_cmp_lt_i64_e32 vcc, 2, v[0:1]
	s_and_saveexec_b64 s[0:1], vcc
	s_xor_b64 s[0:1], exec, s[0:1]
	s_cbranch_execz .LBB1_256
; %bb.247:
	v_cmp_lt_i64_e32 vcc, 3, v[0:1]
	s_and_saveexec_b64 s[2:3], vcc
	s_xor_b64 s[2:3], exec, s[2:3]
	s_cbranch_execz .LBB1_253
; %bb.248:
	;; [unrolled: 5-line block ×3, first 2 shown]
	v_mov_b32_e32 v0, 0
	s_waitcnt lgkmcnt(0)
	global_store_dwordx2 v0, v[14:15], s[38:39]
                                        ; implicit-def: $vgpr12_vgpr13_vgpr14_vgpr15
.LBB1_250:
	s_andn2_saveexec_b64 s[4:5], s[4:5]
	s_cbranch_execz .LBB1_252
; %bb.251:
	v_mov_b32_e32 v0, 0
	s_waitcnt lgkmcnt(0)
	global_store_dwordx2 v0, v[12:13], s[38:39]
.LBB1_252:
	s_or_b64 exec, exec, s[4:5]
                                        ; implicit-def: $vgpr8_vgpr9_vgpr10_vgpr11
.LBB1_253:
	s_andn2_saveexec_b64 s[2:3], s[2:3]
	s_cbranch_execz .LBB1_255
; %bb.254:
	v_mov_b32_e32 v0, 0
	s_waitcnt lgkmcnt(1)
	global_store_dwordx2 v0, v[10:11], s[38:39]
.LBB1_255:
	s_or_b64 exec, exec, s[2:3]
                                        ; implicit-def: $vgpr0_vgpr1
                                        ; implicit-def: $vgpr8_vgpr9_vgpr10_vgpr11
                                        ; implicit-def: $vgpr4_vgpr5_vgpr6_vgpr7
.LBB1_256:
	s_andn2_saveexec_b64 s[0:1], s[0:1]
	s_cbranch_execz .LBB1_264
; %bb.257:
	v_cmp_lt_i64_e32 vcc, 1, v[0:1]
	s_and_saveexec_b64 s[0:1], vcc
	s_xor_b64 s[0:1], exec, s[0:1]
	s_cbranch_execz .LBB1_259
; %bb.258:
	v_mov_b32_e32 v0, 0
	s_waitcnt lgkmcnt(1)
	global_store_dwordx2 v0, v[8:9], s[38:39]
                                        ; implicit-def: $vgpr4_vgpr5_vgpr6_vgpr7
                                        ; implicit-def: $vgpr0_vgpr1
.LBB1_259:
	s_andn2_saveexec_b64 s[0:1], s[0:1]
	s_cbranch_execz .LBB1_264
; %bb.260:
	v_cmp_ne_u64_e32 vcc, 1, v[0:1]
	s_and_saveexec_b64 s[0:1], vcc
	s_xor_b64 s[0:1], exec, s[0:1]
	s_cbranch_execz .LBB1_262
; %bb.261:
	v_mov_b32_e32 v0, 0
	s_waitcnt lgkmcnt(2)
	global_store_dwordx2 v0, v[4:5], s[38:39]
                                        ; implicit-def: $vgpr4_vgpr5_vgpr6_vgpr7
.LBB1_262:
	s_andn2_saveexec_b64 s[0:1], s[0:1]
	s_cbranch_execz .LBB1_264
; %bb.263:
	v_mov_b32_e32 v0, 0
	s_waitcnt lgkmcnt(2)
	global_store_dwordx2 v0, v[6:7], s[38:39]
.LBB1_264:
	s_endpgm
	.section	.rodata,"a",@progbits
	.p2align	6, 0x0
	.amdhsa_kernel _ZN7rocprim17ROCPRIM_400000_NS6detail17trampoline_kernelINS0_14default_configENS1_20scan_config_selectorIdEEZZNS1_9scan_implILNS1_25lookback_scan_determinismE0ELb0ELb0ES3_PKdPddZZZN2at6native31launch_logcumsumexp_cuda_kernelERKNSB_10TensorBaseESF_lENKUlvE_clEvENKUlvE_clEvEUlddE_dEEDaPvRmT3_T4_T5_mT6_P12ihipStream_tbENKUlT_T0_E_clISt17integral_constantIbLb0EESW_EEDaSR_SS_EUlSR_E_NS1_11comp_targetILNS1_3genE0ELNS1_11target_archE4294967295ELNS1_3gpuE0ELNS1_3repE0EEENS1_30default_config_static_selectorELNS0_4arch9wavefront6targetE1EEEvT1_
		.amdhsa_group_segment_fixed_size 12288
		.amdhsa_private_segment_fixed_size 0
		.amdhsa_kernarg_size 104
		.amdhsa_user_sgpr_count 2
		.amdhsa_user_sgpr_dispatch_ptr 0
		.amdhsa_user_sgpr_queue_ptr 0
		.amdhsa_user_sgpr_kernarg_segment_ptr 1
		.amdhsa_user_sgpr_dispatch_id 0
		.amdhsa_user_sgpr_kernarg_preload_length 0
		.amdhsa_user_sgpr_kernarg_preload_offset 0
		.amdhsa_user_sgpr_private_segment_size 0
		.amdhsa_uses_dynamic_stack 0
		.amdhsa_enable_private_segment 0
		.amdhsa_system_sgpr_workgroup_id_x 1
		.amdhsa_system_sgpr_workgroup_id_y 0
		.amdhsa_system_sgpr_workgroup_id_z 0
		.amdhsa_system_sgpr_workgroup_info 0
		.amdhsa_system_vgpr_workitem_id 0
		.amdhsa_next_free_vgpr 110
		.amdhsa_next_free_sgpr 65
		.amdhsa_accum_offset 112
		.amdhsa_reserve_vcc 1
		.amdhsa_float_round_mode_32 0
		.amdhsa_float_round_mode_16_64 0
		.amdhsa_float_denorm_mode_32 3
		.amdhsa_float_denorm_mode_16_64 3
		.amdhsa_dx10_clamp 1
		.amdhsa_ieee_mode 1
		.amdhsa_fp16_overflow 0
		.amdhsa_tg_split 0
		.amdhsa_exception_fp_ieee_invalid_op 0
		.amdhsa_exception_fp_denorm_src 0
		.amdhsa_exception_fp_ieee_div_zero 0
		.amdhsa_exception_fp_ieee_overflow 0
		.amdhsa_exception_fp_ieee_underflow 0
		.amdhsa_exception_fp_ieee_inexact 0
		.amdhsa_exception_int_div_zero 0
	.end_amdhsa_kernel
	.section	.text._ZN7rocprim17ROCPRIM_400000_NS6detail17trampoline_kernelINS0_14default_configENS1_20scan_config_selectorIdEEZZNS1_9scan_implILNS1_25lookback_scan_determinismE0ELb0ELb0ES3_PKdPddZZZN2at6native31launch_logcumsumexp_cuda_kernelERKNSB_10TensorBaseESF_lENKUlvE_clEvENKUlvE_clEvEUlddE_dEEDaPvRmT3_T4_T5_mT6_P12ihipStream_tbENKUlT_T0_E_clISt17integral_constantIbLb0EESW_EEDaSR_SS_EUlSR_E_NS1_11comp_targetILNS1_3genE0ELNS1_11target_archE4294967295ELNS1_3gpuE0ELNS1_3repE0EEENS1_30default_config_static_selectorELNS0_4arch9wavefront6targetE1EEEvT1_,"axG",@progbits,_ZN7rocprim17ROCPRIM_400000_NS6detail17trampoline_kernelINS0_14default_configENS1_20scan_config_selectorIdEEZZNS1_9scan_implILNS1_25lookback_scan_determinismE0ELb0ELb0ES3_PKdPddZZZN2at6native31launch_logcumsumexp_cuda_kernelERKNSB_10TensorBaseESF_lENKUlvE_clEvENKUlvE_clEvEUlddE_dEEDaPvRmT3_T4_T5_mT6_P12ihipStream_tbENKUlT_T0_E_clISt17integral_constantIbLb0EESW_EEDaSR_SS_EUlSR_E_NS1_11comp_targetILNS1_3genE0ELNS1_11target_archE4294967295ELNS1_3gpuE0ELNS1_3repE0EEENS1_30default_config_static_selectorELNS0_4arch9wavefront6targetE1EEEvT1_,comdat
.Lfunc_end1:
	.size	_ZN7rocprim17ROCPRIM_400000_NS6detail17trampoline_kernelINS0_14default_configENS1_20scan_config_selectorIdEEZZNS1_9scan_implILNS1_25lookback_scan_determinismE0ELb0ELb0ES3_PKdPddZZZN2at6native31launch_logcumsumexp_cuda_kernelERKNSB_10TensorBaseESF_lENKUlvE_clEvENKUlvE_clEvEUlddE_dEEDaPvRmT3_T4_T5_mT6_P12ihipStream_tbENKUlT_T0_E_clISt17integral_constantIbLb0EESW_EEDaSR_SS_EUlSR_E_NS1_11comp_targetILNS1_3genE0ELNS1_11target_archE4294967295ELNS1_3gpuE0ELNS1_3repE0EEENS1_30default_config_static_selectorELNS0_4arch9wavefront6targetE1EEEvT1_, .Lfunc_end1-_ZN7rocprim17ROCPRIM_400000_NS6detail17trampoline_kernelINS0_14default_configENS1_20scan_config_selectorIdEEZZNS1_9scan_implILNS1_25lookback_scan_determinismE0ELb0ELb0ES3_PKdPddZZZN2at6native31launch_logcumsumexp_cuda_kernelERKNSB_10TensorBaseESF_lENKUlvE_clEvENKUlvE_clEvEUlddE_dEEDaPvRmT3_T4_T5_mT6_P12ihipStream_tbENKUlT_T0_E_clISt17integral_constantIbLb0EESW_EEDaSR_SS_EUlSR_E_NS1_11comp_targetILNS1_3genE0ELNS1_11target_archE4294967295ELNS1_3gpuE0ELNS1_3repE0EEENS1_30default_config_static_selectorELNS0_4arch9wavefront6targetE1EEEvT1_
                                        ; -- End function
	.set _ZN7rocprim17ROCPRIM_400000_NS6detail17trampoline_kernelINS0_14default_configENS1_20scan_config_selectorIdEEZZNS1_9scan_implILNS1_25lookback_scan_determinismE0ELb0ELb0ES3_PKdPddZZZN2at6native31launch_logcumsumexp_cuda_kernelERKNSB_10TensorBaseESF_lENKUlvE_clEvENKUlvE_clEvEUlddE_dEEDaPvRmT3_T4_T5_mT6_P12ihipStream_tbENKUlT_T0_E_clISt17integral_constantIbLb0EESW_EEDaSR_SS_EUlSR_E_NS1_11comp_targetILNS1_3genE0ELNS1_11target_archE4294967295ELNS1_3gpuE0ELNS1_3repE0EEENS1_30default_config_static_selectorELNS0_4arch9wavefront6targetE1EEEvT1_.num_vgpr, 110
	.set _ZN7rocprim17ROCPRIM_400000_NS6detail17trampoline_kernelINS0_14default_configENS1_20scan_config_selectorIdEEZZNS1_9scan_implILNS1_25lookback_scan_determinismE0ELb0ELb0ES3_PKdPddZZZN2at6native31launch_logcumsumexp_cuda_kernelERKNSB_10TensorBaseESF_lENKUlvE_clEvENKUlvE_clEvEUlddE_dEEDaPvRmT3_T4_T5_mT6_P12ihipStream_tbENKUlT_T0_E_clISt17integral_constantIbLb0EESW_EEDaSR_SS_EUlSR_E_NS1_11comp_targetILNS1_3genE0ELNS1_11target_archE4294967295ELNS1_3gpuE0ELNS1_3repE0EEENS1_30default_config_static_selectorELNS0_4arch9wavefront6targetE1EEEvT1_.num_agpr, 0
	.set _ZN7rocprim17ROCPRIM_400000_NS6detail17trampoline_kernelINS0_14default_configENS1_20scan_config_selectorIdEEZZNS1_9scan_implILNS1_25lookback_scan_determinismE0ELb0ELb0ES3_PKdPddZZZN2at6native31launch_logcumsumexp_cuda_kernelERKNSB_10TensorBaseESF_lENKUlvE_clEvENKUlvE_clEvEUlddE_dEEDaPvRmT3_T4_T5_mT6_P12ihipStream_tbENKUlT_T0_E_clISt17integral_constantIbLb0EESW_EEDaSR_SS_EUlSR_E_NS1_11comp_targetILNS1_3genE0ELNS1_11target_archE4294967295ELNS1_3gpuE0ELNS1_3repE0EEENS1_30default_config_static_selectorELNS0_4arch9wavefront6targetE1EEEvT1_.numbered_sgpr, 65
	.set _ZN7rocprim17ROCPRIM_400000_NS6detail17trampoline_kernelINS0_14default_configENS1_20scan_config_selectorIdEEZZNS1_9scan_implILNS1_25lookback_scan_determinismE0ELb0ELb0ES3_PKdPddZZZN2at6native31launch_logcumsumexp_cuda_kernelERKNSB_10TensorBaseESF_lENKUlvE_clEvENKUlvE_clEvEUlddE_dEEDaPvRmT3_T4_T5_mT6_P12ihipStream_tbENKUlT_T0_E_clISt17integral_constantIbLb0EESW_EEDaSR_SS_EUlSR_E_NS1_11comp_targetILNS1_3genE0ELNS1_11target_archE4294967295ELNS1_3gpuE0ELNS1_3repE0EEENS1_30default_config_static_selectorELNS0_4arch9wavefront6targetE1EEEvT1_.num_named_barrier, 0
	.set _ZN7rocprim17ROCPRIM_400000_NS6detail17trampoline_kernelINS0_14default_configENS1_20scan_config_selectorIdEEZZNS1_9scan_implILNS1_25lookback_scan_determinismE0ELb0ELb0ES3_PKdPddZZZN2at6native31launch_logcumsumexp_cuda_kernelERKNSB_10TensorBaseESF_lENKUlvE_clEvENKUlvE_clEvEUlddE_dEEDaPvRmT3_T4_T5_mT6_P12ihipStream_tbENKUlT_T0_E_clISt17integral_constantIbLb0EESW_EEDaSR_SS_EUlSR_E_NS1_11comp_targetILNS1_3genE0ELNS1_11target_archE4294967295ELNS1_3gpuE0ELNS1_3repE0EEENS1_30default_config_static_selectorELNS0_4arch9wavefront6targetE1EEEvT1_.private_seg_size, 0
	.set _ZN7rocprim17ROCPRIM_400000_NS6detail17trampoline_kernelINS0_14default_configENS1_20scan_config_selectorIdEEZZNS1_9scan_implILNS1_25lookback_scan_determinismE0ELb0ELb0ES3_PKdPddZZZN2at6native31launch_logcumsumexp_cuda_kernelERKNSB_10TensorBaseESF_lENKUlvE_clEvENKUlvE_clEvEUlddE_dEEDaPvRmT3_T4_T5_mT6_P12ihipStream_tbENKUlT_T0_E_clISt17integral_constantIbLb0EESW_EEDaSR_SS_EUlSR_E_NS1_11comp_targetILNS1_3genE0ELNS1_11target_archE4294967295ELNS1_3gpuE0ELNS1_3repE0EEENS1_30default_config_static_selectorELNS0_4arch9wavefront6targetE1EEEvT1_.uses_vcc, 1
	.set _ZN7rocprim17ROCPRIM_400000_NS6detail17trampoline_kernelINS0_14default_configENS1_20scan_config_selectorIdEEZZNS1_9scan_implILNS1_25lookback_scan_determinismE0ELb0ELb0ES3_PKdPddZZZN2at6native31launch_logcumsumexp_cuda_kernelERKNSB_10TensorBaseESF_lENKUlvE_clEvENKUlvE_clEvEUlddE_dEEDaPvRmT3_T4_T5_mT6_P12ihipStream_tbENKUlT_T0_E_clISt17integral_constantIbLb0EESW_EEDaSR_SS_EUlSR_E_NS1_11comp_targetILNS1_3genE0ELNS1_11target_archE4294967295ELNS1_3gpuE0ELNS1_3repE0EEENS1_30default_config_static_selectorELNS0_4arch9wavefront6targetE1EEEvT1_.uses_flat_scratch, 0
	.set _ZN7rocprim17ROCPRIM_400000_NS6detail17trampoline_kernelINS0_14default_configENS1_20scan_config_selectorIdEEZZNS1_9scan_implILNS1_25lookback_scan_determinismE0ELb0ELb0ES3_PKdPddZZZN2at6native31launch_logcumsumexp_cuda_kernelERKNSB_10TensorBaseESF_lENKUlvE_clEvENKUlvE_clEvEUlddE_dEEDaPvRmT3_T4_T5_mT6_P12ihipStream_tbENKUlT_T0_E_clISt17integral_constantIbLb0EESW_EEDaSR_SS_EUlSR_E_NS1_11comp_targetILNS1_3genE0ELNS1_11target_archE4294967295ELNS1_3gpuE0ELNS1_3repE0EEENS1_30default_config_static_selectorELNS0_4arch9wavefront6targetE1EEEvT1_.has_dyn_sized_stack, 0
	.set _ZN7rocprim17ROCPRIM_400000_NS6detail17trampoline_kernelINS0_14default_configENS1_20scan_config_selectorIdEEZZNS1_9scan_implILNS1_25lookback_scan_determinismE0ELb0ELb0ES3_PKdPddZZZN2at6native31launch_logcumsumexp_cuda_kernelERKNSB_10TensorBaseESF_lENKUlvE_clEvENKUlvE_clEvEUlddE_dEEDaPvRmT3_T4_T5_mT6_P12ihipStream_tbENKUlT_T0_E_clISt17integral_constantIbLb0EESW_EEDaSR_SS_EUlSR_E_NS1_11comp_targetILNS1_3genE0ELNS1_11target_archE4294967295ELNS1_3gpuE0ELNS1_3repE0EEENS1_30default_config_static_selectorELNS0_4arch9wavefront6targetE1EEEvT1_.has_recursion, 0
	.set _ZN7rocprim17ROCPRIM_400000_NS6detail17trampoline_kernelINS0_14default_configENS1_20scan_config_selectorIdEEZZNS1_9scan_implILNS1_25lookback_scan_determinismE0ELb0ELb0ES3_PKdPddZZZN2at6native31launch_logcumsumexp_cuda_kernelERKNSB_10TensorBaseESF_lENKUlvE_clEvENKUlvE_clEvEUlddE_dEEDaPvRmT3_T4_T5_mT6_P12ihipStream_tbENKUlT_T0_E_clISt17integral_constantIbLb0EESW_EEDaSR_SS_EUlSR_E_NS1_11comp_targetILNS1_3genE0ELNS1_11target_archE4294967295ELNS1_3gpuE0ELNS1_3repE0EEENS1_30default_config_static_selectorELNS0_4arch9wavefront6targetE1EEEvT1_.has_indirect_call, 0
	.section	.AMDGPU.csdata,"",@progbits
; Kernel info:
; codeLenInByte = 102900
; TotalNumSgprs: 71
; NumVgprs: 110
; NumAgprs: 0
; TotalNumVgprs: 110
; ScratchSize: 0
; MemoryBound: 0
; FloatMode: 240
; IeeeMode: 1
; LDSByteSize: 12288 bytes/workgroup (compile time only)
; SGPRBlocks: 8
; VGPRBlocks: 13
; NumSGPRsForWavesPerEU: 71
; NumVGPRsForWavesPerEU: 110
; AccumOffset: 112
; Occupancy: 4
; WaveLimiterHint : 1
; COMPUTE_PGM_RSRC2:SCRATCH_EN: 0
; COMPUTE_PGM_RSRC2:USER_SGPR: 2
; COMPUTE_PGM_RSRC2:TRAP_HANDLER: 0
; COMPUTE_PGM_RSRC2:TGID_X_EN: 1
; COMPUTE_PGM_RSRC2:TGID_Y_EN: 0
; COMPUTE_PGM_RSRC2:TGID_Z_EN: 0
; COMPUTE_PGM_RSRC2:TIDIG_COMP_CNT: 0
; COMPUTE_PGM_RSRC3_GFX90A:ACCUM_OFFSET: 27
; COMPUTE_PGM_RSRC3_GFX90A:TG_SPLIT: 0
	.section	.text._ZN7rocprim17ROCPRIM_400000_NS6detail17trampoline_kernelINS0_14default_configENS1_20scan_config_selectorIdEEZZNS1_9scan_implILNS1_25lookback_scan_determinismE0ELb0ELb0ES3_PKdPddZZZN2at6native31launch_logcumsumexp_cuda_kernelERKNSB_10TensorBaseESF_lENKUlvE_clEvENKUlvE_clEvEUlddE_dEEDaPvRmT3_T4_T5_mT6_P12ihipStream_tbENKUlT_T0_E_clISt17integral_constantIbLb0EESW_EEDaSR_SS_EUlSR_E_NS1_11comp_targetILNS1_3genE5ELNS1_11target_archE942ELNS1_3gpuE9ELNS1_3repE0EEENS1_30default_config_static_selectorELNS0_4arch9wavefront6targetE1EEEvT1_,"axG",@progbits,_ZN7rocprim17ROCPRIM_400000_NS6detail17trampoline_kernelINS0_14default_configENS1_20scan_config_selectorIdEEZZNS1_9scan_implILNS1_25lookback_scan_determinismE0ELb0ELb0ES3_PKdPddZZZN2at6native31launch_logcumsumexp_cuda_kernelERKNSB_10TensorBaseESF_lENKUlvE_clEvENKUlvE_clEvEUlddE_dEEDaPvRmT3_T4_T5_mT6_P12ihipStream_tbENKUlT_T0_E_clISt17integral_constantIbLb0EESW_EEDaSR_SS_EUlSR_E_NS1_11comp_targetILNS1_3genE5ELNS1_11target_archE942ELNS1_3gpuE9ELNS1_3repE0EEENS1_30default_config_static_selectorELNS0_4arch9wavefront6targetE1EEEvT1_,comdat
	.globl	_ZN7rocprim17ROCPRIM_400000_NS6detail17trampoline_kernelINS0_14default_configENS1_20scan_config_selectorIdEEZZNS1_9scan_implILNS1_25lookback_scan_determinismE0ELb0ELb0ES3_PKdPddZZZN2at6native31launch_logcumsumexp_cuda_kernelERKNSB_10TensorBaseESF_lENKUlvE_clEvENKUlvE_clEvEUlddE_dEEDaPvRmT3_T4_T5_mT6_P12ihipStream_tbENKUlT_T0_E_clISt17integral_constantIbLb0EESW_EEDaSR_SS_EUlSR_E_NS1_11comp_targetILNS1_3genE5ELNS1_11target_archE942ELNS1_3gpuE9ELNS1_3repE0EEENS1_30default_config_static_selectorELNS0_4arch9wavefront6targetE1EEEvT1_ ; -- Begin function _ZN7rocprim17ROCPRIM_400000_NS6detail17trampoline_kernelINS0_14default_configENS1_20scan_config_selectorIdEEZZNS1_9scan_implILNS1_25lookback_scan_determinismE0ELb0ELb0ES3_PKdPddZZZN2at6native31launch_logcumsumexp_cuda_kernelERKNSB_10TensorBaseESF_lENKUlvE_clEvENKUlvE_clEvEUlddE_dEEDaPvRmT3_T4_T5_mT6_P12ihipStream_tbENKUlT_T0_E_clISt17integral_constantIbLb0EESW_EEDaSR_SS_EUlSR_E_NS1_11comp_targetILNS1_3genE5ELNS1_11target_archE942ELNS1_3gpuE9ELNS1_3repE0EEENS1_30default_config_static_selectorELNS0_4arch9wavefront6targetE1EEEvT1_
	.p2align	8
	.type	_ZN7rocprim17ROCPRIM_400000_NS6detail17trampoline_kernelINS0_14default_configENS1_20scan_config_selectorIdEEZZNS1_9scan_implILNS1_25lookback_scan_determinismE0ELb0ELb0ES3_PKdPddZZZN2at6native31launch_logcumsumexp_cuda_kernelERKNSB_10TensorBaseESF_lENKUlvE_clEvENKUlvE_clEvEUlddE_dEEDaPvRmT3_T4_T5_mT6_P12ihipStream_tbENKUlT_T0_E_clISt17integral_constantIbLb0EESW_EEDaSR_SS_EUlSR_E_NS1_11comp_targetILNS1_3genE5ELNS1_11target_archE942ELNS1_3gpuE9ELNS1_3repE0EEENS1_30default_config_static_selectorELNS0_4arch9wavefront6targetE1EEEvT1_,@function
_ZN7rocprim17ROCPRIM_400000_NS6detail17trampoline_kernelINS0_14default_configENS1_20scan_config_selectorIdEEZZNS1_9scan_implILNS1_25lookback_scan_determinismE0ELb0ELb0ES3_PKdPddZZZN2at6native31launch_logcumsumexp_cuda_kernelERKNSB_10TensorBaseESF_lENKUlvE_clEvENKUlvE_clEvEUlddE_dEEDaPvRmT3_T4_T5_mT6_P12ihipStream_tbENKUlT_T0_E_clISt17integral_constantIbLb0EESW_EEDaSR_SS_EUlSR_E_NS1_11comp_targetILNS1_3genE5ELNS1_11target_archE942ELNS1_3gpuE9ELNS1_3repE0EEENS1_30default_config_static_selectorELNS0_4arch9wavefront6targetE1EEEvT1_: ; @_ZN7rocprim17ROCPRIM_400000_NS6detail17trampoline_kernelINS0_14default_configENS1_20scan_config_selectorIdEEZZNS1_9scan_implILNS1_25lookback_scan_determinismE0ELb0ELb0ES3_PKdPddZZZN2at6native31launch_logcumsumexp_cuda_kernelERKNSB_10TensorBaseESF_lENKUlvE_clEvENKUlvE_clEvEUlddE_dEEDaPvRmT3_T4_T5_mT6_P12ihipStream_tbENKUlT_T0_E_clISt17integral_constantIbLb0EESW_EEDaSR_SS_EUlSR_E_NS1_11comp_targetILNS1_3genE5ELNS1_11target_archE942ELNS1_3gpuE9ELNS1_3repE0EEENS1_30default_config_static_selectorELNS0_4arch9wavefront6targetE1EEEvT1_
; %bb.0:
	.section	.rodata,"a",@progbits
	.p2align	6, 0x0
	.amdhsa_kernel _ZN7rocprim17ROCPRIM_400000_NS6detail17trampoline_kernelINS0_14default_configENS1_20scan_config_selectorIdEEZZNS1_9scan_implILNS1_25lookback_scan_determinismE0ELb0ELb0ES3_PKdPddZZZN2at6native31launch_logcumsumexp_cuda_kernelERKNSB_10TensorBaseESF_lENKUlvE_clEvENKUlvE_clEvEUlddE_dEEDaPvRmT3_T4_T5_mT6_P12ihipStream_tbENKUlT_T0_E_clISt17integral_constantIbLb0EESW_EEDaSR_SS_EUlSR_E_NS1_11comp_targetILNS1_3genE5ELNS1_11target_archE942ELNS1_3gpuE9ELNS1_3repE0EEENS1_30default_config_static_selectorELNS0_4arch9wavefront6targetE1EEEvT1_
		.amdhsa_group_segment_fixed_size 0
		.amdhsa_private_segment_fixed_size 0
		.amdhsa_kernarg_size 104
		.amdhsa_user_sgpr_count 2
		.amdhsa_user_sgpr_dispatch_ptr 0
		.amdhsa_user_sgpr_queue_ptr 0
		.amdhsa_user_sgpr_kernarg_segment_ptr 1
		.amdhsa_user_sgpr_dispatch_id 0
		.amdhsa_user_sgpr_kernarg_preload_length 0
		.amdhsa_user_sgpr_kernarg_preload_offset 0
		.amdhsa_user_sgpr_private_segment_size 0
		.amdhsa_uses_dynamic_stack 0
		.amdhsa_enable_private_segment 0
		.amdhsa_system_sgpr_workgroup_id_x 1
		.amdhsa_system_sgpr_workgroup_id_y 0
		.amdhsa_system_sgpr_workgroup_id_z 0
		.amdhsa_system_sgpr_workgroup_info 0
		.amdhsa_system_vgpr_workitem_id 0
		.amdhsa_next_free_vgpr 1
		.amdhsa_next_free_sgpr 0
		.amdhsa_accum_offset 4
		.amdhsa_reserve_vcc 0
		.amdhsa_float_round_mode_32 0
		.amdhsa_float_round_mode_16_64 0
		.amdhsa_float_denorm_mode_32 3
		.amdhsa_float_denorm_mode_16_64 3
		.amdhsa_dx10_clamp 1
		.amdhsa_ieee_mode 1
		.amdhsa_fp16_overflow 0
		.amdhsa_tg_split 0
		.amdhsa_exception_fp_ieee_invalid_op 0
		.amdhsa_exception_fp_denorm_src 0
		.amdhsa_exception_fp_ieee_div_zero 0
		.amdhsa_exception_fp_ieee_overflow 0
		.amdhsa_exception_fp_ieee_underflow 0
		.amdhsa_exception_fp_ieee_inexact 0
		.amdhsa_exception_int_div_zero 0
	.end_amdhsa_kernel
	.section	.text._ZN7rocprim17ROCPRIM_400000_NS6detail17trampoline_kernelINS0_14default_configENS1_20scan_config_selectorIdEEZZNS1_9scan_implILNS1_25lookback_scan_determinismE0ELb0ELb0ES3_PKdPddZZZN2at6native31launch_logcumsumexp_cuda_kernelERKNSB_10TensorBaseESF_lENKUlvE_clEvENKUlvE_clEvEUlddE_dEEDaPvRmT3_T4_T5_mT6_P12ihipStream_tbENKUlT_T0_E_clISt17integral_constantIbLb0EESW_EEDaSR_SS_EUlSR_E_NS1_11comp_targetILNS1_3genE5ELNS1_11target_archE942ELNS1_3gpuE9ELNS1_3repE0EEENS1_30default_config_static_selectorELNS0_4arch9wavefront6targetE1EEEvT1_,"axG",@progbits,_ZN7rocprim17ROCPRIM_400000_NS6detail17trampoline_kernelINS0_14default_configENS1_20scan_config_selectorIdEEZZNS1_9scan_implILNS1_25lookback_scan_determinismE0ELb0ELb0ES3_PKdPddZZZN2at6native31launch_logcumsumexp_cuda_kernelERKNSB_10TensorBaseESF_lENKUlvE_clEvENKUlvE_clEvEUlddE_dEEDaPvRmT3_T4_T5_mT6_P12ihipStream_tbENKUlT_T0_E_clISt17integral_constantIbLb0EESW_EEDaSR_SS_EUlSR_E_NS1_11comp_targetILNS1_3genE5ELNS1_11target_archE942ELNS1_3gpuE9ELNS1_3repE0EEENS1_30default_config_static_selectorELNS0_4arch9wavefront6targetE1EEEvT1_,comdat
.Lfunc_end2:
	.size	_ZN7rocprim17ROCPRIM_400000_NS6detail17trampoline_kernelINS0_14default_configENS1_20scan_config_selectorIdEEZZNS1_9scan_implILNS1_25lookback_scan_determinismE0ELb0ELb0ES3_PKdPddZZZN2at6native31launch_logcumsumexp_cuda_kernelERKNSB_10TensorBaseESF_lENKUlvE_clEvENKUlvE_clEvEUlddE_dEEDaPvRmT3_T4_T5_mT6_P12ihipStream_tbENKUlT_T0_E_clISt17integral_constantIbLb0EESW_EEDaSR_SS_EUlSR_E_NS1_11comp_targetILNS1_3genE5ELNS1_11target_archE942ELNS1_3gpuE9ELNS1_3repE0EEENS1_30default_config_static_selectorELNS0_4arch9wavefront6targetE1EEEvT1_, .Lfunc_end2-_ZN7rocprim17ROCPRIM_400000_NS6detail17trampoline_kernelINS0_14default_configENS1_20scan_config_selectorIdEEZZNS1_9scan_implILNS1_25lookback_scan_determinismE0ELb0ELb0ES3_PKdPddZZZN2at6native31launch_logcumsumexp_cuda_kernelERKNSB_10TensorBaseESF_lENKUlvE_clEvENKUlvE_clEvEUlddE_dEEDaPvRmT3_T4_T5_mT6_P12ihipStream_tbENKUlT_T0_E_clISt17integral_constantIbLb0EESW_EEDaSR_SS_EUlSR_E_NS1_11comp_targetILNS1_3genE5ELNS1_11target_archE942ELNS1_3gpuE9ELNS1_3repE0EEENS1_30default_config_static_selectorELNS0_4arch9wavefront6targetE1EEEvT1_
                                        ; -- End function
	.set _ZN7rocprim17ROCPRIM_400000_NS6detail17trampoline_kernelINS0_14default_configENS1_20scan_config_selectorIdEEZZNS1_9scan_implILNS1_25lookback_scan_determinismE0ELb0ELb0ES3_PKdPddZZZN2at6native31launch_logcumsumexp_cuda_kernelERKNSB_10TensorBaseESF_lENKUlvE_clEvENKUlvE_clEvEUlddE_dEEDaPvRmT3_T4_T5_mT6_P12ihipStream_tbENKUlT_T0_E_clISt17integral_constantIbLb0EESW_EEDaSR_SS_EUlSR_E_NS1_11comp_targetILNS1_3genE5ELNS1_11target_archE942ELNS1_3gpuE9ELNS1_3repE0EEENS1_30default_config_static_selectorELNS0_4arch9wavefront6targetE1EEEvT1_.num_vgpr, 0
	.set _ZN7rocprim17ROCPRIM_400000_NS6detail17trampoline_kernelINS0_14default_configENS1_20scan_config_selectorIdEEZZNS1_9scan_implILNS1_25lookback_scan_determinismE0ELb0ELb0ES3_PKdPddZZZN2at6native31launch_logcumsumexp_cuda_kernelERKNSB_10TensorBaseESF_lENKUlvE_clEvENKUlvE_clEvEUlddE_dEEDaPvRmT3_T4_T5_mT6_P12ihipStream_tbENKUlT_T0_E_clISt17integral_constantIbLb0EESW_EEDaSR_SS_EUlSR_E_NS1_11comp_targetILNS1_3genE5ELNS1_11target_archE942ELNS1_3gpuE9ELNS1_3repE0EEENS1_30default_config_static_selectorELNS0_4arch9wavefront6targetE1EEEvT1_.num_agpr, 0
	.set _ZN7rocprim17ROCPRIM_400000_NS6detail17trampoline_kernelINS0_14default_configENS1_20scan_config_selectorIdEEZZNS1_9scan_implILNS1_25lookback_scan_determinismE0ELb0ELb0ES3_PKdPddZZZN2at6native31launch_logcumsumexp_cuda_kernelERKNSB_10TensorBaseESF_lENKUlvE_clEvENKUlvE_clEvEUlddE_dEEDaPvRmT3_T4_T5_mT6_P12ihipStream_tbENKUlT_T0_E_clISt17integral_constantIbLb0EESW_EEDaSR_SS_EUlSR_E_NS1_11comp_targetILNS1_3genE5ELNS1_11target_archE942ELNS1_3gpuE9ELNS1_3repE0EEENS1_30default_config_static_selectorELNS0_4arch9wavefront6targetE1EEEvT1_.numbered_sgpr, 0
	.set _ZN7rocprim17ROCPRIM_400000_NS6detail17trampoline_kernelINS0_14default_configENS1_20scan_config_selectorIdEEZZNS1_9scan_implILNS1_25lookback_scan_determinismE0ELb0ELb0ES3_PKdPddZZZN2at6native31launch_logcumsumexp_cuda_kernelERKNSB_10TensorBaseESF_lENKUlvE_clEvENKUlvE_clEvEUlddE_dEEDaPvRmT3_T4_T5_mT6_P12ihipStream_tbENKUlT_T0_E_clISt17integral_constantIbLb0EESW_EEDaSR_SS_EUlSR_E_NS1_11comp_targetILNS1_3genE5ELNS1_11target_archE942ELNS1_3gpuE9ELNS1_3repE0EEENS1_30default_config_static_selectorELNS0_4arch9wavefront6targetE1EEEvT1_.num_named_barrier, 0
	.set _ZN7rocprim17ROCPRIM_400000_NS6detail17trampoline_kernelINS0_14default_configENS1_20scan_config_selectorIdEEZZNS1_9scan_implILNS1_25lookback_scan_determinismE0ELb0ELb0ES3_PKdPddZZZN2at6native31launch_logcumsumexp_cuda_kernelERKNSB_10TensorBaseESF_lENKUlvE_clEvENKUlvE_clEvEUlddE_dEEDaPvRmT3_T4_T5_mT6_P12ihipStream_tbENKUlT_T0_E_clISt17integral_constantIbLb0EESW_EEDaSR_SS_EUlSR_E_NS1_11comp_targetILNS1_3genE5ELNS1_11target_archE942ELNS1_3gpuE9ELNS1_3repE0EEENS1_30default_config_static_selectorELNS0_4arch9wavefront6targetE1EEEvT1_.private_seg_size, 0
	.set _ZN7rocprim17ROCPRIM_400000_NS6detail17trampoline_kernelINS0_14default_configENS1_20scan_config_selectorIdEEZZNS1_9scan_implILNS1_25lookback_scan_determinismE0ELb0ELb0ES3_PKdPddZZZN2at6native31launch_logcumsumexp_cuda_kernelERKNSB_10TensorBaseESF_lENKUlvE_clEvENKUlvE_clEvEUlddE_dEEDaPvRmT3_T4_T5_mT6_P12ihipStream_tbENKUlT_T0_E_clISt17integral_constantIbLb0EESW_EEDaSR_SS_EUlSR_E_NS1_11comp_targetILNS1_3genE5ELNS1_11target_archE942ELNS1_3gpuE9ELNS1_3repE0EEENS1_30default_config_static_selectorELNS0_4arch9wavefront6targetE1EEEvT1_.uses_vcc, 0
	.set _ZN7rocprim17ROCPRIM_400000_NS6detail17trampoline_kernelINS0_14default_configENS1_20scan_config_selectorIdEEZZNS1_9scan_implILNS1_25lookback_scan_determinismE0ELb0ELb0ES3_PKdPddZZZN2at6native31launch_logcumsumexp_cuda_kernelERKNSB_10TensorBaseESF_lENKUlvE_clEvENKUlvE_clEvEUlddE_dEEDaPvRmT3_T4_T5_mT6_P12ihipStream_tbENKUlT_T0_E_clISt17integral_constantIbLb0EESW_EEDaSR_SS_EUlSR_E_NS1_11comp_targetILNS1_3genE5ELNS1_11target_archE942ELNS1_3gpuE9ELNS1_3repE0EEENS1_30default_config_static_selectorELNS0_4arch9wavefront6targetE1EEEvT1_.uses_flat_scratch, 0
	.set _ZN7rocprim17ROCPRIM_400000_NS6detail17trampoline_kernelINS0_14default_configENS1_20scan_config_selectorIdEEZZNS1_9scan_implILNS1_25lookback_scan_determinismE0ELb0ELb0ES3_PKdPddZZZN2at6native31launch_logcumsumexp_cuda_kernelERKNSB_10TensorBaseESF_lENKUlvE_clEvENKUlvE_clEvEUlddE_dEEDaPvRmT3_T4_T5_mT6_P12ihipStream_tbENKUlT_T0_E_clISt17integral_constantIbLb0EESW_EEDaSR_SS_EUlSR_E_NS1_11comp_targetILNS1_3genE5ELNS1_11target_archE942ELNS1_3gpuE9ELNS1_3repE0EEENS1_30default_config_static_selectorELNS0_4arch9wavefront6targetE1EEEvT1_.has_dyn_sized_stack, 0
	.set _ZN7rocprim17ROCPRIM_400000_NS6detail17trampoline_kernelINS0_14default_configENS1_20scan_config_selectorIdEEZZNS1_9scan_implILNS1_25lookback_scan_determinismE0ELb0ELb0ES3_PKdPddZZZN2at6native31launch_logcumsumexp_cuda_kernelERKNSB_10TensorBaseESF_lENKUlvE_clEvENKUlvE_clEvEUlddE_dEEDaPvRmT3_T4_T5_mT6_P12ihipStream_tbENKUlT_T0_E_clISt17integral_constantIbLb0EESW_EEDaSR_SS_EUlSR_E_NS1_11comp_targetILNS1_3genE5ELNS1_11target_archE942ELNS1_3gpuE9ELNS1_3repE0EEENS1_30default_config_static_selectorELNS0_4arch9wavefront6targetE1EEEvT1_.has_recursion, 0
	.set _ZN7rocprim17ROCPRIM_400000_NS6detail17trampoline_kernelINS0_14default_configENS1_20scan_config_selectorIdEEZZNS1_9scan_implILNS1_25lookback_scan_determinismE0ELb0ELb0ES3_PKdPddZZZN2at6native31launch_logcumsumexp_cuda_kernelERKNSB_10TensorBaseESF_lENKUlvE_clEvENKUlvE_clEvEUlddE_dEEDaPvRmT3_T4_T5_mT6_P12ihipStream_tbENKUlT_T0_E_clISt17integral_constantIbLb0EESW_EEDaSR_SS_EUlSR_E_NS1_11comp_targetILNS1_3genE5ELNS1_11target_archE942ELNS1_3gpuE9ELNS1_3repE0EEENS1_30default_config_static_selectorELNS0_4arch9wavefront6targetE1EEEvT1_.has_indirect_call, 0
	.section	.AMDGPU.csdata,"",@progbits
; Kernel info:
; codeLenInByte = 0
; TotalNumSgprs: 6
; NumVgprs: 0
; NumAgprs: 0
; TotalNumVgprs: 0
; ScratchSize: 0
; MemoryBound: 0
; FloatMode: 240
; IeeeMode: 1
; LDSByteSize: 0 bytes/workgroup (compile time only)
; SGPRBlocks: 0
; VGPRBlocks: 0
; NumSGPRsForWavesPerEU: 6
; NumVGPRsForWavesPerEU: 1
; AccumOffset: 4
; Occupancy: 8
; WaveLimiterHint : 0
; COMPUTE_PGM_RSRC2:SCRATCH_EN: 0
; COMPUTE_PGM_RSRC2:USER_SGPR: 2
; COMPUTE_PGM_RSRC2:TRAP_HANDLER: 0
; COMPUTE_PGM_RSRC2:TGID_X_EN: 1
; COMPUTE_PGM_RSRC2:TGID_Y_EN: 0
; COMPUTE_PGM_RSRC2:TGID_Z_EN: 0
; COMPUTE_PGM_RSRC2:TIDIG_COMP_CNT: 0
; COMPUTE_PGM_RSRC3_GFX90A:ACCUM_OFFSET: 0
; COMPUTE_PGM_RSRC3_GFX90A:TG_SPLIT: 0
	.section	.text._ZN7rocprim17ROCPRIM_400000_NS6detail17trampoline_kernelINS0_14default_configENS1_20scan_config_selectorIdEEZZNS1_9scan_implILNS1_25lookback_scan_determinismE0ELb0ELb0ES3_PKdPddZZZN2at6native31launch_logcumsumexp_cuda_kernelERKNSB_10TensorBaseESF_lENKUlvE_clEvENKUlvE_clEvEUlddE_dEEDaPvRmT3_T4_T5_mT6_P12ihipStream_tbENKUlT_T0_E_clISt17integral_constantIbLb0EESW_EEDaSR_SS_EUlSR_E_NS1_11comp_targetILNS1_3genE4ELNS1_11target_archE910ELNS1_3gpuE8ELNS1_3repE0EEENS1_30default_config_static_selectorELNS0_4arch9wavefront6targetE1EEEvT1_,"axG",@progbits,_ZN7rocprim17ROCPRIM_400000_NS6detail17trampoline_kernelINS0_14default_configENS1_20scan_config_selectorIdEEZZNS1_9scan_implILNS1_25lookback_scan_determinismE0ELb0ELb0ES3_PKdPddZZZN2at6native31launch_logcumsumexp_cuda_kernelERKNSB_10TensorBaseESF_lENKUlvE_clEvENKUlvE_clEvEUlddE_dEEDaPvRmT3_T4_T5_mT6_P12ihipStream_tbENKUlT_T0_E_clISt17integral_constantIbLb0EESW_EEDaSR_SS_EUlSR_E_NS1_11comp_targetILNS1_3genE4ELNS1_11target_archE910ELNS1_3gpuE8ELNS1_3repE0EEENS1_30default_config_static_selectorELNS0_4arch9wavefront6targetE1EEEvT1_,comdat
	.globl	_ZN7rocprim17ROCPRIM_400000_NS6detail17trampoline_kernelINS0_14default_configENS1_20scan_config_selectorIdEEZZNS1_9scan_implILNS1_25lookback_scan_determinismE0ELb0ELb0ES3_PKdPddZZZN2at6native31launch_logcumsumexp_cuda_kernelERKNSB_10TensorBaseESF_lENKUlvE_clEvENKUlvE_clEvEUlddE_dEEDaPvRmT3_T4_T5_mT6_P12ihipStream_tbENKUlT_T0_E_clISt17integral_constantIbLb0EESW_EEDaSR_SS_EUlSR_E_NS1_11comp_targetILNS1_3genE4ELNS1_11target_archE910ELNS1_3gpuE8ELNS1_3repE0EEENS1_30default_config_static_selectorELNS0_4arch9wavefront6targetE1EEEvT1_ ; -- Begin function _ZN7rocprim17ROCPRIM_400000_NS6detail17trampoline_kernelINS0_14default_configENS1_20scan_config_selectorIdEEZZNS1_9scan_implILNS1_25lookback_scan_determinismE0ELb0ELb0ES3_PKdPddZZZN2at6native31launch_logcumsumexp_cuda_kernelERKNSB_10TensorBaseESF_lENKUlvE_clEvENKUlvE_clEvEUlddE_dEEDaPvRmT3_T4_T5_mT6_P12ihipStream_tbENKUlT_T0_E_clISt17integral_constantIbLb0EESW_EEDaSR_SS_EUlSR_E_NS1_11comp_targetILNS1_3genE4ELNS1_11target_archE910ELNS1_3gpuE8ELNS1_3repE0EEENS1_30default_config_static_selectorELNS0_4arch9wavefront6targetE1EEEvT1_
	.p2align	8
	.type	_ZN7rocprim17ROCPRIM_400000_NS6detail17trampoline_kernelINS0_14default_configENS1_20scan_config_selectorIdEEZZNS1_9scan_implILNS1_25lookback_scan_determinismE0ELb0ELb0ES3_PKdPddZZZN2at6native31launch_logcumsumexp_cuda_kernelERKNSB_10TensorBaseESF_lENKUlvE_clEvENKUlvE_clEvEUlddE_dEEDaPvRmT3_T4_T5_mT6_P12ihipStream_tbENKUlT_T0_E_clISt17integral_constantIbLb0EESW_EEDaSR_SS_EUlSR_E_NS1_11comp_targetILNS1_3genE4ELNS1_11target_archE910ELNS1_3gpuE8ELNS1_3repE0EEENS1_30default_config_static_selectorELNS0_4arch9wavefront6targetE1EEEvT1_,@function
_ZN7rocprim17ROCPRIM_400000_NS6detail17trampoline_kernelINS0_14default_configENS1_20scan_config_selectorIdEEZZNS1_9scan_implILNS1_25lookback_scan_determinismE0ELb0ELb0ES3_PKdPddZZZN2at6native31launch_logcumsumexp_cuda_kernelERKNSB_10TensorBaseESF_lENKUlvE_clEvENKUlvE_clEvEUlddE_dEEDaPvRmT3_T4_T5_mT6_P12ihipStream_tbENKUlT_T0_E_clISt17integral_constantIbLb0EESW_EEDaSR_SS_EUlSR_E_NS1_11comp_targetILNS1_3genE4ELNS1_11target_archE910ELNS1_3gpuE8ELNS1_3repE0EEENS1_30default_config_static_selectorELNS0_4arch9wavefront6targetE1EEEvT1_: ; @_ZN7rocprim17ROCPRIM_400000_NS6detail17trampoline_kernelINS0_14default_configENS1_20scan_config_selectorIdEEZZNS1_9scan_implILNS1_25lookback_scan_determinismE0ELb0ELb0ES3_PKdPddZZZN2at6native31launch_logcumsumexp_cuda_kernelERKNSB_10TensorBaseESF_lENKUlvE_clEvENKUlvE_clEvEUlddE_dEEDaPvRmT3_T4_T5_mT6_P12ihipStream_tbENKUlT_T0_E_clISt17integral_constantIbLb0EESW_EEDaSR_SS_EUlSR_E_NS1_11comp_targetILNS1_3genE4ELNS1_11target_archE910ELNS1_3gpuE8ELNS1_3repE0EEENS1_30default_config_static_selectorELNS0_4arch9wavefront6targetE1EEEvT1_
; %bb.0:
	.section	.rodata,"a",@progbits
	.p2align	6, 0x0
	.amdhsa_kernel _ZN7rocprim17ROCPRIM_400000_NS6detail17trampoline_kernelINS0_14default_configENS1_20scan_config_selectorIdEEZZNS1_9scan_implILNS1_25lookback_scan_determinismE0ELb0ELb0ES3_PKdPddZZZN2at6native31launch_logcumsumexp_cuda_kernelERKNSB_10TensorBaseESF_lENKUlvE_clEvENKUlvE_clEvEUlddE_dEEDaPvRmT3_T4_T5_mT6_P12ihipStream_tbENKUlT_T0_E_clISt17integral_constantIbLb0EESW_EEDaSR_SS_EUlSR_E_NS1_11comp_targetILNS1_3genE4ELNS1_11target_archE910ELNS1_3gpuE8ELNS1_3repE0EEENS1_30default_config_static_selectorELNS0_4arch9wavefront6targetE1EEEvT1_
		.amdhsa_group_segment_fixed_size 0
		.amdhsa_private_segment_fixed_size 0
		.amdhsa_kernarg_size 104
		.amdhsa_user_sgpr_count 2
		.amdhsa_user_sgpr_dispatch_ptr 0
		.amdhsa_user_sgpr_queue_ptr 0
		.amdhsa_user_sgpr_kernarg_segment_ptr 1
		.amdhsa_user_sgpr_dispatch_id 0
		.amdhsa_user_sgpr_kernarg_preload_length 0
		.amdhsa_user_sgpr_kernarg_preload_offset 0
		.amdhsa_user_sgpr_private_segment_size 0
		.amdhsa_uses_dynamic_stack 0
		.amdhsa_enable_private_segment 0
		.amdhsa_system_sgpr_workgroup_id_x 1
		.amdhsa_system_sgpr_workgroup_id_y 0
		.amdhsa_system_sgpr_workgroup_id_z 0
		.amdhsa_system_sgpr_workgroup_info 0
		.amdhsa_system_vgpr_workitem_id 0
		.amdhsa_next_free_vgpr 1
		.amdhsa_next_free_sgpr 0
		.amdhsa_accum_offset 4
		.amdhsa_reserve_vcc 0
		.amdhsa_float_round_mode_32 0
		.amdhsa_float_round_mode_16_64 0
		.amdhsa_float_denorm_mode_32 3
		.amdhsa_float_denorm_mode_16_64 3
		.amdhsa_dx10_clamp 1
		.amdhsa_ieee_mode 1
		.amdhsa_fp16_overflow 0
		.amdhsa_tg_split 0
		.amdhsa_exception_fp_ieee_invalid_op 0
		.amdhsa_exception_fp_denorm_src 0
		.amdhsa_exception_fp_ieee_div_zero 0
		.amdhsa_exception_fp_ieee_overflow 0
		.amdhsa_exception_fp_ieee_underflow 0
		.amdhsa_exception_fp_ieee_inexact 0
		.amdhsa_exception_int_div_zero 0
	.end_amdhsa_kernel
	.section	.text._ZN7rocprim17ROCPRIM_400000_NS6detail17trampoline_kernelINS0_14default_configENS1_20scan_config_selectorIdEEZZNS1_9scan_implILNS1_25lookback_scan_determinismE0ELb0ELb0ES3_PKdPddZZZN2at6native31launch_logcumsumexp_cuda_kernelERKNSB_10TensorBaseESF_lENKUlvE_clEvENKUlvE_clEvEUlddE_dEEDaPvRmT3_T4_T5_mT6_P12ihipStream_tbENKUlT_T0_E_clISt17integral_constantIbLb0EESW_EEDaSR_SS_EUlSR_E_NS1_11comp_targetILNS1_3genE4ELNS1_11target_archE910ELNS1_3gpuE8ELNS1_3repE0EEENS1_30default_config_static_selectorELNS0_4arch9wavefront6targetE1EEEvT1_,"axG",@progbits,_ZN7rocprim17ROCPRIM_400000_NS6detail17trampoline_kernelINS0_14default_configENS1_20scan_config_selectorIdEEZZNS1_9scan_implILNS1_25lookback_scan_determinismE0ELb0ELb0ES3_PKdPddZZZN2at6native31launch_logcumsumexp_cuda_kernelERKNSB_10TensorBaseESF_lENKUlvE_clEvENKUlvE_clEvEUlddE_dEEDaPvRmT3_T4_T5_mT6_P12ihipStream_tbENKUlT_T0_E_clISt17integral_constantIbLb0EESW_EEDaSR_SS_EUlSR_E_NS1_11comp_targetILNS1_3genE4ELNS1_11target_archE910ELNS1_3gpuE8ELNS1_3repE0EEENS1_30default_config_static_selectorELNS0_4arch9wavefront6targetE1EEEvT1_,comdat
.Lfunc_end3:
	.size	_ZN7rocprim17ROCPRIM_400000_NS6detail17trampoline_kernelINS0_14default_configENS1_20scan_config_selectorIdEEZZNS1_9scan_implILNS1_25lookback_scan_determinismE0ELb0ELb0ES3_PKdPddZZZN2at6native31launch_logcumsumexp_cuda_kernelERKNSB_10TensorBaseESF_lENKUlvE_clEvENKUlvE_clEvEUlddE_dEEDaPvRmT3_T4_T5_mT6_P12ihipStream_tbENKUlT_T0_E_clISt17integral_constantIbLb0EESW_EEDaSR_SS_EUlSR_E_NS1_11comp_targetILNS1_3genE4ELNS1_11target_archE910ELNS1_3gpuE8ELNS1_3repE0EEENS1_30default_config_static_selectorELNS0_4arch9wavefront6targetE1EEEvT1_, .Lfunc_end3-_ZN7rocprim17ROCPRIM_400000_NS6detail17trampoline_kernelINS0_14default_configENS1_20scan_config_selectorIdEEZZNS1_9scan_implILNS1_25lookback_scan_determinismE0ELb0ELb0ES3_PKdPddZZZN2at6native31launch_logcumsumexp_cuda_kernelERKNSB_10TensorBaseESF_lENKUlvE_clEvENKUlvE_clEvEUlddE_dEEDaPvRmT3_T4_T5_mT6_P12ihipStream_tbENKUlT_T0_E_clISt17integral_constantIbLb0EESW_EEDaSR_SS_EUlSR_E_NS1_11comp_targetILNS1_3genE4ELNS1_11target_archE910ELNS1_3gpuE8ELNS1_3repE0EEENS1_30default_config_static_selectorELNS0_4arch9wavefront6targetE1EEEvT1_
                                        ; -- End function
	.set _ZN7rocprim17ROCPRIM_400000_NS6detail17trampoline_kernelINS0_14default_configENS1_20scan_config_selectorIdEEZZNS1_9scan_implILNS1_25lookback_scan_determinismE0ELb0ELb0ES3_PKdPddZZZN2at6native31launch_logcumsumexp_cuda_kernelERKNSB_10TensorBaseESF_lENKUlvE_clEvENKUlvE_clEvEUlddE_dEEDaPvRmT3_T4_T5_mT6_P12ihipStream_tbENKUlT_T0_E_clISt17integral_constantIbLb0EESW_EEDaSR_SS_EUlSR_E_NS1_11comp_targetILNS1_3genE4ELNS1_11target_archE910ELNS1_3gpuE8ELNS1_3repE0EEENS1_30default_config_static_selectorELNS0_4arch9wavefront6targetE1EEEvT1_.num_vgpr, 0
	.set _ZN7rocprim17ROCPRIM_400000_NS6detail17trampoline_kernelINS0_14default_configENS1_20scan_config_selectorIdEEZZNS1_9scan_implILNS1_25lookback_scan_determinismE0ELb0ELb0ES3_PKdPddZZZN2at6native31launch_logcumsumexp_cuda_kernelERKNSB_10TensorBaseESF_lENKUlvE_clEvENKUlvE_clEvEUlddE_dEEDaPvRmT3_T4_T5_mT6_P12ihipStream_tbENKUlT_T0_E_clISt17integral_constantIbLb0EESW_EEDaSR_SS_EUlSR_E_NS1_11comp_targetILNS1_3genE4ELNS1_11target_archE910ELNS1_3gpuE8ELNS1_3repE0EEENS1_30default_config_static_selectorELNS0_4arch9wavefront6targetE1EEEvT1_.num_agpr, 0
	.set _ZN7rocprim17ROCPRIM_400000_NS6detail17trampoline_kernelINS0_14default_configENS1_20scan_config_selectorIdEEZZNS1_9scan_implILNS1_25lookback_scan_determinismE0ELb0ELb0ES3_PKdPddZZZN2at6native31launch_logcumsumexp_cuda_kernelERKNSB_10TensorBaseESF_lENKUlvE_clEvENKUlvE_clEvEUlddE_dEEDaPvRmT3_T4_T5_mT6_P12ihipStream_tbENKUlT_T0_E_clISt17integral_constantIbLb0EESW_EEDaSR_SS_EUlSR_E_NS1_11comp_targetILNS1_3genE4ELNS1_11target_archE910ELNS1_3gpuE8ELNS1_3repE0EEENS1_30default_config_static_selectorELNS0_4arch9wavefront6targetE1EEEvT1_.numbered_sgpr, 0
	.set _ZN7rocprim17ROCPRIM_400000_NS6detail17trampoline_kernelINS0_14default_configENS1_20scan_config_selectorIdEEZZNS1_9scan_implILNS1_25lookback_scan_determinismE0ELb0ELb0ES3_PKdPddZZZN2at6native31launch_logcumsumexp_cuda_kernelERKNSB_10TensorBaseESF_lENKUlvE_clEvENKUlvE_clEvEUlddE_dEEDaPvRmT3_T4_T5_mT6_P12ihipStream_tbENKUlT_T0_E_clISt17integral_constantIbLb0EESW_EEDaSR_SS_EUlSR_E_NS1_11comp_targetILNS1_3genE4ELNS1_11target_archE910ELNS1_3gpuE8ELNS1_3repE0EEENS1_30default_config_static_selectorELNS0_4arch9wavefront6targetE1EEEvT1_.num_named_barrier, 0
	.set _ZN7rocprim17ROCPRIM_400000_NS6detail17trampoline_kernelINS0_14default_configENS1_20scan_config_selectorIdEEZZNS1_9scan_implILNS1_25lookback_scan_determinismE0ELb0ELb0ES3_PKdPddZZZN2at6native31launch_logcumsumexp_cuda_kernelERKNSB_10TensorBaseESF_lENKUlvE_clEvENKUlvE_clEvEUlddE_dEEDaPvRmT3_T4_T5_mT6_P12ihipStream_tbENKUlT_T0_E_clISt17integral_constantIbLb0EESW_EEDaSR_SS_EUlSR_E_NS1_11comp_targetILNS1_3genE4ELNS1_11target_archE910ELNS1_3gpuE8ELNS1_3repE0EEENS1_30default_config_static_selectorELNS0_4arch9wavefront6targetE1EEEvT1_.private_seg_size, 0
	.set _ZN7rocprim17ROCPRIM_400000_NS6detail17trampoline_kernelINS0_14default_configENS1_20scan_config_selectorIdEEZZNS1_9scan_implILNS1_25lookback_scan_determinismE0ELb0ELb0ES3_PKdPddZZZN2at6native31launch_logcumsumexp_cuda_kernelERKNSB_10TensorBaseESF_lENKUlvE_clEvENKUlvE_clEvEUlddE_dEEDaPvRmT3_T4_T5_mT6_P12ihipStream_tbENKUlT_T0_E_clISt17integral_constantIbLb0EESW_EEDaSR_SS_EUlSR_E_NS1_11comp_targetILNS1_3genE4ELNS1_11target_archE910ELNS1_3gpuE8ELNS1_3repE0EEENS1_30default_config_static_selectorELNS0_4arch9wavefront6targetE1EEEvT1_.uses_vcc, 0
	.set _ZN7rocprim17ROCPRIM_400000_NS6detail17trampoline_kernelINS0_14default_configENS1_20scan_config_selectorIdEEZZNS1_9scan_implILNS1_25lookback_scan_determinismE0ELb0ELb0ES3_PKdPddZZZN2at6native31launch_logcumsumexp_cuda_kernelERKNSB_10TensorBaseESF_lENKUlvE_clEvENKUlvE_clEvEUlddE_dEEDaPvRmT3_T4_T5_mT6_P12ihipStream_tbENKUlT_T0_E_clISt17integral_constantIbLb0EESW_EEDaSR_SS_EUlSR_E_NS1_11comp_targetILNS1_3genE4ELNS1_11target_archE910ELNS1_3gpuE8ELNS1_3repE0EEENS1_30default_config_static_selectorELNS0_4arch9wavefront6targetE1EEEvT1_.uses_flat_scratch, 0
	.set _ZN7rocprim17ROCPRIM_400000_NS6detail17trampoline_kernelINS0_14default_configENS1_20scan_config_selectorIdEEZZNS1_9scan_implILNS1_25lookback_scan_determinismE0ELb0ELb0ES3_PKdPddZZZN2at6native31launch_logcumsumexp_cuda_kernelERKNSB_10TensorBaseESF_lENKUlvE_clEvENKUlvE_clEvEUlddE_dEEDaPvRmT3_T4_T5_mT6_P12ihipStream_tbENKUlT_T0_E_clISt17integral_constantIbLb0EESW_EEDaSR_SS_EUlSR_E_NS1_11comp_targetILNS1_3genE4ELNS1_11target_archE910ELNS1_3gpuE8ELNS1_3repE0EEENS1_30default_config_static_selectorELNS0_4arch9wavefront6targetE1EEEvT1_.has_dyn_sized_stack, 0
	.set _ZN7rocprim17ROCPRIM_400000_NS6detail17trampoline_kernelINS0_14default_configENS1_20scan_config_selectorIdEEZZNS1_9scan_implILNS1_25lookback_scan_determinismE0ELb0ELb0ES3_PKdPddZZZN2at6native31launch_logcumsumexp_cuda_kernelERKNSB_10TensorBaseESF_lENKUlvE_clEvENKUlvE_clEvEUlddE_dEEDaPvRmT3_T4_T5_mT6_P12ihipStream_tbENKUlT_T0_E_clISt17integral_constantIbLb0EESW_EEDaSR_SS_EUlSR_E_NS1_11comp_targetILNS1_3genE4ELNS1_11target_archE910ELNS1_3gpuE8ELNS1_3repE0EEENS1_30default_config_static_selectorELNS0_4arch9wavefront6targetE1EEEvT1_.has_recursion, 0
	.set _ZN7rocprim17ROCPRIM_400000_NS6detail17trampoline_kernelINS0_14default_configENS1_20scan_config_selectorIdEEZZNS1_9scan_implILNS1_25lookback_scan_determinismE0ELb0ELb0ES3_PKdPddZZZN2at6native31launch_logcumsumexp_cuda_kernelERKNSB_10TensorBaseESF_lENKUlvE_clEvENKUlvE_clEvEUlddE_dEEDaPvRmT3_T4_T5_mT6_P12ihipStream_tbENKUlT_T0_E_clISt17integral_constantIbLb0EESW_EEDaSR_SS_EUlSR_E_NS1_11comp_targetILNS1_3genE4ELNS1_11target_archE910ELNS1_3gpuE8ELNS1_3repE0EEENS1_30default_config_static_selectorELNS0_4arch9wavefront6targetE1EEEvT1_.has_indirect_call, 0
	.section	.AMDGPU.csdata,"",@progbits
; Kernel info:
; codeLenInByte = 0
; TotalNumSgprs: 6
; NumVgprs: 0
; NumAgprs: 0
; TotalNumVgprs: 0
; ScratchSize: 0
; MemoryBound: 0
; FloatMode: 240
; IeeeMode: 1
; LDSByteSize: 0 bytes/workgroup (compile time only)
; SGPRBlocks: 0
; VGPRBlocks: 0
; NumSGPRsForWavesPerEU: 6
; NumVGPRsForWavesPerEU: 1
; AccumOffset: 4
; Occupancy: 8
; WaveLimiterHint : 0
; COMPUTE_PGM_RSRC2:SCRATCH_EN: 0
; COMPUTE_PGM_RSRC2:USER_SGPR: 2
; COMPUTE_PGM_RSRC2:TRAP_HANDLER: 0
; COMPUTE_PGM_RSRC2:TGID_X_EN: 1
; COMPUTE_PGM_RSRC2:TGID_Y_EN: 0
; COMPUTE_PGM_RSRC2:TGID_Z_EN: 0
; COMPUTE_PGM_RSRC2:TIDIG_COMP_CNT: 0
; COMPUTE_PGM_RSRC3_GFX90A:ACCUM_OFFSET: 0
; COMPUTE_PGM_RSRC3_GFX90A:TG_SPLIT: 0
	.section	.text._ZN7rocprim17ROCPRIM_400000_NS6detail17trampoline_kernelINS0_14default_configENS1_20scan_config_selectorIdEEZZNS1_9scan_implILNS1_25lookback_scan_determinismE0ELb0ELb0ES3_PKdPddZZZN2at6native31launch_logcumsumexp_cuda_kernelERKNSB_10TensorBaseESF_lENKUlvE_clEvENKUlvE_clEvEUlddE_dEEDaPvRmT3_T4_T5_mT6_P12ihipStream_tbENKUlT_T0_E_clISt17integral_constantIbLb0EESW_EEDaSR_SS_EUlSR_E_NS1_11comp_targetILNS1_3genE3ELNS1_11target_archE908ELNS1_3gpuE7ELNS1_3repE0EEENS1_30default_config_static_selectorELNS0_4arch9wavefront6targetE1EEEvT1_,"axG",@progbits,_ZN7rocprim17ROCPRIM_400000_NS6detail17trampoline_kernelINS0_14default_configENS1_20scan_config_selectorIdEEZZNS1_9scan_implILNS1_25lookback_scan_determinismE0ELb0ELb0ES3_PKdPddZZZN2at6native31launch_logcumsumexp_cuda_kernelERKNSB_10TensorBaseESF_lENKUlvE_clEvENKUlvE_clEvEUlddE_dEEDaPvRmT3_T4_T5_mT6_P12ihipStream_tbENKUlT_T0_E_clISt17integral_constantIbLb0EESW_EEDaSR_SS_EUlSR_E_NS1_11comp_targetILNS1_3genE3ELNS1_11target_archE908ELNS1_3gpuE7ELNS1_3repE0EEENS1_30default_config_static_selectorELNS0_4arch9wavefront6targetE1EEEvT1_,comdat
	.globl	_ZN7rocprim17ROCPRIM_400000_NS6detail17trampoline_kernelINS0_14default_configENS1_20scan_config_selectorIdEEZZNS1_9scan_implILNS1_25lookback_scan_determinismE0ELb0ELb0ES3_PKdPddZZZN2at6native31launch_logcumsumexp_cuda_kernelERKNSB_10TensorBaseESF_lENKUlvE_clEvENKUlvE_clEvEUlddE_dEEDaPvRmT3_T4_T5_mT6_P12ihipStream_tbENKUlT_T0_E_clISt17integral_constantIbLb0EESW_EEDaSR_SS_EUlSR_E_NS1_11comp_targetILNS1_3genE3ELNS1_11target_archE908ELNS1_3gpuE7ELNS1_3repE0EEENS1_30default_config_static_selectorELNS0_4arch9wavefront6targetE1EEEvT1_ ; -- Begin function _ZN7rocprim17ROCPRIM_400000_NS6detail17trampoline_kernelINS0_14default_configENS1_20scan_config_selectorIdEEZZNS1_9scan_implILNS1_25lookback_scan_determinismE0ELb0ELb0ES3_PKdPddZZZN2at6native31launch_logcumsumexp_cuda_kernelERKNSB_10TensorBaseESF_lENKUlvE_clEvENKUlvE_clEvEUlddE_dEEDaPvRmT3_T4_T5_mT6_P12ihipStream_tbENKUlT_T0_E_clISt17integral_constantIbLb0EESW_EEDaSR_SS_EUlSR_E_NS1_11comp_targetILNS1_3genE3ELNS1_11target_archE908ELNS1_3gpuE7ELNS1_3repE0EEENS1_30default_config_static_selectorELNS0_4arch9wavefront6targetE1EEEvT1_
	.p2align	8
	.type	_ZN7rocprim17ROCPRIM_400000_NS6detail17trampoline_kernelINS0_14default_configENS1_20scan_config_selectorIdEEZZNS1_9scan_implILNS1_25lookback_scan_determinismE0ELb0ELb0ES3_PKdPddZZZN2at6native31launch_logcumsumexp_cuda_kernelERKNSB_10TensorBaseESF_lENKUlvE_clEvENKUlvE_clEvEUlddE_dEEDaPvRmT3_T4_T5_mT6_P12ihipStream_tbENKUlT_T0_E_clISt17integral_constantIbLb0EESW_EEDaSR_SS_EUlSR_E_NS1_11comp_targetILNS1_3genE3ELNS1_11target_archE908ELNS1_3gpuE7ELNS1_3repE0EEENS1_30default_config_static_selectorELNS0_4arch9wavefront6targetE1EEEvT1_,@function
_ZN7rocprim17ROCPRIM_400000_NS6detail17trampoline_kernelINS0_14default_configENS1_20scan_config_selectorIdEEZZNS1_9scan_implILNS1_25lookback_scan_determinismE0ELb0ELb0ES3_PKdPddZZZN2at6native31launch_logcumsumexp_cuda_kernelERKNSB_10TensorBaseESF_lENKUlvE_clEvENKUlvE_clEvEUlddE_dEEDaPvRmT3_T4_T5_mT6_P12ihipStream_tbENKUlT_T0_E_clISt17integral_constantIbLb0EESW_EEDaSR_SS_EUlSR_E_NS1_11comp_targetILNS1_3genE3ELNS1_11target_archE908ELNS1_3gpuE7ELNS1_3repE0EEENS1_30default_config_static_selectorELNS0_4arch9wavefront6targetE1EEEvT1_: ; @_ZN7rocprim17ROCPRIM_400000_NS6detail17trampoline_kernelINS0_14default_configENS1_20scan_config_selectorIdEEZZNS1_9scan_implILNS1_25lookback_scan_determinismE0ELb0ELb0ES3_PKdPddZZZN2at6native31launch_logcumsumexp_cuda_kernelERKNSB_10TensorBaseESF_lENKUlvE_clEvENKUlvE_clEvEUlddE_dEEDaPvRmT3_T4_T5_mT6_P12ihipStream_tbENKUlT_T0_E_clISt17integral_constantIbLb0EESW_EEDaSR_SS_EUlSR_E_NS1_11comp_targetILNS1_3genE3ELNS1_11target_archE908ELNS1_3gpuE7ELNS1_3repE0EEENS1_30default_config_static_selectorELNS0_4arch9wavefront6targetE1EEEvT1_
; %bb.0:
	.section	.rodata,"a",@progbits
	.p2align	6, 0x0
	.amdhsa_kernel _ZN7rocprim17ROCPRIM_400000_NS6detail17trampoline_kernelINS0_14default_configENS1_20scan_config_selectorIdEEZZNS1_9scan_implILNS1_25lookback_scan_determinismE0ELb0ELb0ES3_PKdPddZZZN2at6native31launch_logcumsumexp_cuda_kernelERKNSB_10TensorBaseESF_lENKUlvE_clEvENKUlvE_clEvEUlddE_dEEDaPvRmT3_T4_T5_mT6_P12ihipStream_tbENKUlT_T0_E_clISt17integral_constantIbLb0EESW_EEDaSR_SS_EUlSR_E_NS1_11comp_targetILNS1_3genE3ELNS1_11target_archE908ELNS1_3gpuE7ELNS1_3repE0EEENS1_30default_config_static_selectorELNS0_4arch9wavefront6targetE1EEEvT1_
		.amdhsa_group_segment_fixed_size 0
		.amdhsa_private_segment_fixed_size 0
		.amdhsa_kernarg_size 104
		.amdhsa_user_sgpr_count 2
		.amdhsa_user_sgpr_dispatch_ptr 0
		.amdhsa_user_sgpr_queue_ptr 0
		.amdhsa_user_sgpr_kernarg_segment_ptr 1
		.amdhsa_user_sgpr_dispatch_id 0
		.amdhsa_user_sgpr_kernarg_preload_length 0
		.amdhsa_user_sgpr_kernarg_preload_offset 0
		.amdhsa_user_sgpr_private_segment_size 0
		.amdhsa_uses_dynamic_stack 0
		.amdhsa_enable_private_segment 0
		.amdhsa_system_sgpr_workgroup_id_x 1
		.amdhsa_system_sgpr_workgroup_id_y 0
		.amdhsa_system_sgpr_workgroup_id_z 0
		.amdhsa_system_sgpr_workgroup_info 0
		.amdhsa_system_vgpr_workitem_id 0
		.amdhsa_next_free_vgpr 1
		.amdhsa_next_free_sgpr 0
		.amdhsa_accum_offset 4
		.amdhsa_reserve_vcc 0
		.amdhsa_float_round_mode_32 0
		.amdhsa_float_round_mode_16_64 0
		.amdhsa_float_denorm_mode_32 3
		.amdhsa_float_denorm_mode_16_64 3
		.amdhsa_dx10_clamp 1
		.amdhsa_ieee_mode 1
		.amdhsa_fp16_overflow 0
		.amdhsa_tg_split 0
		.amdhsa_exception_fp_ieee_invalid_op 0
		.amdhsa_exception_fp_denorm_src 0
		.amdhsa_exception_fp_ieee_div_zero 0
		.amdhsa_exception_fp_ieee_overflow 0
		.amdhsa_exception_fp_ieee_underflow 0
		.amdhsa_exception_fp_ieee_inexact 0
		.amdhsa_exception_int_div_zero 0
	.end_amdhsa_kernel
	.section	.text._ZN7rocprim17ROCPRIM_400000_NS6detail17trampoline_kernelINS0_14default_configENS1_20scan_config_selectorIdEEZZNS1_9scan_implILNS1_25lookback_scan_determinismE0ELb0ELb0ES3_PKdPddZZZN2at6native31launch_logcumsumexp_cuda_kernelERKNSB_10TensorBaseESF_lENKUlvE_clEvENKUlvE_clEvEUlddE_dEEDaPvRmT3_T4_T5_mT6_P12ihipStream_tbENKUlT_T0_E_clISt17integral_constantIbLb0EESW_EEDaSR_SS_EUlSR_E_NS1_11comp_targetILNS1_3genE3ELNS1_11target_archE908ELNS1_3gpuE7ELNS1_3repE0EEENS1_30default_config_static_selectorELNS0_4arch9wavefront6targetE1EEEvT1_,"axG",@progbits,_ZN7rocprim17ROCPRIM_400000_NS6detail17trampoline_kernelINS0_14default_configENS1_20scan_config_selectorIdEEZZNS1_9scan_implILNS1_25lookback_scan_determinismE0ELb0ELb0ES3_PKdPddZZZN2at6native31launch_logcumsumexp_cuda_kernelERKNSB_10TensorBaseESF_lENKUlvE_clEvENKUlvE_clEvEUlddE_dEEDaPvRmT3_T4_T5_mT6_P12ihipStream_tbENKUlT_T0_E_clISt17integral_constantIbLb0EESW_EEDaSR_SS_EUlSR_E_NS1_11comp_targetILNS1_3genE3ELNS1_11target_archE908ELNS1_3gpuE7ELNS1_3repE0EEENS1_30default_config_static_selectorELNS0_4arch9wavefront6targetE1EEEvT1_,comdat
.Lfunc_end4:
	.size	_ZN7rocprim17ROCPRIM_400000_NS6detail17trampoline_kernelINS0_14default_configENS1_20scan_config_selectorIdEEZZNS1_9scan_implILNS1_25lookback_scan_determinismE0ELb0ELb0ES3_PKdPddZZZN2at6native31launch_logcumsumexp_cuda_kernelERKNSB_10TensorBaseESF_lENKUlvE_clEvENKUlvE_clEvEUlddE_dEEDaPvRmT3_T4_T5_mT6_P12ihipStream_tbENKUlT_T0_E_clISt17integral_constantIbLb0EESW_EEDaSR_SS_EUlSR_E_NS1_11comp_targetILNS1_3genE3ELNS1_11target_archE908ELNS1_3gpuE7ELNS1_3repE0EEENS1_30default_config_static_selectorELNS0_4arch9wavefront6targetE1EEEvT1_, .Lfunc_end4-_ZN7rocprim17ROCPRIM_400000_NS6detail17trampoline_kernelINS0_14default_configENS1_20scan_config_selectorIdEEZZNS1_9scan_implILNS1_25lookback_scan_determinismE0ELb0ELb0ES3_PKdPddZZZN2at6native31launch_logcumsumexp_cuda_kernelERKNSB_10TensorBaseESF_lENKUlvE_clEvENKUlvE_clEvEUlddE_dEEDaPvRmT3_T4_T5_mT6_P12ihipStream_tbENKUlT_T0_E_clISt17integral_constantIbLb0EESW_EEDaSR_SS_EUlSR_E_NS1_11comp_targetILNS1_3genE3ELNS1_11target_archE908ELNS1_3gpuE7ELNS1_3repE0EEENS1_30default_config_static_selectorELNS0_4arch9wavefront6targetE1EEEvT1_
                                        ; -- End function
	.set _ZN7rocprim17ROCPRIM_400000_NS6detail17trampoline_kernelINS0_14default_configENS1_20scan_config_selectorIdEEZZNS1_9scan_implILNS1_25lookback_scan_determinismE0ELb0ELb0ES3_PKdPddZZZN2at6native31launch_logcumsumexp_cuda_kernelERKNSB_10TensorBaseESF_lENKUlvE_clEvENKUlvE_clEvEUlddE_dEEDaPvRmT3_T4_T5_mT6_P12ihipStream_tbENKUlT_T0_E_clISt17integral_constantIbLb0EESW_EEDaSR_SS_EUlSR_E_NS1_11comp_targetILNS1_3genE3ELNS1_11target_archE908ELNS1_3gpuE7ELNS1_3repE0EEENS1_30default_config_static_selectorELNS0_4arch9wavefront6targetE1EEEvT1_.num_vgpr, 0
	.set _ZN7rocprim17ROCPRIM_400000_NS6detail17trampoline_kernelINS0_14default_configENS1_20scan_config_selectorIdEEZZNS1_9scan_implILNS1_25lookback_scan_determinismE0ELb0ELb0ES3_PKdPddZZZN2at6native31launch_logcumsumexp_cuda_kernelERKNSB_10TensorBaseESF_lENKUlvE_clEvENKUlvE_clEvEUlddE_dEEDaPvRmT3_T4_T5_mT6_P12ihipStream_tbENKUlT_T0_E_clISt17integral_constantIbLb0EESW_EEDaSR_SS_EUlSR_E_NS1_11comp_targetILNS1_3genE3ELNS1_11target_archE908ELNS1_3gpuE7ELNS1_3repE0EEENS1_30default_config_static_selectorELNS0_4arch9wavefront6targetE1EEEvT1_.num_agpr, 0
	.set _ZN7rocprim17ROCPRIM_400000_NS6detail17trampoline_kernelINS0_14default_configENS1_20scan_config_selectorIdEEZZNS1_9scan_implILNS1_25lookback_scan_determinismE0ELb0ELb0ES3_PKdPddZZZN2at6native31launch_logcumsumexp_cuda_kernelERKNSB_10TensorBaseESF_lENKUlvE_clEvENKUlvE_clEvEUlddE_dEEDaPvRmT3_T4_T5_mT6_P12ihipStream_tbENKUlT_T0_E_clISt17integral_constantIbLb0EESW_EEDaSR_SS_EUlSR_E_NS1_11comp_targetILNS1_3genE3ELNS1_11target_archE908ELNS1_3gpuE7ELNS1_3repE0EEENS1_30default_config_static_selectorELNS0_4arch9wavefront6targetE1EEEvT1_.numbered_sgpr, 0
	.set _ZN7rocprim17ROCPRIM_400000_NS6detail17trampoline_kernelINS0_14default_configENS1_20scan_config_selectorIdEEZZNS1_9scan_implILNS1_25lookback_scan_determinismE0ELb0ELb0ES3_PKdPddZZZN2at6native31launch_logcumsumexp_cuda_kernelERKNSB_10TensorBaseESF_lENKUlvE_clEvENKUlvE_clEvEUlddE_dEEDaPvRmT3_T4_T5_mT6_P12ihipStream_tbENKUlT_T0_E_clISt17integral_constantIbLb0EESW_EEDaSR_SS_EUlSR_E_NS1_11comp_targetILNS1_3genE3ELNS1_11target_archE908ELNS1_3gpuE7ELNS1_3repE0EEENS1_30default_config_static_selectorELNS0_4arch9wavefront6targetE1EEEvT1_.num_named_barrier, 0
	.set _ZN7rocprim17ROCPRIM_400000_NS6detail17trampoline_kernelINS0_14default_configENS1_20scan_config_selectorIdEEZZNS1_9scan_implILNS1_25lookback_scan_determinismE0ELb0ELb0ES3_PKdPddZZZN2at6native31launch_logcumsumexp_cuda_kernelERKNSB_10TensorBaseESF_lENKUlvE_clEvENKUlvE_clEvEUlddE_dEEDaPvRmT3_T4_T5_mT6_P12ihipStream_tbENKUlT_T0_E_clISt17integral_constantIbLb0EESW_EEDaSR_SS_EUlSR_E_NS1_11comp_targetILNS1_3genE3ELNS1_11target_archE908ELNS1_3gpuE7ELNS1_3repE0EEENS1_30default_config_static_selectorELNS0_4arch9wavefront6targetE1EEEvT1_.private_seg_size, 0
	.set _ZN7rocprim17ROCPRIM_400000_NS6detail17trampoline_kernelINS0_14default_configENS1_20scan_config_selectorIdEEZZNS1_9scan_implILNS1_25lookback_scan_determinismE0ELb0ELb0ES3_PKdPddZZZN2at6native31launch_logcumsumexp_cuda_kernelERKNSB_10TensorBaseESF_lENKUlvE_clEvENKUlvE_clEvEUlddE_dEEDaPvRmT3_T4_T5_mT6_P12ihipStream_tbENKUlT_T0_E_clISt17integral_constantIbLb0EESW_EEDaSR_SS_EUlSR_E_NS1_11comp_targetILNS1_3genE3ELNS1_11target_archE908ELNS1_3gpuE7ELNS1_3repE0EEENS1_30default_config_static_selectorELNS0_4arch9wavefront6targetE1EEEvT1_.uses_vcc, 0
	.set _ZN7rocprim17ROCPRIM_400000_NS6detail17trampoline_kernelINS0_14default_configENS1_20scan_config_selectorIdEEZZNS1_9scan_implILNS1_25lookback_scan_determinismE0ELb0ELb0ES3_PKdPddZZZN2at6native31launch_logcumsumexp_cuda_kernelERKNSB_10TensorBaseESF_lENKUlvE_clEvENKUlvE_clEvEUlddE_dEEDaPvRmT3_T4_T5_mT6_P12ihipStream_tbENKUlT_T0_E_clISt17integral_constantIbLb0EESW_EEDaSR_SS_EUlSR_E_NS1_11comp_targetILNS1_3genE3ELNS1_11target_archE908ELNS1_3gpuE7ELNS1_3repE0EEENS1_30default_config_static_selectorELNS0_4arch9wavefront6targetE1EEEvT1_.uses_flat_scratch, 0
	.set _ZN7rocprim17ROCPRIM_400000_NS6detail17trampoline_kernelINS0_14default_configENS1_20scan_config_selectorIdEEZZNS1_9scan_implILNS1_25lookback_scan_determinismE0ELb0ELb0ES3_PKdPddZZZN2at6native31launch_logcumsumexp_cuda_kernelERKNSB_10TensorBaseESF_lENKUlvE_clEvENKUlvE_clEvEUlddE_dEEDaPvRmT3_T4_T5_mT6_P12ihipStream_tbENKUlT_T0_E_clISt17integral_constantIbLb0EESW_EEDaSR_SS_EUlSR_E_NS1_11comp_targetILNS1_3genE3ELNS1_11target_archE908ELNS1_3gpuE7ELNS1_3repE0EEENS1_30default_config_static_selectorELNS0_4arch9wavefront6targetE1EEEvT1_.has_dyn_sized_stack, 0
	.set _ZN7rocprim17ROCPRIM_400000_NS6detail17trampoline_kernelINS0_14default_configENS1_20scan_config_selectorIdEEZZNS1_9scan_implILNS1_25lookback_scan_determinismE0ELb0ELb0ES3_PKdPddZZZN2at6native31launch_logcumsumexp_cuda_kernelERKNSB_10TensorBaseESF_lENKUlvE_clEvENKUlvE_clEvEUlddE_dEEDaPvRmT3_T4_T5_mT6_P12ihipStream_tbENKUlT_T0_E_clISt17integral_constantIbLb0EESW_EEDaSR_SS_EUlSR_E_NS1_11comp_targetILNS1_3genE3ELNS1_11target_archE908ELNS1_3gpuE7ELNS1_3repE0EEENS1_30default_config_static_selectorELNS0_4arch9wavefront6targetE1EEEvT1_.has_recursion, 0
	.set _ZN7rocprim17ROCPRIM_400000_NS6detail17trampoline_kernelINS0_14default_configENS1_20scan_config_selectorIdEEZZNS1_9scan_implILNS1_25lookback_scan_determinismE0ELb0ELb0ES3_PKdPddZZZN2at6native31launch_logcumsumexp_cuda_kernelERKNSB_10TensorBaseESF_lENKUlvE_clEvENKUlvE_clEvEUlddE_dEEDaPvRmT3_T4_T5_mT6_P12ihipStream_tbENKUlT_T0_E_clISt17integral_constantIbLb0EESW_EEDaSR_SS_EUlSR_E_NS1_11comp_targetILNS1_3genE3ELNS1_11target_archE908ELNS1_3gpuE7ELNS1_3repE0EEENS1_30default_config_static_selectorELNS0_4arch9wavefront6targetE1EEEvT1_.has_indirect_call, 0
	.section	.AMDGPU.csdata,"",@progbits
; Kernel info:
; codeLenInByte = 0
; TotalNumSgprs: 6
; NumVgprs: 0
; NumAgprs: 0
; TotalNumVgprs: 0
; ScratchSize: 0
; MemoryBound: 0
; FloatMode: 240
; IeeeMode: 1
; LDSByteSize: 0 bytes/workgroup (compile time only)
; SGPRBlocks: 0
; VGPRBlocks: 0
; NumSGPRsForWavesPerEU: 6
; NumVGPRsForWavesPerEU: 1
; AccumOffset: 4
; Occupancy: 8
; WaveLimiterHint : 0
; COMPUTE_PGM_RSRC2:SCRATCH_EN: 0
; COMPUTE_PGM_RSRC2:USER_SGPR: 2
; COMPUTE_PGM_RSRC2:TRAP_HANDLER: 0
; COMPUTE_PGM_RSRC2:TGID_X_EN: 1
; COMPUTE_PGM_RSRC2:TGID_Y_EN: 0
; COMPUTE_PGM_RSRC2:TGID_Z_EN: 0
; COMPUTE_PGM_RSRC2:TIDIG_COMP_CNT: 0
; COMPUTE_PGM_RSRC3_GFX90A:ACCUM_OFFSET: 0
; COMPUTE_PGM_RSRC3_GFX90A:TG_SPLIT: 0
	.section	.text._ZN7rocprim17ROCPRIM_400000_NS6detail17trampoline_kernelINS0_14default_configENS1_20scan_config_selectorIdEEZZNS1_9scan_implILNS1_25lookback_scan_determinismE0ELb0ELb0ES3_PKdPddZZZN2at6native31launch_logcumsumexp_cuda_kernelERKNSB_10TensorBaseESF_lENKUlvE_clEvENKUlvE_clEvEUlddE_dEEDaPvRmT3_T4_T5_mT6_P12ihipStream_tbENKUlT_T0_E_clISt17integral_constantIbLb0EESW_EEDaSR_SS_EUlSR_E_NS1_11comp_targetILNS1_3genE2ELNS1_11target_archE906ELNS1_3gpuE6ELNS1_3repE0EEENS1_30default_config_static_selectorELNS0_4arch9wavefront6targetE1EEEvT1_,"axG",@progbits,_ZN7rocprim17ROCPRIM_400000_NS6detail17trampoline_kernelINS0_14default_configENS1_20scan_config_selectorIdEEZZNS1_9scan_implILNS1_25lookback_scan_determinismE0ELb0ELb0ES3_PKdPddZZZN2at6native31launch_logcumsumexp_cuda_kernelERKNSB_10TensorBaseESF_lENKUlvE_clEvENKUlvE_clEvEUlddE_dEEDaPvRmT3_T4_T5_mT6_P12ihipStream_tbENKUlT_T0_E_clISt17integral_constantIbLb0EESW_EEDaSR_SS_EUlSR_E_NS1_11comp_targetILNS1_3genE2ELNS1_11target_archE906ELNS1_3gpuE6ELNS1_3repE0EEENS1_30default_config_static_selectorELNS0_4arch9wavefront6targetE1EEEvT1_,comdat
	.globl	_ZN7rocprim17ROCPRIM_400000_NS6detail17trampoline_kernelINS0_14default_configENS1_20scan_config_selectorIdEEZZNS1_9scan_implILNS1_25lookback_scan_determinismE0ELb0ELb0ES3_PKdPddZZZN2at6native31launch_logcumsumexp_cuda_kernelERKNSB_10TensorBaseESF_lENKUlvE_clEvENKUlvE_clEvEUlddE_dEEDaPvRmT3_T4_T5_mT6_P12ihipStream_tbENKUlT_T0_E_clISt17integral_constantIbLb0EESW_EEDaSR_SS_EUlSR_E_NS1_11comp_targetILNS1_3genE2ELNS1_11target_archE906ELNS1_3gpuE6ELNS1_3repE0EEENS1_30default_config_static_selectorELNS0_4arch9wavefront6targetE1EEEvT1_ ; -- Begin function _ZN7rocprim17ROCPRIM_400000_NS6detail17trampoline_kernelINS0_14default_configENS1_20scan_config_selectorIdEEZZNS1_9scan_implILNS1_25lookback_scan_determinismE0ELb0ELb0ES3_PKdPddZZZN2at6native31launch_logcumsumexp_cuda_kernelERKNSB_10TensorBaseESF_lENKUlvE_clEvENKUlvE_clEvEUlddE_dEEDaPvRmT3_T4_T5_mT6_P12ihipStream_tbENKUlT_T0_E_clISt17integral_constantIbLb0EESW_EEDaSR_SS_EUlSR_E_NS1_11comp_targetILNS1_3genE2ELNS1_11target_archE906ELNS1_3gpuE6ELNS1_3repE0EEENS1_30default_config_static_selectorELNS0_4arch9wavefront6targetE1EEEvT1_
	.p2align	8
	.type	_ZN7rocprim17ROCPRIM_400000_NS6detail17trampoline_kernelINS0_14default_configENS1_20scan_config_selectorIdEEZZNS1_9scan_implILNS1_25lookback_scan_determinismE0ELb0ELb0ES3_PKdPddZZZN2at6native31launch_logcumsumexp_cuda_kernelERKNSB_10TensorBaseESF_lENKUlvE_clEvENKUlvE_clEvEUlddE_dEEDaPvRmT3_T4_T5_mT6_P12ihipStream_tbENKUlT_T0_E_clISt17integral_constantIbLb0EESW_EEDaSR_SS_EUlSR_E_NS1_11comp_targetILNS1_3genE2ELNS1_11target_archE906ELNS1_3gpuE6ELNS1_3repE0EEENS1_30default_config_static_selectorELNS0_4arch9wavefront6targetE1EEEvT1_,@function
_ZN7rocprim17ROCPRIM_400000_NS6detail17trampoline_kernelINS0_14default_configENS1_20scan_config_selectorIdEEZZNS1_9scan_implILNS1_25lookback_scan_determinismE0ELb0ELb0ES3_PKdPddZZZN2at6native31launch_logcumsumexp_cuda_kernelERKNSB_10TensorBaseESF_lENKUlvE_clEvENKUlvE_clEvEUlddE_dEEDaPvRmT3_T4_T5_mT6_P12ihipStream_tbENKUlT_T0_E_clISt17integral_constantIbLb0EESW_EEDaSR_SS_EUlSR_E_NS1_11comp_targetILNS1_3genE2ELNS1_11target_archE906ELNS1_3gpuE6ELNS1_3repE0EEENS1_30default_config_static_selectorELNS0_4arch9wavefront6targetE1EEEvT1_: ; @_ZN7rocprim17ROCPRIM_400000_NS6detail17trampoline_kernelINS0_14default_configENS1_20scan_config_selectorIdEEZZNS1_9scan_implILNS1_25lookback_scan_determinismE0ELb0ELb0ES3_PKdPddZZZN2at6native31launch_logcumsumexp_cuda_kernelERKNSB_10TensorBaseESF_lENKUlvE_clEvENKUlvE_clEvEUlddE_dEEDaPvRmT3_T4_T5_mT6_P12ihipStream_tbENKUlT_T0_E_clISt17integral_constantIbLb0EESW_EEDaSR_SS_EUlSR_E_NS1_11comp_targetILNS1_3genE2ELNS1_11target_archE906ELNS1_3gpuE6ELNS1_3repE0EEENS1_30default_config_static_selectorELNS0_4arch9wavefront6targetE1EEEvT1_
; %bb.0:
	.section	.rodata,"a",@progbits
	.p2align	6, 0x0
	.amdhsa_kernel _ZN7rocprim17ROCPRIM_400000_NS6detail17trampoline_kernelINS0_14default_configENS1_20scan_config_selectorIdEEZZNS1_9scan_implILNS1_25lookback_scan_determinismE0ELb0ELb0ES3_PKdPddZZZN2at6native31launch_logcumsumexp_cuda_kernelERKNSB_10TensorBaseESF_lENKUlvE_clEvENKUlvE_clEvEUlddE_dEEDaPvRmT3_T4_T5_mT6_P12ihipStream_tbENKUlT_T0_E_clISt17integral_constantIbLb0EESW_EEDaSR_SS_EUlSR_E_NS1_11comp_targetILNS1_3genE2ELNS1_11target_archE906ELNS1_3gpuE6ELNS1_3repE0EEENS1_30default_config_static_selectorELNS0_4arch9wavefront6targetE1EEEvT1_
		.amdhsa_group_segment_fixed_size 0
		.amdhsa_private_segment_fixed_size 0
		.amdhsa_kernarg_size 104
		.amdhsa_user_sgpr_count 2
		.amdhsa_user_sgpr_dispatch_ptr 0
		.amdhsa_user_sgpr_queue_ptr 0
		.amdhsa_user_sgpr_kernarg_segment_ptr 1
		.amdhsa_user_sgpr_dispatch_id 0
		.amdhsa_user_sgpr_kernarg_preload_length 0
		.amdhsa_user_sgpr_kernarg_preload_offset 0
		.amdhsa_user_sgpr_private_segment_size 0
		.amdhsa_uses_dynamic_stack 0
		.amdhsa_enable_private_segment 0
		.amdhsa_system_sgpr_workgroup_id_x 1
		.amdhsa_system_sgpr_workgroup_id_y 0
		.amdhsa_system_sgpr_workgroup_id_z 0
		.amdhsa_system_sgpr_workgroup_info 0
		.amdhsa_system_vgpr_workitem_id 0
		.amdhsa_next_free_vgpr 1
		.amdhsa_next_free_sgpr 0
		.amdhsa_accum_offset 4
		.amdhsa_reserve_vcc 0
		.amdhsa_float_round_mode_32 0
		.amdhsa_float_round_mode_16_64 0
		.amdhsa_float_denorm_mode_32 3
		.amdhsa_float_denorm_mode_16_64 3
		.amdhsa_dx10_clamp 1
		.amdhsa_ieee_mode 1
		.amdhsa_fp16_overflow 0
		.amdhsa_tg_split 0
		.amdhsa_exception_fp_ieee_invalid_op 0
		.amdhsa_exception_fp_denorm_src 0
		.amdhsa_exception_fp_ieee_div_zero 0
		.amdhsa_exception_fp_ieee_overflow 0
		.amdhsa_exception_fp_ieee_underflow 0
		.amdhsa_exception_fp_ieee_inexact 0
		.amdhsa_exception_int_div_zero 0
	.end_amdhsa_kernel
	.section	.text._ZN7rocprim17ROCPRIM_400000_NS6detail17trampoline_kernelINS0_14default_configENS1_20scan_config_selectorIdEEZZNS1_9scan_implILNS1_25lookback_scan_determinismE0ELb0ELb0ES3_PKdPddZZZN2at6native31launch_logcumsumexp_cuda_kernelERKNSB_10TensorBaseESF_lENKUlvE_clEvENKUlvE_clEvEUlddE_dEEDaPvRmT3_T4_T5_mT6_P12ihipStream_tbENKUlT_T0_E_clISt17integral_constantIbLb0EESW_EEDaSR_SS_EUlSR_E_NS1_11comp_targetILNS1_3genE2ELNS1_11target_archE906ELNS1_3gpuE6ELNS1_3repE0EEENS1_30default_config_static_selectorELNS0_4arch9wavefront6targetE1EEEvT1_,"axG",@progbits,_ZN7rocprim17ROCPRIM_400000_NS6detail17trampoline_kernelINS0_14default_configENS1_20scan_config_selectorIdEEZZNS1_9scan_implILNS1_25lookback_scan_determinismE0ELb0ELb0ES3_PKdPddZZZN2at6native31launch_logcumsumexp_cuda_kernelERKNSB_10TensorBaseESF_lENKUlvE_clEvENKUlvE_clEvEUlddE_dEEDaPvRmT3_T4_T5_mT6_P12ihipStream_tbENKUlT_T0_E_clISt17integral_constantIbLb0EESW_EEDaSR_SS_EUlSR_E_NS1_11comp_targetILNS1_3genE2ELNS1_11target_archE906ELNS1_3gpuE6ELNS1_3repE0EEENS1_30default_config_static_selectorELNS0_4arch9wavefront6targetE1EEEvT1_,comdat
.Lfunc_end5:
	.size	_ZN7rocprim17ROCPRIM_400000_NS6detail17trampoline_kernelINS0_14default_configENS1_20scan_config_selectorIdEEZZNS1_9scan_implILNS1_25lookback_scan_determinismE0ELb0ELb0ES3_PKdPddZZZN2at6native31launch_logcumsumexp_cuda_kernelERKNSB_10TensorBaseESF_lENKUlvE_clEvENKUlvE_clEvEUlddE_dEEDaPvRmT3_T4_T5_mT6_P12ihipStream_tbENKUlT_T0_E_clISt17integral_constantIbLb0EESW_EEDaSR_SS_EUlSR_E_NS1_11comp_targetILNS1_3genE2ELNS1_11target_archE906ELNS1_3gpuE6ELNS1_3repE0EEENS1_30default_config_static_selectorELNS0_4arch9wavefront6targetE1EEEvT1_, .Lfunc_end5-_ZN7rocprim17ROCPRIM_400000_NS6detail17trampoline_kernelINS0_14default_configENS1_20scan_config_selectorIdEEZZNS1_9scan_implILNS1_25lookback_scan_determinismE0ELb0ELb0ES3_PKdPddZZZN2at6native31launch_logcumsumexp_cuda_kernelERKNSB_10TensorBaseESF_lENKUlvE_clEvENKUlvE_clEvEUlddE_dEEDaPvRmT3_T4_T5_mT6_P12ihipStream_tbENKUlT_T0_E_clISt17integral_constantIbLb0EESW_EEDaSR_SS_EUlSR_E_NS1_11comp_targetILNS1_3genE2ELNS1_11target_archE906ELNS1_3gpuE6ELNS1_3repE0EEENS1_30default_config_static_selectorELNS0_4arch9wavefront6targetE1EEEvT1_
                                        ; -- End function
	.set _ZN7rocprim17ROCPRIM_400000_NS6detail17trampoline_kernelINS0_14default_configENS1_20scan_config_selectorIdEEZZNS1_9scan_implILNS1_25lookback_scan_determinismE0ELb0ELb0ES3_PKdPddZZZN2at6native31launch_logcumsumexp_cuda_kernelERKNSB_10TensorBaseESF_lENKUlvE_clEvENKUlvE_clEvEUlddE_dEEDaPvRmT3_T4_T5_mT6_P12ihipStream_tbENKUlT_T0_E_clISt17integral_constantIbLb0EESW_EEDaSR_SS_EUlSR_E_NS1_11comp_targetILNS1_3genE2ELNS1_11target_archE906ELNS1_3gpuE6ELNS1_3repE0EEENS1_30default_config_static_selectorELNS0_4arch9wavefront6targetE1EEEvT1_.num_vgpr, 0
	.set _ZN7rocprim17ROCPRIM_400000_NS6detail17trampoline_kernelINS0_14default_configENS1_20scan_config_selectorIdEEZZNS1_9scan_implILNS1_25lookback_scan_determinismE0ELb0ELb0ES3_PKdPddZZZN2at6native31launch_logcumsumexp_cuda_kernelERKNSB_10TensorBaseESF_lENKUlvE_clEvENKUlvE_clEvEUlddE_dEEDaPvRmT3_T4_T5_mT6_P12ihipStream_tbENKUlT_T0_E_clISt17integral_constantIbLb0EESW_EEDaSR_SS_EUlSR_E_NS1_11comp_targetILNS1_3genE2ELNS1_11target_archE906ELNS1_3gpuE6ELNS1_3repE0EEENS1_30default_config_static_selectorELNS0_4arch9wavefront6targetE1EEEvT1_.num_agpr, 0
	.set _ZN7rocprim17ROCPRIM_400000_NS6detail17trampoline_kernelINS0_14default_configENS1_20scan_config_selectorIdEEZZNS1_9scan_implILNS1_25lookback_scan_determinismE0ELb0ELb0ES3_PKdPddZZZN2at6native31launch_logcumsumexp_cuda_kernelERKNSB_10TensorBaseESF_lENKUlvE_clEvENKUlvE_clEvEUlddE_dEEDaPvRmT3_T4_T5_mT6_P12ihipStream_tbENKUlT_T0_E_clISt17integral_constantIbLb0EESW_EEDaSR_SS_EUlSR_E_NS1_11comp_targetILNS1_3genE2ELNS1_11target_archE906ELNS1_3gpuE6ELNS1_3repE0EEENS1_30default_config_static_selectorELNS0_4arch9wavefront6targetE1EEEvT1_.numbered_sgpr, 0
	.set _ZN7rocprim17ROCPRIM_400000_NS6detail17trampoline_kernelINS0_14default_configENS1_20scan_config_selectorIdEEZZNS1_9scan_implILNS1_25lookback_scan_determinismE0ELb0ELb0ES3_PKdPddZZZN2at6native31launch_logcumsumexp_cuda_kernelERKNSB_10TensorBaseESF_lENKUlvE_clEvENKUlvE_clEvEUlddE_dEEDaPvRmT3_T4_T5_mT6_P12ihipStream_tbENKUlT_T0_E_clISt17integral_constantIbLb0EESW_EEDaSR_SS_EUlSR_E_NS1_11comp_targetILNS1_3genE2ELNS1_11target_archE906ELNS1_3gpuE6ELNS1_3repE0EEENS1_30default_config_static_selectorELNS0_4arch9wavefront6targetE1EEEvT1_.num_named_barrier, 0
	.set _ZN7rocprim17ROCPRIM_400000_NS6detail17trampoline_kernelINS0_14default_configENS1_20scan_config_selectorIdEEZZNS1_9scan_implILNS1_25lookback_scan_determinismE0ELb0ELb0ES3_PKdPddZZZN2at6native31launch_logcumsumexp_cuda_kernelERKNSB_10TensorBaseESF_lENKUlvE_clEvENKUlvE_clEvEUlddE_dEEDaPvRmT3_T4_T5_mT6_P12ihipStream_tbENKUlT_T0_E_clISt17integral_constantIbLb0EESW_EEDaSR_SS_EUlSR_E_NS1_11comp_targetILNS1_3genE2ELNS1_11target_archE906ELNS1_3gpuE6ELNS1_3repE0EEENS1_30default_config_static_selectorELNS0_4arch9wavefront6targetE1EEEvT1_.private_seg_size, 0
	.set _ZN7rocprim17ROCPRIM_400000_NS6detail17trampoline_kernelINS0_14default_configENS1_20scan_config_selectorIdEEZZNS1_9scan_implILNS1_25lookback_scan_determinismE0ELb0ELb0ES3_PKdPddZZZN2at6native31launch_logcumsumexp_cuda_kernelERKNSB_10TensorBaseESF_lENKUlvE_clEvENKUlvE_clEvEUlddE_dEEDaPvRmT3_T4_T5_mT6_P12ihipStream_tbENKUlT_T0_E_clISt17integral_constantIbLb0EESW_EEDaSR_SS_EUlSR_E_NS1_11comp_targetILNS1_3genE2ELNS1_11target_archE906ELNS1_3gpuE6ELNS1_3repE0EEENS1_30default_config_static_selectorELNS0_4arch9wavefront6targetE1EEEvT1_.uses_vcc, 0
	.set _ZN7rocprim17ROCPRIM_400000_NS6detail17trampoline_kernelINS0_14default_configENS1_20scan_config_selectorIdEEZZNS1_9scan_implILNS1_25lookback_scan_determinismE0ELb0ELb0ES3_PKdPddZZZN2at6native31launch_logcumsumexp_cuda_kernelERKNSB_10TensorBaseESF_lENKUlvE_clEvENKUlvE_clEvEUlddE_dEEDaPvRmT3_T4_T5_mT6_P12ihipStream_tbENKUlT_T0_E_clISt17integral_constantIbLb0EESW_EEDaSR_SS_EUlSR_E_NS1_11comp_targetILNS1_3genE2ELNS1_11target_archE906ELNS1_3gpuE6ELNS1_3repE0EEENS1_30default_config_static_selectorELNS0_4arch9wavefront6targetE1EEEvT1_.uses_flat_scratch, 0
	.set _ZN7rocprim17ROCPRIM_400000_NS6detail17trampoline_kernelINS0_14default_configENS1_20scan_config_selectorIdEEZZNS1_9scan_implILNS1_25lookback_scan_determinismE0ELb0ELb0ES3_PKdPddZZZN2at6native31launch_logcumsumexp_cuda_kernelERKNSB_10TensorBaseESF_lENKUlvE_clEvENKUlvE_clEvEUlddE_dEEDaPvRmT3_T4_T5_mT6_P12ihipStream_tbENKUlT_T0_E_clISt17integral_constantIbLb0EESW_EEDaSR_SS_EUlSR_E_NS1_11comp_targetILNS1_3genE2ELNS1_11target_archE906ELNS1_3gpuE6ELNS1_3repE0EEENS1_30default_config_static_selectorELNS0_4arch9wavefront6targetE1EEEvT1_.has_dyn_sized_stack, 0
	.set _ZN7rocprim17ROCPRIM_400000_NS6detail17trampoline_kernelINS0_14default_configENS1_20scan_config_selectorIdEEZZNS1_9scan_implILNS1_25lookback_scan_determinismE0ELb0ELb0ES3_PKdPddZZZN2at6native31launch_logcumsumexp_cuda_kernelERKNSB_10TensorBaseESF_lENKUlvE_clEvENKUlvE_clEvEUlddE_dEEDaPvRmT3_T4_T5_mT6_P12ihipStream_tbENKUlT_T0_E_clISt17integral_constantIbLb0EESW_EEDaSR_SS_EUlSR_E_NS1_11comp_targetILNS1_3genE2ELNS1_11target_archE906ELNS1_3gpuE6ELNS1_3repE0EEENS1_30default_config_static_selectorELNS0_4arch9wavefront6targetE1EEEvT1_.has_recursion, 0
	.set _ZN7rocprim17ROCPRIM_400000_NS6detail17trampoline_kernelINS0_14default_configENS1_20scan_config_selectorIdEEZZNS1_9scan_implILNS1_25lookback_scan_determinismE0ELb0ELb0ES3_PKdPddZZZN2at6native31launch_logcumsumexp_cuda_kernelERKNSB_10TensorBaseESF_lENKUlvE_clEvENKUlvE_clEvEUlddE_dEEDaPvRmT3_T4_T5_mT6_P12ihipStream_tbENKUlT_T0_E_clISt17integral_constantIbLb0EESW_EEDaSR_SS_EUlSR_E_NS1_11comp_targetILNS1_3genE2ELNS1_11target_archE906ELNS1_3gpuE6ELNS1_3repE0EEENS1_30default_config_static_selectorELNS0_4arch9wavefront6targetE1EEEvT1_.has_indirect_call, 0
	.section	.AMDGPU.csdata,"",@progbits
; Kernel info:
; codeLenInByte = 0
; TotalNumSgprs: 6
; NumVgprs: 0
; NumAgprs: 0
; TotalNumVgprs: 0
; ScratchSize: 0
; MemoryBound: 0
; FloatMode: 240
; IeeeMode: 1
; LDSByteSize: 0 bytes/workgroup (compile time only)
; SGPRBlocks: 0
; VGPRBlocks: 0
; NumSGPRsForWavesPerEU: 6
; NumVGPRsForWavesPerEU: 1
; AccumOffset: 4
; Occupancy: 8
; WaveLimiterHint : 0
; COMPUTE_PGM_RSRC2:SCRATCH_EN: 0
; COMPUTE_PGM_RSRC2:USER_SGPR: 2
; COMPUTE_PGM_RSRC2:TRAP_HANDLER: 0
; COMPUTE_PGM_RSRC2:TGID_X_EN: 1
; COMPUTE_PGM_RSRC2:TGID_Y_EN: 0
; COMPUTE_PGM_RSRC2:TGID_Z_EN: 0
; COMPUTE_PGM_RSRC2:TIDIG_COMP_CNT: 0
; COMPUTE_PGM_RSRC3_GFX90A:ACCUM_OFFSET: 0
; COMPUTE_PGM_RSRC3_GFX90A:TG_SPLIT: 0
	.section	.text._ZN7rocprim17ROCPRIM_400000_NS6detail17trampoline_kernelINS0_14default_configENS1_20scan_config_selectorIdEEZZNS1_9scan_implILNS1_25lookback_scan_determinismE0ELb0ELb0ES3_PKdPddZZZN2at6native31launch_logcumsumexp_cuda_kernelERKNSB_10TensorBaseESF_lENKUlvE_clEvENKUlvE_clEvEUlddE_dEEDaPvRmT3_T4_T5_mT6_P12ihipStream_tbENKUlT_T0_E_clISt17integral_constantIbLb0EESW_EEDaSR_SS_EUlSR_E_NS1_11comp_targetILNS1_3genE10ELNS1_11target_archE1201ELNS1_3gpuE5ELNS1_3repE0EEENS1_30default_config_static_selectorELNS0_4arch9wavefront6targetE1EEEvT1_,"axG",@progbits,_ZN7rocprim17ROCPRIM_400000_NS6detail17trampoline_kernelINS0_14default_configENS1_20scan_config_selectorIdEEZZNS1_9scan_implILNS1_25lookback_scan_determinismE0ELb0ELb0ES3_PKdPddZZZN2at6native31launch_logcumsumexp_cuda_kernelERKNSB_10TensorBaseESF_lENKUlvE_clEvENKUlvE_clEvEUlddE_dEEDaPvRmT3_T4_T5_mT6_P12ihipStream_tbENKUlT_T0_E_clISt17integral_constantIbLb0EESW_EEDaSR_SS_EUlSR_E_NS1_11comp_targetILNS1_3genE10ELNS1_11target_archE1201ELNS1_3gpuE5ELNS1_3repE0EEENS1_30default_config_static_selectorELNS0_4arch9wavefront6targetE1EEEvT1_,comdat
	.globl	_ZN7rocprim17ROCPRIM_400000_NS6detail17trampoline_kernelINS0_14default_configENS1_20scan_config_selectorIdEEZZNS1_9scan_implILNS1_25lookback_scan_determinismE0ELb0ELb0ES3_PKdPddZZZN2at6native31launch_logcumsumexp_cuda_kernelERKNSB_10TensorBaseESF_lENKUlvE_clEvENKUlvE_clEvEUlddE_dEEDaPvRmT3_T4_T5_mT6_P12ihipStream_tbENKUlT_T0_E_clISt17integral_constantIbLb0EESW_EEDaSR_SS_EUlSR_E_NS1_11comp_targetILNS1_3genE10ELNS1_11target_archE1201ELNS1_3gpuE5ELNS1_3repE0EEENS1_30default_config_static_selectorELNS0_4arch9wavefront6targetE1EEEvT1_ ; -- Begin function _ZN7rocprim17ROCPRIM_400000_NS6detail17trampoline_kernelINS0_14default_configENS1_20scan_config_selectorIdEEZZNS1_9scan_implILNS1_25lookback_scan_determinismE0ELb0ELb0ES3_PKdPddZZZN2at6native31launch_logcumsumexp_cuda_kernelERKNSB_10TensorBaseESF_lENKUlvE_clEvENKUlvE_clEvEUlddE_dEEDaPvRmT3_T4_T5_mT6_P12ihipStream_tbENKUlT_T0_E_clISt17integral_constantIbLb0EESW_EEDaSR_SS_EUlSR_E_NS1_11comp_targetILNS1_3genE10ELNS1_11target_archE1201ELNS1_3gpuE5ELNS1_3repE0EEENS1_30default_config_static_selectorELNS0_4arch9wavefront6targetE1EEEvT1_
	.p2align	8
	.type	_ZN7rocprim17ROCPRIM_400000_NS6detail17trampoline_kernelINS0_14default_configENS1_20scan_config_selectorIdEEZZNS1_9scan_implILNS1_25lookback_scan_determinismE0ELb0ELb0ES3_PKdPddZZZN2at6native31launch_logcumsumexp_cuda_kernelERKNSB_10TensorBaseESF_lENKUlvE_clEvENKUlvE_clEvEUlddE_dEEDaPvRmT3_T4_T5_mT6_P12ihipStream_tbENKUlT_T0_E_clISt17integral_constantIbLb0EESW_EEDaSR_SS_EUlSR_E_NS1_11comp_targetILNS1_3genE10ELNS1_11target_archE1201ELNS1_3gpuE5ELNS1_3repE0EEENS1_30default_config_static_selectorELNS0_4arch9wavefront6targetE1EEEvT1_,@function
_ZN7rocprim17ROCPRIM_400000_NS6detail17trampoline_kernelINS0_14default_configENS1_20scan_config_selectorIdEEZZNS1_9scan_implILNS1_25lookback_scan_determinismE0ELb0ELb0ES3_PKdPddZZZN2at6native31launch_logcumsumexp_cuda_kernelERKNSB_10TensorBaseESF_lENKUlvE_clEvENKUlvE_clEvEUlddE_dEEDaPvRmT3_T4_T5_mT6_P12ihipStream_tbENKUlT_T0_E_clISt17integral_constantIbLb0EESW_EEDaSR_SS_EUlSR_E_NS1_11comp_targetILNS1_3genE10ELNS1_11target_archE1201ELNS1_3gpuE5ELNS1_3repE0EEENS1_30default_config_static_selectorELNS0_4arch9wavefront6targetE1EEEvT1_: ; @_ZN7rocprim17ROCPRIM_400000_NS6detail17trampoline_kernelINS0_14default_configENS1_20scan_config_selectorIdEEZZNS1_9scan_implILNS1_25lookback_scan_determinismE0ELb0ELb0ES3_PKdPddZZZN2at6native31launch_logcumsumexp_cuda_kernelERKNSB_10TensorBaseESF_lENKUlvE_clEvENKUlvE_clEvEUlddE_dEEDaPvRmT3_T4_T5_mT6_P12ihipStream_tbENKUlT_T0_E_clISt17integral_constantIbLb0EESW_EEDaSR_SS_EUlSR_E_NS1_11comp_targetILNS1_3genE10ELNS1_11target_archE1201ELNS1_3gpuE5ELNS1_3repE0EEENS1_30default_config_static_selectorELNS0_4arch9wavefront6targetE1EEEvT1_
; %bb.0:
	.section	.rodata,"a",@progbits
	.p2align	6, 0x0
	.amdhsa_kernel _ZN7rocprim17ROCPRIM_400000_NS6detail17trampoline_kernelINS0_14default_configENS1_20scan_config_selectorIdEEZZNS1_9scan_implILNS1_25lookback_scan_determinismE0ELb0ELb0ES3_PKdPddZZZN2at6native31launch_logcumsumexp_cuda_kernelERKNSB_10TensorBaseESF_lENKUlvE_clEvENKUlvE_clEvEUlddE_dEEDaPvRmT3_T4_T5_mT6_P12ihipStream_tbENKUlT_T0_E_clISt17integral_constantIbLb0EESW_EEDaSR_SS_EUlSR_E_NS1_11comp_targetILNS1_3genE10ELNS1_11target_archE1201ELNS1_3gpuE5ELNS1_3repE0EEENS1_30default_config_static_selectorELNS0_4arch9wavefront6targetE1EEEvT1_
		.amdhsa_group_segment_fixed_size 0
		.amdhsa_private_segment_fixed_size 0
		.amdhsa_kernarg_size 104
		.amdhsa_user_sgpr_count 2
		.amdhsa_user_sgpr_dispatch_ptr 0
		.amdhsa_user_sgpr_queue_ptr 0
		.amdhsa_user_sgpr_kernarg_segment_ptr 1
		.amdhsa_user_sgpr_dispatch_id 0
		.amdhsa_user_sgpr_kernarg_preload_length 0
		.amdhsa_user_sgpr_kernarg_preload_offset 0
		.amdhsa_user_sgpr_private_segment_size 0
		.amdhsa_uses_dynamic_stack 0
		.amdhsa_enable_private_segment 0
		.amdhsa_system_sgpr_workgroup_id_x 1
		.amdhsa_system_sgpr_workgroup_id_y 0
		.amdhsa_system_sgpr_workgroup_id_z 0
		.amdhsa_system_sgpr_workgroup_info 0
		.amdhsa_system_vgpr_workitem_id 0
		.amdhsa_next_free_vgpr 1
		.amdhsa_next_free_sgpr 0
		.amdhsa_accum_offset 4
		.amdhsa_reserve_vcc 0
		.amdhsa_float_round_mode_32 0
		.amdhsa_float_round_mode_16_64 0
		.amdhsa_float_denorm_mode_32 3
		.amdhsa_float_denorm_mode_16_64 3
		.amdhsa_dx10_clamp 1
		.amdhsa_ieee_mode 1
		.amdhsa_fp16_overflow 0
		.amdhsa_tg_split 0
		.amdhsa_exception_fp_ieee_invalid_op 0
		.amdhsa_exception_fp_denorm_src 0
		.amdhsa_exception_fp_ieee_div_zero 0
		.amdhsa_exception_fp_ieee_overflow 0
		.amdhsa_exception_fp_ieee_underflow 0
		.amdhsa_exception_fp_ieee_inexact 0
		.amdhsa_exception_int_div_zero 0
	.end_amdhsa_kernel
	.section	.text._ZN7rocprim17ROCPRIM_400000_NS6detail17trampoline_kernelINS0_14default_configENS1_20scan_config_selectorIdEEZZNS1_9scan_implILNS1_25lookback_scan_determinismE0ELb0ELb0ES3_PKdPddZZZN2at6native31launch_logcumsumexp_cuda_kernelERKNSB_10TensorBaseESF_lENKUlvE_clEvENKUlvE_clEvEUlddE_dEEDaPvRmT3_T4_T5_mT6_P12ihipStream_tbENKUlT_T0_E_clISt17integral_constantIbLb0EESW_EEDaSR_SS_EUlSR_E_NS1_11comp_targetILNS1_3genE10ELNS1_11target_archE1201ELNS1_3gpuE5ELNS1_3repE0EEENS1_30default_config_static_selectorELNS0_4arch9wavefront6targetE1EEEvT1_,"axG",@progbits,_ZN7rocprim17ROCPRIM_400000_NS6detail17trampoline_kernelINS0_14default_configENS1_20scan_config_selectorIdEEZZNS1_9scan_implILNS1_25lookback_scan_determinismE0ELb0ELb0ES3_PKdPddZZZN2at6native31launch_logcumsumexp_cuda_kernelERKNSB_10TensorBaseESF_lENKUlvE_clEvENKUlvE_clEvEUlddE_dEEDaPvRmT3_T4_T5_mT6_P12ihipStream_tbENKUlT_T0_E_clISt17integral_constantIbLb0EESW_EEDaSR_SS_EUlSR_E_NS1_11comp_targetILNS1_3genE10ELNS1_11target_archE1201ELNS1_3gpuE5ELNS1_3repE0EEENS1_30default_config_static_selectorELNS0_4arch9wavefront6targetE1EEEvT1_,comdat
.Lfunc_end6:
	.size	_ZN7rocprim17ROCPRIM_400000_NS6detail17trampoline_kernelINS0_14default_configENS1_20scan_config_selectorIdEEZZNS1_9scan_implILNS1_25lookback_scan_determinismE0ELb0ELb0ES3_PKdPddZZZN2at6native31launch_logcumsumexp_cuda_kernelERKNSB_10TensorBaseESF_lENKUlvE_clEvENKUlvE_clEvEUlddE_dEEDaPvRmT3_T4_T5_mT6_P12ihipStream_tbENKUlT_T0_E_clISt17integral_constantIbLb0EESW_EEDaSR_SS_EUlSR_E_NS1_11comp_targetILNS1_3genE10ELNS1_11target_archE1201ELNS1_3gpuE5ELNS1_3repE0EEENS1_30default_config_static_selectorELNS0_4arch9wavefront6targetE1EEEvT1_, .Lfunc_end6-_ZN7rocprim17ROCPRIM_400000_NS6detail17trampoline_kernelINS0_14default_configENS1_20scan_config_selectorIdEEZZNS1_9scan_implILNS1_25lookback_scan_determinismE0ELb0ELb0ES3_PKdPddZZZN2at6native31launch_logcumsumexp_cuda_kernelERKNSB_10TensorBaseESF_lENKUlvE_clEvENKUlvE_clEvEUlddE_dEEDaPvRmT3_T4_T5_mT6_P12ihipStream_tbENKUlT_T0_E_clISt17integral_constantIbLb0EESW_EEDaSR_SS_EUlSR_E_NS1_11comp_targetILNS1_3genE10ELNS1_11target_archE1201ELNS1_3gpuE5ELNS1_3repE0EEENS1_30default_config_static_selectorELNS0_4arch9wavefront6targetE1EEEvT1_
                                        ; -- End function
	.set _ZN7rocprim17ROCPRIM_400000_NS6detail17trampoline_kernelINS0_14default_configENS1_20scan_config_selectorIdEEZZNS1_9scan_implILNS1_25lookback_scan_determinismE0ELb0ELb0ES3_PKdPddZZZN2at6native31launch_logcumsumexp_cuda_kernelERKNSB_10TensorBaseESF_lENKUlvE_clEvENKUlvE_clEvEUlddE_dEEDaPvRmT3_T4_T5_mT6_P12ihipStream_tbENKUlT_T0_E_clISt17integral_constantIbLb0EESW_EEDaSR_SS_EUlSR_E_NS1_11comp_targetILNS1_3genE10ELNS1_11target_archE1201ELNS1_3gpuE5ELNS1_3repE0EEENS1_30default_config_static_selectorELNS0_4arch9wavefront6targetE1EEEvT1_.num_vgpr, 0
	.set _ZN7rocprim17ROCPRIM_400000_NS6detail17trampoline_kernelINS0_14default_configENS1_20scan_config_selectorIdEEZZNS1_9scan_implILNS1_25lookback_scan_determinismE0ELb0ELb0ES3_PKdPddZZZN2at6native31launch_logcumsumexp_cuda_kernelERKNSB_10TensorBaseESF_lENKUlvE_clEvENKUlvE_clEvEUlddE_dEEDaPvRmT3_T4_T5_mT6_P12ihipStream_tbENKUlT_T0_E_clISt17integral_constantIbLb0EESW_EEDaSR_SS_EUlSR_E_NS1_11comp_targetILNS1_3genE10ELNS1_11target_archE1201ELNS1_3gpuE5ELNS1_3repE0EEENS1_30default_config_static_selectorELNS0_4arch9wavefront6targetE1EEEvT1_.num_agpr, 0
	.set _ZN7rocprim17ROCPRIM_400000_NS6detail17trampoline_kernelINS0_14default_configENS1_20scan_config_selectorIdEEZZNS1_9scan_implILNS1_25lookback_scan_determinismE0ELb0ELb0ES3_PKdPddZZZN2at6native31launch_logcumsumexp_cuda_kernelERKNSB_10TensorBaseESF_lENKUlvE_clEvENKUlvE_clEvEUlddE_dEEDaPvRmT3_T4_T5_mT6_P12ihipStream_tbENKUlT_T0_E_clISt17integral_constantIbLb0EESW_EEDaSR_SS_EUlSR_E_NS1_11comp_targetILNS1_3genE10ELNS1_11target_archE1201ELNS1_3gpuE5ELNS1_3repE0EEENS1_30default_config_static_selectorELNS0_4arch9wavefront6targetE1EEEvT1_.numbered_sgpr, 0
	.set _ZN7rocprim17ROCPRIM_400000_NS6detail17trampoline_kernelINS0_14default_configENS1_20scan_config_selectorIdEEZZNS1_9scan_implILNS1_25lookback_scan_determinismE0ELb0ELb0ES3_PKdPddZZZN2at6native31launch_logcumsumexp_cuda_kernelERKNSB_10TensorBaseESF_lENKUlvE_clEvENKUlvE_clEvEUlddE_dEEDaPvRmT3_T4_T5_mT6_P12ihipStream_tbENKUlT_T0_E_clISt17integral_constantIbLb0EESW_EEDaSR_SS_EUlSR_E_NS1_11comp_targetILNS1_3genE10ELNS1_11target_archE1201ELNS1_3gpuE5ELNS1_3repE0EEENS1_30default_config_static_selectorELNS0_4arch9wavefront6targetE1EEEvT1_.num_named_barrier, 0
	.set _ZN7rocprim17ROCPRIM_400000_NS6detail17trampoline_kernelINS0_14default_configENS1_20scan_config_selectorIdEEZZNS1_9scan_implILNS1_25lookback_scan_determinismE0ELb0ELb0ES3_PKdPddZZZN2at6native31launch_logcumsumexp_cuda_kernelERKNSB_10TensorBaseESF_lENKUlvE_clEvENKUlvE_clEvEUlddE_dEEDaPvRmT3_T4_T5_mT6_P12ihipStream_tbENKUlT_T0_E_clISt17integral_constantIbLb0EESW_EEDaSR_SS_EUlSR_E_NS1_11comp_targetILNS1_3genE10ELNS1_11target_archE1201ELNS1_3gpuE5ELNS1_3repE0EEENS1_30default_config_static_selectorELNS0_4arch9wavefront6targetE1EEEvT1_.private_seg_size, 0
	.set _ZN7rocprim17ROCPRIM_400000_NS6detail17trampoline_kernelINS0_14default_configENS1_20scan_config_selectorIdEEZZNS1_9scan_implILNS1_25lookback_scan_determinismE0ELb0ELb0ES3_PKdPddZZZN2at6native31launch_logcumsumexp_cuda_kernelERKNSB_10TensorBaseESF_lENKUlvE_clEvENKUlvE_clEvEUlddE_dEEDaPvRmT3_T4_T5_mT6_P12ihipStream_tbENKUlT_T0_E_clISt17integral_constantIbLb0EESW_EEDaSR_SS_EUlSR_E_NS1_11comp_targetILNS1_3genE10ELNS1_11target_archE1201ELNS1_3gpuE5ELNS1_3repE0EEENS1_30default_config_static_selectorELNS0_4arch9wavefront6targetE1EEEvT1_.uses_vcc, 0
	.set _ZN7rocprim17ROCPRIM_400000_NS6detail17trampoline_kernelINS0_14default_configENS1_20scan_config_selectorIdEEZZNS1_9scan_implILNS1_25lookback_scan_determinismE0ELb0ELb0ES3_PKdPddZZZN2at6native31launch_logcumsumexp_cuda_kernelERKNSB_10TensorBaseESF_lENKUlvE_clEvENKUlvE_clEvEUlddE_dEEDaPvRmT3_T4_T5_mT6_P12ihipStream_tbENKUlT_T0_E_clISt17integral_constantIbLb0EESW_EEDaSR_SS_EUlSR_E_NS1_11comp_targetILNS1_3genE10ELNS1_11target_archE1201ELNS1_3gpuE5ELNS1_3repE0EEENS1_30default_config_static_selectorELNS0_4arch9wavefront6targetE1EEEvT1_.uses_flat_scratch, 0
	.set _ZN7rocprim17ROCPRIM_400000_NS6detail17trampoline_kernelINS0_14default_configENS1_20scan_config_selectorIdEEZZNS1_9scan_implILNS1_25lookback_scan_determinismE0ELb0ELb0ES3_PKdPddZZZN2at6native31launch_logcumsumexp_cuda_kernelERKNSB_10TensorBaseESF_lENKUlvE_clEvENKUlvE_clEvEUlddE_dEEDaPvRmT3_T4_T5_mT6_P12ihipStream_tbENKUlT_T0_E_clISt17integral_constantIbLb0EESW_EEDaSR_SS_EUlSR_E_NS1_11comp_targetILNS1_3genE10ELNS1_11target_archE1201ELNS1_3gpuE5ELNS1_3repE0EEENS1_30default_config_static_selectorELNS0_4arch9wavefront6targetE1EEEvT1_.has_dyn_sized_stack, 0
	.set _ZN7rocprim17ROCPRIM_400000_NS6detail17trampoline_kernelINS0_14default_configENS1_20scan_config_selectorIdEEZZNS1_9scan_implILNS1_25lookback_scan_determinismE0ELb0ELb0ES3_PKdPddZZZN2at6native31launch_logcumsumexp_cuda_kernelERKNSB_10TensorBaseESF_lENKUlvE_clEvENKUlvE_clEvEUlddE_dEEDaPvRmT3_T4_T5_mT6_P12ihipStream_tbENKUlT_T0_E_clISt17integral_constantIbLb0EESW_EEDaSR_SS_EUlSR_E_NS1_11comp_targetILNS1_3genE10ELNS1_11target_archE1201ELNS1_3gpuE5ELNS1_3repE0EEENS1_30default_config_static_selectorELNS0_4arch9wavefront6targetE1EEEvT1_.has_recursion, 0
	.set _ZN7rocprim17ROCPRIM_400000_NS6detail17trampoline_kernelINS0_14default_configENS1_20scan_config_selectorIdEEZZNS1_9scan_implILNS1_25lookback_scan_determinismE0ELb0ELb0ES3_PKdPddZZZN2at6native31launch_logcumsumexp_cuda_kernelERKNSB_10TensorBaseESF_lENKUlvE_clEvENKUlvE_clEvEUlddE_dEEDaPvRmT3_T4_T5_mT6_P12ihipStream_tbENKUlT_T0_E_clISt17integral_constantIbLb0EESW_EEDaSR_SS_EUlSR_E_NS1_11comp_targetILNS1_3genE10ELNS1_11target_archE1201ELNS1_3gpuE5ELNS1_3repE0EEENS1_30default_config_static_selectorELNS0_4arch9wavefront6targetE1EEEvT1_.has_indirect_call, 0
	.section	.AMDGPU.csdata,"",@progbits
; Kernel info:
; codeLenInByte = 0
; TotalNumSgprs: 6
; NumVgprs: 0
; NumAgprs: 0
; TotalNumVgprs: 0
; ScratchSize: 0
; MemoryBound: 0
; FloatMode: 240
; IeeeMode: 1
; LDSByteSize: 0 bytes/workgroup (compile time only)
; SGPRBlocks: 0
; VGPRBlocks: 0
; NumSGPRsForWavesPerEU: 6
; NumVGPRsForWavesPerEU: 1
; AccumOffset: 4
; Occupancy: 8
; WaveLimiterHint : 0
; COMPUTE_PGM_RSRC2:SCRATCH_EN: 0
; COMPUTE_PGM_RSRC2:USER_SGPR: 2
; COMPUTE_PGM_RSRC2:TRAP_HANDLER: 0
; COMPUTE_PGM_RSRC2:TGID_X_EN: 1
; COMPUTE_PGM_RSRC2:TGID_Y_EN: 0
; COMPUTE_PGM_RSRC2:TGID_Z_EN: 0
; COMPUTE_PGM_RSRC2:TIDIG_COMP_CNT: 0
; COMPUTE_PGM_RSRC3_GFX90A:ACCUM_OFFSET: 0
; COMPUTE_PGM_RSRC3_GFX90A:TG_SPLIT: 0
	.section	.text._ZN7rocprim17ROCPRIM_400000_NS6detail17trampoline_kernelINS0_14default_configENS1_20scan_config_selectorIdEEZZNS1_9scan_implILNS1_25lookback_scan_determinismE0ELb0ELb0ES3_PKdPddZZZN2at6native31launch_logcumsumexp_cuda_kernelERKNSB_10TensorBaseESF_lENKUlvE_clEvENKUlvE_clEvEUlddE_dEEDaPvRmT3_T4_T5_mT6_P12ihipStream_tbENKUlT_T0_E_clISt17integral_constantIbLb0EESW_EEDaSR_SS_EUlSR_E_NS1_11comp_targetILNS1_3genE10ELNS1_11target_archE1200ELNS1_3gpuE4ELNS1_3repE0EEENS1_30default_config_static_selectorELNS0_4arch9wavefront6targetE1EEEvT1_,"axG",@progbits,_ZN7rocprim17ROCPRIM_400000_NS6detail17trampoline_kernelINS0_14default_configENS1_20scan_config_selectorIdEEZZNS1_9scan_implILNS1_25lookback_scan_determinismE0ELb0ELb0ES3_PKdPddZZZN2at6native31launch_logcumsumexp_cuda_kernelERKNSB_10TensorBaseESF_lENKUlvE_clEvENKUlvE_clEvEUlddE_dEEDaPvRmT3_T4_T5_mT6_P12ihipStream_tbENKUlT_T0_E_clISt17integral_constantIbLb0EESW_EEDaSR_SS_EUlSR_E_NS1_11comp_targetILNS1_3genE10ELNS1_11target_archE1200ELNS1_3gpuE4ELNS1_3repE0EEENS1_30default_config_static_selectorELNS0_4arch9wavefront6targetE1EEEvT1_,comdat
	.globl	_ZN7rocprim17ROCPRIM_400000_NS6detail17trampoline_kernelINS0_14default_configENS1_20scan_config_selectorIdEEZZNS1_9scan_implILNS1_25lookback_scan_determinismE0ELb0ELb0ES3_PKdPddZZZN2at6native31launch_logcumsumexp_cuda_kernelERKNSB_10TensorBaseESF_lENKUlvE_clEvENKUlvE_clEvEUlddE_dEEDaPvRmT3_T4_T5_mT6_P12ihipStream_tbENKUlT_T0_E_clISt17integral_constantIbLb0EESW_EEDaSR_SS_EUlSR_E_NS1_11comp_targetILNS1_3genE10ELNS1_11target_archE1200ELNS1_3gpuE4ELNS1_3repE0EEENS1_30default_config_static_selectorELNS0_4arch9wavefront6targetE1EEEvT1_ ; -- Begin function _ZN7rocprim17ROCPRIM_400000_NS6detail17trampoline_kernelINS0_14default_configENS1_20scan_config_selectorIdEEZZNS1_9scan_implILNS1_25lookback_scan_determinismE0ELb0ELb0ES3_PKdPddZZZN2at6native31launch_logcumsumexp_cuda_kernelERKNSB_10TensorBaseESF_lENKUlvE_clEvENKUlvE_clEvEUlddE_dEEDaPvRmT3_T4_T5_mT6_P12ihipStream_tbENKUlT_T0_E_clISt17integral_constantIbLb0EESW_EEDaSR_SS_EUlSR_E_NS1_11comp_targetILNS1_3genE10ELNS1_11target_archE1200ELNS1_3gpuE4ELNS1_3repE0EEENS1_30default_config_static_selectorELNS0_4arch9wavefront6targetE1EEEvT1_
	.p2align	8
	.type	_ZN7rocprim17ROCPRIM_400000_NS6detail17trampoline_kernelINS0_14default_configENS1_20scan_config_selectorIdEEZZNS1_9scan_implILNS1_25lookback_scan_determinismE0ELb0ELb0ES3_PKdPddZZZN2at6native31launch_logcumsumexp_cuda_kernelERKNSB_10TensorBaseESF_lENKUlvE_clEvENKUlvE_clEvEUlddE_dEEDaPvRmT3_T4_T5_mT6_P12ihipStream_tbENKUlT_T0_E_clISt17integral_constantIbLb0EESW_EEDaSR_SS_EUlSR_E_NS1_11comp_targetILNS1_3genE10ELNS1_11target_archE1200ELNS1_3gpuE4ELNS1_3repE0EEENS1_30default_config_static_selectorELNS0_4arch9wavefront6targetE1EEEvT1_,@function
_ZN7rocprim17ROCPRIM_400000_NS6detail17trampoline_kernelINS0_14default_configENS1_20scan_config_selectorIdEEZZNS1_9scan_implILNS1_25lookback_scan_determinismE0ELb0ELb0ES3_PKdPddZZZN2at6native31launch_logcumsumexp_cuda_kernelERKNSB_10TensorBaseESF_lENKUlvE_clEvENKUlvE_clEvEUlddE_dEEDaPvRmT3_T4_T5_mT6_P12ihipStream_tbENKUlT_T0_E_clISt17integral_constantIbLb0EESW_EEDaSR_SS_EUlSR_E_NS1_11comp_targetILNS1_3genE10ELNS1_11target_archE1200ELNS1_3gpuE4ELNS1_3repE0EEENS1_30default_config_static_selectorELNS0_4arch9wavefront6targetE1EEEvT1_: ; @_ZN7rocprim17ROCPRIM_400000_NS6detail17trampoline_kernelINS0_14default_configENS1_20scan_config_selectorIdEEZZNS1_9scan_implILNS1_25lookback_scan_determinismE0ELb0ELb0ES3_PKdPddZZZN2at6native31launch_logcumsumexp_cuda_kernelERKNSB_10TensorBaseESF_lENKUlvE_clEvENKUlvE_clEvEUlddE_dEEDaPvRmT3_T4_T5_mT6_P12ihipStream_tbENKUlT_T0_E_clISt17integral_constantIbLb0EESW_EEDaSR_SS_EUlSR_E_NS1_11comp_targetILNS1_3genE10ELNS1_11target_archE1200ELNS1_3gpuE4ELNS1_3repE0EEENS1_30default_config_static_selectorELNS0_4arch9wavefront6targetE1EEEvT1_
; %bb.0:
	.section	.rodata,"a",@progbits
	.p2align	6, 0x0
	.amdhsa_kernel _ZN7rocprim17ROCPRIM_400000_NS6detail17trampoline_kernelINS0_14default_configENS1_20scan_config_selectorIdEEZZNS1_9scan_implILNS1_25lookback_scan_determinismE0ELb0ELb0ES3_PKdPddZZZN2at6native31launch_logcumsumexp_cuda_kernelERKNSB_10TensorBaseESF_lENKUlvE_clEvENKUlvE_clEvEUlddE_dEEDaPvRmT3_T4_T5_mT6_P12ihipStream_tbENKUlT_T0_E_clISt17integral_constantIbLb0EESW_EEDaSR_SS_EUlSR_E_NS1_11comp_targetILNS1_3genE10ELNS1_11target_archE1200ELNS1_3gpuE4ELNS1_3repE0EEENS1_30default_config_static_selectorELNS0_4arch9wavefront6targetE1EEEvT1_
		.amdhsa_group_segment_fixed_size 0
		.amdhsa_private_segment_fixed_size 0
		.amdhsa_kernarg_size 104
		.amdhsa_user_sgpr_count 2
		.amdhsa_user_sgpr_dispatch_ptr 0
		.amdhsa_user_sgpr_queue_ptr 0
		.amdhsa_user_sgpr_kernarg_segment_ptr 1
		.amdhsa_user_sgpr_dispatch_id 0
		.amdhsa_user_sgpr_kernarg_preload_length 0
		.amdhsa_user_sgpr_kernarg_preload_offset 0
		.amdhsa_user_sgpr_private_segment_size 0
		.amdhsa_uses_dynamic_stack 0
		.amdhsa_enable_private_segment 0
		.amdhsa_system_sgpr_workgroup_id_x 1
		.amdhsa_system_sgpr_workgroup_id_y 0
		.amdhsa_system_sgpr_workgroup_id_z 0
		.amdhsa_system_sgpr_workgroup_info 0
		.amdhsa_system_vgpr_workitem_id 0
		.amdhsa_next_free_vgpr 1
		.amdhsa_next_free_sgpr 0
		.amdhsa_accum_offset 4
		.amdhsa_reserve_vcc 0
		.amdhsa_float_round_mode_32 0
		.amdhsa_float_round_mode_16_64 0
		.amdhsa_float_denorm_mode_32 3
		.amdhsa_float_denorm_mode_16_64 3
		.amdhsa_dx10_clamp 1
		.amdhsa_ieee_mode 1
		.amdhsa_fp16_overflow 0
		.amdhsa_tg_split 0
		.amdhsa_exception_fp_ieee_invalid_op 0
		.amdhsa_exception_fp_denorm_src 0
		.amdhsa_exception_fp_ieee_div_zero 0
		.amdhsa_exception_fp_ieee_overflow 0
		.amdhsa_exception_fp_ieee_underflow 0
		.amdhsa_exception_fp_ieee_inexact 0
		.amdhsa_exception_int_div_zero 0
	.end_amdhsa_kernel
	.section	.text._ZN7rocprim17ROCPRIM_400000_NS6detail17trampoline_kernelINS0_14default_configENS1_20scan_config_selectorIdEEZZNS1_9scan_implILNS1_25lookback_scan_determinismE0ELb0ELb0ES3_PKdPddZZZN2at6native31launch_logcumsumexp_cuda_kernelERKNSB_10TensorBaseESF_lENKUlvE_clEvENKUlvE_clEvEUlddE_dEEDaPvRmT3_T4_T5_mT6_P12ihipStream_tbENKUlT_T0_E_clISt17integral_constantIbLb0EESW_EEDaSR_SS_EUlSR_E_NS1_11comp_targetILNS1_3genE10ELNS1_11target_archE1200ELNS1_3gpuE4ELNS1_3repE0EEENS1_30default_config_static_selectorELNS0_4arch9wavefront6targetE1EEEvT1_,"axG",@progbits,_ZN7rocprim17ROCPRIM_400000_NS6detail17trampoline_kernelINS0_14default_configENS1_20scan_config_selectorIdEEZZNS1_9scan_implILNS1_25lookback_scan_determinismE0ELb0ELb0ES3_PKdPddZZZN2at6native31launch_logcumsumexp_cuda_kernelERKNSB_10TensorBaseESF_lENKUlvE_clEvENKUlvE_clEvEUlddE_dEEDaPvRmT3_T4_T5_mT6_P12ihipStream_tbENKUlT_T0_E_clISt17integral_constantIbLb0EESW_EEDaSR_SS_EUlSR_E_NS1_11comp_targetILNS1_3genE10ELNS1_11target_archE1200ELNS1_3gpuE4ELNS1_3repE0EEENS1_30default_config_static_selectorELNS0_4arch9wavefront6targetE1EEEvT1_,comdat
.Lfunc_end7:
	.size	_ZN7rocprim17ROCPRIM_400000_NS6detail17trampoline_kernelINS0_14default_configENS1_20scan_config_selectorIdEEZZNS1_9scan_implILNS1_25lookback_scan_determinismE0ELb0ELb0ES3_PKdPddZZZN2at6native31launch_logcumsumexp_cuda_kernelERKNSB_10TensorBaseESF_lENKUlvE_clEvENKUlvE_clEvEUlddE_dEEDaPvRmT3_T4_T5_mT6_P12ihipStream_tbENKUlT_T0_E_clISt17integral_constantIbLb0EESW_EEDaSR_SS_EUlSR_E_NS1_11comp_targetILNS1_3genE10ELNS1_11target_archE1200ELNS1_3gpuE4ELNS1_3repE0EEENS1_30default_config_static_selectorELNS0_4arch9wavefront6targetE1EEEvT1_, .Lfunc_end7-_ZN7rocprim17ROCPRIM_400000_NS6detail17trampoline_kernelINS0_14default_configENS1_20scan_config_selectorIdEEZZNS1_9scan_implILNS1_25lookback_scan_determinismE0ELb0ELb0ES3_PKdPddZZZN2at6native31launch_logcumsumexp_cuda_kernelERKNSB_10TensorBaseESF_lENKUlvE_clEvENKUlvE_clEvEUlddE_dEEDaPvRmT3_T4_T5_mT6_P12ihipStream_tbENKUlT_T0_E_clISt17integral_constantIbLb0EESW_EEDaSR_SS_EUlSR_E_NS1_11comp_targetILNS1_3genE10ELNS1_11target_archE1200ELNS1_3gpuE4ELNS1_3repE0EEENS1_30default_config_static_selectorELNS0_4arch9wavefront6targetE1EEEvT1_
                                        ; -- End function
	.set _ZN7rocprim17ROCPRIM_400000_NS6detail17trampoline_kernelINS0_14default_configENS1_20scan_config_selectorIdEEZZNS1_9scan_implILNS1_25lookback_scan_determinismE0ELb0ELb0ES3_PKdPddZZZN2at6native31launch_logcumsumexp_cuda_kernelERKNSB_10TensorBaseESF_lENKUlvE_clEvENKUlvE_clEvEUlddE_dEEDaPvRmT3_T4_T5_mT6_P12ihipStream_tbENKUlT_T0_E_clISt17integral_constantIbLb0EESW_EEDaSR_SS_EUlSR_E_NS1_11comp_targetILNS1_3genE10ELNS1_11target_archE1200ELNS1_3gpuE4ELNS1_3repE0EEENS1_30default_config_static_selectorELNS0_4arch9wavefront6targetE1EEEvT1_.num_vgpr, 0
	.set _ZN7rocprim17ROCPRIM_400000_NS6detail17trampoline_kernelINS0_14default_configENS1_20scan_config_selectorIdEEZZNS1_9scan_implILNS1_25lookback_scan_determinismE0ELb0ELb0ES3_PKdPddZZZN2at6native31launch_logcumsumexp_cuda_kernelERKNSB_10TensorBaseESF_lENKUlvE_clEvENKUlvE_clEvEUlddE_dEEDaPvRmT3_T4_T5_mT6_P12ihipStream_tbENKUlT_T0_E_clISt17integral_constantIbLb0EESW_EEDaSR_SS_EUlSR_E_NS1_11comp_targetILNS1_3genE10ELNS1_11target_archE1200ELNS1_3gpuE4ELNS1_3repE0EEENS1_30default_config_static_selectorELNS0_4arch9wavefront6targetE1EEEvT1_.num_agpr, 0
	.set _ZN7rocprim17ROCPRIM_400000_NS6detail17trampoline_kernelINS0_14default_configENS1_20scan_config_selectorIdEEZZNS1_9scan_implILNS1_25lookback_scan_determinismE0ELb0ELb0ES3_PKdPddZZZN2at6native31launch_logcumsumexp_cuda_kernelERKNSB_10TensorBaseESF_lENKUlvE_clEvENKUlvE_clEvEUlddE_dEEDaPvRmT3_T4_T5_mT6_P12ihipStream_tbENKUlT_T0_E_clISt17integral_constantIbLb0EESW_EEDaSR_SS_EUlSR_E_NS1_11comp_targetILNS1_3genE10ELNS1_11target_archE1200ELNS1_3gpuE4ELNS1_3repE0EEENS1_30default_config_static_selectorELNS0_4arch9wavefront6targetE1EEEvT1_.numbered_sgpr, 0
	.set _ZN7rocprim17ROCPRIM_400000_NS6detail17trampoline_kernelINS0_14default_configENS1_20scan_config_selectorIdEEZZNS1_9scan_implILNS1_25lookback_scan_determinismE0ELb0ELb0ES3_PKdPddZZZN2at6native31launch_logcumsumexp_cuda_kernelERKNSB_10TensorBaseESF_lENKUlvE_clEvENKUlvE_clEvEUlddE_dEEDaPvRmT3_T4_T5_mT6_P12ihipStream_tbENKUlT_T0_E_clISt17integral_constantIbLb0EESW_EEDaSR_SS_EUlSR_E_NS1_11comp_targetILNS1_3genE10ELNS1_11target_archE1200ELNS1_3gpuE4ELNS1_3repE0EEENS1_30default_config_static_selectorELNS0_4arch9wavefront6targetE1EEEvT1_.num_named_barrier, 0
	.set _ZN7rocprim17ROCPRIM_400000_NS6detail17trampoline_kernelINS0_14default_configENS1_20scan_config_selectorIdEEZZNS1_9scan_implILNS1_25lookback_scan_determinismE0ELb0ELb0ES3_PKdPddZZZN2at6native31launch_logcumsumexp_cuda_kernelERKNSB_10TensorBaseESF_lENKUlvE_clEvENKUlvE_clEvEUlddE_dEEDaPvRmT3_T4_T5_mT6_P12ihipStream_tbENKUlT_T0_E_clISt17integral_constantIbLb0EESW_EEDaSR_SS_EUlSR_E_NS1_11comp_targetILNS1_3genE10ELNS1_11target_archE1200ELNS1_3gpuE4ELNS1_3repE0EEENS1_30default_config_static_selectorELNS0_4arch9wavefront6targetE1EEEvT1_.private_seg_size, 0
	.set _ZN7rocprim17ROCPRIM_400000_NS6detail17trampoline_kernelINS0_14default_configENS1_20scan_config_selectorIdEEZZNS1_9scan_implILNS1_25lookback_scan_determinismE0ELb0ELb0ES3_PKdPddZZZN2at6native31launch_logcumsumexp_cuda_kernelERKNSB_10TensorBaseESF_lENKUlvE_clEvENKUlvE_clEvEUlddE_dEEDaPvRmT3_T4_T5_mT6_P12ihipStream_tbENKUlT_T0_E_clISt17integral_constantIbLb0EESW_EEDaSR_SS_EUlSR_E_NS1_11comp_targetILNS1_3genE10ELNS1_11target_archE1200ELNS1_3gpuE4ELNS1_3repE0EEENS1_30default_config_static_selectorELNS0_4arch9wavefront6targetE1EEEvT1_.uses_vcc, 0
	.set _ZN7rocprim17ROCPRIM_400000_NS6detail17trampoline_kernelINS0_14default_configENS1_20scan_config_selectorIdEEZZNS1_9scan_implILNS1_25lookback_scan_determinismE0ELb0ELb0ES3_PKdPddZZZN2at6native31launch_logcumsumexp_cuda_kernelERKNSB_10TensorBaseESF_lENKUlvE_clEvENKUlvE_clEvEUlddE_dEEDaPvRmT3_T4_T5_mT6_P12ihipStream_tbENKUlT_T0_E_clISt17integral_constantIbLb0EESW_EEDaSR_SS_EUlSR_E_NS1_11comp_targetILNS1_3genE10ELNS1_11target_archE1200ELNS1_3gpuE4ELNS1_3repE0EEENS1_30default_config_static_selectorELNS0_4arch9wavefront6targetE1EEEvT1_.uses_flat_scratch, 0
	.set _ZN7rocprim17ROCPRIM_400000_NS6detail17trampoline_kernelINS0_14default_configENS1_20scan_config_selectorIdEEZZNS1_9scan_implILNS1_25lookback_scan_determinismE0ELb0ELb0ES3_PKdPddZZZN2at6native31launch_logcumsumexp_cuda_kernelERKNSB_10TensorBaseESF_lENKUlvE_clEvENKUlvE_clEvEUlddE_dEEDaPvRmT3_T4_T5_mT6_P12ihipStream_tbENKUlT_T0_E_clISt17integral_constantIbLb0EESW_EEDaSR_SS_EUlSR_E_NS1_11comp_targetILNS1_3genE10ELNS1_11target_archE1200ELNS1_3gpuE4ELNS1_3repE0EEENS1_30default_config_static_selectorELNS0_4arch9wavefront6targetE1EEEvT1_.has_dyn_sized_stack, 0
	.set _ZN7rocprim17ROCPRIM_400000_NS6detail17trampoline_kernelINS0_14default_configENS1_20scan_config_selectorIdEEZZNS1_9scan_implILNS1_25lookback_scan_determinismE0ELb0ELb0ES3_PKdPddZZZN2at6native31launch_logcumsumexp_cuda_kernelERKNSB_10TensorBaseESF_lENKUlvE_clEvENKUlvE_clEvEUlddE_dEEDaPvRmT3_T4_T5_mT6_P12ihipStream_tbENKUlT_T0_E_clISt17integral_constantIbLb0EESW_EEDaSR_SS_EUlSR_E_NS1_11comp_targetILNS1_3genE10ELNS1_11target_archE1200ELNS1_3gpuE4ELNS1_3repE0EEENS1_30default_config_static_selectorELNS0_4arch9wavefront6targetE1EEEvT1_.has_recursion, 0
	.set _ZN7rocprim17ROCPRIM_400000_NS6detail17trampoline_kernelINS0_14default_configENS1_20scan_config_selectorIdEEZZNS1_9scan_implILNS1_25lookback_scan_determinismE0ELb0ELb0ES3_PKdPddZZZN2at6native31launch_logcumsumexp_cuda_kernelERKNSB_10TensorBaseESF_lENKUlvE_clEvENKUlvE_clEvEUlddE_dEEDaPvRmT3_T4_T5_mT6_P12ihipStream_tbENKUlT_T0_E_clISt17integral_constantIbLb0EESW_EEDaSR_SS_EUlSR_E_NS1_11comp_targetILNS1_3genE10ELNS1_11target_archE1200ELNS1_3gpuE4ELNS1_3repE0EEENS1_30default_config_static_selectorELNS0_4arch9wavefront6targetE1EEEvT1_.has_indirect_call, 0
	.section	.AMDGPU.csdata,"",@progbits
; Kernel info:
; codeLenInByte = 0
; TotalNumSgprs: 6
; NumVgprs: 0
; NumAgprs: 0
; TotalNumVgprs: 0
; ScratchSize: 0
; MemoryBound: 0
; FloatMode: 240
; IeeeMode: 1
; LDSByteSize: 0 bytes/workgroup (compile time only)
; SGPRBlocks: 0
; VGPRBlocks: 0
; NumSGPRsForWavesPerEU: 6
; NumVGPRsForWavesPerEU: 1
; AccumOffset: 4
; Occupancy: 8
; WaveLimiterHint : 0
; COMPUTE_PGM_RSRC2:SCRATCH_EN: 0
; COMPUTE_PGM_RSRC2:USER_SGPR: 2
; COMPUTE_PGM_RSRC2:TRAP_HANDLER: 0
; COMPUTE_PGM_RSRC2:TGID_X_EN: 1
; COMPUTE_PGM_RSRC2:TGID_Y_EN: 0
; COMPUTE_PGM_RSRC2:TGID_Z_EN: 0
; COMPUTE_PGM_RSRC2:TIDIG_COMP_CNT: 0
; COMPUTE_PGM_RSRC3_GFX90A:ACCUM_OFFSET: 0
; COMPUTE_PGM_RSRC3_GFX90A:TG_SPLIT: 0
	.section	.text._ZN7rocprim17ROCPRIM_400000_NS6detail17trampoline_kernelINS0_14default_configENS1_20scan_config_selectorIdEEZZNS1_9scan_implILNS1_25lookback_scan_determinismE0ELb0ELb0ES3_PKdPddZZZN2at6native31launch_logcumsumexp_cuda_kernelERKNSB_10TensorBaseESF_lENKUlvE_clEvENKUlvE_clEvEUlddE_dEEDaPvRmT3_T4_T5_mT6_P12ihipStream_tbENKUlT_T0_E_clISt17integral_constantIbLb0EESW_EEDaSR_SS_EUlSR_E_NS1_11comp_targetILNS1_3genE9ELNS1_11target_archE1100ELNS1_3gpuE3ELNS1_3repE0EEENS1_30default_config_static_selectorELNS0_4arch9wavefront6targetE1EEEvT1_,"axG",@progbits,_ZN7rocprim17ROCPRIM_400000_NS6detail17trampoline_kernelINS0_14default_configENS1_20scan_config_selectorIdEEZZNS1_9scan_implILNS1_25lookback_scan_determinismE0ELb0ELb0ES3_PKdPddZZZN2at6native31launch_logcumsumexp_cuda_kernelERKNSB_10TensorBaseESF_lENKUlvE_clEvENKUlvE_clEvEUlddE_dEEDaPvRmT3_T4_T5_mT6_P12ihipStream_tbENKUlT_T0_E_clISt17integral_constantIbLb0EESW_EEDaSR_SS_EUlSR_E_NS1_11comp_targetILNS1_3genE9ELNS1_11target_archE1100ELNS1_3gpuE3ELNS1_3repE0EEENS1_30default_config_static_selectorELNS0_4arch9wavefront6targetE1EEEvT1_,comdat
	.globl	_ZN7rocprim17ROCPRIM_400000_NS6detail17trampoline_kernelINS0_14default_configENS1_20scan_config_selectorIdEEZZNS1_9scan_implILNS1_25lookback_scan_determinismE0ELb0ELb0ES3_PKdPddZZZN2at6native31launch_logcumsumexp_cuda_kernelERKNSB_10TensorBaseESF_lENKUlvE_clEvENKUlvE_clEvEUlddE_dEEDaPvRmT3_T4_T5_mT6_P12ihipStream_tbENKUlT_T0_E_clISt17integral_constantIbLb0EESW_EEDaSR_SS_EUlSR_E_NS1_11comp_targetILNS1_3genE9ELNS1_11target_archE1100ELNS1_3gpuE3ELNS1_3repE0EEENS1_30default_config_static_selectorELNS0_4arch9wavefront6targetE1EEEvT1_ ; -- Begin function _ZN7rocprim17ROCPRIM_400000_NS6detail17trampoline_kernelINS0_14default_configENS1_20scan_config_selectorIdEEZZNS1_9scan_implILNS1_25lookback_scan_determinismE0ELb0ELb0ES3_PKdPddZZZN2at6native31launch_logcumsumexp_cuda_kernelERKNSB_10TensorBaseESF_lENKUlvE_clEvENKUlvE_clEvEUlddE_dEEDaPvRmT3_T4_T5_mT6_P12ihipStream_tbENKUlT_T0_E_clISt17integral_constantIbLb0EESW_EEDaSR_SS_EUlSR_E_NS1_11comp_targetILNS1_3genE9ELNS1_11target_archE1100ELNS1_3gpuE3ELNS1_3repE0EEENS1_30default_config_static_selectorELNS0_4arch9wavefront6targetE1EEEvT1_
	.p2align	8
	.type	_ZN7rocprim17ROCPRIM_400000_NS6detail17trampoline_kernelINS0_14default_configENS1_20scan_config_selectorIdEEZZNS1_9scan_implILNS1_25lookback_scan_determinismE0ELb0ELb0ES3_PKdPddZZZN2at6native31launch_logcumsumexp_cuda_kernelERKNSB_10TensorBaseESF_lENKUlvE_clEvENKUlvE_clEvEUlddE_dEEDaPvRmT3_T4_T5_mT6_P12ihipStream_tbENKUlT_T0_E_clISt17integral_constantIbLb0EESW_EEDaSR_SS_EUlSR_E_NS1_11comp_targetILNS1_3genE9ELNS1_11target_archE1100ELNS1_3gpuE3ELNS1_3repE0EEENS1_30default_config_static_selectorELNS0_4arch9wavefront6targetE1EEEvT1_,@function
_ZN7rocprim17ROCPRIM_400000_NS6detail17trampoline_kernelINS0_14default_configENS1_20scan_config_selectorIdEEZZNS1_9scan_implILNS1_25lookback_scan_determinismE0ELb0ELb0ES3_PKdPddZZZN2at6native31launch_logcumsumexp_cuda_kernelERKNSB_10TensorBaseESF_lENKUlvE_clEvENKUlvE_clEvEUlddE_dEEDaPvRmT3_T4_T5_mT6_P12ihipStream_tbENKUlT_T0_E_clISt17integral_constantIbLb0EESW_EEDaSR_SS_EUlSR_E_NS1_11comp_targetILNS1_3genE9ELNS1_11target_archE1100ELNS1_3gpuE3ELNS1_3repE0EEENS1_30default_config_static_selectorELNS0_4arch9wavefront6targetE1EEEvT1_: ; @_ZN7rocprim17ROCPRIM_400000_NS6detail17trampoline_kernelINS0_14default_configENS1_20scan_config_selectorIdEEZZNS1_9scan_implILNS1_25lookback_scan_determinismE0ELb0ELb0ES3_PKdPddZZZN2at6native31launch_logcumsumexp_cuda_kernelERKNSB_10TensorBaseESF_lENKUlvE_clEvENKUlvE_clEvEUlddE_dEEDaPvRmT3_T4_T5_mT6_P12ihipStream_tbENKUlT_T0_E_clISt17integral_constantIbLb0EESW_EEDaSR_SS_EUlSR_E_NS1_11comp_targetILNS1_3genE9ELNS1_11target_archE1100ELNS1_3gpuE3ELNS1_3repE0EEENS1_30default_config_static_selectorELNS0_4arch9wavefront6targetE1EEEvT1_
; %bb.0:
	.section	.rodata,"a",@progbits
	.p2align	6, 0x0
	.amdhsa_kernel _ZN7rocprim17ROCPRIM_400000_NS6detail17trampoline_kernelINS0_14default_configENS1_20scan_config_selectorIdEEZZNS1_9scan_implILNS1_25lookback_scan_determinismE0ELb0ELb0ES3_PKdPddZZZN2at6native31launch_logcumsumexp_cuda_kernelERKNSB_10TensorBaseESF_lENKUlvE_clEvENKUlvE_clEvEUlddE_dEEDaPvRmT3_T4_T5_mT6_P12ihipStream_tbENKUlT_T0_E_clISt17integral_constantIbLb0EESW_EEDaSR_SS_EUlSR_E_NS1_11comp_targetILNS1_3genE9ELNS1_11target_archE1100ELNS1_3gpuE3ELNS1_3repE0EEENS1_30default_config_static_selectorELNS0_4arch9wavefront6targetE1EEEvT1_
		.amdhsa_group_segment_fixed_size 0
		.amdhsa_private_segment_fixed_size 0
		.amdhsa_kernarg_size 104
		.amdhsa_user_sgpr_count 2
		.amdhsa_user_sgpr_dispatch_ptr 0
		.amdhsa_user_sgpr_queue_ptr 0
		.amdhsa_user_sgpr_kernarg_segment_ptr 1
		.amdhsa_user_sgpr_dispatch_id 0
		.amdhsa_user_sgpr_kernarg_preload_length 0
		.amdhsa_user_sgpr_kernarg_preload_offset 0
		.amdhsa_user_sgpr_private_segment_size 0
		.amdhsa_uses_dynamic_stack 0
		.amdhsa_enable_private_segment 0
		.amdhsa_system_sgpr_workgroup_id_x 1
		.amdhsa_system_sgpr_workgroup_id_y 0
		.amdhsa_system_sgpr_workgroup_id_z 0
		.amdhsa_system_sgpr_workgroup_info 0
		.amdhsa_system_vgpr_workitem_id 0
		.amdhsa_next_free_vgpr 1
		.amdhsa_next_free_sgpr 0
		.amdhsa_accum_offset 4
		.amdhsa_reserve_vcc 0
		.amdhsa_float_round_mode_32 0
		.amdhsa_float_round_mode_16_64 0
		.amdhsa_float_denorm_mode_32 3
		.amdhsa_float_denorm_mode_16_64 3
		.amdhsa_dx10_clamp 1
		.amdhsa_ieee_mode 1
		.amdhsa_fp16_overflow 0
		.amdhsa_tg_split 0
		.amdhsa_exception_fp_ieee_invalid_op 0
		.amdhsa_exception_fp_denorm_src 0
		.amdhsa_exception_fp_ieee_div_zero 0
		.amdhsa_exception_fp_ieee_overflow 0
		.amdhsa_exception_fp_ieee_underflow 0
		.amdhsa_exception_fp_ieee_inexact 0
		.amdhsa_exception_int_div_zero 0
	.end_amdhsa_kernel
	.section	.text._ZN7rocprim17ROCPRIM_400000_NS6detail17trampoline_kernelINS0_14default_configENS1_20scan_config_selectorIdEEZZNS1_9scan_implILNS1_25lookback_scan_determinismE0ELb0ELb0ES3_PKdPddZZZN2at6native31launch_logcumsumexp_cuda_kernelERKNSB_10TensorBaseESF_lENKUlvE_clEvENKUlvE_clEvEUlddE_dEEDaPvRmT3_T4_T5_mT6_P12ihipStream_tbENKUlT_T0_E_clISt17integral_constantIbLb0EESW_EEDaSR_SS_EUlSR_E_NS1_11comp_targetILNS1_3genE9ELNS1_11target_archE1100ELNS1_3gpuE3ELNS1_3repE0EEENS1_30default_config_static_selectorELNS0_4arch9wavefront6targetE1EEEvT1_,"axG",@progbits,_ZN7rocprim17ROCPRIM_400000_NS6detail17trampoline_kernelINS0_14default_configENS1_20scan_config_selectorIdEEZZNS1_9scan_implILNS1_25lookback_scan_determinismE0ELb0ELb0ES3_PKdPddZZZN2at6native31launch_logcumsumexp_cuda_kernelERKNSB_10TensorBaseESF_lENKUlvE_clEvENKUlvE_clEvEUlddE_dEEDaPvRmT3_T4_T5_mT6_P12ihipStream_tbENKUlT_T0_E_clISt17integral_constantIbLb0EESW_EEDaSR_SS_EUlSR_E_NS1_11comp_targetILNS1_3genE9ELNS1_11target_archE1100ELNS1_3gpuE3ELNS1_3repE0EEENS1_30default_config_static_selectorELNS0_4arch9wavefront6targetE1EEEvT1_,comdat
.Lfunc_end8:
	.size	_ZN7rocprim17ROCPRIM_400000_NS6detail17trampoline_kernelINS0_14default_configENS1_20scan_config_selectorIdEEZZNS1_9scan_implILNS1_25lookback_scan_determinismE0ELb0ELb0ES3_PKdPddZZZN2at6native31launch_logcumsumexp_cuda_kernelERKNSB_10TensorBaseESF_lENKUlvE_clEvENKUlvE_clEvEUlddE_dEEDaPvRmT3_T4_T5_mT6_P12ihipStream_tbENKUlT_T0_E_clISt17integral_constantIbLb0EESW_EEDaSR_SS_EUlSR_E_NS1_11comp_targetILNS1_3genE9ELNS1_11target_archE1100ELNS1_3gpuE3ELNS1_3repE0EEENS1_30default_config_static_selectorELNS0_4arch9wavefront6targetE1EEEvT1_, .Lfunc_end8-_ZN7rocprim17ROCPRIM_400000_NS6detail17trampoline_kernelINS0_14default_configENS1_20scan_config_selectorIdEEZZNS1_9scan_implILNS1_25lookback_scan_determinismE0ELb0ELb0ES3_PKdPddZZZN2at6native31launch_logcumsumexp_cuda_kernelERKNSB_10TensorBaseESF_lENKUlvE_clEvENKUlvE_clEvEUlddE_dEEDaPvRmT3_T4_T5_mT6_P12ihipStream_tbENKUlT_T0_E_clISt17integral_constantIbLb0EESW_EEDaSR_SS_EUlSR_E_NS1_11comp_targetILNS1_3genE9ELNS1_11target_archE1100ELNS1_3gpuE3ELNS1_3repE0EEENS1_30default_config_static_selectorELNS0_4arch9wavefront6targetE1EEEvT1_
                                        ; -- End function
	.set _ZN7rocprim17ROCPRIM_400000_NS6detail17trampoline_kernelINS0_14default_configENS1_20scan_config_selectorIdEEZZNS1_9scan_implILNS1_25lookback_scan_determinismE0ELb0ELb0ES3_PKdPddZZZN2at6native31launch_logcumsumexp_cuda_kernelERKNSB_10TensorBaseESF_lENKUlvE_clEvENKUlvE_clEvEUlddE_dEEDaPvRmT3_T4_T5_mT6_P12ihipStream_tbENKUlT_T0_E_clISt17integral_constantIbLb0EESW_EEDaSR_SS_EUlSR_E_NS1_11comp_targetILNS1_3genE9ELNS1_11target_archE1100ELNS1_3gpuE3ELNS1_3repE0EEENS1_30default_config_static_selectorELNS0_4arch9wavefront6targetE1EEEvT1_.num_vgpr, 0
	.set _ZN7rocprim17ROCPRIM_400000_NS6detail17trampoline_kernelINS0_14default_configENS1_20scan_config_selectorIdEEZZNS1_9scan_implILNS1_25lookback_scan_determinismE0ELb0ELb0ES3_PKdPddZZZN2at6native31launch_logcumsumexp_cuda_kernelERKNSB_10TensorBaseESF_lENKUlvE_clEvENKUlvE_clEvEUlddE_dEEDaPvRmT3_T4_T5_mT6_P12ihipStream_tbENKUlT_T0_E_clISt17integral_constantIbLb0EESW_EEDaSR_SS_EUlSR_E_NS1_11comp_targetILNS1_3genE9ELNS1_11target_archE1100ELNS1_3gpuE3ELNS1_3repE0EEENS1_30default_config_static_selectorELNS0_4arch9wavefront6targetE1EEEvT1_.num_agpr, 0
	.set _ZN7rocprim17ROCPRIM_400000_NS6detail17trampoline_kernelINS0_14default_configENS1_20scan_config_selectorIdEEZZNS1_9scan_implILNS1_25lookback_scan_determinismE0ELb0ELb0ES3_PKdPddZZZN2at6native31launch_logcumsumexp_cuda_kernelERKNSB_10TensorBaseESF_lENKUlvE_clEvENKUlvE_clEvEUlddE_dEEDaPvRmT3_T4_T5_mT6_P12ihipStream_tbENKUlT_T0_E_clISt17integral_constantIbLb0EESW_EEDaSR_SS_EUlSR_E_NS1_11comp_targetILNS1_3genE9ELNS1_11target_archE1100ELNS1_3gpuE3ELNS1_3repE0EEENS1_30default_config_static_selectorELNS0_4arch9wavefront6targetE1EEEvT1_.numbered_sgpr, 0
	.set _ZN7rocprim17ROCPRIM_400000_NS6detail17trampoline_kernelINS0_14default_configENS1_20scan_config_selectorIdEEZZNS1_9scan_implILNS1_25lookback_scan_determinismE0ELb0ELb0ES3_PKdPddZZZN2at6native31launch_logcumsumexp_cuda_kernelERKNSB_10TensorBaseESF_lENKUlvE_clEvENKUlvE_clEvEUlddE_dEEDaPvRmT3_T4_T5_mT6_P12ihipStream_tbENKUlT_T0_E_clISt17integral_constantIbLb0EESW_EEDaSR_SS_EUlSR_E_NS1_11comp_targetILNS1_3genE9ELNS1_11target_archE1100ELNS1_3gpuE3ELNS1_3repE0EEENS1_30default_config_static_selectorELNS0_4arch9wavefront6targetE1EEEvT1_.num_named_barrier, 0
	.set _ZN7rocprim17ROCPRIM_400000_NS6detail17trampoline_kernelINS0_14default_configENS1_20scan_config_selectorIdEEZZNS1_9scan_implILNS1_25lookback_scan_determinismE0ELb0ELb0ES3_PKdPddZZZN2at6native31launch_logcumsumexp_cuda_kernelERKNSB_10TensorBaseESF_lENKUlvE_clEvENKUlvE_clEvEUlddE_dEEDaPvRmT3_T4_T5_mT6_P12ihipStream_tbENKUlT_T0_E_clISt17integral_constantIbLb0EESW_EEDaSR_SS_EUlSR_E_NS1_11comp_targetILNS1_3genE9ELNS1_11target_archE1100ELNS1_3gpuE3ELNS1_3repE0EEENS1_30default_config_static_selectorELNS0_4arch9wavefront6targetE1EEEvT1_.private_seg_size, 0
	.set _ZN7rocprim17ROCPRIM_400000_NS6detail17trampoline_kernelINS0_14default_configENS1_20scan_config_selectorIdEEZZNS1_9scan_implILNS1_25lookback_scan_determinismE0ELb0ELb0ES3_PKdPddZZZN2at6native31launch_logcumsumexp_cuda_kernelERKNSB_10TensorBaseESF_lENKUlvE_clEvENKUlvE_clEvEUlddE_dEEDaPvRmT3_T4_T5_mT6_P12ihipStream_tbENKUlT_T0_E_clISt17integral_constantIbLb0EESW_EEDaSR_SS_EUlSR_E_NS1_11comp_targetILNS1_3genE9ELNS1_11target_archE1100ELNS1_3gpuE3ELNS1_3repE0EEENS1_30default_config_static_selectorELNS0_4arch9wavefront6targetE1EEEvT1_.uses_vcc, 0
	.set _ZN7rocprim17ROCPRIM_400000_NS6detail17trampoline_kernelINS0_14default_configENS1_20scan_config_selectorIdEEZZNS1_9scan_implILNS1_25lookback_scan_determinismE0ELb0ELb0ES3_PKdPddZZZN2at6native31launch_logcumsumexp_cuda_kernelERKNSB_10TensorBaseESF_lENKUlvE_clEvENKUlvE_clEvEUlddE_dEEDaPvRmT3_T4_T5_mT6_P12ihipStream_tbENKUlT_T0_E_clISt17integral_constantIbLb0EESW_EEDaSR_SS_EUlSR_E_NS1_11comp_targetILNS1_3genE9ELNS1_11target_archE1100ELNS1_3gpuE3ELNS1_3repE0EEENS1_30default_config_static_selectorELNS0_4arch9wavefront6targetE1EEEvT1_.uses_flat_scratch, 0
	.set _ZN7rocprim17ROCPRIM_400000_NS6detail17trampoline_kernelINS0_14default_configENS1_20scan_config_selectorIdEEZZNS1_9scan_implILNS1_25lookback_scan_determinismE0ELb0ELb0ES3_PKdPddZZZN2at6native31launch_logcumsumexp_cuda_kernelERKNSB_10TensorBaseESF_lENKUlvE_clEvENKUlvE_clEvEUlddE_dEEDaPvRmT3_T4_T5_mT6_P12ihipStream_tbENKUlT_T0_E_clISt17integral_constantIbLb0EESW_EEDaSR_SS_EUlSR_E_NS1_11comp_targetILNS1_3genE9ELNS1_11target_archE1100ELNS1_3gpuE3ELNS1_3repE0EEENS1_30default_config_static_selectorELNS0_4arch9wavefront6targetE1EEEvT1_.has_dyn_sized_stack, 0
	.set _ZN7rocprim17ROCPRIM_400000_NS6detail17trampoline_kernelINS0_14default_configENS1_20scan_config_selectorIdEEZZNS1_9scan_implILNS1_25lookback_scan_determinismE0ELb0ELb0ES3_PKdPddZZZN2at6native31launch_logcumsumexp_cuda_kernelERKNSB_10TensorBaseESF_lENKUlvE_clEvENKUlvE_clEvEUlddE_dEEDaPvRmT3_T4_T5_mT6_P12ihipStream_tbENKUlT_T0_E_clISt17integral_constantIbLb0EESW_EEDaSR_SS_EUlSR_E_NS1_11comp_targetILNS1_3genE9ELNS1_11target_archE1100ELNS1_3gpuE3ELNS1_3repE0EEENS1_30default_config_static_selectorELNS0_4arch9wavefront6targetE1EEEvT1_.has_recursion, 0
	.set _ZN7rocprim17ROCPRIM_400000_NS6detail17trampoline_kernelINS0_14default_configENS1_20scan_config_selectorIdEEZZNS1_9scan_implILNS1_25lookback_scan_determinismE0ELb0ELb0ES3_PKdPddZZZN2at6native31launch_logcumsumexp_cuda_kernelERKNSB_10TensorBaseESF_lENKUlvE_clEvENKUlvE_clEvEUlddE_dEEDaPvRmT3_T4_T5_mT6_P12ihipStream_tbENKUlT_T0_E_clISt17integral_constantIbLb0EESW_EEDaSR_SS_EUlSR_E_NS1_11comp_targetILNS1_3genE9ELNS1_11target_archE1100ELNS1_3gpuE3ELNS1_3repE0EEENS1_30default_config_static_selectorELNS0_4arch9wavefront6targetE1EEEvT1_.has_indirect_call, 0
	.section	.AMDGPU.csdata,"",@progbits
; Kernel info:
; codeLenInByte = 0
; TotalNumSgprs: 6
; NumVgprs: 0
; NumAgprs: 0
; TotalNumVgprs: 0
; ScratchSize: 0
; MemoryBound: 0
; FloatMode: 240
; IeeeMode: 1
; LDSByteSize: 0 bytes/workgroup (compile time only)
; SGPRBlocks: 0
; VGPRBlocks: 0
; NumSGPRsForWavesPerEU: 6
; NumVGPRsForWavesPerEU: 1
; AccumOffset: 4
; Occupancy: 8
; WaveLimiterHint : 0
; COMPUTE_PGM_RSRC2:SCRATCH_EN: 0
; COMPUTE_PGM_RSRC2:USER_SGPR: 2
; COMPUTE_PGM_RSRC2:TRAP_HANDLER: 0
; COMPUTE_PGM_RSRC2:TGID_X_EN: 1
; COMPUTE_PGM_RSRC2:TGID_Y_EN: 0
; COMPUTE_PGM_RSRC2:TGID_Z_EN: 0
; COMPUTE_PGM_RSRC2:TIDIG_COMP_CNT: 0
; COMPUTE_PGM_RSRC3_GFX90A:ACCUM_OFFSET: 0
; COMPUTE_PGM_RSRC3_GFX90A:TG_SPLIT: 0
	.section	.text._ZN7rocprim17ROCPRIM_400000_NS6detail17trampoline_kernelINS0_14default_configENS1_20scan_config_selectorIdEEZZNS1_9scan_implILNS1_25lookback_scan_determinismE0ELb0ELb0ES3_PKdPddZZZN2at6native31launch_logcumsumexp_cuda_kernelERKNSB_10TensorBaseESF_lENKUlvE_clEvENKUlvE_clEvEUlddE_dEEDaPvRmT3_T4_T5_mT6_P12ihipStream_tbENKUlT_T0_E_clISt17integral_constantIbLb0EESW_EEDaSR_SS_EUlSR_E_NS1_11comp_targetILNS1_3genE8ELNS1_11target_archE1030ELNS1_3gpuE2ELNS1_3repE0EEENS1_30default_config_static_selectorELNS0_4arch9wavefront6targetE1EEEvT1_,"axG",@progbits,_ZN7rocprim17ROCPRIM_400000_NS6detail17trampoline_kernelINS0_14default_configENS1_20scan_config_selectorIdEEZZNS1_9scan_implILNS1_25lookback_scan_determinismE0ELb0ELb0ES3_PKdPddZZZN2at6native31launch_logcumsumexp_cuda_kernelERKNSB_10TensorBaseESF_lENKUlvE_clEvENKUlvE_clEvEUlddE_dEEDaPvRmT3_T4_T5_mT6_P12ihipStream_tbENKUlT_T0_E_clISt17integral_constantIbLb0EESW_EEDaSR_SS_EUlSR_E_NS1_11comp_targetILNS1_3genE8ELNS1_11target_archE1030ELNS1_3gpuE2ELNS1_3repE0EEENS1_30default_config_static_selectorELNS0_4arch9wavefront6targetE1EEEvT1_,comdat
	.globl	_ZN7rocprim17ROCPRIM_400000_NS6detail17trampoline_kernelINS0_14default_configENS1_20scan_config_selectorIdEEZZNS1_9scan_implILNS1_25lookback_scan_determinismE0ELb0ELb0ES3_PKdPddZZZN2at6native31launch_logcumsumexp_cuda_kernelERKNSB_10TensorBaseESF_lENKUlvE_clEvENKUlvE_clEvEUlddE_dEEDaPvRmT3_T4_T5_mT6_P12ihipStream_tbENKUlT_T0_E_clISt17integral_constantIbLb0EESW_EEDaSR_SS_EUlSR_E_NS1_11comp_targetILNS1_3genE8ELNS1_11target_archE1030ELNS1_3gpuE2ELNS1_3repE0EEENS1_30default_config_static_selectorELNS0_4arch9wavefront6targetE1EEEvT1_ ; -- Begin function _ZN7rocprim17ROCPRIM_400000_NS6detail17trampoline_kernelINS0_14default_configENS1_20scan_config_selectorIdEEZZNS1_9scan_implILNS1_25lookback_scan_determinismE0ELb0ELb0ES3_PKdPddZZZN2at6native31launch_logcumsumexp_cuda_kernelERKNSB_10TensorBaseESF_lENKUlvE_clEvENKUlvE_clEvEUlddE_dEEDaPvRmT3_T4_T5_mT6_P12ihipStream_tbENKUlT_T0_E_clISt17integral_constantIbLb0EESW_EEDaSR_SS_EUlSR_E_NS1_11comp_targetILNS1_3genE8ELNS1_11target_archE1030ELNS1_3gpuE2ELNS1_3repE0EEENS1_30default_config_static_selectorELNS0_4arch9wavefront6targetE1EEEvT1_
	.p2align	8
	.type	_ZN7rocprim17ROCPRIM_400000_NS6detail17trampoline_kernelINS0_14default_configENS1_20scan_config_selectorIdEEZZNS1_9scan_implILNS1_25lookback_scan_determinismE0ELb0ELb0ES3_PKdPddZZZN2at6native31launch_logcumsumexp_cuda_kernelERKNSB_10TensorBaseESF_lENKUlvE_clEvENKUlvE_clEvEUlddE_dEEDaPvRmT3_T4_T5_mT6_P12ihipStream_tbENKUlT_T0_E_clISt17integral_constantIbLb0EESW_EEDaSR_SS_EUlSR_E_NS1_11comp_targetILNS1_3genE8ELNS1_11target_archE1030ELNS1_3gpuE2ELNS1_3repE0EEENS1_30default_config_static_selectorELNS0_4arch9wavefront6targetE1EEEvT1_,@function
_ZN7rocprim17ROCPRIM_400000_NS6detail17trampoline_kernelINS0_14default_configENS1_20scan_config_selectorIdEEZZNS1_9scan_implILNS1_25lookback_scan_determinismE0ELb0ELb0ES3_PKdPddZZZN2at6native31launch_logcumsumexp_cuda_kernelERKNSB_10TensorBaseESF_lENKUlvE_clEvENKUlvE_clEvEUlddE_dEEDaPvRmT3_T4_T5_mT6_P12ihipStream_tbENKUlT_T0_E_clISt17integral_constantIbLb0EESW_EEDaSR_SS_EUlSR_E_NS1_11comp_targetILNS1_3genE8ELNS1_11target_archE1030ELNS1_3gpuE2ELNS1_3repE0EEENS1_30default_config_static_selectorELNS0_4arch9wavefront6targetE1EEEvT1_: ; @_ZN7rocprim17ROCPRIM_400000_NS6detail17trampoline_kernelINS0_14default_configENS1_20scan_config_selectorIdEEZZNS1_9scan_implILNS1_25lookback_scan_determinismE0ELb0ELb0ES3_PKdPddZZZN2at6native31launch_logcumsumexp_cuda_kernelERKNSB_10TensorBaseESF_lENKUlvE_clEvENKUlvE_clEvEUlddE_dEEDaPvRmT3_T4_T5_mT6_P12ihipStream_tbENKUlT_T0_E_clISt17integral_constantIbLb0EESW_EEDaSR_SS_EUlSR_E_NS1_11comp_targetILNS1_3genE8ELNS1_11target_archE1030ELNS1_3gpuE2ELNS1_3repE0EEENS1_30default_config_static_selectorELNS0_4arch9wavefront6targetE1EEEvT1_
; %bb.0:
	.section	.rodata,"a",@progbits
	.p2align	6, 0x0
	.amdhsa_kernel _ZN7rocprim17ROCPRIM_400000_NS6detail17trampoline_kernelINS0_14default_configENS1_20scan_config_selectorIdEEZZNS1_9scan_implILNS1_25lookback_scan_determinismE0ELb0ELb0ES3_PKdPddZZZN2at6native31launch_logcumsumexp_cuda_kernelERKNSB_10TensorBaseESF_lENKUlvE_clEvENKUlvE_clEvEUlddE_dEEDaPvRmT3_T4_T5_mT6_P12ihipStream_tbENKUlT_T0_E_clISt17integral_constantIbLb0EESW_EEDaSR_SS_EUlSR_E_NS1_11comp_targetILNS1_3genE8ELNS1_11target_archE1030ELNS1_3gpuE2ELNS1_3repE0EEENS1_30default_config_static_selectorELNS0_4arch9wavefront6targetE1EEEvT1_
		.amdhsa_group_segment_fixed_size 0
		.amdhsa_private_segment_fixed_size 0
		.amdhsa_kernarg_size 104
		.amdhsa_user_sgpr_count 2
		.amdhsa_user_sgpr_dispatch_ptr 0
		.amdhsa_user_sgpr_queue_ptr 0
		.amdhsa_user_sgpr_kernarg_segment_ptr 1
		.amdhsa_user_sgpr_dispatch_id 0
		.amdhsa_user_sgpr_kernarg_preload_length 0
		.amdhsa_user_sgpr_kernarg_preload_offset 0
		.amdhsa_user_sgpr_private_segment_size 0
		.amdhsa_uses_dynamic_stack 0
		.amdhsa_enable_private_segment 0
		.amdhsa_system_sgpr_workgroup_id_x 1
		.amdhsa_system_sgpr_workgroup_id_y 0
		.amdhsa_system_sgpr_workgroup_id_z 0
		.amdhsa_system_sgpr_workgroup_info 0
		.amdhsa_system_vgpr_workitem_id 0
		.amdhsa_next_free_vgpr 1
		.amdhsa_next_free_sgpr 0
		.amdhsa_accum_offset 4
		.amdhsa_reserve_vcc 0
		.amdhsa_float_round_mode_32 0
		.amdhsa_float_round_mode_16_64 0
		.amdhsa_float_denorm_mode_32 3
		.amdhsa_float_denorm_mode_16_64 3
		.amdhsa_dx10_clamp 1
		.amdhsa_ieee_mode 1
		.amdhsa_fp16_overflow 0
		.amdhsa_tg_split 0
		.amdhsa_exception_fp_ieee_invalid_op 0
		.amdhsa_exception_fp_denorm_src 0
		.amdhsa_exception_fp_ieee_div_zero 0
		.amdhsa_exception_fp_ieee_overflow 0
		.amdhsa_exception_fp_ieee_underflow 0
		.amdhsa_exception_fp_ieee_inexact 0
		.amdhsa_exception_int_div_zero 0
	.end_amdhsa_kernel
	.section	.text._ZN7rocprim17ROCPRIM_400000_NS6detail17trampoline_kernelINS0_14default_configENS1_20scan_config_selectorIdEEZZNS1_9scan_implILNS1_25lookback_scan_determinismE0ELb0ELb0ES3_PKdPddZZZN2at6native31launch_logcumsumexp_cuda_kernelERKNSB_10TensorBaseESF_lENKUlvE_clEvENKUlvE_clEvEUlddE_dEEDaPvRmT3_T4_T5_mT6_P12ihipStream_tbENKUlT_T0_E_clISt17integral_constantIbLb0EESW_EEDaSR_SS_EUlSR_E_NS1_11comp_targetILNS1_3genE8ELNS1_11target_archE1030ELNS1_3gpuE2ELNS1_3repE0EEENS1_30default_config_static_selectorELNS0_4arch9wavefront6targetE1EEEvT1_,"axG",@progbits,_ZN7rocprim17ROCPRIM_400000_NS6detail17trampoline_kernelINS0_14default_configENS1_20scan_config_selectorIdEEZZNS1_9scan_implILNS1_25lookback_scan_determinismE0ELb0ELb0ES3_PKdPddZZZN2at6native31launch_logcumsumexp_cuda_kernelERKNSB_10TensorBaseESF_lENKUlvE_clEvENKUlvE_clEvEUlddE_dEEDaPvRmT3_T4_T5_mT6_P12ihipStream_tbENKUlT_T0_E_clISt17integral_constantIbLb0EESW_EEDaSR_SS_EUlSR_E_NS1_11comp_targetILNS1_3genE8ELNS1_11target_archE1030ELNS1_3gpuE2ELNS1_3repE0EEENS1_30default_config_static_selectorELNS0_4arch9wavefront6targetE1EEEvT1_,comdat
.Lfunc_end9:
	.size	_ZN7rocprim17ROCPRIM_400000_NS6detail17trampoline_kernelINS0_14default_configENS1_20scan_config_selectorIdEEZZNS1_9scan_implILNS1_25lookback_scan_determinismE0ELb0ELb0ES3_PKdPddZZZN2at6native31launch_logcumsumexp_cuda_kernelERKNSB_10TensorBaseESF_lENKUlvE_clEvENKUlvE_clEvEUlddE_dEEDaPvRmT3_T4_T5_mT6_P12ihipStream_tbENKUlT_T0_E_clISt17integral_constantIbLb0EESW_EEDaSR_SS_EUlSR_E_NS1_11comp_targetILNS1_3genE8ELNS1_11target_archE1030ELNS1_3gpuE2ELNS1_3repE0EEENS1_30default_config_static_selectorELNS0_4arch9wavefront6targetE1EEEvT1_, .Lfunc_end9-_ZN7rocprim17ROCPRIM_400000_NS6detail17trampoline_kernelINS0_14default_configENS1_20scan_config_selectorIdEEZZNS1_9scan_implILNS1_25lookback_scan_determinismE0ELb0ELb0ES3_PKdPddZZZN2at6native31launch_logcumsumexp_cuda_kernelERKNSB_10TensorBaseESF_lENKUlvE_clEvENKUlvE_clEvEUlddE_dEEDaPvRmT3_T4_T5_mT6_P12ihipStream_tbENKUlT_T0_E_clISt17integral_constantIbLb0EESW_EEDaSR_SS_EUlSR_E_NS1_11comp_targetILNS1_3genE8ELNS1_11target_archE1030ELNS1_3gpuE2ELNS1_3repE0EEENS1_30default_config_static_selectorELNS0_4arch9wavefront6targetE1EEEvT1_
                                        ; -- End function
	.set _ZN7rocprim17ROCPRIM_400000_NS6detail17trampoline_kernelINS0_14default_configENS1_20scan_config_selectorIdEEZZNS1_9scan_implILNS1_25lookback_scan_determinismE0ELb0ELb0ES3_PKdPddZZZN2at6native31launch_logcumsumexp_cuda_kernelERKNSB_10TensorBaseESF_lENKUlvE_clEvENKUlvE_clEvEUlddE_dEEDaPvRmT3_T4_T5_mT6_P12ihipStream_tbENKUlT_T0_E_clISt17integral_constantIbLb0EESW_EEDaSR_SS_EUlSR_E_NS1_11comp_targetILNS1_3genE8ELNS1_11target_archE1030ELNS1_3gpuE2ELNS1_3repE0EEENS1_30default_config_static_selectorELNS0_4arch9wavefront6targetE1EEEvT1_.num_vgpr, 0
	.set _ZN7rocprim17ROCPRIM_400000_NS6detail17trampoline_kernelINS0_14default_configENS1_20scan_config_selectorIdEEZZNS1_9scan_implILNS1_25lookback_scan_determinismE0ELb0ELb0ES3_PKdPddZZZN2at6native31launch_logcumsumexp_cuda_kernelERKNSB_10TensorBaseESF_lENKUlvE_clEvENKUlvE_clEvEUlddE_dEEDaPvRmT3_T4_T5_mT6_P12ihipStream_tbENKUlT_T0_E_clISt17integral_constantIbLb0EESW_EEDaSR_SS_EUlSR_E_NS1_11comp_targetILNS1_3genE8ELNS1_11target_archE1030ELNS1_3gpuE2ELNS1_3repE0EEENS1_30default_config_static_selectorELNS0_4arch9wavefront6targetE1EEEvT1_.num_agpr, 0
	.set _ZN7rocprim17ROCPRIM_400000_NS6detail17trampoline_kernelINS0_14default_configENS1_20scan_config_selectorIdEEZZNS1_9scan_implILNS1_25lookback_scan_determinismE0ELb0ELb0ES3_PKdPddZZZN2at6native31launch_logcumsumexp_cuda_kernelERKNSB_10TensorBaseESF_lENKUlvE_clEvENKUlvE_clEvEUlddE_dEEDaPvRmT3_T4_T5_mT6_P12ihipStream_tbENKUlT_T0_E_clISt17integral_constantIbLb0EESW_EEDaSR_SS_EUlSR_E_NS1_11comp_targetILNS1_3genE8ELNS1_11target_archE1030ELNS1_3gpuE2ELNS1_3repE0EEENS1_30default_config_static_selectorELNS0_4arch9wavefront6targetE1EEEvT1_.numbered_sgpr, 0
	.set _ZN7rocprim17ROCPRIM_400000_NS6detail17trampoline_kernelINS0_14default_configENS1_20scan_config_selectorIdEEZZNS1_9scan_implILNS1_25lookback_scan_determinismE0ELb0ELb0ES3_PKdPddZZZN2at6native31launch_logcumsumexp_cuda_kernelERKNSB_10TensorBaseESF_lENKUlvE_clEvENKUlvE_clEvEUlddE_dEEDaPvRmT3_T4_T5_mT6_P12ihipStream_tbENKUlT_T0_E_clISt17integral_constantIbLb0EESW_EEDaSR_SS_EUlSR_E_NS1_11comp_targetILNS1_3genE8ELNS1_11target_archE1030ELNS1_3gpuE2ELNS1_3repE0EEENS1_30default_config_static_selectorELNS0_4arch9wavefront6targetE1EEEvT1_.num_named_barrier, 0
	.set _ZN7rocprim17ROCPRIM_400000_NS6detail17trampoline_kernelINS0_14default_configENS1_20scan_config_selectorIdEEZZNS1_9scan_implILNS1_25lookback_scan_determinismE0ELb0ELb0ES3_PKdPddZZZN2at6native31launch_logcumsumexp_cuda_kernelERKNSB_10TensorBaseESF_lENKUlvE_clEvENKUlvE_clEvEUlddE_dEEDaPvRmT3_T4_T5_mT6_P12ihipStream_tbENKUlT_T0_E_clISt17integral_constantIbLb0EESW_EEDaSR_SS_EUlSR_E_NS1_11comp_targetILNS1_3genE8ELNS1_11target_archE1030ELNS1_3gpuE2ELNS1_3repE0EEENS1_30default_config_static_selectorELNS0_4arch9wavefront6targetE1EEEvT1_.private_seg_size, 0
	.set _ZN7rocprim17ROCPRIM_400000_NS6detail17trampoline_kernelINS0_14default_configENS1_20scan_config_selectorIdEEZZNS1_9scan_implILNS1_25lookback_scan_determinismE0ELb0ELb0ES3_PKdPddZZZN2at6native31launch_logcumsumexp_cuda_kernelERKNSB_10TensorBaseESF_lENKUlvE_clEvENKUlvE_clEvEUlddE_dEEDaPvRmT3_T4_T5_mT6_P12ihipStream_tbENKUlT_T0_E_clISt17integral_constantIbLb0EESW_EEDaSR_SS_EUlSR_E_NS1_11comp_targetILNS1_3genE8ELNS1_11target_archE1030ELNS1_3gpuE2ELNS1_3repE0EEENS1_30default_config_static_selectorELNS0_4arch9wavefront6targetE1EEEvT1_.uses_vcc, 0
	.set _ZN7rocprim17ROCPRIM_400000_NS6detail17trampoline_kernelINS0_14default_configENS1_20scan_config_selectorIdEEZZNS1_9scan_implILNS1_25lookback_scan_determinismE0ELb0ELb0ES3_PKdPddZZZN2at6native31launch_logcumsumexp_cuda_kernelERKNSB_10TensorBaseESF_lENKUlvE_clEvENKUlvE_clEvEUlddE_dEEDaPvRmT3_T4_T5_mT6_P12ihipStream_tbENKUlT_T0_E_clISt17integral_constantIbLb0EESW_EEDaSR_SS_EUlSR_E_NS1_11comp_targetILNS1_3genE8ELNS1_11target_archE1030ELNS1_3gpuE2ELNS1_3repE0EEENS1_30default_config_static_selectorELNS0_4arch9wavefront6targetE1EEEvT1_.uses_flat_scratch, 0
	.set _ZN7rocprim17ROCPRIM_400000_NS6detail17trampoline_kernelINS0_14default_configENS1_20scan_config_selectorIdEEZZNS1_9scan_implILNS1_25lookback_scan_determinismE0ELb0ELb0ES3_PKdPddZZZN2at6native31launch_logcumsumexp_cuda_kernelERKNSB_10TensorBaseESF_lENKUlvE_clEvENKUlvE_clEvEUlddE_dEEDaPvRmT3_T4_T5_mT6_P12ihipStream_tbENKUlT_T0_E_clISt17integral_constantIbLb0EESW_EEDaSR_SS_EUlSR_E_NS1_11comp_targetILNS1_3genE8ELNS1_11target_archE1030ELNS1_3gpuE2ELNS1_3repE0EEENS1_30default_config_static_selectorELNS0_4arch9wavefront6targetE1EEEvT1_.has_dyn_sized_stack, 0
	.set _ZN7rocprim17ROCPRIM_400000_NS6detail17trampoline_kernelINS0_14default_configENS1_20scan_config_selectorIdEEZZNS1_9scan_implILNS1_25lookback_scan_determinismE0ELb0ELb0ES3_PKdPddZZZN2at6native31launch_logcumsumexp_cuda_kernelERKNSB_10TensorBaseESF_lENKUlvE_clEvENKUlvE_clEvEUlddE_dEEDaPvRmT3_T4_T5_mT6_P12ihipStream_tbENKUlT_T0_E_clISt17integral_constantIbLb0EESW_EEDaSR_SS_EUlSR_E_NS1_11comp_targetILNS1_3genE8ELNS1_11target_archE1030ELNS1_3gpuE2ELNS1_3repE0EEENS1_30default_config_static_selectorELNS0_4arch9wavefront6targetE1EEEvT1_.has_recursion, 0
	.set _ZN7rocprim17ROCPRIM_400000_NS6detail17trampoline_kernelINS0_14default_configENS1_20scan_config_selectorIdEEZZNS1_9scan_implILNS1_25lookback_scan_determinismE0ELb0ELb0ES3_PKdPddZZZN2at6native31launch_logcumsumexp_cuda_kernelERKNSB_10TensorBaseESF_lENKUlvE_clEvENKUlvE_clEvEUlddE_dEEDaPvRmT3_T4_T5_mT6_P12ihipStream_tbENKUlT_T0_E_clISt17integral_constantIbLb0EESW_EEDaSR_SS_EUlSR_E_NS1_11comp_targetILNS1_3genE8ELNS1_11target_archE1030ELNS1_3gpuE2ELNS1_3repE0EEENS1_30default_config_static_selectorELNS0_4arch9wavefront6targetE1EEEvT1_.has_indirect_call, 0
	.section	.AMDGPU.csdata,"",@progbits
; Kernel info:
; codeLenInByte = 0
; TotalNumSgprs: 6
; NumVgprs: 0
; NumAgprs: 0
; TotalNumVgprs: 0
; ScratchSize: 0
; MemoryBound: 0
; FloatMode: 240
; IeeeMode: 1
; LDSByteSize: 0 bytes/workgroup (compile time only)
; SGPRBlocks: 0
; VGPRBlocks: 0
; NumSGPRsForWavesPerEU: 6
; NumVGPRsForWavesPerEU: 1
; AccumOffset: 4
; Occupancy: 8
; WaveLimiterHint : 0
; COMPUTE_PGM_RSRC2:SCRATCH_EN: 0
; COMPUTE_PGM_RSRC2:USER_SGPR: 2
; COMPUTE_PGM_RSRC2:TRAP_HANDLER: 0
; COMPUTE_PGM_RSRC2:TGID_X_EN: 1
; COMPUTE_PGM_RSRC2:TGID_Y_EN: 0
; COMPUTE_PGM_RSRC2:TGID_Z_EN: 0
; COMPUTE_PGM_RSRC2:TIDIG_COMP_CNT: 0
; COMPUTE_PGM_RSRC3_GFX90A:ACCUM_OFFSET: 0
; COMPUTE_PGM_RSRC3_GFX90A:TG_SPLIT: 0
	.section	.text._ZN7rocprim17ROCPRIM_400000_NS6detail17trampoline_kernelINS0_14default_configENS1_25transform_config_selectorIdLb1EEEZNS1_14transform_implILb1ES3_S5_PdS7_NS0_8identityIdEEEE10hipError_tT2_T3_mT4_P12ihipStream_tbEUlT_E_NS1_11comp_targetILNS1_3genE0ELNS1_11target_archE4294967295ELNS1_3gpuE0ELNS1_3repE0EEENS1_30default_config_static_selectorELNS0_4arch9wavefront6targetE1EEEvT1_,"axG",@progbits,_ZN7rocprim17ROCPRIM_400000_NS6detail17trampoline_kernelINS0_14default_configENS1_25transform_config_selectorIdLb1EEEZNS1_14transform_implILb1ES3_S5_PdS7_NS0_8identityIdEEEE10hipError_tT2_T3_mT4_P12ihipStream_tbEUlT_E_NS1_11comp_targetILNS1_3genE0ELNS1_11target_archE4294967295ELNS1_3gpuE0ELNS1_3repE0EEENS1_30default_config_static_selectorELNS0_4arch9wavefront6targetE1EEEvT1_,comdat
	.protected	_ZN7rocprim17ROCPRIM_400000_NS6detail17trampoline_kernelINS0_14default_configENS1_25transform_config_selectorIdLb1EEEZNS1_14transform_implILb1ES3_S5_PdS7_NS0_8identityIdEEEE10hipError_tT2_T3_mT4_P12ihipStream_tbEUlT_E_NS1_11comp_targetILNS1_3genE0ELNS1_11target_archE4294967295ELNS1_3gpuE0ELNS1_3repE0EEENS1_30default_config_static_selectorELNS0_4arch9wavefront6targetE1EEEvT1_ ; -- Begin function _ZN7rocprim17ROCPRIM_400000_NS6detail17trampoline_kernelINS0_14default_configENS1_25transform_config_selectorIdLb1EEEZNS1_14transform_implILb1ES3_S5_PdS7_NS0_8identityIdEEEE10hipError_tT2_T3_mT4_P12ihipStream_tbEUlT_E_NS1_11comp_targetILNS1_3genE0ELNS1_11target_archE4294967295ELNS1_3gpuE0ELNS1_3repE0EEENS1_30default_config_static_selectorELNS0_4arch9wavefront6targetE1EEEvT1_
	.globl	_ZN7rocprim17ROCPRIM_400000_NS6detail17trampoline_kernelINS0_14default_configENS1_25transform_config_selectorIdLb1EEEZNS1_14transform_implILb1ES3_S5_PdS7_NS0_8identityIdEEEE10hipError_tT2_T3_mT4_P12ihipStream_tbEUlT_E_NS1_11comp_targetILNS1_3genE0ELNS1_11target_archE4294967295ELNS1_3gpuE0ELNS1_3repE0EEENS1_30default_config_static_selectorELNS0_4arch9wavefront6targetE1EEEvT1_
	.p2align	8
	.type	_ZN7rocprim17ROCPRIM_400000_NS6detail17trampoline_kernelINS0_14default_configENS1_25transform_config_selectorIdLb1EEEZNS1_14transform_implILb1ES3_S5_PdS7_NS0_8identityIdEEEE10hipError_tT2_T3_mT4_P12ihipStream_tbEUlT_E_NS1_11comp_targetILNS1_3genE0ELNS1_11target_archE4294967295ELNS1_3gpuE0ELNS1_3repE0EEENS1_30default_config_static_selectorELNS0_4arch9wavefront6targetE1EEEvT1_,@function
_ZN7rocprim17ROCPRIM_400000_NS6detail17trampoline_kernelINS0_14default_configENS1_25transform_config_selectorIdLb1EEEZNS1_14transform_implILb1ES3_S5_PdS7_NS0_8identityIdEEEE10hipError_tT2_T3_mT4_P12ihipStream_tbEUlT_E_NS1_11comp_targetILNS1_3genE0ELNS1_11target_archE4294967295ELNS1_3gpuE0ELNS1_3repE0EEENS1_30default_config_static_selectorELNS0_4arch9wavefront6targetE1EEEvT1_: ; @_ZN7rocprim17ROCPRIM_400000_NS6detail17trampoline_kernelINS0_14default_configENS1_25transform_config_selectorIdLb1EEEZNS1_14transform_implILb1ES3_S5_PdS7_NS0_8identityIdEEEE10hipError_tT2_T3_mT4_P12ihipStream_tbEUlT_E_NS1_11comp_targetILNS1_3genE0ELNS1_11target_archE4294967295ELNS1_3gpuE0ELNS1_3repE0EEENS1_30default_config_static_selectorELNS0_4arch9wavefront6targetE1EEEvT1_
; %bb.0:
	s_load_dword s3, s[0:1], 0x28
	s_load_dword s5, s[0:1], 0x10
	s_lshl_b32 s4, s2, 7
	s_waitcnt lgkmcnt(0)
	s_add_i32 s3, s3, -1
	s_cmp_lg_u32 s2, s3
	s_cselect_b64 s[2:3], -1, 0
	s_sub_i32 s5, s5, s4
	v_cmp_gt_u32_e32 vcc, s5, v0
	s_or_b64 s[2:3], vcc, s[2:3]
	s_and_saveexec_b64 s[6:7], s[2:3]
	s_cbranch_execz .LBB10_2
; %bb.1:
	s_load_dwordx4 s[8:11], s[0:1], 0x0
	s_load_dwordx2 s[2:3], s[0:1], 0x18
	s_mov_b32 s5, 0
	v_lshlrev_b32_e32 v2, 3, v0
	s_waitcnt lgkmcnt(0)
	s_lshl_b64 s[0:1], s[10:11], 3
	s_add_u32 s6, s8, s0
	s_addc_u32 s7, s9, s1
	s_lshl_b64 s[4:5], s[4:5], 3
	s_add_u32 s6, s6, s4
	s_addc_u32 s7, s7, s5
	global_load_dwordx2 v[0:1], v2, s[6:7]
	s_add_u32 s0, s2, s0
	s_addc_u32 s1, s3, s1
	s_add_u32 s0, s0, s4
	s_addc_u32 s1, s1, s5
	s_waitcnt vmcnt(0)
	global_store_dwordx2 v2, v[0:1], s[0:1]
.LBB10_2:
	s_endpgm
	.section	.rodata,"a",@progbits
	.p2align	6, 0x0
	.amdhsa_kernel _ZN7rocprim17ROCPRIM_400000_NS6detail17trampoline_kernelINS0_14default_configENS1_25transform_config_selectorIdLb1EEEZNS1_14transform_implILb1ES3_S5_PdS7_NS0_8identityIdEEEE10hipError_tT2_T3_mT4_P12ihipStream_tbEUlT_E_NS1_11comp_targetILNS1_3genE0ELNS1_11target_archE4294967295ELNS1_3gpuE0ELNS1_3repE0EEENS1_30default_config_static_selectorELNS0_4arch9wavefront6targetE1EEEvT1_
		.amdhsa_group_segment_fixed_size 0
		.amdhsa_private_segment_fixed_size 0
		.amdhsa_kernarg_size 296
		.amdhsa_user_sgpr_count 2
		.amdhsa_user_sgpr_dispatch_ptr 0
		.amdhsa_user_sgpr_queue_ptr 0
		.amdhsa_user_sgpr_kernarg_segment_ptr 1
		.amdhsa_user_sgpr_dispatch_id 0
		.amdhsa_user_sgpr_kernarg_preload_length 0
		.amdhsa_user_sgpr_kernarg_preload_offset 0
		.amdhsa_user_sgpr_private_segment_size 0
		.amdhsa_uses_dynamic_stack 0
		.amdhsa_enable_private_segment 0
		.amdhsa_system_sgpr_workgroup_id_x 1
		.amdhsa_system_sgpr_workgroup_id_y 0
		.amdhsa_system_sgpr_workgroup_id_z 0
		.amdhsa_system_sgpr_workgroup_info 0
		.amdhsa_system_vgpr_workitem_id 0
		.amdhsa_next_free_vgpr 3
		.amdhsa_next_free_sgpr 12
		.amdhsa_accum_offset 4
		.amdhsa_reserve_vcc 1
		.amdhsa_float_round_mode_32 0
		.amdhsa_float_round_mode_16_64 0
		.amdhsa_float_denorm_mode_32 3
		.amdhsa_float_denorm_mode_16_64 3
		.amdhsa_dx10_clamp 1
		.amdhsa_ieee_mode 1
		.amdhsa_fp16_overflow 0
		.amdhsa_tg_split 0
		.amdhsa_exception_fp_ieee_invalid_op 0
		.amdhsa_exception_fp_denorm_src 0
		.amdhsa_exception_fp_ieee_div_zero 0
		.amdhsa_exception_fp_ieee_overflow 0
		.amdhsa_exception_fp_ieee_underflow 0
		.amdhsa_exception_fp_ieee_inexact 0
		.amdhsa_exception_int_div_zero 0
	.end_amdhsa_kernel
	.section	.text._ZN7rocprim17ROCPRIM_400000_NS6detail17trampoline_kernelINS0_14default_configENS1_25transform_config_selectorIdLb1EEEZNS1_14transform_implILb1ES3_S5_PdS7_NS0_8identityIdEEEE10hipError_tT2_T3_mT4_P12ihipStream_tbEUlT_E_NS1_11comp_targetILNS1_3genE0ELNS1_11target_archE4294967295ELNS1_3gpuE0ELNS1_3repE0EEENS1_30default_config_static_selectorELNS0_4arch9wavefront6targetE1EEEvT1_,"axG",@progbits,_ZN7rocprim17ROCPRIM_400000_NS6detail17trampoline_kernelINS0_14default_configENS1_25transform_config_selectorIdLb1EEEZNS1_14transform_implILb1ES3_S5_PdS7_NS0_8identityIdEEEE10hipError_tT2_T3_mT4_P12ihipStream_tbEUlT_E_NS1_11comp_targetILNS1_3genE0ELNS1_11target_archE4294967295ELNS1_3gpuE0ELNS1_3repE0EEENS1_30default_config_static_selectorELNS0_4arch9wavefront6targetE1EEEvT1_,comdat
.Lfunc_end10:
	.size	_ZN7rocprim17ROCPRIM_400000_NS6detail17trampoline_kernelINS0_14default_configENS1_25transform_config_selectorIdLb1EEEZNS1_14transform_implILb1ES3_S5_PdS7_NS0_8identityIdEEEE10hipError_tT2_T3_mT4_P12ihipStream_tbEUlT_E_NS1_11comp_targetILNS1_3genE0ELNS1_11target_archE4294967295ELNS1_3gpuE0ELNS1_3repE0EEENS1_30default_config_static_selectorELNS0_4arch9wavefront6targetE1EEEvT1_, .Lfunc_end10-_ZN7rocprim17ROCPRIM_400000_NS6detail17trampoline_kernelINS0_14default_configENS1_25transform_config_selectorIdLb1EEEZNS1_14transform_implILb1ES3_S5_PdS7_NS0_8identityIdEEEE10hipError_tT2_T3_mT4_P12ihipStream_tbEUlT_E_NS1_11comp_targetILNS1_3genE0ELNS1_11target_archE4294967295ELNS1_3gpuE0ELNS1_3repE0EEENS1_30default_config_static_selectorELNS0_4arch9wavefront6targetE1EEEvT1_
                                        ; -- End function
	.set _ZN7rocprim17ROCPRIM_400000_NS6detail17trampoline_kernelINS0_14default_configENS1_25transform_config_selectorIdLb1EEEZNS1_14transform_implILb1ES3_S5_PdS7_NS0_8identityIdEEEE10hipError_tT2_T3_mT4_P12ihipStream_tbEUlT_E_NS1_11comp_targetILNS1_3genE0ELNS1_11target_archE4294967295ELNS1_3gpuE0ELNS1_3repE0EEENS1_30default_config_static_selectorELNS0_4arch9wavefront6targetE1EEEvT1_.num_vgpr, 3
	.set _ZN7rocprim17ROCPRIM_400000_NS6detail17trampoline_kernelINS0_14default_configENS1_25transform_config_selectorIdLb1EEEZNS1_14transform_implILb1ES3_S5_PdS7_NS0_8identityIdEEEE10hipError_tT2_T3_mT4_P12ihipStream_tbEUlT_E_NS1_11comp_targetILNS1_3genE0ELNS1_11target_archE4294967295ELNS1_3gpuE0ELNS1_3repE0EEENS1_30default_config_static_selectorELNS0_4arch9wavefront6targetE1EEEvT1_.num_agpr, 0
	.set _ZN7rocprim17ROCPRIM_400000_NS6detail17trampoline_kernelINS0_14default_configENS1_25transform_config_selectorIdLb1EEEZNS1_14transform_implILb1ES3_S5_PdS7_NS0_8identityIdEEEE10hipError_tT2_T3_mT4_P12ihipStream_tbEUlT_E_NS1_11comp_targetILNS1_3genE0ELNS1_11target_archE4294967295ELNS1_3gpuE0ELNS1_3repE0EEENS1_30default_config_static_selectorELNS0_4arch9wavefront6targetE1EEEvT1_.numbered_sgpr, 12
	.set _ZN7rocprim17ROCPRIM_400000_NS6detail17trampoline_kernelINS0_14default_configENS1_25transform_config_selectorIdLb1EEEZNS1_14transform_implILb1ES3_S5_PdS7_NS0_8identityIdEEEE10hipError_tT2_T3_mT4_P12ihipStream_tbEUlT_E_NS1_11comp_targetILNS1_3genE0ELNS1_11target_archE4294967295ELNS1_3gpuE0ELNS1_3repE0EEENS1_30default_config_static_selectorELNS0_4arch9wavefront6targetE1EEEvT1_.num_named_barrier, 0
	.set _ZN7rocprim17ROCPRIM_400000_NS6detail17trampoline_kernelINS0_14default_configENS1_25transform_config_selectorIdLb1EEEZNS1_14transform_implILb1ES3_S5_PdS7_NS0_8identityIdEEEE10hipError_tT2_T3_mT4_P12ihipStream_tbEUlT_E_NS1_11comp_targetILNS1_3genE0ELNS1_11target_archE4294967295ELNS1_3gpuE0ELNS1_3repE0EEENS1_30default_config_static_selectorELNS0_4arch9wavefront6targetE1EEEvT1_.private_seg_size, 0
	.set _ZN7rocprim17ROCPRIM_400000_NS6detail17trampoline_kernelINS0_14default_configENS1_25transform_config_selectorIdLb1EEEZNS1_14transform_implILb1ES3_S5_PdS7_NS0_8identityIdEEEE10hipError_tT2_T3_mT4_P12ihipStream_tbEUlT_E_NS1_11comp_targetILNS1_3genE0ELNS1_11target_archE4294967295ELNS1_3gpuE0ELNS1_3repE0EEENS1_30default_config_static_selectorELNS0_4arch9wavefront6targetE1EEEvT1_.uses_vcc, 1
	.set _ZN7rocprim17ROCPRIM_400000_NS6detail17trampoline_kernelINS0_14default_configENS1_25transform_config_selectorIdLb1EEEZNS1_14transform_implILb1ES3_S5_PdS7_NS0_8identityIdEEEE10hipError_tT2_T3_mT4_P12ihipStream_tbEUlT_E_NS1_11comp_targetILNS1_3genE0ELNS1_11target_archE4294967295ELNS1_3gpuE0ELNS1_3repE0EEENS1_30default_config_static_selectorELNS0_4arch9wavefront6targetE1EEEvT1_.uses_flat_scratch, 0
	.set _ZN7rocprim17ROCPRIM_400000_NS6detail17trampoline_kernelINS0_14default_configENS1_25transform_config_selectorIdLb1EEEZNS1_14transform_implILb1ES3_S5_PdS7_NS0_8identityIdEEEE10hipError_tT2_T3_mT4_P12ihipStream_tbEUlT_E_NS1_11comp_targetILNS1_3genE0ELNS1_11target_archE4294967295ELNS1_3gpuE0ELNS1_3repE0EEENS1_30default_config_static_selectorELNS0_4arch9wavefront6targetE1EEEvT1_.has_dyn_sized_stack, 0
	.set _ZN7rocprim17ROCPRIM_400000_NS6detail17trampoline_kernelINS0_14default_configENS1_25transform_config_selectorIdLb1EEEZNS1_14transform_implILb1ES3_S5_PdS7_NS0_8identityIdEEEE10hipError_tT2_T3_mT4_P12ihipStream_tbEUlT_E_NS1_11comp_targetILNS1_3genE0ELNS1_11target_archE4294967295ELNS1_3gpuE0ELNS1_3repE0EEENS1_30default_config_static_selectorELNS0_4arch9wavefront6targetE1EEEvT1_.has_recursion, 0
	.set _ZN7rocprim17ROCPRIM_400000_NS6detail17trampoline_kernelINS0_14default_configENS1_25transform_config_selectorIdLb1EEEZNS1_14transform_implILb1ES3_S5_PdS7_NS0_8identityIdEEEE10hipError_tT2_T3_mT4_P12ihipStream_tbEUlT_E_NS1_11comp_targetILNS1_3genE0ELNS1_11target_archE4294967295ELNS1_3gpuE0ELNS1_3repE0EEENS1_30default_config_static_selectorELNS0_4arch9wavefront6targetE1EEEvT1_.has_indirect_call, 0
	.section	.AMDGPU.csdata,"",@progbits
; Kernel info:
; codeLenInByte = 148
; TotalNumSgprs: 18
; NumVgprs: 3
; NumAgprs: 0
; TotalNumVgprs: 3
; ScratchSize: 0
; MemoryBound: 0
; FloatMode: 240
; IeeeMode: 1
; LDSByteSize: 0 bytes/workgroup (compile time only)
; SGPRBlocks: 2
; VGPRBlocks: 0
; NumSGPRsForWavesPerEU: 18
; NumVGPRsForWavesPerEU: 3
; AccumOffset: 4
; Occupancy: 8
; WaveLimiterHint : 0
; COMPUTE_PGM_RSRC2:SCRATCH_EN: 0
; COMPUTE_PGM_RSRC2:USER_SGPR: 2
; COMPUTE_PGM_RSRC2:TRAP_HANDLER: 0
; COMPUTE_PGM_RSRC2:TGID_X_EN: 1
; COMPUTE_PGM_RSRC2:TGID_Y_EN: 0
; COMPUTE_PGM_RSRC2:TGID_Z_EN: 0
; COMPUTE_PGM_RSRC2:TIDIG_COMP_CNT: 0
; COMPUTE_PGM_RSRC3_GFX90A:ACCUM_OFFSET: 0
; COMPUTE_PGM_RSRC3_GFX90A:TG_SPLIT: 0
	.section	.text._ZN7rocprim17ROCPRIM_400000_NS6detail17trampoline_kernelINS0_14default_configENS1_25transform_config_selectorIdLb1EEEZNS1_14transform_implILb1ES3_S5_PdS7_NS0_8identityIdEEEE10hipError_tT2_T3_mT4_P12ihipStream_tbEUlT_E_NS1_11comp_targetILNS1_3genE10ELNS1_11target_archE1201ELNS1_3gpuE5ELNS1_3repE0EEENS1_30default_config_static_selectorELNS0_4arch9wavefront6targetE1EEEvT1_,"axG",@progbits,_ZN7rocprim17ROCPRIM_400000_NS6detail17trampoline_kernelINS0_14default_configENS1_25transform_config_selectorIdLb1EEEZNS1_14transform_implILb1ES3_S5_PdS7_NS0_8identityIdEEEE10hipError_tT2_T3_mT4_P12ihipStream_tbEUlT_E_NS1_11comp_targetILNS1_3genE10ELNS1_11target_archE1201ELNS1_3gpuE5ELNS1_3repE0EEENS1_30default_config_static_selectorELNS0_4arch9wavefront6targetE1EEEvT1_,comdat
	.protected	_ZN7rocprim17ROCPRIM_400000_NS6detail17trampoline_kernelINS0_14default_configENS1_25transform_config_selectorIdLb1EEEZNS1_14transform_implILb1ES3_S5_PdS7_NS0_8identityIdEEEE10hipError_tT2_T3_mT4_P12ihipStream_tbEUlT_E_NS1_11comp_targetILNS1_3genE10ELNS1_11target_archE1201ELNS1_3gpuE5ELNS1_3repE0EEENS1_30default_config_static_selectorELNS0_4arch9wavefront6targetE1EEEvT1_ ; -- Begin function _ZN7rocprim17ROCPRIM_400000_NS6detail17trampoline_kernelINS0_14default_configENS1_25transform_config_selectorIdLb1EEEZNS1_14transform_implILb1ES3_S5_PdS7_NS0_8identityIdEEEE10hipError_tT2_T3_mT4_P12ihipStream_tbEUlT_E_NS1_11comp_targetILNS1_3genE10ELNS1_11target_archE1201ELNS1_3gpuE5ELNS1_3repE0EEENS1_30default_config_static_selectorELNS0_4arch9wavefront6targetE1EEEvT1_
	.globl	_ZN7rocprim17ROCPRIM_400000_NS6detail17trampoline_kernelINS0_14default_configENS1_25transform_config_selectorIdLb1EEEZNS1_14transform_implILb1ES3_S5_PdS7_NS0_8identityIdEEEE10hipError_tT2_T3_mT4_P12ihipStream_tbEUlT_E_NS1_11comp_targetILNS1_3genE10ELNS1_11target_archE1201ELNS1_3gpuE5ELNS1_3repE0EEENS1_30default_config_static_selectorELNS0_4arch9wavefront6targetE1EEEvT1_
	.p2align	8
	.type	_ZN7rocprim17ROCPRIM_400000_NS6detail17trampoline_kernelINS0_14default_configENS1_25transform_config_selectorIdLb1EEEZNS1_14transform_implILb1ES3_S5_PdS7_NS0_8identityIdEEEE10hipError_tT2_T3_mT4_P12ihipStream_tbEUlT_E_NS1_11comp_targetILNS1_3genE10ELNS1_11target_archE1201ELNS1_3gpuE5ELNS1_3repE0EEENS1_30default_config_static_selectorELNS0_4arch9wavefront6targetE1EEEvT1_,@function
_ZN7rocprim17ROCPRIM_400000_NS6detail17trampoline_kernelINS0_14default_configENS1_25transform_config_selectorIdLb1EEEZNS1_14transform_implILb1ES3_S5_PdS7_NS0_8identityIdEEEE10hipError_tT2_T3_mT4_P12ihipStream_tbEUlT_E_NS1_11comp_targetILNS1_3genE10ELNS1_11target_archE1201ELNS1_3gpuE5ELNS1_3repE0EEENS1_30default_config_static_selectorELNS0_4arch9wavefront6targetE1EEEvT1_: ; @_ZN7rocprim17ROCPRIM_400000_NS6detail17trampoline_kernelINS0_14default_configENS1_25transform_config_selectorIdLb1EEEZNS1_14transform_implILb1ES3_S5_PdS7_NS0_8identityIdEEEE10hipError_tT2_T3_mT4_P12ihipStream_tbEUlT_E_NS1_11comp_targetILNS1_3genE10ELNS1_11target_archE1201ELNS1_3gpuE5ELNS1_3repE0EEENS1_30default_config_static_selectorELNS0_4arch9wavefront6targetE1EEEvT1_
; %bb.0:
	.section	.rodata,"a",@progbits
	.p2align	6, 0x0
	.amdhsa_kernel _ZN7rocprim17ROCPRIM_400000_NS6detail17trampoline_kernelINS0_14default_configENS1_25transform_config_selectorIdLb1EEEZNS1_14transform_implILb1ES3_S5_PdS7_NS0_8identityIdEEEE10hipError_tT2_T3_mT4_P12ihipStream_tbEUlT_E_NS1_11comp_targetILNS1_3genE10ELNS1_11target_archE1201ELNS1_3gpuE5ELNS1_3repE0EEENS1_30default_config_static_selectorELNS0_4arch9wavefront6targetE1EEEvT1_
		.amdhsa_group_segment_fixed_size 0
		.amdhsa_private_segment_fixed_size 0
		.amdhsa_kernarg_size 40
		.amdhsa_user_sgpr_count 2
		.amdhsa_user_sgpr_dispatch_ptr 0
		.amdhsa_user_sgpr_queue_ptr 0
		.amdhsa_user_sgpr_kernarg_segment_ptr 1
		.amdhsa_user_sgpr_dispatch_id 0
		.amdhsa_user_sgpr_kernarg_preload_length 0
		.amdhsa_user_sgpr_kernarg_preload_offset 0
		.amdhsa_user_sgpr_private_segment_size 0
		.amdhsa_uses_dynamic_stack 0
		.amdhsa_enable_private_segment 0
		.amdhsa_system_sgpr_workgroup_id_x 1
		.amdhsa_system_sgpr_workgroup_id_y 0
		.amdhsa_system_sgpr_workgroup_id_z 0
		.amdhsa_system_sgpr_workgroup_info 0
		.amdhsa_system_vgpr_workitem_id 0
		.amdhsa_next_free_vgpr 1
		.amdhsa_next_free_sgpr 0
		.amdhsa_accum_offset 4
		.amdhsa_reserve_vcc 0
		.amdhsa_float_round_mode_32 0
		.amdhsa_float_round_mode_16_64 0
		.amdhsa_float_denorm_mode_32 3
		.amdhsa_float_denorm_mode_16_64 3
		.amdhsa_dx10_clamp 1
		.amdhsa_ieee_mode 1
		.amdhsa_fp16_overflow 0
		.amdhsa_tg_split 0
		.amdhsa_exception_fp_ieee_invalid_op 0
		.amdhsa_exception_fp_denorm_src 0
		.amdhsa_exception_fp_ieee_div_zero 0
		.amdhsa_exception_fp_ieee_overflow 0
		.amdhsa_exception_fp_ieee_underflow 0
		.amdhsa_exception_fp_ieee_inexact 0
		.amdhsa_exception_int_div_zero 0
	.end_amdhsa_kernel
	.section	.text._ZN7rocprim17ROCPRIM_400000_NS6detail17trampoline_kernelINS0_14default_configENS1_25transform_config_selectorIdLb1EEEZNS1_14transform_implILb1ES3_S5_PdS7_NS0_8identityIdEEEE10hipError_tT2_T3_mT4_P12ihipStream_tbEUlT_E_NS1_11comp_targetILNS1_3genE10ELNS1_11target_archE1201ELNS1_3gpuE5ELNS1_3repE0EEENS1_30default_config_static_selectorELNS0_4arch9wavefront6targetE1EEEvT1_,"axG",@progbits,_ZN7rocprim17ROCPRIM_400000_NS6detail17trampoline_kernelINS0_14default_configENS1_25transform_config_selectorIdLb1EEEZNS1_14transform_implILb1ES3_S5_PdS7_NS0_8identityIdEEEE10hipError_tT2_T3_mT4_P12ihipStream_tbEUlT_E_NS1_11comp_targetILNS1_3genE10ELNS1_11target_archE1201ELNS1_3gpuE5ELNS1_3repE0EEENS1_30default_config_static_selectorELNS0_4arch9wavefront6targetE1EEEvT1_,comdat
.Lfunc_end11:
	.size	_ZN7rocprim17ROCPRIM_400000_NS6detail17trampoline_kernelINS0_14default_configENS1_25transform_config_selectorIdLb1EEEZNS1_14transform_implILb1ES3_S5_PdS7_NS0_8identityIdEEEE10hipError_tT2_T3_mT4_P12ihipStream_tbEUlT_E_NS1_11comp_targetILNS1_3genE10ELNS1_11target_archE1201ELNS1_3gpuE5ELNS1_3repE0EEENS1_30default_config_static_selectorELNS0_4arch9wavefront6targetE1EEEvT1_, .Lfunc_end11-_ZN7rocprim17ROCPRIM_400000_NS6detail17trampoline_kernelINS0_14default_configENS1_25transform_config_selectorIdLb1EEEZNS1_14transform_implILb1ES3_S5_PdS7_NS0_8identityIdEEEE10hipError_tT2_T3_mT4_P12ihipStream_tbEUlT_E_NS1_11comp_targetILNS1_3genE10ELNS1_11target_archE1201ELNS1_3gpuE5ELNS1_3repE0EEENS1_30default_config_static_selectorELNS0_4arch9wavefront6targetE1EEEvT1_
                                        ; -- End function
	.set _ZN7rocprim17ROCPRIM_400000_NS6detail17trampoline_kernelINS0_14default_configENS1_25transform_config_selectorIdLb1EEEZNS1_14transform_implILb1ES3_S5_PdS7_NS0_8identityIdEEEE10hipError_tT2_T3_mT4_P12ihipStream_tbEUlT_E_NS1_11comp_targetILNS1_3genE10ELNS1_11target_archE1201ELNS1_3gpuE5ELNS1_3repE0EEENS1_30default_config_static_selectorELNS0_4arch9wavefront6targetE1EEEvT1_.num_vgpr, 0
	.set _ZN7rocprim17ROCPRIM_400000_NS6detail17trampoline_kernelINS0_14default_configENS1_25transform_config_selectorIdLb1EEEZNS1_14transform_implILb1ES3_S5_PdS7_NS0_8identityIdEEEE10hipError_tT2_T3_mT4_P12ihipStream_tbEUlT_E_NS1_11comp_targetILNS1_3genE10ELNS1_11target_archE1201ELNS1_3gpuE5ELNS1_3repE0EEENS1_30default_config_static_selectorELNS0_4arch9wavefront6targetE1EEEvT1_.num_agpr, 0
	.set _ZN7rocprim17ROCPRIM_400000_NS6detail17trampoline_kernelINS0_14default_configENS1_25transform_config_selectorIdLb1EEEZNS1_14transform_implILb1ES3_S5_PdS7_NS0_8identityIdEEEE10hipError_tT2_T3_mT4_P12ihipStream_tbEUlT_E_NS1_11comp_targetILNS1_3genE10ELNS1_11target_archE1201ELNS1_3gpuE5ELNS1_3repE0EEENS1_30default_config_static_selectorELNS0_4arch9wavefront6targetE1EEEvT1_.numbered_sgpr, 0
	.set _ZN7rocprim17ROCPRIM_400000_NS6detail17trampoline_kernelINS0_14default_configENS1_25transform_config_selectorIdLb1EEEZNS1_14transform_implILb1ES3_S5_PdS7_NS0_8identityIdEEEE10hipError_tT2_T3_mT4_P12ihipStream_tbEUlT_E_NS1_11comp_targetILNS1_3genE10ELNS1_11target_archE1201ELNS1_3gpuE5ELNS1_3repE0EEENS1_30default_config_static_selectorELNS0_4arch9wavefront6targetE1EEEvT1_.num_named_barrier, 0
	.set _ZN7rocprim17ROCPRIM_400000_NS6detail17trampoline_kernelINS0_14default_configENS1_25transform_config_selectorIdLb1EEEZNS1_14transform_implILb1ES3_S5_PdS7_NS0_8identityIdEEEE10hipError_tT2_T3_mT4_P12ihipStream_tbEUlT_E_NS1_11comp_targetILNS1_3genE10ELNS1_11target_archE1201ELNS1_3gpuE5ELNS1_3repE0EEENS1_30default_config_static_selectorELNS0_4arch9wavefront6targetE1EEEvT1_.private_seg_size, 0
	.set _ZN7rocprim17ROCPRIM_400000_NS6detail17trampoline_kernelINS0_14default_configENS1_25transform_config_selectorIdLb1EEEZNS1_14transform_implILb1ES3_S5_PdS7_NS0_8identityIdEEEE10hipError_tT2_T3_mT4_P12ihipStream_tbEUlT_E_NS1_11comp_targetILNS1_3genE10ELNS1_11target_archE1201ELNS1_3gpuE5ELNS1_3repE0EEENS1_30default_config_static_selectorELNS0_4arch9wavefront6targetE1EEEvT1_.uses_vcc, 0
	.set _ZN7rocprim17ROCPRIM_400000_NS6detail17trampoline_kernelINS0_14default_configENS1_25transform_config_selectorIdLb1EEEZNS1_14transform_implILb1ES3_S5_PdS7_NS0_8identityIdEEEE10hipError_tT2_T3_mT4_P12ihipStream_tbEUlT_E_NS1_11comp_targetILNS1_3genE10ELNS1_11target_archE1201ELNS1_3gpuE5ELNS1_3repE0EEENS1_30default_config_static_selectorELNS0_4arch9wavefront6targetE1EEEvT1_.uses_flat_scratch, 0
	.set _ZN7rocprim17ROCPRIM_400000_NS6detail17trampoline_kernelINS0_14default_configENS1_25transform_config_selectorIdLb1EEEZNS1_14transform_implILb1ES3_S5_PdS7_NS0_8identityIdEEEE10hipError_tT2_T3_mT4_P12ihipStream_tbEUlT_E_NS1_11comp_targetILNS1_3genE10ELNS1_11target_archE1201ELNS1_3gpuE5ELNS1_3repE0EEENS1_30default_config_static_selectorELNS0_4arch9wavefront6targetE1EEEvT1_.has_dyn_sized_stack, 0
	.set _ZN7rocprim17ROCPRIM_400000_NS6detail17trampoline_kernelINS0_14default_configENS1_25transform_config_selectorIdLb1EEEZNS1_14transform_implILb1ES3_S5_PdS7_NS0_8identityIdEEEE10hipError_tT2_T3_mT4_P12ihipStream_tbEUlT_E_NS1_11comp_targetILNS1_3genE10ELNS1_11target_archE1201ELNS1_3gpuE5ELNS1_3repE0EEENS1_30default_config_static_selectorELNS0_4arch9wavefront6targetE1EEEvT1_.has_recursion, 0
	.set _ZN7rocprim17ROCPRIM_400000_NS6detail17trampoline_kernelINS0_14default_configENS1_25transform_config_selectorIdLb1EEEZNS1_14transform_implILb1ES3_S5_PdS7_NS0_8identityIdEEEE10hipError_tT2_T3_mT4_P12ihipStream_tbEUlT_E_NS1_11comp_targetILNS1_3genE10ELNS1_11target_archE1201ELNS1_3gpuE5ELNS1_3repE0EEENS1_30default_config_static_selectorELNS0_4arch9wavefront6targetE1EEEvT1_.has_indirect_call, 0
	.section	.AMDGPU.csdata,"",@progbits
; Kernel info:
; codeLenInByte = 0
; TotalNumSgprs: 6
; NumVgprs: 0
; NumAgprs: 0
; TotalNumVgprs: 0
; ScratchSize: 0
; MemoryBound: 0
; FloatMode: 240
; IeeeMode: 1
; LDSByteSize: 0 bytes/workgroup (compile time only)
; SGPRBlocks: 0
; VGPRBlocks: 0
; NumSGPRsForWavesPerEU: 6
; NumVGPRsForWavesPerEU: 1
; AccumOffset: 4
; Occupancy: 8
; WaveLimiterHint : 0
; COMPUTE_PGM_RSRC2:SCRATCH_EN: 0
; COMPUTE_PGM_RSRC2:USER_SGPR: 2
; COMPUTE_PGM_RSRC2:TRAP_HANDLER: 0
; COMPUTE_PGM_RSRC2:TGID_X_EN: 1
; COMPUTE_PGM_RSRC2:TGID_Y_EN: 0
; COMPUTE_PGM_RSRC2:TGID_Z_EN: 0
; COMPUTE_PGM_RSRC2:TIDIG_COMP_CNT: 0
; COMPUTE_PGM_RSRC3_GFX90A:ACCUM_OFFSET: 0
; COMPUTE_PGM_RSRC3_GFX90A:TG_SPLIT: 0
	.section	.text._ZN7rocprim17ROCPRIM_400000_NS6detail17trampoline_kernelINS0_14default_configENS1_25transform_config_selectorIdLb1EEEZNS1_14transform_implILb1ES3_S5_PdS7_NS0_8identityIdEEEE10hipError_tT2_T3_mT4_P12ihipStream_tbEUlT_E_NS1_11comp_targetILNS1_3genE5ELNS1_11target_archE942ELNS1_3gpuE9ELNS1_3repE0EEENS1_30default_config_static_selectorELNS0_4arch9wavefront6targetE1EEEvT1_,"axG",@progbits,_ZN7rocprim17ROCPRIM_400000_NS6detail17trampoline_kernelINS0_14default_configENS1_25transform_config_selectorIdLb1EEEZNS1_14transform_implILb1ES3_S5_PdS7_NS0_8identityIdEEEE10hipError_tT2_T3_mT4_P12ihipStream_tbEUlT_E_NS1_11comp_targetILNS1_3genE5ELNS1_11target_archE942ELNS1_3gpuE9ELNS1_3repE0EEENS1_30default_config_static_selectorELNS0_4arch9wavefront6targetE1EEEvT1_,comdat
	.protected	_ZN7rocprim17ROCPRIM_400000_NS6detail17trampoline_kernelINS0_14default_configENS1_25transform_config_selectorIdLb1EEEZNS1_14transform_implILb1ES3_S5_PdS7_NS0_8identityIdEEEE10hipError_tT2_T3_mT4_P12ihipStream_tbEUlT_E_NS1_11comp_targetILNS1_3genE5ELNS1_11target_archE942ELNS1_3gpuE9ELNS1_3repE0EEENS1_30default_config_static_selectorELNS0_4arch9wavefront6targetE1EEEvT1_ ; -- Begin function _ZN7rocprim17ROCPRIM_400000_NS6detail17trampoline_kernelINS0_14default_configENS1_25transform_config_selectorIdLb1EEEZNS1_14transform_implILb1ES3_S5_PdS7_NS0_8identityIdEEEE10hipError_tT2_T3_mT4_P12ihipStream_tbEUlT_E_NS1_11comp_targetILNS1_3genE5ELNS1_11target_archE942ELNS1_3gpuE9ELNS1_3repE0EEENS1_30default_config_static_selectorELNS0_4arch9wavefront6targetE1EEEvT1_
	.globl	_ZN7rocprim17ROCPRIM_400000_NS6detail17trampoline_kernelINS0_14default_configENS1_25transform_config_selectorIdLb1EEEZNS1_14transform_implILb1ES3_S5_PdS7_NS0_8identityIdEEEE10hipError_tT2_T3_mT4_P12ihipStream_tbEUlT_E_NS1_11comp_targetILNS1_3genE5ELNS1_11target_archE942ELNS1_3gpuE9ELNS1_3repE0EEENS1_30default_config_static_selectorELNS0_4arch9wavefront6targetE1EEEvT1_
	.p2align	8
	.type	_ZN7rocprim17ROCPRIM_400000_NS6detail17trampoline_kernelINS0_14default_configENS1_25transform_config_selectorIdLb1EEEZNS1_14transform_implILb1ES3_S5_PdS7_NS0_8identityIdEEEE10hipError_tT2_T3_mT4_P12ihipStream_tbEUlT_E_NS1_11comp_targetILNS1_3genE5ELNS1_11target_archE942ELNS1_3gpuE9ELNS1_3repE0EEENS1_30default_config_static_selectorELNS0_4arch9wavefront6targetE1EEEvT1_,@function
_ZN7rocprim17ROCPRIM_400000_NS6detail17trampoline_kernelINS0_14default_configENS1_25transform_config_selectorIdLb1EEEZNS1_14transform_implILb1ES3_S5_PdS7_NS0_8identityIdEEEE10hipError_tT2_T3_mT4_P12ihipStream_tbEUlT_E_NS1_11comp_targetILNS1_3genE5ELNS1_11target_archE942ELNS1_3gpuE9ELNS1_3repE0EEENS1_30default_config_static_selectorELNS0_4arch9wavefront6targetE1EEEvT1_: ; @_ZN7rocprim17ROCPRIM_400000_NS6detail17trampoline_kernelINS0_14default_configENS1_25transform_config_selectorIdLb1EEEZNS1_14transform_implILb1ES3_S5_PdS7_NS0_8identityIdEEEE10hipError_tT2_T3_mT4_P12ihipStream_tbEUlT_E_NS1_11comp_targetILNS1_3genE5ELNS1_11target_archE942ELNS1_3gpuE9ELNS1_3repE0EEENS1_30default_config_static_selectorELNS0_4arch9wavefront6targetE1EEEvT1_
; %bb.0:
	.section	.rodata,"a",@progbits
	.p2align	6, 0x0
	.amdhsa_kernel _ZN7rocprim17ROCPRIM_400000_NS6detail17trampoline_kernelINS0_14default_configENS1_25transform_config_selectorIdLb1EEEZNS1_14transform_implILb1ES3_S5_PdS7_NS0_8identityIdEEEE10hipError_tT2_T3_mT4_P12ihipStream_tbEUlT_E_NS1_11comp_targetILNS1_3genE5ELNS1_11target_archE942ELNS1_3gpuE9ELNS1_3repE0EEENS1_30default_config_static_selectorELNS0_4arch9wavefront6targetE1EEEvT1_
		.amdhsa_group_segment_fixed_size 0
		.amdhsa_private_segment_fixed_size 0
		.amdhsa_kernarg_size 40
		.amdhsa_user_sgpr_count 2
		.amdhsa_user_sgpr_dispatch_ptr 0
		.amdhsa_user_sgpr_queue_ptr 0
		.amdhsa_user_sgpr_kernarg_segment_ptr 1
		.amdhsa_user_sgpr_dispatch_id 0
		.amdhsa_user_sgpr_kernarg_preload_length 0
		.amdhsa_user_sgpr_kernarg_preload_offset 0
		.amdhsa_user_sgpr_private_segment_size 0
		.amdhsa_uses_dynamic_stack 0
		.amdhsa_enable_private_segment 0
		.amdhsa_system_sgpr_workgroup_id_x 1
		.amdhsa_system_sgpr_workgroup_id_y 0
		.amdhsa_system_sgpr_workgroup_id_z 0
		.amdhsa_system_sgpr_workgroup_info 0
		.amdhsa_system_vgpr_workitem_id 0
		.amdhsa_next_free_vgpr 1
		.amdhsa_next_free_sgpr 0
		.amdhsa_accum_offset 4
		.amdhsa_reserve_vcc 0
		.amdhsa_float_round_mode_32 0
		.amdhsa_float_round_mode_16_64 0
		.amdhsa_float_denorm_mode_32 3
		.amdhsa_float_denorm_mode_16_64 3
		.amdhsa_dx10_clamp 1
		.amdhsa_ieee_mode 1
		.amdhsa_fp16_overflow 0
		.amdhsa_tg_split 0
		.amdhsa_exception_fp_ieee_invalid_op 0
		.amdhsa_exception_fp_denorm_src 0
		.amdhsa_exception_fp_ieee_div_zero 0
		.amdhsa_exception_fp_ieee_overflow 0
		.amdhsa_exception_fp_ieee_underflow 0
		.amdhsa_exception_fp_ieee_inexact 0
		.amdhsa_exception_int_div_zero 0
	.end_amdhsa_kernel
	.section	.text._ZN7rocprim17ROCPRIM_400000_NS6detail17trampoline_kernelINS0_14default_configENS1_25transform_config_selectorIdLb1EEEZNS1_14transform_implILb1ES3_S5_PdS7_NS0_8identityIdEEEE10hipError_tT2_T3_mT4_P12ihipStream_tbEUlT_E_NS1_11comp_targetILNS1_3genE5ELNS1_11target_archE942ELNS1_3gpuE9ELNS1_3repE0EEENS1_30default_config_static_selectorELNS0_4arch9wavefront6targetE1EEEvT1_,"axG",@progbits,_ZN7rocprim17ROCPRIM_400000_NS6detail17trampoline_kernelINS0_14default_configENS1_25transform_config_selectorIdLb1EEEZNS1_14transform_implILb1ES3_S5_PdS7_NS0_8identityIdEEEE10hipError_tT2_T3_mT4_P12ihipStream_tbEUlT_E_NS1_11comp_targetILNS1_3genE5ELNS1_11target_archE942ELNS1_3gpuE9ELNS1_3repE0EEENS1_30default_config_static_selectorELNS0_4arch9wavefront6targetE1EEEvT1_,comdat
.Lfunc_end12:
	.size	_ZN7rocprim17ROCPRIM_400000_NS6detail17trampoline_kernelINS0_14default_configENS1_25transform_config_selectorIdLb1EEEZNS1_14transform_implILb1ES3_S5_PdS7_NS0_8identityIdEEEE10hipError_tT2_T3_mT4_P12ihipStream_tbEUlT_E_NS1_11comp_targetILNS1_3genE5ELNS1_11target_archE942ELNS1_3gpuE9ELNS1_3repE0EEENS1_30default_config_static_selectorELNS0_4arch9wavefront6targetE1EEEvT1_, .Lfunc_end12-_ZN7rocprim17ROCPRIM_400000_NS6detail17trampoline_kernelINS0_14default_configENS1_25transform_config_selectorIdLb1EEEZNS1_14transform_implILb1ES3_S5_PdS7_NS0_8identityIdEEEE10hipError_tT2_T3_mT4_P12ihipStream_tbEUlT_E_NS1_11comp_targetILNS1_3genE5ELNS1_11target_archE942ELNS1_3gpuE9ELNS1_3repE0EEENS1_30default_config_static_selectorELNS0_4arch9wavefront6targetE1EEEvT1_
                                        ; -- End function
	.set _ZN7rocprim17ROCPRIM_400000_NS6detail17trampoline_kernelINS0_14default_configENS1_25transform_config_selectorIdLb1EEEZNS1_14transform_implILb1ES3_S5_PdS7_NS0_8identityIdEEEE10hipError_tT2_T3_mT4_P12ihipStream_tbEUlT_E_NS1_11comp_targetILNS1_3genE5ELNS1_11target_archE942ELNS1_3gpuE9ELNS1_3repE0EEENS1_30default_config_static_selectorELNS0_4arch9wavefront6targetE1EEEvT1_.num_vgpr, 0
	.set _ZN7rocprim17ROCPRIM_400000_NS6detail17trampoline_kernelINS0_14default_configENS1_25transform_config_selectorIdLb1EEEZNS1_14transform_implILb1ES3_S5_PdS7_NS0_8identityIdEEEE10hipError_tT2_T3_mT4_P12ihipStream_tbEUlT_E_NS1_11comp_targetILNS1_3genE5ELNS1_11target_archE942ELNS1_3gpuE9ELNS1_3repE0EEENS1_30default_config_static_selectorELNS0_4arch9wavefront6targetE1EEEvT1_.num_agpr, 0
	.set _ZN7rocprim17ROCPRIM_400000_NS6detail17trampoline_kernelINS0_14default_configENS1_25transform_config_selectorIdLb1EEEZNS1_14transform_implILb1ES3_S5_PdS7_NS0_8identityIdEEEE10hipError_tT2_T3_mT4_P12ihipStream_tbEUlT_E_NS1_11comp_targetILNS1_3genE5ELNS1_11target_archE942ELNS1_3gpuE9ELNS1_3repE0EEENS1_30default_config_static_selectorELNS0_4arch9wavefront6targetE1EEEvT1_.numbered_sgpr, 0
	.set _ZN7rocprim17ROCPRIM_400000_NS6detail17trampoline_kernelINS0_14default_configENS1_25transform_config_selectorIdLb1EEEZNS1_14transform_implILb1ES3_S5_PdS7_NS0_8identityIdEEEE10hipError_tT2_T3_mT4_P12ihipStream_tbEUlT_E_NS1_11comp_targetILNS1_3genE5ELNS1_11target_archE942ELNS1_3gpuE9ELNS1_3repE0EEENS1_30default_config_static_selectorELNS0_4arch9wavefront6targetE1EEEvT1_.num_named_barrier, 0
	.set _ZN7rocprim17ROCPRIM_400000_NS6detail17trampoline_kernelINS0_14default_configENS1_25transform_config_selectorIdLb1EEEZNS1_14transform_implILb1ES3_S5_PdS7_NS0_8identityIdEEEE10hipError_tT2_T3_mT4_P12ihipStream_tbEUlT_E_NS1_11comp_targetILNS1_3genE5ELNS1_11target_archE942ELNS1_3gpuE9ELNS1_3repE0EEENS1_30default_config_static_selectorELNS0_4arch9wavefront6targetE1EEEvT1_.private_seg_size, 0
	.set _ZN7rocprim17ROCPRIM_400000_NS6detail17trampoline_kernelINS0_14default_configENS1_25transform_config_selectorIdLb1EEEZNS1_14transform_implILb1ES3_S5_PdS7_NS0_8identityIdEEEE10hipError_tT2_T3_mT4_P12ihipStream_tbEUlT_E_NS1_11comp_targetILNS1_3genE5ELNS1_11target_archE942ELNS1_3gpuE9ELNS1_3repE0EEENS1_30default_config_static_selectorELNS0_4arch9wavefront6targetE1EEEvT1_.uses_vcc, 0
	.set _ZN7rocprim17ROCPRIM_400000_NS6detail17trampoline_kernelINS0_14default_configENS1_25transform_config_selectorIdLb1EEEZNS1_14transform_implILb1ES3_S5_PdS7_NS0_8identityIdEEEE10hipError_tT2_T3_mT4_P12ihipStream_tbEUlT_E_NS1_11comp_targetILNS1_3genE5ELNS1_11target_archE942ELNS1_3gpuE9ELNS1_3repE0EEENS1_30default_config_static_selectorELNS0_4arch9wavefront6targetE1EEEvT1_.uses_flat_scratch, 0
	.set _ZN7rocprim17ROCPRIM_400000_NS6detail17trampoline_kernelINS0_14default_configENS1_25transform_config_selectorIdLb1EEEZNS1_14transform_implILb1ES3_S5_PdS7_NS0_8identityIdEEEE10hipError_tT2_T3_mT4_P12ihipStream_tbEUlT_E_NS1_11comp_targetILNS1_3genE5ELNS1_11target_archE942ELNS1_3gpuE9ELNS1_3repE0EEENS1_30default_config_static_selectorELNS0_4arch9wavefront6targetE1EEEvT1_.has_dyn_sized_stack, 0
	.set _ZN7rocprim17ROCPRIM_400000_NS6detail17trampoline_kernelINS0_14default_configENS1_25transform_config_selectorIdLb1EEEZNS1_14transform_implILb1ES3_S5_PdS7_NS0_8identityIdEEEE10hipError_tT2_T3_mT4_P12ihipStream_tbEUlT_E_NS1_11comp_targetILNS1_3genE5ELNS1_11target_archE942ELNS1_3gpuE9ELNS1_3repE0EEENS1_30default_config_static_selectorELNS0_4arch9wavefront6targetE1EEEvT1_.has_recursion, 0
	.set _ZN7rocprim17ROCPRIM_400000_NS6detail17trampoline_kernelINS0_14default_configENS1_25transform_config_selectorIdLb1EEEZNS1_14transform_implILb1ES3_S5_PdS7_NS0_8identityIdEEEE10hipError_tT2_T3_mT4_P12ihipStream_tbEUlT_E_NS1_11comp_targetILNS1_3genE5ELNS1_11target_archE942ELNS1_3gpuE9ELNS1_3repE0EEENS1_30default_config_static_selectorELNS0_4arch9wavefront6targetE1EEEvT1_.has_indirect_call, 0
	.section	.AMDGPU.csdata,"",@progbits
; Kernel info:
; codeLenInByte = 0
; TotalNumSgprs: 6
; NumVgprs: 0
; NumAgprs: 0
; TotalNumVgprs: 0
; ScratchSize: 0
; MemoryBound: 0
; FloatMode: 240
; IeeeMode: 1
; LDSByteSize: 0 bytes/workgroup (compile time only)
; SGPRBlocks: 0
; VGPRBlocks: 0
; NumSGPRsForWavesPerEU: 6
; NumVGPRsForWavesPerEU: 1
; AccumOffset: 4
; Occupancy: 8
; WaveLimiterHint : 0
; COMPUTE_PGM_RSRC2:SCRATCH_EN: 0
; COMPUTE_PGM_RSRC2:USER_SGPR: 2
; COMPUTE_PGM_RSRC2:TRAP_HANDLER: 0
; COMPUTE_PGM_RSRC2:TGID_X_EN: 1
; COMPUTE_PGM_RSRC2:TGID_Y_EN: 0
; COMPUTE_PGM_RSRC2:TGID_Z_EN: 0
; COMPUTE_PGM_RSRC2:TIDIG_COMP_CNT: 0
; COMPUTE_PGM_RSRC3_GFX90A:ACCUM_OFFSET: 0
; COMPUTE_PGM_RSRC3_GFX90A:TG_SPLIT: 0
	.section	.text._ZN7rocprim17ROCPRIM_400000_NS6detail17trampoline_kernelINS0_14default_configENS1_25transform_config_selectorIdLb1EEEZNS1_14transform_implILb1ES3_S5_PdS7_NS0_8identityIdEEEE10hipError_tT2_T3_mT4_P12ihipStream_tbEUlT_E_NS1_11comp_targetILNS1_3genE4ELNS1_11target_archE910ELNS1_3gpuE8ELNS1_3repE0EEENS1_30default_config_static_selectorELNS0_4arch9wavefront6targetE1EEEvT1_,"axG",@progbits,_ZN7rocprim17ROCPRIM_400000_NS6detail17trampoline_kernelINS0_14default_configENS1_25transform_config_selectorIdLb1EEEZNS1_14transform_implILb1ES3_S5_PdS7_NS0_8identityIdEEEE10hipError_tT2_T3_mT4_P12ihipStream_tbEUlT_E_NS1_11comp_targetILNS1_3genE4ELNS1_11target_archE910ELNS1_3gpuE8ELNS1_3repE0EEENS1_30default_config_static_selectorELNS0_4arch9wavefront6targetE1EEEvT1_,comdat
	.protected	_ZN7rocprim17ROCPRIM_400000_NS6detail17trampoline_kernelINS0_14default_configENS1_25transform_config_selectorIdLb1EEEZNS1_14transform_implILb1ES3_S5_PdS7_NS0_8identityIdEEEE10hipError_tT2_T3_mT4_P12ihipStream_tbEUlT_E_NS1_11comp_targetILNS1_3genE4ELNS1_11target_archE910ELNS1_3gpuE8ELNS1_3repE0EEENS1_30default_config_static_selectorELNS0_4arch9wavefront6targetE1EEEvT1_ ; -- Begin function _ZN7rocprim17ROCPRIM_400000_NS6detail17trampoline_kernelINS0_14default_configENS1_25transform_config_selectorIdLb1EEEZNS1_14transform_implILb1ES3_S5_PdS7_NS0_8identityIdEEEE10hipError_tT2_T3_mT4_P12ihipStream_tbEUlT_E_NS1_11comp_targetILNS1_3genE4ELNS1_11target_archE910ELNS1_3gpuE8ELNS1_3repE0EEENS1_30default_config_static_selectorELNS0_4arch9wavefront6targetE1EEEvT1_
	.globl	_ZN7rocprim17ROCPRIM_400000_NS6detail17trampoline_kernelINS0_14default_configENS1_25transform_config_selectorIdLb1EEEZNS1_14transform_implILb1ES3_S5_PdS7_NS0_8identityIdEEEE10hipError_tT2_T3_mT4_P12ihipStream_tbEUlT_E_NS1_11comp_targetILNS1_3genE4ELNS1_11target_archE910ELNS1_3gpuE8ELNS1_3repE0EEENS1_30default_config_static_selectorELNS0_4arch9wavefront6targetE1EEEvT1_
	.p2align	8
	.type	_ZN7rocprim17ROCPRIM_400000_NS6detail17trampoline_kernelINS0_14default_configENS1_25transform_config_selectorIdLb1EEEZNS1_14transform_implILb1ES3_S5_PdS7_NS0_8identityIdEEEE10hipError_tT2_T3_mT4_P12ihipStream_tbEUlT_E_NS1_11comp_targetILNS1_3genE4ELNS1_11target_archE910ELNS1_3gpuE8ELNS1_3repE0EEENS1_30default_config_static_selectorELNS0_4arch9wavefront6targetE1EEEvT1_,@function
_ZN7rocprim17ROCPRIM_400000_NS6detail17trampoline_kernelINS0_14default_configENS1_25transform_config_selectorIdLb1EEEZNS1_14transform_implILb1ES3_S5_PdS7_NS0_8identityIdEEEE10hipError_tT2_T3_mT4_P12ihipStream_tbEUlT_E_NS1_11comp_targetILNS1_3genE4ELNS1_11target_archE910ELNS1_3gpuE8ELNS1_3repE0EEENS1_30default_config_static_selectorELNS0_4arch9wavefront6targetE1EEEvT1_: ; @_ZN7rocprim17ROCPRIM_400000_NS6detail17trampoline_kernelINS0_14default_configENS1_25transform_config_selectorIdLb1EEEZNS1_14transform_implILb1ES3_S5_PdS7_NS0_8identityIdEEEE10hipError_tT2_T3_mT4_P12ihipStream_tbEUlT_E_NS1_11comp_targetILNS1_3genE4ELNS1_11target_archE910ELNS1_3gpuE8ELNS1_3repE0EEENS1_30default_config_static_selectorELNS0_4arch9wavefront6targetE1EEEvT1_
; %bb.0:
	.section	.rodata,"a",@progbits
	.p2align	6, 0x0
	.amdhsa_kernel _ZN7rocprim17ROCPRIM_400000_NS6detail17trampoline_kernelINS0_14default_configENS1_25transform_config_selectorIdLb1EEEZNS1_14transform_implILb1ES3_S5_PdS7_NS0_8identityIdEEEE10hipError_tT2_T3_mT4_P12ihipStream_tbEUlT_E_NS1_11comp_targetILNS1_3genE4ELNS1_11target_archE910ELNS1_3gpuE8ELNS1_3repE0EEENS1_30default_config_static_selectorELNS0_4arch9wavefront6targetE1EEEvT1_
		.amdhsa_group_segment_fixed_size 0
		.amdhsa_private_segment_fixed_size 0
		.amdhsa_kernarg_size 40
		.amdhsa_user_sgpr_count 2
		.amdhsa_user_sgpr_dispatch_ptr 0
		.amdhsa_user_sgpr_queue_ptr 0
		.amdhsa_user_sgpr_kernarg_segment_ptr 1
		.amdhsa_user_sgpr_dispatch_id 0
		.amdhsa_user_sgpr_kernarg_preload_length 0
		.amdhsa_user_sgpr_kernarg_preload_offset 0
		.amdhsa_user_sgpr_private_segment_size 0
		.amdhsa_uses_dynamic_stack 0
		.amdhsa_enable_private_segment 0
		.amdhsa_system_sgpr_workgroup_id_x 1
		.amdhsa_system_sgpr_workgroup_id_y 0
		.amdhsa_system_sgpr_workgroup_id_z 0
		.amdhsa_system_sgpr_workgroup_info 0
		.amdhsa_system_vgpr_workitem_id 0
		.amdhsa_next_free_vgpr 1
		.amdhsa_next_free_sgpr 0
		.amdhsa_accum_offset 4
		.amdhsa_reserve_vcc 0
		.amdhsa_float_round_mode_32 0
		.amdhsa_float_round_mode_16_64 0
		.amdhsa_float_denorm_mode_32 3
		.amdhsa_float_denorm_mode_16_64 3
		.amdhsa_dx10_clamp 1
		.amdhsa_ieee_mode 1
		.amdhsa_fp16_overflow 0
		.amdhsa_tg_split 0
		.amdhsa_exception_fp_ieee_invalid_op 0
		.amdhsa_exception_fp_denorm_src 0
		.amdhsa_exception_fp_ieee_div_zero 0
		.amdhsa_exception_fp_ieee_overflow 0
		.amdhsa_exception_fp_ieee_underflow 0
		.amdhsa_exception_fp_ieee_inexact 0
		.amdhsa_exception_int_div_zero 0
	.end_amdhsa_kernel
	.section	.text._ZN7rocprim17ROCPRIM_400000_NS6detail17trampoline_kernelINS0_14default_configENS1_25transform_config_selectorIdLb1EEEZNS1_14transform_implILb1ES3_S5_PdS7_NS0_8identityIdEEEE10hipError_tT2_T3_mT4_P12ihipStream_tbEUlT_E_NS1_11comp_targetILNS1_3genE4ELNS1_11target_archE910ELNS1_3gpuE8ELNS1_3repE0EEENS1_30default_config_static_selectorELNS0_4arch9wavefront6targetE1EEEvT1_,"axG",@progbits,_ZN7rocprim17ROCPRIM_400000_NS6detail17trampoline_kernelINS0_14default_configENS1_25transform_config_selectorIdLb1EEEZNS1_14transform_implILb1ES3_S5_PdS7_NS0_8identityIdEEEE10hipError_tT2_T3_mT4_P12ihipStream_tbEUlT_E_NS1_11comp_targetILNS1_3genE4ELNS1_11target_archE910ELNS1_3gpuE8ELNS1_3repE0EEENS1_30default_config_static_selectorELNS0_4arch9wavefront6targetE1EEEvT1_,comdat
.Lfunc_end13:
	.size	_ZN7rocprim17ROCPRIM_400000_NS6detail17trampoline_kernelINS0_14default_configENS1_25transform_config_selectorIdLb1EEEZNS1_14transform_implILb1ES3_S5_PdS7_NS0_8identityIdEEEE10hipError_tT2_T3_mT4_P12ihipStream_tbEUlT_E_NS1_11comp_targetILNS1_3genE4ELNS1_11target_archE910ELNS1_3gpuE8ELNS1_3repE0EEENS1_30default_config_static_selectorELNS0_4arch9wavefront6targetE1EEEvT1_, .Lfunc_end13-_ZN7rocprim17ROCPRIM_400000_NS6detail17trampoline_kernelINS0_14default_configENS1_25transform_config_selectorIdLb1EEEZNS1_14transform_implILb1ES3_S5_PdS7_NS0_8identityIdEEEE10hipError_tT2_T3_mT4_P12ihipStream_tbEUlT_E_NS1_11comp_targetILNS1_3genE4ELNS1_11target_archE910ELNS1_3gpuE8ELNS1_3repE0EEENS1_30default_config_static_selectorELNS0_4arch9wavefront6targetE1EEEvT1_
                                        ; -- End function
	.set _ZN7rocprim17ROCPRIM_400000_NS6detail17trampoline_kernelINS0_14default_configENS1_25transform_config_selectorIdLb1EEEZNS1_14transform_implILb1ES3_S5_PdS7_NS0_8identityIdEEEE10hipError_tT2_T3_mT4_P12ihipStream_tbEUlT_E_NS1_11comp_targetILNS1_3genE4ELNS1_11target_archE910ELNS1_3gpuE8ELNS1_3repE0EEENS1_30default_config_static_selectorELNS0_4arch9wavefront6targetE1EEEvT1_.num_vgpr, 0
	.set _ZN7rocprim17ROCPRIM_400000_NS6detail17trampoline_kernelINS0_14default_configENS1_25transform_config_selectorIdLb1EEEZNS1_14transform_implILb1ES3_S5_PdS7_NS0_8identityIdEEEE10hipError_tT2_T3_mT4_P12ihipStream_tbEUlT_E_NS1_11comp_targetILNS1_3genE4ELNS1_11target_archE910ELNS1_3gpuE8ELNS1_3repE0EEENS1_30default_config_static_selectorELNS0_4arch9wavefront6targetE1EEEvT1_.num_agpr, 0
	.set _ZN7rocprim17ROCPRIM_400000_NS6detail17trampoline_kernelINS0_14default_configENS1_25transform_config_selectorIdLb1EEEZNS1_14transform_implILb1ES3_S5_PdS7_NS0_8identityIdEEEE10hipError_tT2_T3_mT4_P12ihipStream_tbEUlT_E_NS1_11comp_targetILNS1_3genE4ELNS1_11target_archE910ELNS1_3gpuE8ELNS1_3repE0EEENS1_30default_config_static_selectorELNS0_4arch9wavefront6targetE1EEEvT1_.numbered_sgpr, 0
	.set _ZN7rocprim17ROCPRIM_400000_NS6detail17trampoline_kernelINS0_14default_configENS1_25transform_config_selectorIdLb1EEEZNS1_14transform_implILb1ES3_S5_PdS7_NS0_8identityIdEEEE10hipError_tT2_T3_mT4_P12ihipStream_tbEUlT_E_NS1_11comp_targetILNS1_3genE4ELNS1_11target_archE910ELNS1_3gpuE8ELNS1_3repE0EEENS1_30default_config_static_selectorELNS0_4arch9wavefront6targetE1EEEvT1_.num_named_barrier, 0
	.set _ZN7rocprim17ROCPRIM_400000_NS6detail17trampoline_kernelINS0_14default_configENS1_25transform_config_selectorIdLb1EEEZNS1_14transform_implILb1ES3_S5_PdS7_NS0_8identityIdEEEE10hipError_tT2_T3_mT4_P12ihipStream_tbEUlT_E_NS1_11comp_targetILNS1_3genE4ELNS1_11target_archE910ELNS1_3gpuE8ELNS1_3repE0EEENS1_30default_config_static_selectorELNS0_4arch9wavefront6targetE1EEEvT1_.private_seg_size, 0
	.set _ZN7rocprim17ROCPRIM_400000_NS6detail17trampoline_kernelINS0_14default_configENS1_25transform_config_selectorIdLb1EEEZNS1_14transform_implILb1ES3_S5_PdS7_NS0_8identityIdEEEE10hipError_tT2_T3_mT4_P12ihipStream_tbEUlT_E_NS1_11comp_targetILNS1_3genE4ELNS1_11target_archE910ELNS1_3gpuE8ELNS1_3repE0EEENS1_30default_config_static_selectorELNS0_4arch9wavefront6targetE1EEEvT1_.uses_vcc, 0
	.set _ZN7rocprim17ROCPRIM_400000_NS6detail17trampoline_kernelINS0_14default_configENS1_25transform_config_selectorIdLb1EEEZNS1_14transform_implILb1ES3_S5_PdS7_NS0_8identityIdEEEE10hipError_tT2_T3_mT4_P12ihipStream_tbEUlT_E_NS1_11comp_targetILNS1_3genE4ELNS1_11target_archE910ELNS1_3gpuE8ELNS1_3repE0EEENS1_30default_config_static_selectorELNS0_4arch9wavefront6targetE1EEEvT1_.uses_flat_scratch, 0
	.set _ZN7rocprim17ROCPRIM_400000_NS6detail17trampoline_kernelINS0_14default_configENS1_25transform_config_selectorIdLb1EEEZNS1_14transform_implILb1ES3_S5_PdS7_NS0_8identityIdEEEE10hipError_tT2_T3_mT4_P12ihipStream_tbEUlT_E_NS1_11comp_targetILNS1_3genE4ELNS1_11target_archE910ELNS1_3gpuE8ELNS1_3repE0EEENS1_30default_config_static_selectorELNS0_4arch9wavefront6targetE1EEEvT1_.has_dyn_sized_stack, 0
	.set _ZN7rocprim17ROCPRIM_400000_NS6detail17trampoline_kernelINS0_14default_configENS1_25transform_config_selectorIdLb1EEEZNS1_14transform_implILb1ES3_S5_PdS7_NS0_8identityIdEEEE10hipError_tT2_T3_mT4_P12ihipStream_tbEUlT_E_NS1_11comp_targetILNS1_3genE4ELNS1_11target_archE910ELNS1_3gpuE8ELNS1_3repE0EEENS1_30default_config_static_selectorELNS0_4arch9wavefront6targetE1EEEvT1_.has_recursion, 0
	.set _ZN7rocprim17ROCPRIM_400000_NS6detail17trampoline_kernelINS0_14default_configENS1_25transform_config_selectorIdLb1EEEZNS1_14transform_implILb1ES3_S5_PdS7_NS0_8identityIdEEEE10hipError_tT2_T3_mT4_P12ihipStream_tbEUlT_E_NS1_11comp_targetILNS1_3genE4ELNS1_11target_archE910ELNS1_3gpuE8ELNS1_3repE0EEENS1_30default_config_static_selectorELNS0_4arch9wavefront6targetE1EEEvT1_.has_indirect_call, 0
	.section	.AMDGPU.csdata,"",@progbits
; Kernel info:
; codeLenInByte = 0
; TotalNumSgprs: 6
; NumVgprs: 0
; NumAgprs: 0
; TotalNumVgprs: 0
; ScratchSize: 0
; MemoryBound: 0
; FloatMode: 240
; IeeeMode: 1
; LDSByteSize: 0 bytes/workgroup (compile time only)
; SGPRBlocks: 0
; VGPRBlocks: 0
; NumSGPRsForWavesPerEU: 6
; NumVGPRsForWavesPerEU: 1
; AccumOffset: 4
; Occupancy: 8
; WaveLimiterHint : 0
; COMPUTE_PGM_RSRC2:SCRATCH_EN: 0
; COMPUTE_PGM_RSRC2:USER_SGPR: 2
; COMPUTE_PGM_RSRC2:TRAP_HANDLER: 0
; COMPUTE_PGM_RSRC2:TGID_X_EN: 1
; COMPUTE_PGM_RSRC2:TGID_Y_EN: 0
; COMPUTE_PGM_RSRC2:TGID_Z_EN: 0
; COMPUTE_PGM_RSRC2:TIDIG_COMP_CNT: 0
; COMPUTE_PGM_RSRC3_GFX90A:ACCUM_OFFSET: 0
; COMPUTE_PGM_RSRC3_GFX90A:TG_SPLIT: 0
	.section	.text._ZN7rocprim17ROCPRIM_400000_NS6detail17trampoline_kernelINS0_14default_configENS1_25transform_config_selectorIdLb1EEEZNS1_14transform_implILb1ES3_S5_PdS7_NS0_8identityIdEEEE10hipError_tT2_T3_mT4_P12ihipStream_tbEUlT_E_NS1_11comp_targetILNS1_3genE3ELNS1_11target_archE908ELNS1_3gpuE7ELNS1_3repE0EEENS1_30default_config_static_selectorELNS0_4arch9wavefront6targetE1EEEvT1_,"axG",@progbits,_ZN7rocprim17ROCPRIM_400000_NS6detail17trampoline_kernelINS0_14default_configENS1_25transform_config_selectorIdLb1EEEZNS1_14transform_implILb1ES3_S5_PdS7_NS0_8identityIdEEEE10hipError_tT2_T3_mT4_P12ihipStream_tbEUlT_E_NS1_11comp_targetILNS1_3genE3ELNS1_11target_archE908ELNS1_3gpuE7ELNS1_3repE0EEENS1_30default_config_static_selectorELNS0_4arch9wavefront6targetE1EEEvT1_,comdat
	.protected	_ZN7rocprim17ROCPRIM_400000_NS6detail17trampoline_kernelINS0_14default_configENS1_25transform_config_selectorIdLb1EEEZNS1_14transform_implILb1ES3_S5_PdS7_NS0_8identityIdEEEE10hipError_tT2_T3_mT4_P12ihipStream_tbEUlT_E_NS1_11comp_targetILNS1_3genE3ELNS1_11target_archE908ELNS1_3gpuE7ELNS1_3repE0EEENS1_30default_config_static_selectorELNS0_4arch9wavefront6targetE1EEEvT1_ ; -- Begin function _ZN7rocprim17ROCPRIM_400000_NS6detail17trampoline_kernelINS0_14default_configENS1_25transform_config_selectorIdLb1EEEZNS1_14transform_implILb1ES3_S5_PdS7_NS0_8identityIdEEEE10hipError_tT2_T3_mT4_P12ihipStream_tbEUlT_E_NS1_11comp_targetILNS1_3genE3ELNS1_11target_archE908ELNS1_3gpuE7ELNS1_3repE0EEENS1_30default_config_static_selectorELNS0_4arch9wavefront6targetE1EEEvT1_
	.globl	_ZN7rocprim17ROCPRIM_400000_NS6detail17trampoline_kernelINS0_14default_configENS1_25transform_config_selectorIdLb1EEEZNS1_14transform_implILb1ES3_S5_PdS7_NS0_8identityIdEEEE10hipError_tT2_T3_mT4_P12ihipStream_tbEUlT_E_NS1_11comp_targetILNS1_3genE3ELNS1_11target_archE908ELNS1_3gpuE7ELNS1_3repE0EEENS1_30default_config_static_selectorELNS0_4arch9wavefront6targetE1EEEvT1_
	.p2align	8
	.type	_ZN7rocprim17ROCPRIM_400000_NS6detail17trampoline_kernelINS0_14default_configENS1_25transform_config_selectorIdLb1EEEZNS1_14transform_implILb1ES3_S5_PdS7_NS0_8identityIdEEEE10hipError_tT2_T3_mT4_P12ihipStream_tbEUlT_E_NS1_11comp_targetILNS1_3genE3ELNS1_11target_archE908ELNS1_3gpuE7ELNS1_3repE0EEENS1_30default_config_static_selectorELNS0_4arch9wavefront6targetE1EEEvT1_,@function
_ZN7rocprim17ROCPRIM_400000_NS6detail17trampoline_kernelINS0_14default_configENS1_25transform_config_selectorIdLb1EEEZNS1_14transform_implILb1ES3_S5_PdS7_NS0_8identityIdEEEE10hipError_tT2_T3_mT4_P12ihipStream_tbEUlT_E_NS1_11comp_targetILNS1_3genE3ELNS1_11target_archE908ELNS1_3gpuE7ELNS1_3repE0EEENS1_30default_config_static_selectorELNS0_4arch9wavefront6targetE1EEEvT1_: ; @_ZN7rocprim17ROCPRIM_400000_NS6detail17trampoline_kernelINS0_14default_configENS1_25transform_config_selectorIdLb1EEEZNS1_14transform_implILb1ES3_S5_PdS7_NS0_8identityIdEEEE10hipError_tT2_T3_mT4_P12ihipStream_tbEUlT_E_NS1_11comp_targetILNS1_3genE3ELNS1_11target_archE908ELNS1_3gpuE7ELNS1_3repE0EEENS1_30default_config_static_selectorELNS0_4arch9wavefront6targetE1EEEvT1_
; %bb.0:
	.section	.rodata,"a",@progbits
	.p2align	6, 0x0
	.amdhsa_kernel _ZN7rocprim17ROCPRIM_400000_NS6detail17trampoline_kernelINS0_14default_configENS1_25transform_config_selectorIdLb1EEEZNS1_14transform_implILb1ES3_S5_PdS7_NS0_8identityIdEEEE10hipError_tT2_T3_mT4_P12ihipStream_tbEUlT_E_NS1_11comp_targetILNS1_3genE3ELNS1_11target_archE908ELNS1_3gpuE7ELNS1_3repE0EEENS1_30default_config_static_selectorELNS0_4arch9wavefront6targetE1EEEvT1_
		.amdhsa_group_segment_fixed_size 0
		.amdhsa_private_segment_fixed_size 0
		.amdhsa_kernarg_size 40
		.amdhsa_user_sgpr_count 2
		.amdhsa_user_sgpr_dispatch_ptr 0
		.amdhsa_user_sgpr_queue_ptr 0
		.amdhsa_user_sgpr_kernarg_segment_ptr 1
		.amdhsa_user_sgpr_dispatch_id 0
		.amdhsa_user_sgpr_kernarg_preload_length 0
		.amdhsa_user_sgpr_kernarg_preload_offset 0
		.amdhsa_user_sgpr_private_segment_size 0
		.amdhsa_uses_dynamic_stack 0
		.amdhsa_enable_private_segment 0
		.amdhsa_system_sgpr_workgroup_id_x 1
		.amdhsa_system_sgpr_workgroup_id_y 0
		.amdhsa_system_sgpr_workgroup_id_z 0
		.amdhsa_system_sgpr_workgroup_info 0
		.amdhsa_system_vgpr_workitem_id 0
		.amdhsa_next_free_vgpr 1
		.amdhsa_next_free_sgpr 0
		.amdhsa_accum_offset 4
		.amdhsa_reserve_vcc 0
		.amdhsa_float_round_mode_32 0
		.amdhsa_float_round_mode_16_64 0
		.amdhsa_float_denorm_mode_32 3
		.amdhsa_float_denorm_mode_16_64 3
		.amdhsa_dx10_clamp 1
		.amdhsa_ieee_mode 1
		.amdhsa_fp16_overflow 0
		.amdhsa_tg_split 0
		.amdhsa_exception_fp_ieee_invalid_op 0
		.amdhsa_exception_fp_denorm_src 0
		.amdhsa_exception_fp_ieee_div_zero 0
		.amdhsa_exception_fp_ieee_overflow 0
		.amdhsa_exception_fp_ieee_underflow 0
		.amdhsa_exception_fp_ieee_inexact 0
		.amdhsa_exception_int_div_zero 0
	.end_amdhsa_kernel
	.section	.text._ZN7rocprim17ROCPRIM_400000_NS6detail17trampoline_kernelINS0_14default_configENS1_25transform_config_selectorIdLb1EEEZNS1_14transform_implILb1ES3_S5_PdS7_NS0_8identityIdEEEE10hipError_tT2_T3_mT4_P12ihipStream_tbEUlT_E_NS1_11comp_targetILNS1_3genE3ELNS1_11target_archE908ELNS1_3gpuE7ELNS1_3repE0EEENS1_30default_config_static_selectorELNS0_4arch9wavefront6targetE1EEEvT1_,"axG",@progbits,_ZN7rocprim17ROCPRIM_400000_NS6detail17trampoline_kernelINS0_14default_configENS1_25transform_config_selectorIdLb1EEEZNS1_14transform_implILb1ES3_S5_PdS7_NS0_8identityIdEEEE10hipError_tT2_T3_mT4_P12ihipStream_tbEUlT_E_NS1_11comp_targetILNS1_3genE3ELNS1_11target_archE908ELNS1_3gpuE7ELNS1_3repE0EEENS1_30default_config_static_selectorELNS0_4arch9wavefront6targetE1EEEvT1_,comdat
.Lfunc_end14:
	.size	_ZN7rocprim17ROCPRIM_400000_NS6detail17trampoline_kernelINS0_14default_configENS1_25transform_config_selectorIdLb1EEEZNS1_14transform_implILb1ES3_S5_PdS7_NS0_8identityIdEEEE10hipError_tT2_T3_mT4_P12ihipStream_tbEUlT_E_NS1_11comp_targetILNS1_3genE3ELNS1_11target_archE908ELNS1_3gpuE7ELNS1_3repE0EEENS1_30default_config_static_selectorELNS0_4arch9wavefront6targetE1EEEvT1_, .Lfunc_end14-_ZN7rocprim17ROCPRIM_400000_NS6detail17trampoline_kernelINS0_14default_configENS1_25transform_config_selectorIdLb1EEEZNS1_14transform_implILb1ES3_S5_PdS7_NS0_8identityIdEEEE10hipError_tT2_T3_mT4_P12ihipStream_tbEUlT_E_NS1_11comp_targetILNS1_3genE3ELNS1_11target_archE908ELNS1_3gpuE7ELNS1_3repE0EEENS1_30default_config_static_selectorELNS0_4arch9wavefront6targetE1EEEvT1_
                                        ; -- End function
	.set _ZN7rocprim17ROCPRIM_400000_NS6detail17trampoline_kernelINS0_14default_configENS1_25transform_config_selectorIdLb1EEEZNS1_14transform_implILb1ES3_S5_PdS7_NS0_8identityIdEEEE10hipError_tT2_T3_mT4_P12ihipStream_tbEUlT_E_NS1_11comp_targetILNS1_3genE3ELNS1_11target_archE908ELNS1_3gpuE7ELNS1_3repE0EEENS1_30default_config_static_selectorELNS0_4arch9wavefront6targetE1EEEvT1_.num_vgpr, 0
	.set _ZN7rocprim17ROCPRIM_400000_NS6detail17trampoline_kernelINS0_14default_configENS1_25transform_config_selectorIdLb1EEEZNS1_14transform_implILb1ES3_S5_PdS7_NS0_8identityIdEEEE10hipError_tT2_T3_mT4_P12ihipStream_tbEUlT_E_NS1_11comp_targetILNS1_3genE3ELNS1_11target_archE908ELNS1_3gpuE7ELNS1_3repE0EEENS1_30default_config_static_selectorELNS0_4arch9wavefront6targetE1EEEvT1_.num_agpr, 0
	.set _ZN7rocprim17ROCPRIM_400000_NS6detail17trampoline_kernelINS0_14default_configENS1_25transform_config_selectorIdLb1EEEZNS1_14transform_implILb1ES3_S5_PdS7_NS0_8identityIdEEEE10hipError_tT2_T3_mT4_P12ihipStream_tbEUlT_E_NS1_11comp_targetILNS1_3genE3ELNS1_11target_archE908ELNS1_3gpuE7ELNS1_3repE0EEENS1_30default_config_static_selectorELNS0_4arch9wavefront6targetE1EEEvT1_.numbered_sgpr, 0
	.set _ZN7rocprim17ROCPRIM_400000_NS6detail17trampoline_kernelINS0_14default_configENS1_25transform_config_selectorIdLb1EEEZNS1_14transform_implILb1ES3_S5_PdS7_NS0_8identityIdEEEE10hipError_tT2_T3_mT4_P12ihipStream_tbEUlT_E_NS1_11comp_targetILNS1_3genE3ELNS1_11target_archE908ELNS1_3gpuE7ELNS1_3repE0EEENS1_30default_config_static_selectorELNS0_4arch9wavefront6targetE1EEEvT1_.num_named_barrier, 0
	.set _ZN7rocprim17ROCPRIM_400000_NS6detail17trampoline_kernelINS0_14default_configENS1_25transform_config_selectorIdLb1EEEZNS1_14transform_implILb1ES3_S5_PdS7_NS0_8identityIdEEEE10hipError_tT2_T3_mT4_P12ihipStream_tbEUlT_E_NS1_11comp_targetILNS1_3genE3ELNS1_11target_archE908ELNS1_3gpuE7ELNS1_3repE0EEENS1_30default_config_static_selectorELNS0_4arch9wavefront6targetE1EEEvT1_.private_seg_size, 0
	.set _ZN7rocprim17ROCPRIM_400000_NS6detail17trampoline_kernelINS0_14default_configENS1_25transform_config_selectorIdLb1EEEZNS1_14transform_implILb1ES3_S5_PdS7_NS0_8identityIdEEEE10hipError_tT2_T3_mT4_P12ihipStream_tbEUlT_E_NS1_11comp_targetILNS1_3genE3ELNS1_11target_archE908ELNS1_3gpuE7ELNS1_3repE0EEENS1_30default_config_static_selectorELNS0_4arch9wavefront6targetE1EEEvT1_.uses_vcc, 0
	.set _ZN7rocprim17ROCPRIM_400000_NS6detail17trampoline_kernelINS0_14default_configENS1_25transform_config_selectorIdLb1EEEZNS1_14transform_implILb1ES3_S5_PdS7_NS0_8identityIdEEEE10hipError_tT2_T3_mT4_P12ihipStream_tbEUlT_E_NS1_11comp_targetILNS1_3genE3ELNS1_11target_archE908ELNS1_3gpuE7ELNS1_3repE0EEENS1_30default_config_static_selectorELNS0_4arch9wavefront6targetE1EEEvT1_.uses_flat_scratch, 0
	.set _ZN7rocprim17ROCPRIM_400000_NS6detail17trampoline_kernelINS0_14default_configENS1_25transform_config_selectorIdLb1EEEZNS1_14transform_implILb1ES3_S5_PdS7_NS0_8identityIdEEEE10hipError_tT2_T3_mT4_P12ihipStream_tbEUlT_E_NS1_11comp_targetILNS1_3genE3ELNS1_11target_archE908ELNS1_3gpuE7ELNS1_3repE0EEENS1_30default_config_static_selectorELNS0_4arch9wavefront6targetE1EEEvT1_.has_dyn_sized_stack, 0
	.set _ZN7rocprim17ROCPRIM_400000_NS6detail17trampoline_kernelINS0_14default_configENS1_25transform_config_selectorIdLb1EEEZNS1_14transform_implILb1ES3_S5_PdS7_NS0_8identityIdEEEE10hipError_tT2_T3_mT4_P12ihipStream_tbEUlT_E_NS1_11comp_targetILNS1_3genE3ELNS1_11target_archE908ELNS1_3gpuE7ELNS1_3repE0EEENS1_30default_config_static_selectorELNS0_4arch9wavefront6targetE1EEEvT1_.has_recursion, 0
	.set _ZN7rocprim17ROCPRIM_400000_NS6detail17trampoline_kernelINS0_14default_configENS1_25transform_config_selectorIdLb1EEEZNS1_14transform_implILb1ES3_S5_PdS7_NS0_8identityIdEEEE10hipError_tT2_T3_mT4_P12ihipStream_tbEUlT_E_NS1_11comp_targetILNS1_3genE3ELNS1_11target_archE908ELNS1_3gpuE7ELNS1_3repE0EEENS1_30default_config_static_selectorELNS0_4arch9wavefront6targetE1EEEvT1_.has_indirect_call, 0
	.section	.AMDGPU.csdata,"",@progbits
; Kernel info:
; codeLenInByte = 0
; TotalNumSgprs: 6
; NumVgprs: 0
; NumAgprs: 0
; TotalNumVgprs: 0
; ScratchSize: 0
; MemoryBound: 0
; FloatMode: 240
; IeeeMode: 1
; LDSByteSize: 0 bytes/workgroup (compile time only)
; SGPRBlocks: 0
; VGPRBlocks: 0
; NumSGPRsForWavesPerEU: 6
; NumVGPRsForWavesPerEU: 1
; AccumOffset: 4
; Occupancy: 8
; WaveLimiterHint : 0
; COMPUTE_PGM_RSRC2:SCRATCH_EN: 0
; COMPUTE_PGM_RSRC2:USER_SGPR: 2
; COMPUTE_PGM_RSRC2:TRAP_HANDLER: 0
; COMPUTE_PGM_RSRC2:TGID_X_EN: 1
; COMPUTE_PGM_RSRC2:TGID_Y_EN: 0
; COMPUTE_PGM_RSRC2:TGID_Z_EN: 0
; COMPUTE_PGM_RSRC2:TIDIG_COMP_CNT: 0
; COMPUTE_PGM_RSRC3_GFX90A:ACCUM_OFFSET: 0
; COMPUTE_PGM_RSRC3_GFX90A:TG_SPLIT: 0
	.section	.text._ZN7rocprim17ROCPRIM_400000_NS6detail17trampoline_kernelINS0_14default_configENS1_25transform_config_selectorIdLb1EEEZNS1_14transform_implILb1ES3_S5_PdS7_NS0_8identityIdEEEE10hipError_tT2_T3_mT4_P12ihipStream_tbEUlT_E_NS1_11comp_targetILNS1_3genE2ELNS1_11target_archE906ELNS1_3gpuE6ELNS1_3repE0EEENS1_30default_config_static_selectorELNS0_4arch9wavefront6targetE1EEEvT1_,"axG",@progbits,_ZN7rocprim17ROCPRIM_400000_NS6detail17trampoline_kernelINS0_14default_configENS1_25transform_config_selectorIdLb1EEEZNS1_14transform_implILb1ES3_S5_PdS7_NS0_8identityIdEEEE10hipError_tT2_T3_mT4_P12ihipStream_tbEUlT_E_NS1_11comp_targetILNS1_3genE2ELNS1_11target_archE906ELNS1_3gpuE6ELNS1_3repE0EEENS1_30default_config_static_selectorELNS0_4arch9wavefront6targetE1EEEvT1_,comdat
	.protected	_ZN7rocprim17ROCPRIM_400000_NS6detail17trampoline_kernelINS0_14default_configENS1_25transform_config_selectorIdLb1EEEZNS1_14transform_implILb1ES3_S5_PdS7_NS0_8identityIdEEEE10hipError_tT2_T3_mT4_P12ihipStream_tbEUlT_E_NS1_11comp_targetILNS1_3genE2ELNS1_11target_archE906ELNS1_3gpuE6ELNS1_3repE0EEENS1_30default_config_static_selectorELNS0_4arch9wavefront6targetE1EEEvT1_ ; -- Begin function _ZN7rocprim17ROCPRIM_400000_NS6detail17trampoline_kernelINS0_14default_configENS1_25transform_config_selectorIdLb1EEEZNS1_14transform_implILb1ES3_S5_PdS7_NS0_8identityIdEEEE10hipError_tT2_T3_mT4_P12ihipStream_tbEUlT_E_NS1_11comp_targetILNS1_3genE2ELNS1_11target_archE906ELNS1_3gpuE6ELNS1_3repE0EEENS1_30default_config_static_selectorELNS0_4arch9wavefront6targetE1EEEvT1_
	.globl	_ZN7rocprim17ROCPRIM_400000_NS6detail17trampoline_kernelINS0_14default_configENS1_25transform_config_selectorIdLb1EEEZNS1_14transform_implILb1ES3_S5_PdS7_NS0_8identityIdEEEE10hipError_tT2_T3_mT4_P12ihipStream_tbEUlT_E_NS1_11comp_targetILNS1_3genE2ELNS1_11target_archE906ELNS1_3gpuE6ELNS1_3repE0EEENS1_30default_config_static_selectorELNS0_4arch9wavefront6targetE1EEEvT1_
	.p2align	8
	.type	_ZN7rocprim17ROCPRIM_400000_NS6detail17trampoline_kernelINS0_14default_configENS1_25transform_config_selectorIdLb1EEEZNS1_14transform_implILb1ES3_S5_PdS7_NS0_8identityIdEEEE10hipError_tT2_T3_mT4_P12ihipStream_tbEUlT_E_NS1_11comp_targetILNS1_3genE2ELNS1_11target_archE906ELNS1_3gpuE6ELNS1_3repE0EEENS1_30default_config_static_selectorELNS0_4arch9wavefront6targetE1EEEvT1_,@function
_ZN7rocprim17ROCPRIM_400000_NS6detail17trampoline_kernelINS0_14default_configENS1_25transform_config_selectorIdLb1EEEZNS1_14transform_implILb1ES3_S5_PdS7_NS0_8identityIdEEEE10hipError_tT2_T3_mT4_P12ihipStream_tbEUlT_E_NS1_11comp_targetILNS1_3genE2ELNS1_11target_archE906ELNS1_3gpuE6ELNS1_3repE0EEENS1_30default_config_static_selectorELNS0_4arch9wavefront6targetE1EEEvT1_: ; @_ZN7rocprim17ROCPRIM_400000_NS6detail17trampoline_kernelINS0_14default_configENS1_25transform_config_selectorIdLb1EEEZNS1_14transform_implILb1ES3_S5_PdS7_NS0_8identityIdEEEE10hipError_tT2_T3_mT4_P12ihipStream_tbEUlT_E_NS1_11comp_targetILNS1_3genE2ELNS1_11target_archE906ELNS1_3gpuE6ELNS1_3repE0EEENS1_30default_config_static_selectorELNS0_4arch9wavefront6targetE1EEEvT1_
; %bb.0:
	.section	.rodata,"a",@progbits
	.p2align	6, 0x0
	.amdhsa_kernel _ZN7rocprim17ROCPRIM_400000_NS6detail17trampoline_kernelINS0_14default_configENS1_25transform_config_selectorIdLb1EEEZNS1_14transform_implILb1ES3_S5_PdS7_NS0_8identityIdEEEE10hipError_tT2_T3_mT4_P12ihipStream_tbEUlT_E_NS1_11comp_targetILNS1_3genE2ELNS1_11target_archE906ELNS1_3gpuE6ELNS1_3repE0EEENS1_30default_config_static_selectorELNS0_4arch9wavefront6targetE1EEEvT1_
		.amdhsa_group_segment_fixed_size 0
		.amdhsa_private_segment_fixed_size 0
		.amdhsa_kernarg_size 40
		.amdhsa_user_sgpr_count 2
		.amdhsa_user_sgpr_dispatch_ptr 0
		.amdhsa_user_sgpr_queue_ptr 0
		.amdhsa_user_sgpr_kernarg_segment_ptr 1
		.amdhsa_user_sgpr_dispatch_id 0
		.amdhsa_user_sgpr_kernarg_preload_length 0
		.amdhsa_user_sgpr_kernarg_preload_offset 0
		.amdhsa_user_sgpr_private_segment_size 0
		.amdhsa_uses_dynamic_stack 0
		.amdhsa_enable_private_segment 0
		.amdhsa_system_sgpr_workgroup_id_x 1
		.amdhsa_system_sgpr_workgroup_id_y 0
		.amdhsa_system_sgpr_workgroup_id_z 0
		.amdhsa_system_sgpr_workgroup_info 0
		.amdhsa_system_vgpr_workitem_id 0
		.amdhsa_next_free_vgpr 1
		.amdhsa_next_free_sgpr 0
		.amdhsa_accum_offset 4
		.amdhsa_reserve_vcc 0
		.amdhsa_float_round_mode_32 0
		.amdhsa_float_round_mode_16_64 0
		.amdhsa_float_denorm_mode_32 3
		.amdhsa_float_denorm_mode_16_64 3
		.amdhsa_dx10_clamp 1
		.amdhsa_ieee_mode 1
		.amdhsa_fp16_overflow 0
		.amdhsa_tg_split 0
		.amdhsa_exception_fp_ieee_invalid_op 0
		.amdhsa_exception_fp_denorm_src 0
		.amdhsa_exception_fp_ieee_div_zero 0
		.amdhsa_exception_fp_ieee_overflow 0
		.amdhsa_exception_fp_ieee_underflow 0
		.amdhsa_exception_fp_ieee_inexact 0
		.amdhsa_exception_int_div_zero 0
	.end_amdhsa_kernel
	.section	.text._ZN7rocprim17ROCPRIM_400000_NS6detail17trampoline_kernelINS0_14default_configENS1_25transform_config_selectorIdLb1EEEZNS1_14transform_implILb1ES3_S5_PdS7_NS0_8identityIdEEEE10hipError_tT2_T3_mT4_P12ihipStream_tbEUlT_E_NS1_11comp_targetILNS1_3genE2ELNS1_11target_archE906ELNS1_3gpuE6ELNS1_3repE0EEENS1_30default_config_static_selectorELNS0_4arch9wavefront6targetE1EEEvT1_,"axG",@progbits,_ZN7rocprim17ROCPRIM_400000_NS6detail17trampoline_kernelINS0_14default_configENS1_25transform_config_selectorIdLb1EEEZNS1_14transform_implILb1ES3_S5_PdS7_NS0_8identityIdEEEE10hipError_tT2_T3_mT4_P12ihipStream_tbEUlT_E_NS1_11comp_targetILNS1_3genE2ELNS1_11target_archE906ELNS1_3gpuE6ELNS1_3repE0EEENS1_30default_config_static_selectorELNS0_4arch9wavefront6targetE1EEEvT1_,comdat
.Lfunc_end15:
	.size	_ZN7rocprim17ROCPRIM_400000_NS6detail17trampoline_kernelINS0_14default_configENS1_25transform_config_selectorIdLb1EEEZNS1_14transform_implILb1ES3_S5_PdS7_NS0_8identityIdEEEE10hipError_tT2_T3_mT4_P12ihipStream_tbEUlT_E_NS1_11comp_targetILNS1_3genE2ELNS1_11target_archE906ELNS1_3gpuE6ELNS1_3repE0EEENS1_30default_config_static_selectorELNS0_4arch9wavefront6targetE1EEEvT1_, .Lfunc_end15-_ZN7rocprim17ROCPRIM_400000_NS6detail17trampoline_kernelINS0_14default_configENS1_25transform_config_selectorIdLb1EEEZNS1_14transform_implILb1ES3_S5_PdS7_NS0_8identityIdEEEE10hipError_tT2_T3_mT4_P12ihipStream_tbEUlT_E_NS1_11comp_targetILNS1_3genE2ELNS1_11target_archE906ELNS1_3gpuE6ELNS1_3repE0EEENS1_30default_config_static_selectorELNS0_4arch9wavefront6targetE1EEEvT1_
                                        ; -- End function
	.set _ZN7rocprim17ROCPRIM_400000_NS6detail17trampoline_kernelINS0_14default_configENS1_25transform_config_selectorIdLb1EEEZNS1_14transform_implILb1ES3_S5_PdS7_NS0_8identityIdEEEE10hipError_tT2_T3_mT4_P12ihipStream_tbEUlT_E_NS1_11comp_targetILNS1_3genE2ELNS1_11target_archE906ELNS1_3gpuE6ELNS1_3repE0EEENS1_30default_config_static_selectorELNS0_4arch9wavefront6targetE1EEEvT1_.num_vgpr, 0
	.set _ZN7rocprim17ROCPRIM_400000_NS6detail17trampoline_kernelINS0_14default_configENS1_25transform_config_selectorIdLb1EEEZNS1_14transform_implILb1ES3_S5_PdS7_NS0_8identityIdEEEE10hipError_tT2_T3_mT4_P12ihipStream_tbEUlT_E_NS1_11comp_targetILNS1_3genE2ELNS1_11target_archE906ELNS1_3gpuE6ELNS1_3repE0EEENS1_30default_config_static_selectorELNS0_4arch9wavefront6targetE1EEEvT1_.num_agpr, 0
	.set _ZN7rocprim17ROCPRIM_400000_NS6detail17trampoline_kernelINS0_14default_configENS1_25transform_config_selectorIdLb1EEEZNS1_14transform_implILb1ES3_S5_PdS7_NS0_8identityIdEEEE10hipError_tT2_T3_mT4_P12ihipStream_tbEUlT_E_NS1_11comp_targetILNS1_3genE2ELNS1_11target_archE906ELNS1_3gpuE6ELNS1_3repE0EEENS1_30default_config_static_selectorELNS0_4arch9wavefront6targetE1EEEvT1_.numbered_sgpr, 0
	.set _ZN7rocprim17ROCPRIM_400000_NS6detail17trampoline_kernelINS0_14default_configENS1_25transform_config_selectorIdLb1EEEZNS1_14transform_implILb1ES3_S5_PdS7_NS0_8identityIdEEEE10hipError_tT2_T3_mT4_P12ihipStream_tbEUlT_E_NS1_11comp_targetILNS1_3genE2ELNS1_11target_archE906ELNS1_3gpuE6ELNS1_3repE0EEENS1_30default_config_static_selectorELNS0_4arch9wavefront6targetE1EEEvT1_.num_named_barrier, 0
	.set _ZN7rocprim17ROCPRIM_400000_NS6detail17trampoline_kernelINS0_14default_configENS1_25transform_config_selectorIdLb1EEEZNS1_14transform_implILb1ES3_S5_PdS7_NS0_8identityIdEEEE10hipError_tT2_T3_mT4_P12ihipStream_tbEUlT_E_NS1_11comp_targetILNS1_3genE2ELNS1_11target_archE906ELNS1_3gpuE6ELNS1_3repE0EEENS1_30default_config_static_selectorELNS0_4arch9wavefront6targetE1EEEvT1_.private_seg_size, 0
	.set _ZN7rocprim17ROCPRIM_400000_NS6detail17trampoline_kernelINS0_14default_configENS1_25transform_config_selectorIdLb1EEEZNS1_14transform_implILb1ES3_S5_PdS7_NS0_8identityIdEEEE10hipError_tT2_T3_mT4_P12ihipStream_tbEUlT_E_NS1_11comp_targetILNS1_3genE2ELNS1_11target_archE906ELNS1_3gpuE6ELNS1_3repE0EEENS1_30default_config_static_selectorELNS0_4arch9wavefront6targetE1EEEvT1_.uses_vcc, 0
	.set _ZN7rocprim17ROCPRIM_400000_NS6detail17trampoline_kernelINS0_14default_configENS1_25transform_config_selectorIdLb1EEEZNS1_14transform_implILb1ES3_S5_PdS7_NS0_8identityIdEEEE10hipError_tT2_T3_mT4_P12ihipStream_tbEUlT_E_NS1_11comp_targetILNS1_3genE2ELNS1_11target_archE906ELNS1_3gpuE6ELNS1_3repE0EEENS1_30default_config_static_selectorELNS0_4arch9wavefront6targetE1EEEvT1_.uses_flat_scratch, 0
	.set _ZN7rocprim17ROCPRIM_400000_NS6detail17trampoline_kernelINS0_14default_configENS1_25transform_config_selectorIdLb1EEEZNS1_14transform_implILb1ES3_S5_PdS7_NS0_8identityIdEEEE10hipError_tT2_T3_mT4_P12ihipStream_tbEUlT_E_NS1_11comp_targetILNS1_3genE2ELNS1_11target_archE906ELNS1_3gpuE6ELNS1_3repE0EEENS1_30default_config_static_selectorELNS0_4arch9wavefront6targetE1EEEvT1_.has_dyn_sized_stack, 0
	.set _ZN7rocprim17ROCPRIM_400000_NS6detail17trampoline_kernelINS0_14default_configENS1_25transform_config_selectorIdLb1EEEZNS1_14transform_implILb1ES3_S5_PdS7_NS0_8identityIdEEEE10hipError_tT2_T3_mT4_P12ihipStream_tbEUlT_E_NS1_11comp_targetILNS1_3genE2ELNS1_11target_archE906ELNS1_3gpuE6ELNS1_3repE0EEENS1_30default_config_static_selectorELNS0_4arch9wavefront6targetE1EEEvT1_.has_recursion, 0
	.set _ZN7rocprim17ROCPRIM_400000_NS6detail17trampoline_kernelINS0_14default_configENS1_25transform_config_selectorIdLb1EEEZNS1_14transform_implILb1ES3_S5_PdS7_NS0_8identityIdEEEE10hipError_tT2_T3_mT4_P12ihipStream_tbEUlT_E_NS1_11comp_targetILNS1_3genE2ELNS1_11target_archE906ELNS1_3gpuE6ELNS1_3repE0EEENS1_30default_config_static_selectorELNS0_4arch9wavefront6targetE1EEEvT1_.has_indirect_call, 0
	.section	.AMDGPU.csdata,"",@progbits
; Kernel info:
; codeLenInByte = 0
; TotalNumSgprs: 6
; NumVgprs: 0
; NumAgprs: 0
; TotalNumVgprs: 0
; ScratchSize: 0
; MemoryBound: 0
; FloatMode: 240
; IeeeMode: 1
; LDSByteSize: 0 bytes/workgroup (compile time only)
; SGPRBlocks: 0
; VGPRBlocks: 0
; NumSGPRsForWavesPerEU: 6
; NumVGPRsForWavesPerEU: 1
; AccumOffset: 4
; Occupancy: 8
; WaveLimiterHint : 0
; COMPUTE_PGM_RSRC2:SCRATCH_EN: 0
; COMPUTE_PGM_RSRC2:USER_SGPR: 2
; COMPUTE_PGM_RSRC2:TRAP_HANDLER: 0
; COMPUTE_PGM_RSRC2:TGID_X_EN: 1
; COMPUTE_PGM_RSRC2:TGID_Y_EN: 0
; COMPUTE_PGM_RSRC2:TGID_Z_EN: 0
; COMPUTE_PGM_RSRC2:TIDIG_COMP_CNT: 0
; COMPUTE_PGM_RSRC3_GFX90A:ACCUM_OFFSET: 0
; COMPUTE_PGM_RSRC3_GFX90A:TG_SPLIT: 0
	.section	.text._ZN7rocprim17ROCPRIM_400000_NS6detail17trampoline_kernelINS0_14default_configENS1_25transform_config_selectorIdLb1EEEZNS1_14transform_implILb1ES3_S5_PdS7_NS0_8identityIdEEEE10hipError_tT2_T3_mT4_P12ihipStream_tbEUlT_E_NS1_11comp_targetILNS1_3genE9ELNS1_11target_archE1100ELNS1_3gpuE3ELNS1_3repE0EEENS1_30default_config_static_selectorELNS0_4arch9wavefront6targetE1EEEvT1_,"axG",@progbits,_ZN7rocprim17ROCPRIM_400000_NS6detail17trampoline_kernelINS0_14default_configENS1_25transform_config_selectorIdLb1EEEZNS1_14transform_implILb1ES3_S5_PdS7_NS0_8identityIdEEEE10hipError_tT2_T3_mT4_P12ihipStream_tbEUlT_E_NS1_11comp_targetILNS1_3genE9ELNS1_11target_archE1100ELNS1_3gpuE3ELNS1_3repE0EEENS1_30default_config_static_selectorELNS0_4arch9wavefront6targetE1EEEvT1_,comdat
	.protected	_ZN7rocprim17ROCPRIM_400000_NS6detail17trampoline_kernelINS0_14default_configENS1_25transform_config_selectorIdLb1EEEZNS1_14transform_implILb1ES3_S5_PdS7_NS0_8identityIdEEEE10hipError_tT2_T3_mT4_P12ihipStream_tbEUlT_E_NS1_11comp_targetILNS1_3genE9ELNS1_11target_archE1100ELNS1_3gpuE3ELNS1_3repE0EEENS1_30default_config_static_selectorELNS0_4arch9wavefront6targetE1EEEvT1_ ; -- Begin function _ZN7rocprim17ROCPRIM_400000_NS6detail17trampoline_kernelINS0_14default_configENS1_25transform_config_selectorIdLb1EEEZNS1_14transform_implILb1ES3_S5_PdS7_NS0_8identityIdEEEE10hipError_tT2_T3_mT4_P12ihipStream_tbEUlT_E_NS1_11comp_targetILNS1_3genE9ELNS1_11target_archE1100ELNS1_3gpuE3ELNS1_3repE0EEENS1_30default_config_static_selectorELNS0_4arch9wavefront6targetE1EEEvT1_
	.globl	_ZN7rocprim17ROCPRIM_400000_NS6detail17trampoline_kernelINS0_14default_configENS1_25transform_config_selectorIdLb1EEEZNS1_14transform_implILb1ES3_S5_PdS7_NS0_8identityIdEEEE10hipError_tT2_T3_mT4_P12ihipStream_tbEUlT_E_NS1_11comp_targetILNS1_3genE9ELNS1_11target_archE1100ELNS1_3gpuE3ELNS1_3repE0EEENS1_30default_config_static_selectorELNS0_4arch9wavefront6targetE1EEEvT1_
	.p2align	8
	.type	_ZN7rocprim17ROCPRIM_400000_NS6detail17trampoline_kernelINS0_14default_configENS1_25transform_config_selectorIdLb1EEEZNS1_14transform_implILb1ES3_S5_PdS7_NS0_8identityIdEEEE10hipError_tT2_T3_mT4_P12ihipStream_tbEUlT_E_NS1_11comp_targetILNS1_3genE9ELNS1_11target_archE1100ELNS1_3gpuE3ELNS1_3repE0EEENS1_30default_config_static_selectorELNS0_4arch9wavefront6targetE1EEEvT1_,@function
_ZN7rocprim17ROCPRIM_400000_NS6detail17trampoline_kernelINS0_14default_configENS1_25transform_config_selectorIdLb1EEEZNS1_14transform_implILb1ES3_S5_PdS7_NS0_8identityIdEEEE10hipError_tT2_T3_mT4_P12ihipStream_tbEUlT_E_NS1_11comp_targetILNS1_3genE9ELNS1_11target_archE1100ELNS1_3gpuE3ELNS1_3repE0EEENS1_30default_config_static_selectorELNS0_4arch9wavefront6targetE1EEEvT1_: ; @_ZN7rocprim17ROCPRIM_400000_NS6detail17trampoline_kernelINS0_14default_configENS1_25transform_config_selectorIdLb1EEEZNS1_14transform_implILb1ES3_S5_PdS7_NS0_8identityIdEEEE10hipError_tT2_T3_mT4_P12ihipStream_tbEUlT_E_NS1_11comp_targetILNS1_3genE9ELNS1_11target_archE1100ELNS1_3gpuE3ELNS1_3repE0EEENS1_30default_config_static_selectorELNS0_4arch9wavefront6targetE1EEEvT1_
; %bb.0:
	.section	.rodata,"a",@progbits
	.p2align	6, 0x0
	.amdhsa_kernel _ZN7rocprim17ROCPRIM_400000_NS6detail17trampoline_kernelINS0_14default_configENS1_25transform_config_selectorIdLb1EEEZNS1_14transform_implILb1ES3_S5_PdS7_NS0_8identityIdEEEE10hipError_tT2_T3_mT4_P12ihipStream_tbEUlT_E_NS1_11comp_targetILNS1_3genE9ELNS1_11target_archE1100ELNS1_3gpuE3ELNS1_3repE0EEENS1_30default_config_static_selectorELNS0_4arch9wavefront6targetE1EEEvT1_
		.amdhsa_group_segment_fixed_size 0
		.amdhsa_private_segment_fixed_size 0
		.amdhsa_kernarg_size 40
		.amdhsa_user_sgpr_count 2
		.amdhsa_user_sgpr_dispatch_ptr 0
		.amdhsa_user_sgpr_queue_ptr 0
		.amdhsa_user_sgpr_kernarg_segment_ptr 1
		.amdhsa_user_sgpr_dispatch_id 0
		.amdhsa_user_sgpr_kernarg_preload_length 0
		.amdhsa_user_sgpr_kernarg_preload_offset 0
		.amdhsa_user_sgpr_private_segment_size 0
		.amdhsa_uses_dynamic_stack 0
		.amdhsa_enable_private_segment 0
		.amdhsa_system_sgpr_workgroup_id_x 1
		.amdhsa_system_sgpr_workgroup_id_y 0
		.amdhsa_system_sgpr_workgroup_id_z 0
		.amdhsa_system_sgpr_workgroup_info 0
		.amdhsa_system_vgpr_workitem_id 0
		.amdhsa_next_free_vgpr 1
		.amdhsa_next_free_sgpr 0
		.amdhsa_accum_offset 4
		.amdhsa_reserve_vcc 0
		.amdhsa_float_round_mode_32 0
		.amdhsa_float_round_mode_16_64 0
		.amdhsa_float_denorm_mode_32 3
		.amdhsa_float_denorm_mode_16_64 3
		.amdhsa_dx10_clamp 1
		.amdhsa_ieee_mode 1
		.amdhsa_fp16_overflow 0
		.amdhsa_tg_split 0
		.amdhsa_exception_fp_ieee_invalid_op 0
		.amdhsa_exception_fp_denorm_src 0
		.amdhsa_exception_fp_ieee_div_zero 0
		.amdhsa_exception_fp_ieee_overflow 0
		.amdhsa_exception_fp_ieee_underflow 0
		.amdhsa_exception_fp_ieee_inexact 0
		.amdhsa_exception_int_div_zero 0
	.end_amdhsa_kernel
	.section	.text._ZN7rocprim17ROCPRIM_400000_NS6detail17trampoline_kernelINS0_14default_configENS1_25transform_config_selectorIdLb1EEEZNS1_14transform_implILb1ES3_S5_PdS7_NS0_8identityIdEEEE10hipError_tT2_T3_mT4_P12ihipStream_tbEUlT_E_NS1_11comp_targetILNS1_3genE9ELNS1_11target_archE1100ELNS1_3gpuE3ELNS1_3repE0EEENS1_30default_config_static_selectorELNS0_4arch9wavefront6targetE1EEEvT1_,"axG",@progbits,_ZN7rocprim17ROCPRIM_400000_NS6detail17trampoline_kernelINS0_14default_configENS1_25transform_config_selectorIdLb1EEEZNS1_14transform_implILb1ES3_S5_PdS7_NS0_8identityIdEEEE10hipError_tT2_T3_mT4_P12ihipStream_tbEUlT_E_NS1_11comp_targetILNS1_3genE9ELNS1_11target_archE1100ELNS1_3gpuE3ELNS1_3repE0EEENS1_30default_config_static_selectorELNS0_4arch9wavefront6targetE1EEEvT1_,comdat
.Lfunc_end16:
	.size	_ZN7rocprim17ROCPRIM_400000_NS6detail17trampoline_kernelINS0_14default_configENS1_25transform_config_selectorIdLb1EEEZNS1_14transform_implILb1ES3_S5_PdS7_NS0_8identityIdEEEE10hipError_tT2_T3_mT4_P12ihipStream_tbEUlT_E_NS1_11comp_targetILNS1_3genE9ELNS1_11target_archE1100ELNS1_3gpuE3ELNS1_3repE0EEENS1_30default_config_static_selectorELNS0_4arch9wavefront6targetE1EEEvT1_, .Lfunc_end16-_ZN7rocprim17ROCPRIM_400000_NS6detail17trampoline_kernelINS0_14default_configENS1_25transform_config_selectorIdLb1EEEZNS1_14transform_implILb1ES3_S5_PdS7_NS0_8identityIdEEEE10hipError_tT2_T3_mT4_P12ihipStream_tbEUlT_E_NS1_11comp_targetILNS1_3genE9ELNS1_11target_archE1100ELNS1_3gpuE3ELNS1_3repE0EEENS1_30default_config_static_selectorELNS0_4arch9wavefront6targetE1EEEvT1_
                                        ; -- End function
	.set _ZN7rocprim17ROCPRIM_400000_NS6detail17trampoline_kernelINS0_14default_configENS1_25transform_config_selectorIdLb1EEEZNS1_14transform_implILb1ES3_S5_PdS7_NS0_8identityIdEEEE10hipError_tT2_T3_mT4_P12ihipStream_tbEUlT_E_NS1_11comp_targetILNS1_3genE9ELNS1_11target_archE1100ELNS1_3gpuE3ELNS1_3repE0EEENS1_30default_config_static_selectorELNS0_4arch9wavefront6targetE1EEEvT1_.num_vgpr, 0
	.set _ZN7rocprim17ROCPRIM_400000_NS6detail17trampoline_kernelINS0_14default_configENS1_25transform_config_selectorIdLb1EEEZNS1_14transform_implILb1ES3_S5_PdS7_NS0_8identityIdEEEE10hipError_tT2_T3_mT4_P12ihipStream_tbEUlT_E_NS1_11comp_targetILNS1_3genE9ELNS1_11target_archE1100ELNS1_3gpuE3ELNS1_3repE0EEENS1_30default_config_static_selectorELNS0_4arch9wavefront6targetE1EEEvT1_.num_agpr, 0
	.set _ZN7rocprim17ROCPRIM_400000_NS6detail17trampoline_kernelINS0_14default_configENS1_25transform_config_selectorIdLb1EEEZNS1_14transform_implILb1ES3_S5_PdS7_NS0_8identityIdEEEE10hipError_tT2_T3_mT4_P12ihipStream_tbEUlT_E_NS1_11comp_targetILNS1_3genE9ELNS1_11target_archE1100ELNS1_3gpuE3ELNS1_3repE0EEENS1_30default_config_static_selectorELNS0_4arch9wavefront6targetE1EEEvT1_.numbered_sgpr, 0
	.set _ZN7rocprim17ROCPRIM_400000_NS6detail17trampoline_kernelINS0_14default_configENS1_25transform_config_selectorIdLb1EEEZNS1_14transform_implILb1ES3_S5_PdS7_NS0_8identityIdEEEE10hipError_tT2_T3_mT4_P12ihipStream_tbEUlT_E_NS1_11comp_targetILNS1_3genE9ELNS1_11target_archE1100ELNS1_3gpuE3ELNS1_3repE0EEENS1_30default_config_static_selectorELNS0_4arch9wavefront6targetE1EEEvT1_.num_named_barrier, 0
	.set _ZN7rocprim17ROCPRIM_400000_NS6detail17trampoline_kernelINS0_14default_configENS1_25transform_config_selectorIdLb1EEEZNS1_14transform_implILb1ES3_S5_PdS7_NS0_8identityIdEEEE10hipError_tT2_T3_mT4_P12ihipStream_tbEUlT_E_NS1_11comp_targetILNS1_3genE9ELNS1_11target_archE1100ELNS1_3gpuE3ELNS1_3repE0EEENS1_30default_config_static_selectorELNS0_4arch9wavefront6targetE1EEEvT1_.private_seg_size, 0
	.set _ZN7rocprim17ROCPRIM_400000_NS6detail17trampoline_kernelINS0_14default_configENS1_25transform_config_selectorIdLb1EEEZNS1_14transform_implILb1ES3_S5_PdS7_NS0_8identityIdEEEE10hipError_tT2_T3_mT4_P12ihipStream_tbEUlT_E_NS1_11comp_targetILNS1_3genE9ELNS1_11target_archE1100ELNS1_3gpuE3ELNS1_3repE0EEENS1_30default_config_static_selectorELNS0_4arch9wavefront6targetE1EEEvT1_.uses_vcc, 0
	.set _ZN7rocprim17ROCPRIM_400000_NS6detail17trampoline_kernelINS0_14default_configENS1_25transform_config_selectorIdLb1EEEZNS1_14transform_implILb1ES3_S5_PdS7_NS0_8identityIdEEEE10hipError_tT2_T3_mT4_P12ihipStream_tbEUlT_E_NS1_11comp_targetILNS1_3genE9ELNS1_11target_archE1100ELNS1_3gpuE3ELNS1_3repE0EEENS1_30default_config_static_selectorELNS0_4arch9wavefront6targetE1EEEvT1_.uses_flat_scratch, 0
	.set _ZN7rocprim17ROCPRIM_400000_NS6detail17trampoline_kernelINS0_14default_configENS1_25transform_config_selectorIdLb1EEEZNS1_14transform_implILb1ES3_S5_PdS7_NS0_8identityIdEEEE10hipError_tT2_T3_mT4_P12ihipStream_tbEUlT_E_NS1_11comp_targetILNS1_3genE9ELNS1_11target_archE1100ELNS1_3gpuE3ELNS1_3repE0EEENS1_30default_config_static_selectorELNS0_4arch9wavefront6targetE1EEEvT1_.has_dyn_sized_stack, 0
	.set _ZN7rocprim17ROCPRIM_400000_NS6detail17trampoline_kernelINS0_14default_configENS1_25transform_config_selectorIdLb1EEEZNS1_14transform_implILb1ES3_S5_PdS7_NS0_8identityIdEEEE10hipError_tT2_T3_mT4_P12ihipStream_tbEUlT_E_NS1_11comp_targetILNS1_3genE9ELNS1_11target_archE1100ELNS1_3gpuE3ELNS1_3repE0EEENS1_30default_config_static_selectorELNS0_4arch9wavefront6targetE1EEEvT1_.has_recursion, 0
	.set _ZN7rocprim17ROCPRIM_400000_NS6detail17trampoline_kernelINS0_14default_configENS1_25transform_config_selectorIdLb1EEEZNS1_14transform_implILb1ES3_S5_PdS7_NS0_8identityIdEEEE10hipError_tT2_T3_mT4_P12ihipStream_tbEUlT_E_NS1_11comp_targetILNS1_3genE9ELNS1_11target_archE1100ELNS1_3gpuE3ELNS1_3repE0EEENS1_30default_config_static_selectorELNS0_4arch9wavefront6targetE1EEEvT1_.has_indirect_call, 0
	.section	.AMDGPU.csdata,"",@progbits
; Kernel info:
; codeLenInByte = 0
; TotalNumSgprs: 6
; NumVgprs: 0
; NumAgprs: 0
; TotalNumVgprs: 0
; ScratchSize: 0
; MemoryBound: 0
; FloatMode: 240
; IeeeMode: 1
; LDSByteSize: 0 bytes/workgroup (compile time only)
; SGPRBlocks: 0
; VGPRBlocks: 0
; NumSGPRsForWavesPerEU: 6
; NumVGPRsForWavesPerEU: 1
; AccumOffset: 4
; Occupancy: 8
; WaveLimiterHint : 0
; COMPUTE_PGM_RSRC2:SCRATCH_EN: 0
; COMPUTE_PGM_RSRC2:USER_SGPR: 2
; COMPUTE_PGM_RSRC2:TRAP_HANDLER: 0
; COMPUTE_PGM_RSRC2:TGID_X_EN: 1
; COMPUTE_PGM_RSRC2:TGID_Y_EN: 0
; COMPUTE_PGM_RSRC2:TGID_Z_EN: 0
; COMPUTE_PGM_RSRC2:TIDIG_COMP_CNT: 0
; COMPUTE_PGM_RSRC3_GFX90A:ACCUM_OFFSET: 0
; COMPUTE_PGM_RSRC3_GFX90A:TG_SPLIT: 0
	.section	.text._ZN7rocprim17ROCPRIM_400000_NS6detail17trampoline_kernelINS0_14default_configENS1_25transform_config_selectorIdLb1EEEZNS1_14transform_implILb1ES3_S5_PdS7_NS0_8identityIdEEEE10hipError_tT2_T3_mT4_P12ihipStream_tbEUlT_E_NS1_11comp_targetILNS1_3genE8ELNS1_11target_archE1030ELNS1_3gpuE2ELNS1_3repE0EEENS1_30default_config_static_selectorELNS0_4arch9wavefront6targetE1EEEvT1_,"axG",@progbits,_ZN7rocprim17ROCPRIM_400000_NS6detail17trampoline_kernelINS0_14default_configENS1_25transform_config_selectorIdLb1EEEZNS1_14transform_implILb1ES3_S5_PdS7_NS0_8identityIdEEEE10hipError_tT2_T3_mT4_P12ihipStream_tbEUlT_E_NS1_11comp_targetILNS1_3genE8ELNS1_11target_archE1030ELNS1_3gpuE2ELNS1_3repE0EEENS1_30default_config_static_selectorELNS0_4arch9wavefront6targetE1EEEvT1_,comdat
	.protected	_ZN7rocprim17ROCPRIM_400000_NS6detail17trampoline_kernelINS0_14default_configENS1_25transform_config_selectorIdLb1EEEZNS1_14transform_implILb1ES3_S5_PdS7_NS0_8identityIdEEEE10hipError_tT2_T3_mT4_P12ihipStream_tbEUlT_E_NS1_11comp_targetILNS1_3genE8ELNS1_11target_archE1030ELNS1_3gpuE2ELNS1_3repE0EEENS1_30default_config_static_selectorELNS0_4arch9wavefront6targetE1EEEvT1_ ; -- Begin function _ZN7rocprim17ROCPRIM_400000_NS6detail17trampoline_kernelINS0_14default_configENS1_25transform_config_selectorIdLb1EEEZNS1_14transform_implILb1ES3_S5_PdS7_NS0_8identityIdEEEE10hipError_tT2_T3_mT4_P12ihipStream_tbEUlT_E_NS1_11comp_targetILNS1_3genE8ELNS1_11target_archE1030ELNS1_3gpuE2ELNS1_3repE0EEENS1_30default_config_static_selectorELNS0_4arch9wavefront6targetE1EEEvT1_
	.globl	_ZN7rocprim17ROCPRIM_400000_NS6detail17trampoline_kernelINS0_14default_configENS1_25transform_config_selectorIdLb1EEEZNS1_14transform_implILb1ES3_S5_PdS7_NS0_8identityIdEEEE10hipError_tT2_T3_mT4_P12ihipStream_tbEUlT_E_NS1_11comp_targetILNS1_3genE8ELNS1_11target_archE1030ELNS1_3gpuE2ELNS1_3repE0EEENS1_30default_config_static_selectorELNS0_4arch9wavefront6targetE1EEEvT1_
	.p2align	8
	.type	_ZN7rocprim17ROCPRIM_400000_NS6detail17trampoline_kernelINS0_14default_configENS1_25transform_config_selectorIdLb1EEEZNS1_14transform_implILb1ES3_S5_PdS7_NS0_8identityIdEEEE10hipError_tT2_T3_mT4_P12ihipStream_tbEUlT_E_NS1_11comp_targetILNS1_3genE8ELNS1_11target_archE1030ELNS1_3gpuE2ELNS1_3repE0EEENS1_30default_config_static_selectorELNS0_4arch9wavefront6targetE1EEEvT1_,@function
_ZN7rocprim17ROCPRIM_400000_NS6detail17trampoline_kernelINS0_14default_configENS1_25transform_config_selectorIdLb1EEEZNS1_14transform_implILb1ES3_S5_PdS7_NS0_8identityIdEEEE10hipError_tT2_T3_mT4_P12ihipStream_tbEUlT_E_NS1_11comp_targetILNS1_3genE8ELNS1_11target_archE1030ELNS1_3gpuE2ELNS1_3repE0EEENS1_30default_config_static_selectorELNS0_4arch9wavefront6targetE1EEEvT1_: ; @_ZN7rocprim17ROCPRIM_400000_NS6detail17trampoline_kernelINS0_14default_configENS1_25transform_config_selectorIdLb1EEEZNS1_14transform_implILb1ES3_S5_PdS7_NS0_8identityIdEEEE10hipError_tT2_T3_mT4_P12ihipStream_tbEUlT_E_NS1_11comp_targetILNS1_3genE8ELNS1_11target_archE1030ELNS1_3gpuE2ELNS1_3repE0EEENS1_30default_config_static_selectorELNS0_4arch9wavefront6targetE1EEEvT1_
; %bb.0:
	.section	.rodata,"a",@progbits
	.p2align	6, 0x0
	.amdhsa_kernel _ZN7rocprim17ROCPRIM_400000_NS6detail17trampoline_kernelINS0_14default_configENS1_25transform_config_selectorIdLb1EEEZNS1_14transform_implILb1ES3_S5_PdS7_NS0_8identityIdEEEE10hipError_tT2_T3_mT4_P12ihipStream_tbEUlT_E_NS1_11comp_targetILNS1_3genE8ELNS1_11target_archE1030ELNS1_3gpuE2ELNS1_3repE0EEENS1_30default_config_static_selectorELNS0_4arch9wavefront6targetE1EEEvT1_
		.amdhsa_group_segment_fixed_size 0
		.amdhsa_private_segment_fixed_size 0
		.amdhsa_kernarg_size 40
		.amdhsa_user_sgpr_count 2
		.amdhsa_user_sgpr_dispatch_ptr 0
		.amdhsa_user_sgpr_queue_ptr 0
		.amdhsa_user_sgpr_kernarg_segment_ptr 1
		.amdhsa_user_sgpr_dispatch_id 0
		.amdhsa_user_sgpr_kernarg_preload_length 0
		.amdhsa_user_sgpr_kernarg_preload_offset 0
		.amdhsa_user_sgpr_private_segment_size 0
		.amdhsa_uses_dynamic_stack 0
		.amdhsa_enable_private_segment 0
		.amdhsa_system_sgpr_workgroup_id_x 1
		.amdhsa_system_sgpr_workgroup_id_y 0
		.amdhsa_system_sgpr_workgroup_id_z 0
		.amdhsa_system_sgpr_workgroup_info 0
		.amdhsa_system_vgpr_workitem_id 0
		.amdhsa_next_free_vgpr 1
		.amdhsa_next_free_sgpr 0
		.amdhsa_accum_offset 4
		.amdhsa_reserve_vcc 0
		.amdhsa_float_round_mode_32 0
		.amdhsa_float_round_mode_16_64 0
		.amdhsa_float_denorm_mode_32 3
		.amdhsa_float_denorm_mode_16_64 3
		.amdhsa_dx10_clamp 1
		.amdhsa_ieee_mode 1
		.amdhsa_fp16_overflow 0
		.amdhsa_tg_split 0
		.amdhsa_exception_fp_ieee_invalid_op 0
		.amdhsa_exception_fp_denorm_src 0
		.amdhsa_exception_fp_ieee_div_zero 0
		.amdhsa_exception_fp_ieee_overflow 0
		.amdhsa_exception_fp_ieee_underflow 0
		.amdhsa_exception_fp_ieee_inexact 0
		.amdhsa_exception_int_div_zero 0
	.end_amdhsa_kernel
	.section	.text._ZN7rocprim17ROCPRIM_400000_NS6detail17trampoline_kernelINS0_14default_configENS1_25transform_config_selectorIdLb1EEEZNS1_14transform_implILb1ES3_S5_PdS7_NS0_8identityIdEEEE10hipError_tT2_T3_mT4_P12ihipStream_tbEUlT_E_NS1_11comp_targetILNS1_3genE8ELNS1_11target_archE1030ELNS1_3gpuE2ELNS1_3repE0EEENS1_30default_config_static_selectorELNS0_4arch9wavefront6targetE1EEEvT1_,"axG",@progbits,_ZN7rocprim17ROCPRIM_400000_NS6detail17trampoline_kernelINS0_14default_configENS1_25transform_config_selectorIdLb1EEEZNS1_14transform_implILb1ES3_S5_PdS7_NS0_8identityIdEEEE10hipError_tT2_T3_mT4_P12ihipStream_tbEUlT_E_NS1_11comp_targetILNS1_3genE8ELNS1_11target_archE1030ELNS1_3gpuE2ELNS1_3repE0EEENS1_30default_config_static_selectorELNS0_4arch9wavefront6targetE1EEEvT1_,comdat
.Lfunc_end17:
	.size	_ZN7rocprim17ROCPRIM_400000_NS6detail17trampoline_kernelINS0_14default_configENS1_25transform_config_selectorIdLb1EEEZNS1_14transform_implILb1ES3_S5_PdS7_NS0_8identityIdEEEE10hipError_tT2_T3_mT4_P12ihipStream_tbEUlT_E_NS1_11comp_targetILNS1_3genE8ELNS1_11target_archE1030ELNS1_3gpuE2ELNS1_3repE0EEENS1_30default_config_static_selectorELNS0_4arch9wavefront6targetE1EEEvT1_, .Lfunc_end17-_ZN7rocprim17ROCPRIM_400000_NS6detail17trampoline_kernelINS0_14default_configENS1_25transform_config_selectorIdLb1EEEZNS1_14transform_implILb1ES3_S5_PdS7_NS0_8identityIdEEEE10hipError_tT2_T3_mT4_P12ihipStream_tbEUlT_E_NS1_11comp_targetILNS1_3genE8ELNS1_11target_archE1030ELNS1_3gpuE2ELNS1_3repE0EEENS1_30default_config_static_selectorELNS0_4arch9wavefront6targetE1EEEvT1_
                                        ; -- End function
	.set _ZN7rocprim17ROCPRIM_400000_NS6detail17trampoline_kernelINS0_14default_configENS1_25transform_config_selectorIdLb1EEEZNS1_14transform_implILb1ES3_S5_PdS7_NS0_8identityIdEEEE10hipError_tT2_T3_mT4_P12ihipStream_tbEUlT_E_NS1_11comp_targetILNS1_3genE8ELNS1_11target_archE1030ELNS1_3gpuE2ELNS1_3repE0EEENS1_30default_config_static_selectorELNS0_4arch9wavefront6targetE1EEEvT1_.num_vgpr, 0
	.set _ZN7rocprim17ROCPRIM_400000_NS6detail17trampoline_kernelINS0_14default_configENS1_25transform_config_selectorIdLb1EEEZNS1_14transform_implILb1ES3_S5_PdS7_NS0_8identityIdEEEE10hipError_tT2_T3_mT4_P12ihipStream_tbEUlT_E_NS1_11comp_targetILNS1_3genE8ELNS1_11target_archE1030ELNS1_3gpuE2ELNS1_3repE0EEENS1_30default_config_static_selectorELNS0_4arch9wavefront6targetE1EEEvT1_.num_agpr, 0
	.set _ZN7rocprim17ROCPRIM_400000_NS6detail17trampoline_kernelINS0_14default_configENS1_25transform_config_selectorIdLb1EEEZNS1_14transform_implILb1ES3_S5_PdS7_NS0_8identityIdEEEE10hipError_tT2_T3_mT4_P12ihipStream_tbEUlT_E_NS1_11comp_targetILNS1_3genE8ELNS1_11target_archE1030ELNS1_3gpuE2ELNS1_3repE0EEENS1_30default_config_static_selectorELNS0_4arch9wavefront6targetE1EEEvT1_.numbered_sgpr, 0
	.set _ZN7rocprim17ROCPRIM_400000_NS6detail17trampoline_kernelINS0_14default_configENS1_25transform_config_selectorIdLb1EEEZNS1_14transform_implILb1ES3_S5_PdS7_NS0_8identityIdEEEE10hipError_tT2_T3_mT4_P12ihipStream_tbEUlT_E_NS1_11comp_targetILNS1_3genE8ELNS1_11target_archE1030ELNS1_3gpuE2ELNS1_3repE0EEENS1_30default_config_static_selectorELNS0_4arch9wavefront6targetE1EEEvT1_.num_named_barrier, 0
	.set _ZN7rocprim17ROCPRIM_400000_NS6detail17trampoline_kernelINS0_14default_configENS1_25transform_config_selectorIdLb1EEEZNS1_14transform_implILb1ES3_S5_PdS7_NS0_8identityIdEEEE10hipError_tT2_T3_mT4_P12ihipStream_tbEUlT_E_NS1_11comp_targetILNS1_3genE8ELNS1_11target_archE1030ELNS1_3gpuE2ELNS1_3repE0EEENS1_30default_config_static_selectorELNS0_4arch9wavefront6targetE1EEEvT1_.private_seg_size, 0
	.set _ZN7rocprim17ROCPRIM_400000_NS6detail17trampoline_kernelINS0_14default_configENS1_25transform_config_selectorIdLb1EEEZNS1_14transform_implILb1ES3_S5_PdS7_NS0_8identityIdEEEE10hipError_tT2_T3_mT4_P12ihipStream_tbEUlT_E_NS1_11comp_targetILNS1_3genE8ELNS1_11target_archE1030ELNS1_3gpuE2ELNS1_3repE0EEENS1_30default_config_static_selectorELNS0_4arch9wavefront6targetE1EEEvT1_.uses_vcc, 0
	.set _ZN7rocprim17ROCPRIM_400000_NS6detail17trampoline_kernelINS0_14default_configENS1_25transform_config_selectorIdLb1EEEZNS1_14transform_implILb1ES3_S5_PdS7_NS0_8identityIdEEEE10hipError_tT2_T3_mT4_P12ihipStream_tbEUlT_E_NS1_11comp_targetILNS1_3genE8ELNS1_11target_archE1030ELNS1_3gpuE2ELNS1_3repE0EEENS1_30default_config_static_selectorELNS0_4arch9wavefront6targetE1EEEvT1_.uses_flat_scratch, 0
	.set _ZN7rocprim17ROCPRIM_400000_NS6detail17trampoline_kernelINS0_14default_configENS1_25transform_config_selectorIdLb1EEEZNS1_14transform_implILb1ES3_S5_PdS7_NS0_8identityIdEEEE10hipError_tT2_T3_mT4_P12ihipStream_tbEUlT_E_NS1_11comp_targetILNS1_3genE8ELNS1_11target_archE1030ELNS1_3gpuE2ELNS1_3repE0EEENS1_30default_config_static_selectorELNS0_4arch9wavefront6targetE1EEEvT1_.has_dyn_sized_stack, 0
	.set _ZN7rocprim17ROCPRIM_400000_NS6detail17trampoline_kernelINS0_14default_configENS1_25transform_config_selectorIdLb1EEEZNS1_14transform_implILb1ES3_S5_PdS7_NS0_8identityIdEEEE10hipError_tT2_T3_mT4_P12ihipStream_tbEUlT_E_NS1_11comp_targetILNS1_3genE8ELNS1_11target_archE1030ELNS1_3gpuE2ELNS1_3repE0EEENS1_30default_config_static_selectorELNS0_4arch9wavefront6targetE1EEEvT1_.has_recursion, 0
	.set _ZN7rocprim17ROCPRIM_400000_NS6detail17trampoline_kernelINS0_14default_configENS1_25transform_config_selectorIdLb1EEEZNS1_14transform_implILb1ES3_S5_PdS7_NS0_8identityIdEEEE10hipError_tT2_T3_mT4_P12ihipStream_tbEUlT_E_NS1_11comp_targetILNS1_3genE8ELNS1_11target_archE1030ELNS1_3gpuE2ELNS1_3repE0EEENS1_30default_config_static_selectorELNS0_4arch9wavefront6targetE1EEEvT1_.has_indirect_call, 0
	.section	.AMDGPU.csdata,"",@progbits
; Kernel info:
; codeLenInByte = 0
; TotalNumSgprs: 6
; NumVgprs: 0
; NumAgprs: 0
; TotalNumVgprs: 0
; ScratchSize: 0
; MemoryBound: 0
; FloatMode: 240
; IeeeMode: 1
; LDSByteSize: 0 bytes/workgroup (compile time only)
; SGPRBlocks: 0
; VGPRBlocks: 0
; NumSGPRsForWavesPerEU: 6
; NumVGPRsForWavesPerEU: 1
; AccumOffset: 4
; Occupancy: 8
; WaveLimiterHint : 0
; COMPUTE_PGM_RSRC2:SCRATCH_EN: 0
; COMPUTE_PGM_RSRC2:USER_SGPR: 2
; COMPUTE_PGM_RSRC2:TRAP_HANDLER: 0
; COMPUTE_PGM_RSRC2:TGID_X_EN: 1
; COMPUTE_PGM_RSRC2:TGID_Y_EN: 0
; COMPUTE_PGM_RSRC2:TGID_Z_EN: 0
; COMPUTE_PGM_RSRC2:TIDIG_COMP_CNT: 0
; COMPUTE_PGM_RSRC3_GFX90A:ACCUM_OFFSET: 0
; COMPUTE_PGM_RSRC3_GFX90A:TG_SPLIT: 0
	.section	.text._ZN7rocprim17ROCPRIM_400000_NS6detail17trampoline_kernelINS0_14default_configENS1_20scan_config_selectorIdEEZZNS1_9scan_implILNS1_25lookback_scan_determinismE0ELb0ELb0ES3_PKdPddZZZN2at6native31launch_logcumsumexp_cuda_kernelERKNSB_10TensorBaseESF_lENKUlvE_clEvENKUlvE_clEvEUlddE_dEEDaPvRmT3_T4_T5_mT6_P12ihipStream_tbENKUlT_T0_E_clISt17integral_constantIbLb0EESW_EEDaSR_SS_EUlSR_E0_NS1_11comp_targetILNS1_3genE0ELNS1_11target_archE4294967295ELNS1_3gpuE0ELNS1_3repE0EEENS1_30default_config_static_selectorELNS0_4arch9wavefront6targetE1EEEvT1_,"axG",@progbits,_ZN7rocprim17ROCPRIM_400000_NS6detail17trampoline_kernelINS0_14default_configENS1_20scan_config_selectorIdEEZZNS1_9scan_implILNS1_25lookback_scan_determinismE0ELb0ELb0ES3_PKdPddZZZN2at6native31launch_logcumsumexp_cuda_kernelERKNSB_10TensorBaseESF_lENKUlvE_clEvENKUlvE_clEvEUlddE_dEEDaPvRmT3_T4_T5_mT6_P12ihipStream_tbENKUlT_T0_E_clISt17integral_constantIbLb0EESW_EEDaSR_SS_EUlSR_E0_NS1_11comp_targetILNS1_3genE0ELNS1_11target_archE4294967295ELNS1_3gpuE0ELNS1_3repE0EEENS1_30default_config_static_selectorELNS0_4arch9wavefront6targetE1EEEvT1_,comdat
	.globl	_ZN7rocprim17ROCPRIM_400000_NS6detail17trampoline_kernelINS0_14default_configENS1_20scan_config_selectorIdEEZZNS1_9scan_implILNS1_25lookback_scan_determinismE0ELb0ELb0ES3_PKdPddZZZN2at6native31launch_logcumsumexp_cuda_kernelERKNSB_10TensorBaseESF_lENKUlvE_clEvENKUlvE_clEvEUlddE_dEEDaPvRmT3_T4_T5_mT6_P12ihipStream_tbENKUlT_T0_E_clISt17integral_constantIbLb0EESW_EEDaSR_SS_EUlSR_E0_NS1_11comp_targetILNS1_3genE0ELNS1_11target_archE4294967295ELNS1_3gpuE0ELNS1_3repE0EEENS1_30default_config_static_selectorELNS0_4arch9wavefront6targetE1EEEvT1_ ; -- Begin function _ZN7rocprim17ROCPRIM_400000_NS6detail17trampoline_kernelINS0_14default_configENS1_20scan_config_selectorIdEEZZNS1_9scan_implILNS1_25lookback_scan_determinismE0ELb0ELb0ES3_PKdPddZZZN2at6native31launch_logcumsumexp_cuda_kernelERKNSB_10TensorBaseESF_lENKUlvE_clEvENKUlvE_clEvEUlddE_dEEDaPvRmT3_T4_T5_mT6_P12ihipStream_tbENKUlT_T0_E_clISt17integral_constantIbLb0EESW_EEDaSR_SS_EUlSR_E0_NS1_11comp_targetILNS1_3genE0ELNS1_11target_archE4294967295ELNS1_3gpuE0ELNS1_3repE0EEENS1_30default_config_static_selectorELNS0_4arch9wavefront6targetE1EEEvT1_
	.p2align	8
	.type	_ZN7rocprim17ROCPRIM_400000_NS6detail17trampoline_kernelINS0_14default_configENS1_20scan_config_selectorIdEEZZNS1_9scan_implILNS1_25lookback_scan_determinismE0ELb0ELb0ES3_PKdPddZZZN2at6native31launch_logcumsumexp_cuda_kernelERKNSB_10TensorBaseESF_lENKUlvE_clEvENKUlvE_clEvEUlddE_dEEDaPvRmT3_T4_T5_mT6_P12ihipStream_tbENKUlT_T0_E_clISt17integral_constantIbLb0EESW_EEDaSR_SS_EUlSR_E0_NS1_11comp_targetILNS1_3genE0ELNS1_11target_archE4294967295ELNS1_3gpuE0ELNS1_3repE0EEENS1_30default_config_static_selectorELNS0_4arch9wavefront6targetE1EEEvT1_,@function
_ZN7rocprim17ROCPRIM_400000_NS6detail17trampoline_kernelINS0_14default_configENS1_20scan_config_selectorIdEEZZNS1_9scan_implILNS1_25lookback_scan_determinismE0ELb0ELb0ES3_PKdPddZZZN2at6native31launch_logcumsumexp_cuda_kernelERKNSB_10TensorBaseESF_lENKUlvE_clEvENKUlvE_clEvEUlddE_dEEDaPvRmT3_T4_T5_mT6_P12ihipStream_tbENKUlT_T0_E_clISt17integral_constantIbLb0EESW_EEDaSR_SS_EUlSR_E0_NS1_11comp_targetILNS1_3genE0ELNS1_11target_archE4294967295ELNS1_3gpuE0ELNS1_3repE0EEENS1_30default_config_static_selectorELNS0_4arch9wavefront6targetE1EEEvT1_: ; @_ZN7rocprim17ROCPRIM_400000_NS6detail17trampoline_kernelINS0_14default_configENS1_20scan_config_selectorIdEEZZNS1_9scan_implILNS1_25lookback_scan_determinismE0ELb0ELb0ES3_PKdPddZZZN2at6native31launch_logcumsumexp_cuda_kernelERKNSB_10TensorBaseESF_lENKUlvE_clEvENKUlvE_clEvEUlddE_dEEDaPvRmT3_T4_T5_mT6_P12ihipStream_tbENKUlT_T0_E_clISt17integral_constantIbLb0EESW_EEDaSR_SS_EUlSR_E0_NS1_11comp_targetILNS1_3genE0ELNS1_11target_archE4294967295ELNS1_3gpuE0ELNS1_3repE0EEENS1_30default_config_static_selectorELNS0_4arch9wavefront6targetE1EEEvT1_
; %bb.0:
	s_load_dwordx4 s[12:15], s[0:1], 0x0
	v_lshlrev_b32_e32 v18, 3, v0
	s_waitcnt lgkmcnt(0)
	s_load_dwordx2 s[10:11], s[12:13], 0x0
	v_cmp_gt_u32_e32 vcc, s14, v0
	s_waitcnt lgkmcnt(0)
	v_mov_b64_e32 v[2:3], s[10:11]
	s_and_saveexec_b64 s[2:3], vcc
	s_cbranch_execz .LBB18_2
; %bb.1:
	global_load_dwordx2 v[2:3], v18, s[12:13]
.LBB18_2:
	s_or_b64 exec, exec, s[2:3]
	v_or_b32_e32 v1, 0x100, v0
	v_cmp_gt_u32_e64 s[20:21], s14, v1
	v_mov_b64_e32 v[4:5], s[10:11]
	s_and_saveexec_b64 s[2:3], s[20:21]
	s_cbranch_execz .LBB18_4
; %bb.3:
	global_load_dwordx2 v[4:5], v18, s[12:13] offset:2048
.LBB18_4:
	s_or_b64 exec, exec, s[2:3]
	v_or_b32_e32 v1, 0x200, v0
	v_cmp_gt_u32_e64 s[2:3], s14, v1
	v_mov_b64_e32 v[6:7], s[10:11]
	s_and_saveexec_b64 s[4:5], s[2:3]
	s_cbranch_execz .LBB18_6
; %bb.5:
	v_lshlrev_b32_e32 v1, 3, v1
	global_load_dwordx2 v[6:7], v1, s[12:13]
.LBB18_6:
	s_or_b64 exec, exec, s[4:5]
	v_or_b32_e32 v1, 0x300, v0
	v_cmp_gt_u32_e64 s[4:5], s14, v1
	v_mov_b64_e32 v[8:9], s[10:11]
	s_and_saveexec_b64 s[6:7], s[4:5]
	s_cbranch_execz .LBB18_8
; %bb.7:
	v_lshlrev_b32_e32 v1, 3, v1
	global_load_dwordx2 v[8:9], v1, s[12:13]
.LBB18_8:
	;; [unrolled: 10-line block ×4, first 2 shown]
	s_or_b64 exec, exec, s[10:11]
	v_mad_u32_u24 v1, v0, 40, v18
	s_waitcnt vmcnt(0)
	ds_write2st64_b64 v18, v[2:3], v[4:5] offset1:4
	ds_write2st64_b64 v18, v[6:7], v[8:9] offset0:8 offset1:12
	ds_write2st64_b64 v18, v[10:11], v[12:13] offset0:16 offset1:20
	s_waitcnt lgkmcnt(0)
	s_barrier
	ds_read_b128 v[2:5], v1
	ds_read_b128 v[10:13], v1 offset:16
	ds_read_b128 v[6:9], v1 offset:32
	s_movk_i32 s26, 0x1f8
	s_waitcnt lgkmcnt(0)
	v_max_f64 v[28:29], v[4:5], v[4:5]
	v_max_f64 v[30:31], v[2:3], v[2:3]
	v_min_f64 v[32:33], v[30:31], v[28:29]
	v_cmp_u_f64_e64 s[22:23], v[2:3], v[2:3]
	v_cmp_u_f64_e64 s[10:11], v[4:5], v[4:5]
	v_max_f64 v[34:35], v[30:31], v[28:29]
	v_cndmask_b32_e64 v1, v32, v2, s[22:23]
	v_cndmask_b32_e64 v14, v33, v3, s[22:23]
	;; [unrolled: 1-line block ×8, first 2 shown]
	v_cmp_neq_f64_e64 s[12:13], v[16:17], v[14:15]
	v_cmp_class_f64_e64 s[14:15], v[16:17], s26
	s_or_b64 s[12:13], s[12:13], s[14:15]
	v_mov_b64_e32 v[36:37], v[2:3]
	s_barrier
	s_and_saveexec_b64 s[16:17], s[12:13]
	s_cbranch_execz .LBB18_14
; %bb.13:
	s_mov_b32 s12, 0x652b82fe
	v_add_f64 v[16:17], v[16:17], -v[14:15]
	s_mov_b32 s13, 0x3ff71547
	v_mul_f64 v[20:21], v[16:17], s[12:13]
	v_rndne_f64_e32 v[20:21], v[20:21]
	s_mov_b32 s19, 0xbfe62e42
	s_mov_b32 s18, 0xfefa39ef
	v_fma_f64 v[22:23], s[18:19], v[20:21], v[16:17]
	s_mov_b32 s25, 0xbc7abc9e
	s_mov_b32 s24, 0x3b39803f
	;; [unrolled: 1-line block ×3, first 2 shown]
	v_fmac_f64_e32 v[22:23], s[24:25], v[20:21]
	v_mov_b32_e32 v24, 0xfca7ab0c
	v_mov_b32_e32 v25, 0x3e928af3
	s_mov_b32 s13, 0x3e5ade15
	v_fmac_f64_e32 v[24:25], s[12:13], v[22:23]
	v_mov_b32_e32 v26, 0x623fde64
	v_mov_b32_e32 v27, 0x3ec71dee
	v_fmac_f64_e32 v[26:27], v[22:23], v[24:25]
	v_mov_b32_e32 v24, 0x7c89e6b0
	v_mov_b32_e32 v25, 0x3efa0199
	;; [unrolled: 3-line block ×8, first 2 shown]
	v_fmac_f64_e32 v[24:25], v[22:23], v[26:27]
	v_fma_f64 v[24:25], v[22:23], v[24:25], 1.0
	s_mov_b32 s12, 0
	s_mov_b32 s14, 0
	v_fma_f64 v[22:23], v[22:23], v[24:25], 1.0
	v_cvt_i32_f64_e32 v1, v[20:21]
	s_mov_b32 s13, 0x40900000
	s_mov_b32 s15, 0xc090cc00
	v_ldexp_f64 v[20:21], v[22:23], v1
	v_mov_b32_e32 v1, 0x7ff00000
	v_cmp_nlt_f64_e64 s[12:13], s[12:13], v[16:17]
	v_cmp_ngt_f64_e64 s[14:15], s[14:15], v[16:17]
	s_mov_b32 s19, 0x3fe62e42
	v_cndmask_b32_e64 v19, v1, v21, s[12:13]
	s_and_b64 s[12:13], s[14:15], s[12:13]
	v_cndmask_b32_e64 v17, 0, v19, s[14:15]
	v_cndmask_b32_e64 v16, 0, v20, s[12:13]
	v_add_f64 v[20:21], v[16:17], 1.0
	v_add_f64 v[22:23], v[20:21], -1.0
	v_add_f64 v[24:25], v[22:23], -v[20:21]
	v_add_f64 v[24:25], v[24:25], 1.0
	v_add_f64 v[22:23], v[16:17], -v[22:23]
	s_mov_b32 s12, 0x55555555
	v_add_f64 v[22:23], v[22:23], v[24:25]
	v_frexp_mant_f64_e32 v[24:25], v[20:21]
	s_mov_b32 s13, 0x3fe55555
	v_frexp_exp_i32_f64_e32 v19, v[20:21]
	v_cmp_gt_f64_e64 s[12:13], s[12:13], v[24:25]
	s_mov_b32 s25, 0x3c7abc9e
	v_cmp_ngt_f64_e64 s[14:15], -1.0, v[16:17]
	v_subbrev_co_u32_e64 v19, s[12:13], 0, v19, s[12:13]
	v_sub_u32_e32 v24, 0, v19
	v_ldexp_f64 v[20:21], v[20:21], v24
	v_ldexp_f64 v[22:23], v[22:23], v24
	v_add_f64 v[24:25], v[20:21], -1.0
	v_add_f64 v[38:39], v[20:21], 1.0
	v_add_f64 v[26:27], v[24:25], 1.0
	v_add_f64 v[40:41], v[38:39], -1.0
	v_add_f64 v[26:27], v[20:21], -v[26:27]
	v_add_f64 v[20:21], v[20:21], -v[40:41]
	v_add_f64 v[20:21], v[22:23], v[20:21]
	v_add_f64 v[26:27], v[22:23], v[26:27]
	;; [unrolled: 1-line block ×3, first 2 shown]
	v_rcp_f64_e32 v[40:41], v[22:23]
	v_add_f64 v[36:37], v[24:25], v[26:27]
	v_add_f64 v[24:25], v[36:37], -v[24:25]
	v_add_f64 v[24:25], v[26:27], -v[24:25]
	;; [unrolled: 1-line block ×4, first 2 shown]
	v_fma_f64 v[26:27], -v[22:23], v[40:41], 1.0
	v_fmac_f64_e32 v[40:41], v[26:27], v[40:41]
	v_fma_f64 v[26:27], -v[22:23], v[40:41], 1.0
	v_fmac_f64_e32 v[40:41], v[26:27], v[40:41]
	v_mul_f64 v[26:27], v[36:37], v[40:41]
	v_mul_f64 v[38:39], v[22:23], v[26:27]
	v_fma_f64 v[42:43], v[26:27], v[22:23], -v[38:39]
	v_fmac_f64_e32 v[42:43], v[26:27], v[20:21]
	v_add_f64 v[44:45], v[38:39], v[42:43]
	v_add_f64 v[46:47], v[36:37], -v[44:45]
	v_add_f64 v[36:37], v[36:37], -v[46:47]
	;; [unrolled: 1-line block ×4, first 2 shown]
	v_add_f64 v[24:25], v[24:25], v[36:37]
	v_add_f64 v[36:37], v[38:39], -v[42:43]
	v_add_f64 v[24:25], v[36:37], v[24:25]
	v_add_f64 v[36:37], v[46:47], v[24:25]
	v_add_f64 v[38:39], v[46:47], -v[36:37]
	v_add_f64 v[24:25], v[24:25], v[38:39]
	v_mul_f64 v[38:39], v[40:41], v[36:37]
	v_mul_f64 v[42:43], v[22:23], v[38:39]
	v_fma_f64 v[22:23], v[38:39], v[22:23], -v[42:43]
	v_fmac_f64_e32 v[22:23], v[38:39], v[20:21]
	v_add_f64 v[20:21], v[42:43], v[22:23]
	v_add_f64 v[44:45], v[36:37], -v[20:21]
	v_add_f64 v[36:37], v[36:37], -v[44:45]
	v_add_f64 v[42:43], v[20:21], -v[42:43]
	v_add_f64 v[20:21], v[36:37], -v[20:21]
	v_add_f64 v[20:21], v[24:25], v[20:21]
	v_add_f64 v[22:23], v[42:43], -v[22:23]
	v_add_f64 v[20:21], v[22:23], v[20:21]
	v_add_f64 v[22:23], v[26:27], v[38:39]
	;; [unrolled: 1-line block ×3, first 2 shown]
	v_add_f64 v[24:25], v[22:23], -v[26:27]
	v_mul_f64 v[20:21], v[40:41], v[20:21]
	v_add_f64 v[24:25], v[38:39], -v[24:25]
	v_add_f64 v[20:21], v[24:25], v[20:21]
	v_add_f64 v[24:25], v[22:23], v[20:21]
	v_add_f64 v[22:23], v[24:25], -v[22:23]
	s_mov_b32 s12, 0xbf559e2b
	v_add_f64 v[20:21], v[20:21], -v[22:23]
	v_mul_f64 v[22:23], v[24:25], v[24:25]
	v_mov_b32_e32 v26, 0x6b47b09a
	v_mov_b32_e32 v27, 0x3fc38538
	s_mov_b32 s13, 0x3fc3ab76
	v_fmac_f64_e32 v[26:27], s[12:13], v[22:23]
	v_mov_b32_e32 v36, 0xd7f4df2e
	v_mov_b32_e32 v37, 0x3fc7474d
	v_fmac_f64_e32 v[36:37], v[22:23], v[26:27]
	v_mov_b32_e32 v26, 0x16291751
	v_mov_b32_e32 v27, 0x3fcc71c0
	;; [unrolled: 3-line block ×5, first 2 shown]
	v_fmac_f64_e32 v[36:37], v[22:23], v[26:27]
	v_cvt_f64_i32_e32 v[26:27], v19
	v_mul_f64 v[38:39], v[26:27], s[18:19]
	v_fma_f64 v[40:41], v[26:27], s[18:19], -v[38:39]
	v_fmac_f64_e32 v[40:41], s[24:25], v[26:27]
	v_add_f64 v[26:27], v[38:39], v[40:41]
	v_add_f64 v[38:39], v[26:27], -v[38:39]
	v_mul_f64 v[22:23], v[24:25], v[22:23]
	v_add_f64 v[38:39], v[40:41], -v[38:39]
	v_ldexp_f64 v[40:41], v[24:25], 1
	v_mul_f64 v[22:23], v[22:23], v[36:37]
	v_add_f64 v[24:25], v[40:41], v[22:23]
	v_add_f64 v[36:37], v[24:25], -v[40:41]
	v_ldexp_f64 v[20:21], v[20:21], 1
	v_add_f64 v[22:23], v[22:23], -v[36:37]
	v_add_f64 v[20:21], v[20:21], v[22:23]
	v_add_f64 v[22:23], v[24:25], v[20:21]
	v_add_f64 v[24:25], v[22:23], -v[24:25]
	v_add_f64 v[20:21], v[20:21], -v[24:25]
	v_add_f64 v[24:25], v[26:27], v[22:23]
	v_add_f64 v[36:37], v[24:25], -v[26:27]
	v_add_f64 v[40:41], v[24:25], -v[36:37]
	;; [unrolled: 1-line block ×4, first 2 shown]
	v_add_f64 v[22:23], v[22:23], v[26:27]
	v_add_f64 v[26:27], v[38:39], v[20:21]
	v_add_f64 v[36:37], v[26:27], -v[38:39]
	v_add_f64 v[22:23], v[26:27], v[22:23]
	v_add_f64 v[40:41], v[26:27], -v[36:37]
	;; [unrolled: 2-line block ×3, first 2 shown]
	v_add_f64 v[20:21], v[20:21], -v[36:37]
	v_add_f64 v[24:25], v[26:27], -v[24:25]
	v_add_f64 v[20:21], v[20:21], v[38:39]
	v_add_f64 v[22:23], v[22:23], -v[24:25]
	s_mov_b32 s12, 0
	v_add_f64 v[20:21], v[20:21], v[22:23]
	s_mov_b32 s13, 0x7ff00000
	v_add_f64 v[20:21], v[26:27], v[20:21]
	v_cmp_neq_f64_e64 s[12:13], s[12:13], v[16:17]
	v_mov_b32_e32 v19, 0x7ff80000
	s_nop 0
	v_cndmask_b32_e64 v1, v1, v21, s[12:13]
	v_cndmask_b32_e64 v1, v19, v1, s[14:15]
	v_cmp_nge_f64_e64 s[14:15], -1.0, v[16:17]
	s_and_b64 s[12:13], s[14:15], s[12:13]
	v_cndmask_b32_e64 v20, 0, v20, s[12:13]
	v_mov_b32_e32 v19, 0xfff00000
	v_cmp_neq_f64_e64 s[12:13], -1.0, v[16:17]
	s_nop 1
	v_cndmask_b32_e64 v21, v19, v1, s[12:13]
	v_add_f64 v[36:37], v[14:15], v[20:21]
.LBB18_14:
	s_or_b64 exec, exec, s[16:17]
	v_max_f64 v[20:21], v[10:11], v[10:11]
	v_max_f64 v[14:15], v[36:37], v[36:37]
	v_min_f64 v[16:17], v[14:15], v[20:21]
	v_cmp_u_f64_e64 s[14:15], v[36:37], v[36:37]
	v_cmp_u_f64_e64 s[12:13], v[10:11], v[10:11]
	v_max_f64 v[14:15], v[14:15], v[20:21]
	v_cndmask_b32_e64 v1, v16, v36, s[14:15]
	v_cndmask_b32_e64 v16, v17, v37, s[14:15]
	;; [unrolled: 1-line block ×8, first 2 shown]
	v_cmp_neq_f64_e64 s[14:15], v[16:17], v[14:15]
	v_cmp_class_f64_e64 s[16:17], v[16:17], s26
	s_or_b64 s[14:15], s[14:15], s[16:17]
	s_and_saveexec_b64 s[18:19], s[14:15]
	s_cbranch_execz .LBB18_16
; %bb.15:
	s_mov_b32 s14, 0x652b82fe
	v_add_f64 v[16:17], v[16:17], -v[14:15]
	s_mov_b32 s15, 0x3ff71547
	v_mul_f64 v[22:23], v[16:17], s[14:15]
	v_rndne_f64_e32 v[22:23], v[22:23]
	s_mov_b32 s25, 0xbfe62e42
	s_mov_b32 s24, 0xfefa39ef
	v_fma_f64 v[24:25], s[24:25], v[22:23], v[16:17]
	s_mov_b32 s27, 0xbc7abc9e
	s_mov_b32 s26, 0x3b39803f
	s_mov_b32 s14, 0x6a5dcb37
	v_fmac_f64_e32 v[24:25], s[26:27], v[22:23]
	v_mov_b32_e32 v26, 0xfca7ab0c
	v_mov_b32_e32 v27, 0x3e928af3
	s_mov_b32 s15, 0x3e5ade15
	v_fmac_f64_e32 v[26:27], s[14:15], v[24:25]
	v_mov_b32_e32 v36, 0x623fde64
	v_mov_b32_e32 v37, 0x3ec71dee
	v_fmac_f64_e32 v[36:37], v[24:25], v[26:27]
	v_mov_b32_e32 v26, 0x7c89e6b0
	v_mov_b32_e32 v27, 0x3efa0199
	v_fmac_f64_e32 v[26:27], v[24:25], v[36:37]
	v_mov_b32_e32 v36, 0x14761f6e
	v_mov_b32_e32 v37, 0x3f2a01a0
	v_fmac_f64_e32 v[36:37], v[24:25], v[26:27]
	v_mov_b32_e32 v26, 0x1852b7b0
	v_mov_b32_e32 v27, 0x3f56c16c
	v_fmac_f64_e32 v[26:27], v[24:25], v[36:37]
	v_mov_b32_e32 v36, 0x11122322
	v_mov_b32_e32 v37, 0x3f811111
	v_fmac_f64_e32 v[36:37], v[24:25], v[26:27]
	v_mov_b32_e32 v26, 0x555502a1
	v_mov_b32_e32 v27, 0x3fa55555
	v_fmac_f64_e32 v[26:27], v[24:25], v[36:37]
	v_mov_b32_e32 v36, 0x55555511
	v_mov_b32_e32 v37, 0x3fc55555
	v_fmac_f64_e32 v[36:37], v[24:25], v[26:27]
	v_mov_b32_e32 v26, 11
	v_mov_b32_e32 v27, 0x3fe00000
	v_fmac_f64_e32 v[26:27], v[24:25], v[36:37]
	v_fma_f64 v[26:27], v[24:25], v[26:27], 1.0
	s_mov_b32 s14, 0
	s_mov_b32 s16, 0
	v_fma_f64 v[24:25], v[24:25], v[26:27], 1.0
	v_cvt_i32_f64_e32 v1, v[22:23]
	s_mov_b32 s15, 0x40900000
	s_mov_b32 s17, 0xc090cc00
	v_ldexp_f64 v[22:23], v[24:25], v1
	v_mov_b32_e32 v1, 0x7ff00000
	v_cmp_nlt_f64_e64 s[14:15], s[14:15], v[16:17]
	v_cmp_ngt_f64_e64 s[16:17], s[16:17], v[16:17]
	s_mov_b32 s25, 0x3fe62e42
	v_cndmask_b32_e64 v19, v1, v23, s[14:15]
	s_and_b64 s[14:15], s[16:17], s[14:15]
	v_cndmask_b32_e64 v17, 0, v19, s[16:17]
	v_cndmask_b32_e64 v16, 0, v22, s[14:15]
	v_add_f64 v[22:23], v[16:17], 1.0
	v_add_f64 v[24:25], v[22:23], -1.0
	v_add_f64 v[26:27], v[24:25], -v[22:23]
	v_add_f64 v[26:27], v[26:27], 1.0
	v_add_f64 v[24:25], v[16:17], -v[24:25]
	s_mov_b32 s14, 0x55555555
	v_add_f64 v[24:25], v[24:25], v[26:27]
	v_frexp_mant_f64_e32 v[26:27], v[22:23]
	s_mov_b32 s15, 0x3fe55555
	v_frexp_exp_i32_f64_e32 v19, v[22:23]
	v_cmp_gt_f64_e64 s[14:15], s[14:15], v[26:27]
	s_mov_b32 s27, 0x3c7abc9e
	v_cmp_ngt_f64_e64 s[16:17], -1.0, v[16:17]
	v_subbrev_co_u32_e64 v19, s[14:15], 0, v19, s[14:15]
	v_sub_u32_e32 v26, 0, v19
	v_ldexp_f64 v[22:23], v[22:23], v26
	v_ldexp_f64 v[24:25], v[24:25], v26
	v_add_f64 v[26:27], v[22:23], -1.0
	v_add_f64 v[40:41], v[22:23], 1.0
	v_add_f64 v[36:37], v[26:27], 1.0
	v_add_f64 v[42:43], v[40:41], -1.0
	v_add_f64 v[36:37], v[22:23], -v[36:37]
	v_add_f64 v[22:23], v[22:23], -v[42:43]
	v_add_f64 v[22:23], v[24:25], v[22:23]
	v_add_f64 v[36:37], v[24:25], v[36:37]
	;; [unrolled: 1-line block ×3, first 2 shown]
	v_rcp_f64_e32 v[42:43], v[24:25]
	v_add_f64 v[38:39], v[26:27], v[36:37]
	v_add_f64 v[26:27], v[38:39], -v[26:27]
	v_add_f64 v[26:27], v[36:37], -v[26:27]
	;; [unrolled: 1-line block ×4, first 2 shown]
	v_fma_f64 v[36:37], -v[24:25], v[42:43], 1.0
	v_fmac_f64_e32 v[42:43], v[36:37], v[42:43]
	v_fma_f64 v[36:37], -v[24:25], v[42:43], 1.0
	v_fmac_f64_e32 v[42:43], v[36:37], v[42:43]
	v_mul_f64 v[36:37], v[38:39], v[42:43]
	v_mul_f64 v[40:41], v[24:25], v[36:37]
	v_fma_f64 v[44:45], v[36:37], v[24:25], -v[40:41]
	v_fmac_f64_e32 v[44:45], v[36:37], v[22:23]
	v_add_f64 v[46:47], v[40:41], v[44:45]
	v_add_f64 v[48:49], v[38:39], -v[46:47]
	v_add_f64 v[38:39], v[38:39], -v[48:49]
	;; [unrolled: 1-line block ×4, first 2 shown]
	v_add_f64 v[26:27], v[26:27], v[38:39]
	v_add_f64 v[38:39], v[40:41], -v[44:45]
	v_add_f64 v[26:27], v[38:39], v[26:27]
	v_add_f64 v[38:39], v[48:49], v[26:27]
	v_add_f64 v[40:41], v[48:49], -v[38:39]
	v_add_f64 v[26:27], v[26:27], v[40:41]
	v_mul_f64 v[40:41], v[42:43], v[38:39]
	v_mul_f64 v[44:45], v[24:25], v[40:41]
	v_fma_f64 v[24:25], v[40:41], v[24:25], -v[44:45]
	v_fmac_f64_e32 v[24:25], v[40:41], v[22:23]
	v_add_f64 v[22:23], v[44:45], v[24:25]
	v_add_f64 v[46:47], v[38:39], -v[22:23]
	v_add_f64 v[38:39], v[38:39], -v[46:47]
	;; [unrolled: 1-line block ×4, first 2 shown]
	v_add_f64 v[22:23], v[26:27], v[22:23]
	v_add_f64 v[24:25], v[44:45], -v[24:25]
	v_add_f64 v[22:23], v[24:25], v[22:23]
	v_add_f64 v[24:25], v[36:37], v[40:41]
	;; [unrolled: 1-line block ×3, first 2 shown]
	v_add_f64 v[26:27], v[24:25], -v[36:37]
	v_mul_f64 v[22:23], v[42:43], v[22:23]
	v_add_f64 v[26:27], v[40:41], -v[26:27]
	v_add_f64 v[22:23], v[26:27], v[22:23]
	v_add_f64 v[26:27], v[24:25], v[22:23]
	v_add_f64 v[24:25], v[26:27], -v[24:25]
	s_mov_b32 s14, 0xbf559e2b
	v_add_f64 v[22:23], v[22:23], -v[24:25]
	v_mul_f64 v[24:25], v[26:27], v[26:27]
	v_mov_b32_e32 v36, 0x6b47b09a
	v_mov_b32_e32 v37, 0x3fc38538
	s_mov_b32 s15, 0x3fc3ab76
	v_fmac_f64_e32 v[36:37], s[14:15], v[24:25]
	v_mov_b32_e32 v38, 0xd7f4df2e
	v_mov_b32_e32 v39, 0x3fc7474d
	v_fmac_f64_e32 v[38:39], v[24:25], v[36:37]
	v_mov_b32_e32 v36, 0x16291751
	v_mov_b32_e32 v37, 0x3fcc71c0
	v_fmac_f64_e32 v[36:37], v[24:25], v[38:39]
	v_mov_b32_e32 v38, 0x9b27acf1
	v_mov_b32_e32 v39, 0x3fd24924
	v_fmac_f64_e32 v[38:39], v[24:25], v[36:37]
	v_mov_b32_e32 v36, 0x998ef7b6
	v_mov_b32_e32 v37, 0x3fd99999
	v_fmac_f64_e32 v[36:37], v[24:25], v[38:39]
	v_mov_b32_e32 v38, 0x55555780
	v_mov_b32_e32 v39, 0x3fe55555
	v_fmac_f64_e32 v[38:39], v[24:25], v[36:37]
	v_cvt_f64_i32_e32 v[36:37], v19
	v_mul_f64 v[40:41], v[36:37], s[24:25]
	v_fma_f64 v[42:43], v[36:37], s[24:25], -v[40:41]
	v_fmac_f64_e32 v[42:43], s[26:27], v[36:37]
	v_add_f64 v[36:37], v[40:41], v[42:43]
	v_add_f64 v[40:41], v[36:37], -v[40:41]
	v_mul_f64 v[24:25], v[26:27], v[24:25]
	v_add_f64 v[40:41], v[42:43], -v[40:41]
	v_ldexp_f64 v[42:43], v[26:27], 1
	v_mul_f64 v[24:25], v[24:25], v[38:39]
	v_add_f64 v[26:27], v[42:43], v[24:25]
	v_add_f64 v[38:39], v[26:27], -v[42:43]
	v_ldexp_f64 v[22:23], v[22:23], 1
	v_add_f64 v[24:25], v[24:25], -v[38:39]
	v_add_f64 v[22:23], v[22:23], v[24:25]
	v_add_f64 v[24:25], v[26:27], v[22:23]
	v_add_f64 v[26:27], v[24:25], -v[26:27]
	v_add_f64 v[22:23], v[22:23], -v[26:27]
	v_add_f64 v[26:27], v[36:37], v[24:25]
	v_add_f64 v[38:39], v[26:27], -v[36:37]
	v_add_f64 v[42:43], v[26:27], -v[38:39]
	;; [unrolled: 1-line block ×4, first 2 shown]
	v_add_f64 v[24:25], v[24:25], v[36:37]
	v_add_f64 v[36:37], v[40:41], v[22:23]
	v_add_f64 v[38:39], v[36:37], -v[40:41]
	v_add_f64 v[24:25], v[36:37], v[24:25]
	v_add_f64 v[42:43], v[36:37], -v[38:39]
	v_add_f64 v[36:37], v[26:27], v[24:25]
	v_add_f64 v[40:41], v[40:41], -v[42:43]
	v_add_f64 v[22:23], v[22:23], -v[38:39]
	v_add_f64 v[26:27], v[36:37], -v[26:27]
	v_add_f64 v[22:23], v[22:23], v[40:41]
	v_add_f64 v[24:25], v[24:25], -v[26:27]
	s_mov_b32 s14, 0
	v_add_f64 v[22:23], v[22:23], v[24:25]
	s_mov_b32 s15, 0x7ff00000
	v_add_f64 v[22:23], v[36:37], v[22:23]
	v_cmp_neq_f64_e64 s[14:15], s[14:15], v[16:17]
	v_mov_b32_e32 v19, 0x7ff80000
	s_nop 0
	v_cndmask_b32_e64 v1, v1, v23, s[14:15]
	v_cndmask_b32_e64 v1, v19, v1, s[16:17]
	v_cmp_nge_f64_e64 s[16:17], -1.0, v[16:17]
	s_and_b64 s[14:15], s[16:17], s[14:15]
	v_cndmask_b32_e64 v22, 0, v22, s[14:15]
	v_mov_b32_e32 v19, 0xfff00000
	v_cmp_neq_f64_e64 s[14:15], -1.0, v[16:17]
	s_nop 1
	v_cndmask_b32_e64 v23, v19, v1, s[14:15]
	v_add_f64 v[36:37], v[14:15], v[22:23]
.LBB18_16:
	s_or_b64 exec, exec, s[18:19]
	v_max_f64 v[22:23], v[12:13], v[12:13]
	v_max_f64 v[14:15], v[36:37], v[36:37]
	v_min_f64 v[16:17], v[14:15], v[22:23]
	v_cmp_u_f64_e64 s[16:17], v[36:37], v[36:37]
	v_cmp_u_f64_e64 s[14:15], v[12:13], v[12:13]
	v_max_f64 v[14:15], v[14:15], v[22:23]
	v_cndmask_b32_e64 v1, v16, v36, s[16:17]
	v_cndmask_b32_e64 v16, v17, v37, s[16:17]
	;; [unrolled: 1-line block ×8, first 2 shown]
	s_movk_i32 s30, 0x1f8
	v_cmp_neq_f64_e64 s[16:17], v[16:17], v[14:15]
	v_cmp_class_f64_e64 s[18:19], v[16:17], s30
	s_or_b64 s[16:17], s[16:17], s[18:19]
	s_and_saveexec_b64 s[24:25], s[16:17]
	s_cbranch_execz .LBB18_18
; %bb.17:
	s_mov_b32 s16, 0x652b82fe
	v_add_f64 v[16:17], v[16:17], -v[14:15]
	s_mov_b32 s17, 0x3ff71547
	v_mul_f64 v[24:25], v[16:17], s[16:17]
	v_rndne_f64_e32 v[24:25], v[24:25]
	s_mov_b32 s27, 0xbfe62e42
	s_mov_b32 s26, 0xfefa39ef
	v_fma_f64 v[26:27], s[26:27], v[24:25], v[16:17]
	s_mov_b32 s29, 0xbc7abc9e
	s_mov_b32 s28, 0x3b39803f
	;; [unrolled: 1-line block ×3, first 2 shown]
	v_fmac_f64_e32 v[26:27], s[28:29], v[24:25]
	v_mov_b32_e32 v36, 0xfca7ab0c
	v_mov_b32_e32 v37, 0x3e928af3
	s_mov_b32 s17, 0x3e5ade15
	v_fmac_f64_e32 v[36:37], s[16:17], v[26:27]
	v_mov_b32_e32 v38, 0x623fde64
	v_mov_b32_e32 v39, 0x3ec71dee
	v_fmac_f64_e32 v[38:39], v[26:27], v[36:37]
	v_mov_b32_e32 v36, 0x7c89e6b0
	v_mov_b32_e32 v37, 0x3efa0199
	;; [unrolled: 3-line block ×8, first 2 shown]
	v_fmac_f64_e32 v[36:37], v[26:27], v[38:39]
	v_fma_f64 v[36:37], v[26:27], v[36:37], 1.0
	s_mov_b32 s16, 0
	s_mov_b32 s18, 0
	v_fma_f64 v[26:27], v[26:27], v[36:37], 1.0
	v_cvt_i32_f64_e32 v1, v[24:25]
	s_mov_b32 s17, 0x40900000
	s_mov_b32 s19, 0xc090cc00
	v_ldexp_f64 v[24:25], v[26:27], v1
	v_mov_b32_e32 v1, 0x7ff00000
	v_cmp_nlt_f64_e64 s[16:17], s[16:17], v[16:17]
	v_cmp_ngt_f64_e64 s[18:19], s[18:19], v[16:17]
	s_mov_b32 s27, 0x3fe62e42
	v_cndmask_b32_e64 v19, v1, v25, s[16:17]
	s_and_b64 s[16:17], s[18:19], s[16:17]
	v_cndmask_b32_e64 v17, 0, v19, s[18:19]
	v_cndmask_b32_e64 v16, 0, v24, s[16:17]
	v_add_f64 v[24:25], v[16:17], 1.0
	v_add_f64 v[26:27], v[24:25], -1.0
	v_add_f64 v[36:37], v[26:27], -v[24:25]
	v_add_f64 v[36:37], v[36:37], 1.0
	v_add_f64 v[26:27], v[16:17], -v[26:27]
	s_mov_b32 s16, 0x55555555
	v_add_f64 v[26:27], v[26:27], v[36:37]
	v_frexp_mant_f64_e32 v[36:37], v[24:25]
	s_mov_b32 s17, 0x3fe55555
	v_frexp_exp_i32_f64_e32 v19, v[24:25]
	v_cmp_gt_f64_e64 s[16:17], s[16:17], v[36:37]
	s_mov_b32 s29, 0x3c7abc9e
	v_cmp_ngt_f64_e64 s[18:19], -1.0, v[16:17]
	v_subbrev_co_u32_e64 v19, s[16:17], 0, v19, s[16:17]
	v_sub_u32_e32 v36, 0, v19
	v_ldexp_f64 v[24:25], v[24:25], v36
	v_ldexp_f64 v[26:27], v[26:27], v36
	v_add_f64 v[36:37], v[24:25], -1.0
	v_add_f64 v[42:43], v[24:25], 1.0
	v_add_f64 v[38:39], v[36:37], 1.0
	v_add_f64 v[44:45], v[42:43], -1.0
	v_add_f64 v[38:39], v[24:25], -v[38:39]
	v_add_f64 v[24:25], v[24:25], -v[44:45]
	v_add_f64 v[24:25], v[26:27], v[24:25]
	v_add_f64 v[38:39], v[26:27], v[38:39]
	;; [unrolled: 1-line block ×3, first 2 shown]
	v_rcp_f64_e32 v[44:45], v[26:27]
	v_add_f64 v[40:41], v[36:37], v[38:39]
	v_add_f64 v[36:37], v[40:41], -v[36:37]
	v_add_f64 v[36:37], v[38:39], -v[36:37]
	;; [unrolled: 1-line block ×4, first 2 shown]
	v_fma_f64 v[38:39], -v[26:27], v[44:45], 1.0
	v_fmac_f64_e32 v[44:45], v[38:39], v[44:45]
	v_fma_f64 v[38:39], -v[26:27], v[44:45], 1.0
	v_fmac_f64_e32 v[44:45], v[38:39], v[44:45]
	v_mul_f64 v[38:39], v[40:41], v[44:45]
	v_mul_f64 v[42:43], v[26:27], v[38:39]
	v_fma_f64 v[46:47], v[38:39], v[26:27], -v[42:43]
	v_fmac_f64_e32 v[46:47], v[38:39], v[24:25]
	v_add_f64 v[48:49], v[42:43], v[46:47]
	v_add_f64 v[50:51], v[40:41], -v[48:49]
	v_add_f64 v[40:41], v[40:41], -v[50:51]
	;; [unrolled: 1-line block ×4, first 2 shown]
	v_add_f64 v[36:37], v[36:37], v[40:41]
	v_add_f64 v[40:41], v[42:43], -v[46:47]
	v_add_f64 v[36:37], v[40:41], v[36:37]
	v_add_f64 v[40:41], v[50:51], v[36:37]
	v_add_f64 v[42:43], v[50:51], -v[40:41]
	v_add_f64 v[36:37], v[36:37], v[42:43]
	v_mul_f64 v[42:43], v[44:45], v[40:41]
	v_mul_f64 v[46:47], v[26:27], v[42:43]
	v_fma_f64 v[26:27], v[42:43], v[26:27], -v[46:47]
	v_fmac_f64_e32 v[26:27], v[42:43], v[24:25]
	v_add_f64 v[24:25], v[46:47], v[26:27]
	v_add_f64 v[48:49], v[40:41], -v[24:25]
	v_add_f64 v[40:41], v[40:41], -v[48:49]
	;; [unrolled: 1-line block ×4, first 2 shown]
	v_add_f64 v[24:25], v[36:37], v[24:25]
	v_add_f64 v[26:27], v[46:47], -v[26:27]
	v_add_f64 v[24:25], v[26:27], v[24:25]
	v_add_f64 v[26:27], v[38:39], v[42:43]
	;; [unrolled: 1-line block ×3, first 2 shown]
	v_add_f64 v[36:37], v[26:27], -v[38:39]
	v_mul_f64 v[24:25], v[44:45], v[24:25]
	v_add_f64 v[36:37], v[42:43], -v[36:37]
	v_add_f64 v[24:25], v[36:37], v[24:25]
	v_add_f64 v[36:37], v[26:27], v[24:25]
	v_add_f64 v[26:27], v[36:37], -v[26:27]
	s_mov_b32 s16, 0xbf559e2b
	v_add_f64 v[24:25], v[24:25], -v[26:27]
	v_mul_f64 v[26:27], v[36:37], v[36:37]
	v_mov_b32_e32 v38, 0x6b47b09a
	v_mov_b32_e32 v39, 0x3fc38538
	s_mov_b32 s17, 0x3fc3ab76
	v_fmac_f64_e32 v[38:39], s[16:17], v[26:27]
	v_mov_b32_e32 v40, 0xd7f4df2e
	v_mov_b32_e32 v41, 0x3fc7474d
	v_fmac_f64_e32 v[40:41], v[26:27], v[38:39]
	v_mov_b32_e32 v38, 0x16291751
	v_mov_b32_e32 v39, 0x3fcc71c0
	;; [unrolled: 3-line block ×5, first 2 shown]
	v_fmac_f64_e32 v[40:41], v[26:27], v[38:39]
	v_cvt_f64_i32_e32 v[38:39], v19
	v_mul_f64 v[42:43], v[38:39], s[26:27]
	v_fma_f64 v[44:45], v[38:39], s[26:27], -v[42:43]
	v_fmac_f64_e32 v[44:45], s[28:29], v[38:39]
	v_add_f64 v[38:39], v[42:43], v[44:45]
	v_add_f64 v[42:43], v[38:39], -v[42:43]
	v_mul_f64 v[26:27], v[36:37], v[26:27]
	v_add_f64 v[42:43], v[44:45], -v[42:43]
	v_ldexp_f64 v[44:45], v[36:37], 1
	v_mul_f64 v[26:27], v[26:27], v[40:41]
	v_add_f64 v[36:37], v[44:45], v[26:27]
	v_add_f64 v[40:41], v[36:37], -v[44:45]
	v_ldexp_f64 v[24:25], v[24:25], 1
	v_add_f64 v[26:27], v[26:27], -v[40:41]
	v_add_f64 v[24:25], v[24:25], v[26:27]
	v_add_f64 v[26:27], v[36:37], v[24:25]
	v_add_f64 v[36:37], v[26:27], -v[36:37]
	v_add_f64 v[24:25], v[24:25], -v[36:37]
	v_add_f64 v[36:37], v[38:39], v[26:27]
	v_add_f64 v[40:41], v[36:37], -v[38:39]
	v_add_f64 v[44:45], v[36:37], -v[40:41]
	;; [unrolled: 1-line block ×4, first 2 shown]
	v_add_f64 v[26:27], v[26:27], v[38:39]
	v_add_f64 v[38:39], v[42:43], v[24:25]
	v_add_f64 v[40:41], v[38:39], -v[42:43]
	v_add_f64 v[26:27], v[38:39], v[26:27]
	v_add_f64 v[44:45], v[38:39], -v[40:41]
	;; [unrolled: 2-line block ×3, first 2 shown]
	v_add_f64 v[24:25], v[24:25], -v[40:41]
	v_add_f64 v[36:37], v[38:39], -v[36:37]
	v_add_f64 v[24:25], v[24:25], v[42:43]
	v_add_f64 v[26:27], v[26:27], -v[36:37]
	s_mov_b32 s16, 0
	v_add_f64 v[24:25], v[24:25], v[26:27]
	s_mov_b32 s17, 0x7ff00000
	v_add_f64 v[24:25], v[38:39], v[24:25]
	v_cmp_neq_f64_e64 s[16:17], s[16:17], v[16:17]
	v_mov_b32_e32 v19, 0x7ff80000
	s_nop 0
	v_cndmask_b32_e64 v1, v1, v25, s[16:17]
	v_cndmask_b32_e64 v1, v19, v1, s[18:19]
	v_cmp_nge_f64_e64 s[18:19], -1.0, v[16:17]
	s_and_b64 s[16:17], s[18:19], s[16:17]
	v_cndmask_b32_e64 v24, 0, v24, s[16:17]
	v_mov_b32_e32 v19, 0xfff00000
	v_cmp_neq_f64_e64 s[16:17], -1.0, v[16:17]
	s_nop 1
	v_cndmask_b32_e64 v25, v19, v1, s[16:17]
	v_add_f64 v[36:37], v[14:15], v[24:25]
.LBB18_18:
	s_or_b64 exec, exec, s[24:25]
	v_max_f64 v[24:25], v[6:7], v[6:7]
	v_max_f64 v[14:15], v[36:37], v[36:37]
	v_min_f64 v[16:17], v[14:15], v[24:25]
	v_cmp_u_f64_e64 s[18:19], v[36:37], v[36:37]
	v_cmp_u_f64_e64 s[16:17], v[6:7], v[6:7]
	v_max_f64 v[14:15], v[14:15], v[24:25]
	v_cndmask_b32_e64 v1, v16, v36, s[18:19]
	v_cndmask_b32_e64 v16, v17, v37, s[18:19]
	;; [unrolled: 1-line block ×8, first 2 shown]
	v_cmp_neq_f64_e64 s[18:19], v[16:17], v[14:15]
	v_cmp_class_f64_e64 s[24:25], v[16:17], s30
	s_or_b64 s[18:19], s[18:19], s[24:25]
	s_and_saveexec_b64 s[26:27], s[18:19]
	s_cbranch_execz .LBB18_20
; %bb.19:
	s_mov_b32 s18, 0x652b82fe
	v_add_f64 v[16:17], v[16:17], -v[14:15]
	s_mov_b32 s19, 0x3ff71547
	v_mul_f64 v[26:27], v[16:17], s[18:19]
	v_rndne_f64_e32 v[26:27], v[26:27]
	s_mov_b32 s29, 0xbfe62e42
	s_mov_b32 s28, 0xfefa39ef
	v_fma_f64 v[36:37], s[28:29], v[26:27], v[16:17]
	s_mov_b32 s31, 0xbc7abc9e
	s_mov_b32 s30, 0x3b39803f
	;; [unrolled: 1-line block ×3, first 2 shown]
	v_fmac_f64_e32 v[36:37], s[30:31], v[26:27]
	v_mov_b32_e32 v38, 0xfca7ab0c
	v_mov_b32_e32 v39, 0x3e928af3
	s_mov_b32 s19, 0x3e5ade15
	v_fmac_f64_e32 v[38:39], s[18:19], v[36:37]
	v_mov_b32_e32 v40, 0x623fde64
	v_mov_b32_e32 v41, 0x3ec71dee
	v_fmac_f64_e32 v[40:41], v[36:37], v[38:39]
	v_mov_b32_e32 v38, 0x7c89e6b0
	v_mov_b32_e32 v39, 0x3efa0199
	;; [unrolled: 3-line block ×8, first 2 shown]
	v_fmac_f64_e32 v[38:39], v[36:37], v[40:41]
	v_fma_f64 v[38:39], v[36:37], v[38:39], 1.0
	s_mov_b32 s18, 0
	s_mov_b32 s24, 0
	v_fma_f64 v[36:37], v[36:37], v[38:39], 1.0
	v_cvt_i32_f64_e32 v1, v[26:27]
	s_mov_b32 s19, 0x40900000
	s_mov_b32 s25, 0xc090cc00
	v_ldexp_f64 v[26:27], v[36:37], v1
	v_mov_b32_e32 v1, 0x7ff00000
	v_cmp_nlt_f64_e64 s[18:19], s[18:19], v[16:17]
	v_cmp_ngt_f64_e64 s[24:25], s[24:25], v[16:17]
	s_mov_b32 s29, 0x3fe62e42
	v_cndmask_b32_e64 v19, v1, v27, s[18:19]
	s_and_b64 s[18:19], s[24:25], s[18:19]
	v_cndmask_b32_e64 v17, 0, v19, s[24:25]
	v_cndmask_b32_e64 v16, 0, v26, s[18:19]
	v_add_f64 v[26:27], v[16:17], 1.0
	v_add_f64 v[36:37], v[26:27], -1.0
	v_add_f64 v[38:39], v[36:37], -v[26:27]
	v_add_f64 v[38:39], v[38:39], 1.0
	v_add_f64 v[36:37], v[16:17], -v[36:37]
	s_mov_b32 s18, 0x55555555
	v_add_f64 v[36:37], v[36:37], v[38:39]
	v_frexp_mant_f64_e32 v[38:39], v[26:27]
	s_mov_b32 s19, 0x3fe55555
	v_frexp_exp_i32_f64_e32 v19, v[26:27]
	v_cmp_gt_f64_e64 s[18:19], s[18:19], v[38:39]
	s_mov_b32 s31, 0x3c7abc9e
	v_cmp_ngt_f64_e64 s[24:25], -1.0, v[16:17]
	v_subbrev_co_u32_e64 v19, s[18:19], 0, v19, s[18:19]
	v_sub_u32_e32 v38, 0, v19
	v_ldexp_f64 v[26:27], v[26:27], v38
	v_ldexp_f64 v[36:37], v[36:37], v38
	v_add_f64 v[38:39], v[26:27], -1.0
	v_add_f64 v[44:45], v[26:27], 1.0
	v_add_f64 v[40:41], v[38:39], 1.0
	v_add_f64 v[46:47], v[44:45], -1.0
	v_add_f64 v[40:41], v[26:27], -v[40:41]
	v_add_f64 v[26:27], v[26:27], -v[46:47]
	v_add_f64 v[26:27], v[36:37], v[26:27]
	v_add_f64 v[40:41], v[36:37], v[40:41]
	;; [unrolled: 1-line block ×3, first 2 shown]
	v_rcp_f64_e32 v[46:47], v[36:37]
	v_add_f64 v[42:43], v[38:39], v[40:41]
	v_add_f64 v[38:39], v[42:43], -v[38:39]
	v_add_f64 v[38:39], v[40:41], -v[38:39]
	;; [unrolled: 1-line block ×4, first 2 shown]
	v_fma_f64 v[40:41], -v[36:37], v[46:47], 1.0
	v_fmac_f64_e32 v[46:47], v[40:41], v[46:47]
	v_fma_f64 v[40:41], -v[36:37], v[46:47], 1.0
	v_fmac_f64_e32 v[46:47], v[40:41], v[46:47]
	v_mul_f64 v[40:41], v[42:43], v[46:47]
	v_mul_f64 v[44:45], v[36:37], v[40:41]
	v_fma_f64 v[48:49], v[40:41], v[36:37], -v[44:45]
	v_fmac_f64_e32 v[48:49], v[40:41], v[26:27]
	v_add_f64 v[50:51], v[44:45], v[48:49]
	v_add_f64 v[52:53], v[42:43], -v[50:51]
	v_add_f64 v[42:43], v[42:43], -v[52:53]
	;; [unrolled: 1-line block ×4, first 2 shown]
	v_add_f64 v[38:39], v[38:39], v[42:43]
	v_add_f64 v[42:43], v[44:45], -v[48:49]
	v_add_f64 v[38:39], v[42:43], v[38:39]
	v_add_f64 v[42:43], v[52:53], v[38:39]
	v_add_f64 v[44:45], v[52:53], -v[42:43]
	v_add_f64 v[38:39], v[38:39], v[44:45]
	v_mul_f64 v[44:45], v[46:47], v[42:43]
	v_mul_f64 v[48:49], v[36:37], v[44:45]
	v_fma_f64 v[36:37], v[44:45], v[36:37], -v[48:49]
	v_fmac_f64_e32 v[36:37], v[44:45], v[26:27]
	v_add_f64 v[26:27], v[48:49], v[36:37]
	v_add_f64 v[50:51], v[42:43], -v[26:27]
	v_add_f64 v[42:43], v[42:43], -v[50:51]
	;; [unrolled: 1-line block ×4, first 2 shown]
	v_add_f64 v[26:27], v[38:39], v[26:27]
	v_add_f64 v[36:37], v[48:49], -v[36:37]
	v_add_f64 v[26:27], v[36:37], v[26:27]
	v_add_f64 v[36:37], v[40:41], v[44:45]
	;; [unrolled: 1-line block ×3, first 2 shown]
	v_add_f64 v[38:39], v[36:37], -v[40:41]
	v_mul_f64 v[26:27], v[46:47], v[26:27]
	v_add_f64 v[38:39], v[44:45], -v[38:39]
	v_add_f64 v[26:27], v[38:39], v[26:27]
	v_add_f64 v[38:39], v[36:37], v[26:27]
	v_add_f64 v[36:37], v[38:39], -v[36:37]
	s_mov_b32 s18, 0xbf559e2b
	v_add_f64 v[26:27], v[26:27], -v[36:37]
	v_mul_f64 v[36:37], v[38:39], v[38:39]
	v_mov_b32_e32 v40, 0x6b47b09a
	v_mov_b32_e32 v41, 0x3fc38538
	s_mov_b32 s19, 0x3fc3ab76
	v_fmac_f64_e32 v[40:41], s[18:19], v[36:37]
	v_mov_b32_e32 v42, 0xd7f4df2e
	v_mov_b32_e32 v43, 0x3fc7474d
	v_fmac_f64_e32 v[42:43], v[36:37], v[40:41]
	v_mov_b32_e32 v40, 0x16291751
	v_mov_b32_e32 v41, 0x3fcc71c0
	v_fmac_f64_e32 v[40:41], v[36:37], v[42:43]
	v_mov_b32_e32 v42, 0x9b27acf1
	v_mov_b32_e32 v43, 0x3fd24924
	v_fmac_f64_e32 v[42:43], v[36:37], v[40:41]
	v_mov_b32_e32 v40, 0x998ef7b6
	v_mov_b32_e32 v41, 0x3fd99999
	v_fmac_f64_e32 v[40:41], v[36:37], v[42:43]
	v_mov_b32_e32 v42, 0x55555780
	v_mov_b32_e32 v43, 0x3fe55555
	v_fmac_f64_e32 v[42:43], v[36:37], v[40:41]
	v_cvt_f64_i32_e32 v[40:41], v19
	v_mul_f64 v[44:45], v[40:41], s[28:29]
	v_fma_f64 v[46:47], v[40:41], s[28:29], -v[44:45]
	v_fmac_f64_e32 v[46:47], s[30:31], v[40:41]
	v_add_f64 v[40:41], v[44:45], v[46:47]
	v_add_f64 v[44:45], v[40:41], -v[44:45]
	v_mul_f64 v[36:37], v[38:39], v[36:37]
	v_add_f64 v[44:45], v[46:47], -v[44:45]
	v_ldexp_f64 v[46:47], v[38:39], 1
	v_mul_f64 v[36:37], v[36:37], v[42:43]
	v_add_f64 v[38:39], v[46:47], v[36:37]
	v_add_f64 v[42:43], v[38:39], -v[46:47]
	v_ldexp_f64 v[26:27], v[26:27], 1
	v_add_f64 v[36:37], v[36:37], -v[42:43]
	v_add_f64 v[26:27], v[26:27], v[36:37]
	v_add_f64 v[36:37], v[38:39], v[26:27]
	v_add_f64 v[38:39], v[36:37], -v[38:39]
	v_add_f64 v[26:27], v[26:27], -v[38:39]
	v_add_f64 v[38:39], v[40:41], v[36:37]
	v_add_f64 v[42:43], v[38:39], -v[40:41]
	v_add_f64 v[46:47], v[38:39], -v[42:43]
	;; [unrolled: 1-line block ×4, first 2 shown]
	v_add_f64 v[36:37], v[36:37], v[40:41]
	v_add_f64 v[40:41], v[44:45], v[26:27]
	v_add_f64 v[42:43], v[40:41], -v[44:45]
	v_add_f64 v[36:37], v[40:41], v[36:37]
	v_add_f64 v[46:47], v[40:41], -v[42:43]
	;; [unrolled: 2-line block ×3, first 2 shown]
	v_add_f64 v[26:27], v[26:27], -v[42:43]
	v_add_f64 v[38:39], v[40:41], -v[38:39]
	v_add_f64 v[26:27], v[26:27], v[44:45]
	v_add_f64 v[36:37], v[36:37], -v[38:39]
	s_mov_b32 s18, 0
	v_add_f64 v[26:27], v[26:27], v[36:37]
	s_mov_b32 s19, 0x7ff00000
	v_add_f64 v[26:27], v[40:41], v[26:27]
	v_cmp_neq_f64_e64 s[18:19], s[18:19], v[16:17]
	v_mov_b32_e32 v19, 0x7ff80000
	s_nop 0
	v_cndmask_b32_e64 v1, v1, v27, s[18:19]
	v_cndmask_b32_e64 v1, v19, v1, s[24:25]
	v_cmp_nge_f64_e64 s[24:25], -1.0, v[16:17]
	s_and_b64 s[18:19], s[24:25], s[18:19]
	v_cndmask_b32_e64 v26, 0, v26, s[18:19]
	v_mov_b32_e32 v19, 0xfff00000
	v_cmp_neq_f64_e64 s[18:19], -1.0, v[16:17]
	s_nop 1
	v_cndmask_b32_e64 v27, v19, v1, s[18:19]
	v_add_f64 v[36:37], v[14:15], v[26:27]
.LBB18_20:
	s_or_b64 exec, exec, s[26:27]
	v_max_f64 v[26:27], v[8:9], v[8:9]
	v_max_f64 v[14:15], v[36:37], v[36:37]
	v_min_f64 v[16:17], v[14:15], v[26:27]
	v_cmp_u_f64_e64 s[24:25], v[36:37], v[36:37]
	v_cmp_u_f64_e64 s[18:19], v[8:9], v[8:9]
	v_max_f64 v[14:15], v[14:15], v[26:27]
	v_cndmask_b32_e64 v1, v16, v36, s[24:25]
	v_cndmask_b32_e64 v16, v17, v37, s[24:25]
	;; [unrolled: 1-line block ×8, first 2 shown]
	s_movk_i32 s26, 0x1f8
	v_cmp_neq_f64_e64 s[24:25], v[16:17], v[14:15]
	v_cmp_class_f64_e64 s[26:27], v[16:17], s26
	s_or_b64 s[24:25], s[24:25], s[26:27]
	s_and_saveexec_b64 s[28:29], s[24:25]
	s_cbranch_execz .LBB18_22
; %bb.21:
	s_mov_b32 s24, 0x652b82fe
	v_add_f64 v[16:17], v[16:17], -v[14:15]
	s_mov_b32 s25, 0x3ff71547
	v_mul_f64 v[36:37], v[16:17], s[24:25]
	v_rndne_f64_e32 v[36:37], v[36:37]
	s_mov_b32 s31, 0xbfe62e42
	s_mov_b32 s30, 0xfefa39ef
	v_fma_f64 v[38:39], s[30:31], v[36:37], v[16:17]
	s_mov_b32 s35, 0xbc7abc9e
	s_mov_b32 s34, 0x3b39803f
	;; [unrolled: 1-line block ×3, first 2 shown]
	v_fmac_f64_e32 v[38:39], s[34:35], v[36:37]
	v_mov_b32_e32 v40, 0xfca7ab0c
	v_mov_b32_e32 v41, 0x3e928af3
	s_mov_b32 s25, 0x3e5ade15
	v_fmac_f64_e32 v[40:41], s[24:25], v[38:39]
	v_mov_b32_e32 v42, 0x623fde64
	v_mov_b32_e32 v43, 0x3ec71dee
	v_fmac_f64_e32 v[42:43], v[38:39], v[40:41]
	v_mov_b32_e32 v40, 0x7c89e6b0
	v_mov_b32_e32 v41, 0x3efa0199
	;; [unrolled: 3-line block ×8, first 2 shown]
	v_fmac_f64_e32 v[40:41], v[38:39], v[42:43]
	v_fma_f64 v[40:41], v[38:39], v[40:41], 1.0
	s_mov_b32 s24, 0
	s_mov_b32 s26, 0
	v_fma_f64 v[38:39], v[38:39], v[40:41], 1.0
	v_cvt_i32_f64_e32 v1, v[36:37]
	s_mov_b32 s25, 0x40900000
	s_mov_b32 s27, 0xc090cc00
	v_ldexp_f64 v[36:37], v[38:39], v1
	v_mov_b32_e32 v1, 0x7ff00000
	v_cmp_nlt_f64_e64 s[24:25], s[24:25], v[16:17]
	v_cmp_ngt_f64_e64 s[26:27], s[26:27], v[16:17]
	s_mov_b32 s31, 0x3fe62e42
	v_cndmask_b32_e64 v19, v1, v37, s[24:25]
	s_and_b64 s[24:25], s[26:27], s[24:25]
	v_cndmask_b32_e64 v17, 0, v19, s[26:27]
	v_cndmask_b32_e64 v16, 0, v36, s[24:25]
	v_add_f64 v[36:37], v[16:17], 1.0
	v_add_f64 v[38:39], v[36:37], -1.0
	v_add_f64 v[40:41], v[38:39], -v[36:37]
	v_add_f64 v[40:41], v[40:41], 1.0
	v_add_f64 v[38:39], v[16:17], -v[38:39]
	s_mov_b32 s24, 0x55555555
	v_add_f64 v[38:39], v[38:39], v[40:41]
	v_frexp_mant_f64_e32 v[40:41], v[36:37]
	s_mov_b32 s25, 0x3fe55555
	v_frexp_exp_i32_f64_e32 v19, v[36:37]
	v_cmp_gt_f64_e64 s[24:25], s[24:25], v[40:41]
	s_mov_b32 s35, 0x3c7abc9e
	v_cmp_ngt_f64_e64 s[26:27], -1.0, v[16:17]
	v_subbrev_co_u32_e64 v19, s[24:25], 0, v19, s[24:25]
	v_sub_u32_e32 v40, 0, v19
	v_ldexp_f64 v[36:37], v[36:37], v40
	v_ldexp_f64 v[38:39], v[38:39], v40
	v_add_f64 v[40:41], v[36:37], -1.0
	v_add_f64 v[46:47], v[36:37], 1.0
	v_add_f64 v[42:43], v[40:41], 1.0
	v_add_f64 v[48:49], v[46:47], -1.0
	v_add_f64 v[42:43], v[36:37], -v[42:43]
	v_add_f64 v[36:37], v[36:37], -v[48:49]
	v_add_f64 v[36:37], v[38:39], v[36:37]
	v_add_f64 v[42:43], v[38:39], v[42:43]
	;; [unrolled: 1-line block ×3, first 2 shown]
	v_rcp_f64_e32 v[48:49], v[38:39]
	v_add_f64 v[44:45], v[40:41], v[42:43]
	v_add_f64 v[40:41], v[44:45], -v[40:41]
	v_add_f64 v[40:41], v[42:43], -v[40:41]
	;; [unrolled: 1-line block ×4, first 2 shown]
	v_fma_f64 v[42:43], -v[38:39], v[48:49], 1.0
	v_fmac_f64_e32 v[48:49], v[42:43], v[48:49]
	v_fma_f64 v[42:43], -v[38:39], v[48:49], 1.0
	v_fmac_f64_e32 v[48:49], v[42:43], v[48:49]
	v_mul_f64 v[42:43], v[44:45], v[48:49]
	v_mul_f64 v[46:47], v[38:39], v[42:43]
	v_fma_f64 v[50:51], v[42:43], v[38:39], -v[46:47]
	v_fmac_f64_e32 v[50:51], v[42:43], v[36:37]
	v_add_f64 v[52:53], v[46:47], v[50:51]
	v_add_f64 v[54:55], v[44:45], -v[52:53]
	v_add_f64 v[44:45], v[44:45], -v[54:55]
	;; [unrolled: 1-line block ×4, first 2 shown]
	v_add_f64 v[40:41], v[40:41], v[44:45]
	v_add_f64 v[44:45], v[46:47], -v[50:51]
	v_add_f64 v[40:41], v[44:45], v[40:41]
	v_add_f64 v[44:45], v[54:55], v[40:41]
	v_add_f64 v[46:47], v[54:55], -v[44:45]
	v_add_f64 v[40:41], v[40:41], v[46:47]
	v_mul_f64 v[46:47], v[48:49], v[44:45]
	v_mul_f64 v[50:51], v[38:39], v[46:47]
	v_fma_f64 v[38:39], v[46:47], v[38:39], -v[50:51]
	v_fmac_f64_e32 v[38:39], v[46:47], v[36:37]
	v_add_f64 v[36:37], v[50:51], v[38:39]
	v_add_f64 v[52:53], v[44:45], -v[36:37]
	v_add_f64 v[44:45], v[44:45], -v[52:53]
	;; [unrolled: 1-line block ×4, first 2 shown]
	v_add_f64 v[36:37], v[40:41], v[36:37]
	v_add_f64 v[38:39], v[50:51], -v[38:39]
	v_add_f64 v[36:37], v[38:39], v[36:37]
	v_add_f64 v[38:39], v[42:43], v[46:47]
	;; [unrolled: 1-line block ×3, first 2 shown]
	v_add_f64 v[40:41], v[38:39], -v[42:43]
	v_mul_f64 v[36:37], v[48:49], v[36:37]
	v_add_f64 v[40:41], v[46:47], -v[40:41]
	v_add_f64 v[36:37], v[40:41], v[36:37]
	v_add_f64 v[40:41], v[38:39], v[36:37]
	v_add_f64 v[38:39], v[40:41], -v[38:39]
	s_mov_b32 s24, 0xbf559e2b
	v_add_f64 v[36:37], v[36:37], -v[38:39]
	v_mul_f64 v[38:39], v[40:41], v[40:41]
	v_mov_b32_e32 v42, 0x6b47b09a
	v_mov_b32_e32 v43, 0x3fc38538
	s_mov_b32 s25, 0x3fc3ab76
	v_fmac_f64_e32 v[42:43], s[24:25], v[38:39]
	v_mov_b32_e32 v44, 0xd7f4df2e
	v_mov_b32_e32 v45, 0x3fc7474d
	v_fmac_f64_e32 v[44:45], v[38:39], v[42:43]
	v_mov_b32_e32 v42, 0x16291751
	v_mov_b32_e32 v43, 0x3fcc71c0
	;; [unrolled: 3-line block ×5, first 2 shown]
	v_fmac_f64_e32 v[44:45], v[38:39], v[42:43]
	v_cvt_f64_i32_e32 v[42:43], v19
	v_mul_f64 v[46:47], v[42:43], s[30:31]
	v_fma_f64 v[48:49], v[42:43], s[30:31], -v[46:47]
	v_fmac_f64_e32 v[48:49], s[34:35], v[42:43]
	v_add_f64 v[42:43], v[46:47], v[48:49]
	v_add_f64 v[46:47], v[42:43], -v[46:47]
	v_mul_f64 v[38:39], v[40:41], v[38:39]
	v_add_f64 v[46:47], v[48:49], -v[46:47]
	v_ldexp_f64 v[48:49], v[40:41], 1
	v_mul_f64 v[38:39], v[38:39], v[44:45]
	v_add_f64 v[40:41], v[48:49], v[38:39]
	v_add_f64 v[44:45], v[40:41], -v[48:49]
	v_ldexp_f64 v[36:37], v[36:37], 1
	v_add_f64 v[38:39], v[38:39], -v[44:45]
	v_add_f64 v[36:37], v[36:37], v[38:39]
	v_add_f64 v[38:39], v[40:41], v[36:37]
	v_add_f64 v[40:41], v[38:39], -v[40:41]
	v_add_f64 v[36:37], v[36:37], -v[40:41]
	v_add_f64 v[40:41], v[42:43], v[38:39]
	v_add_f64 v[44:45], v[40:41], -v[42:43]
	v_add_f64 v[48:49], v[40:41], -v[44:45]
	v_add_f64 v[42:43], v[42:43], -v[48:49]
	v_add_f64 v[38:39], v[38:39], -v[44:45]
	v_add_f64 v[38:39], v[38:39], v[42:43]
	v_add_f64 v[42:43], v[46:47], v[36:37]
	v_add_f64 v[44:45], v[42:43], -v[46:47]
	v_add_f64 v[38:39], v[42:43], v[38:39]
	v_add_f64 v[48:49], v[42:43], -v[44:45]
	;; [unrolled: 2-line block ×3, first 2 shown]
	v_add_f64 v[36:37], v[36:37], -v[44:45]
	v_add_f64 v[40:41], v[42:43], -v[40:41]
	v_add_f64 v[36:37], v[36:37], v[46:47]
	v_add_f64 v[38:39], v[38:39], -v[40:41]
	s_mov_b32 s24, 0
	v_add_f64 v[36:37], v[36:37], v[38:39]
	s_mov_b32 s25, 0x7ff00000
	v_add_f64 v[36:37], v[42:43], v[36:37]
	v_cmp_neq_f64_e64 s[24:25], s[24:25], v[16:17]
	v_mov_b32_e32 v19, 0x7ff80000
	s_nop 0
	v_cndmask_b32_e64 v1, v1, v37, s[24:25]
	v_cndmask_b32_e64 v1, v19, v1, s[26:27]
	v_cmp_nge_f64_e64 s[26:27], -1.0, v[16:17]
	s_and_b64 s[24:25], s[26:27], s[24:25]
	v_cndmask_b32_e64 v36, 0, v36, s[24:25]
	v_mov_b32_e32 v19, 0xfff00000
	v_cmp_neq_f64_e64 s[24:25], -1.0, v[16:17]
	s_nop 1
	v_cndmask_b32_e64 v37, v19, v1, s[24:25]
	v_add_f64 v[36:37], v[14:15], v[36:37]
.LBB18_22:
	s_or_b64 exec, exec, s[28:29]
	v_lshrrev_b32_e32 v1, 2, v0
	v_and_b32_e32 v1, 56, v1
	v_lshl_add_u32 v1, v0, 3, v1
	v_cmp_gt_u32_e64 s[24:25], 64, v0
	ds_write_b64 v1, v[36:37]
	s_waitcnt lgkmcnt(0)
	s_barrier
	s_and_saveexec_b64 s[30:31], s[24:25]
	s_cbranch_execz .LBB18_62
; %bb.23:
	v_and_b32_e32 v1, 0xf8, v0
	v_lshlrev_b32_e32 v14, 5, v0
	v_add_u32_e32 v1, v1, v14
	ds_read2_b64 v[14:17], v1 offset1:1
	s_movk_i32 s33, 0x1f8
	s_waitcnt lgkmcnt(0)
	v_max_f64 v[40:41], v[16:17], v[16:17]
	v_max_f64 v[38:39], v[14:15], v[14:15]
	v_min_f64 v[42:43], v[38:39], v[40:41]
	v_cmp_u_f64_e64 s[24:25], v[14:15], v[14:15]
	v_cmp_u_f64_e64 s[26:27], v[16:17], v[16:17]
	v_max_f64 v[40:41], v[38:39], v[40:41]
	v_cndmask_b32_e64 v19, v42, v14, s[24:25]
	v_cndmask_b32_e64 v42, v43, v15, s[24:25]
	;; [unrolled: 1-line block ×8, first 2 shown]
	v_cmp_neq_f64_e64 s[26:27], v[42:43], v[40:41]
	v_cmp_class_f64_e64 s[28:29], v[42:43], s33
	s_or_b64 s[26:27], s[26:27], s[28:29]
	v_mov_b64_e32 v[16:17], v[14:15]
	s_and_saveexec_b64 s[34:35], s[26:27]
	s_cbranch_execz .LBB18_25
; %bb.24:
	s_mov_b32 s26, 0x652b82fe
	v_add_f64 v[16:17], v[42:43], -v[40:41]
	s_mov_b32 s27, 0x3ff71547
	v_mul_f64 v[42:43], v[16:17], s[26:27]
	v_rndne_f64_e32 v[42:43], v[42:43]
	s_mov_b32 s37, 0xbfe62e42
	s_mov_b32 s36, 0xfefa39ef
	v_fma_f64 v[44:45], s[36:37], v[42:43], v[16:17]
	s_mov_b32 s39, 0xbc7abc9e
	s_mov_b32 s38, 0x3b39803f
	;; [unrolled: 1-line block ×3, first 2 shown]
	v_fmac_f64_e32 v[44:45], s[38:39], v[42:43]
	v_mov_b32_e32 v46, 0xfca7ab0c
	v_mov_b32_e32 v47, 0x3e928af3
	s_mov_b32 s27, 0x3e5ade15
	v_fmac_f64_e32 v[46:47], s[26:27], v[44:45]
	v_mov_b32_e32 v48, 0x623fde64
	v_mov_b32_e32 v49, 0x3ec71dee
	v_fmac_f64_e32 v[48:49], v[44:45], v[46:47]
	v_mov_b32_e32 v46, 0x7c89e6b0
	v_mov_b32_e32 v47, 0x3efa0199
	;; [unrolled: 3-line block ×8, first 2 shown]
	v_fmac_f64_e32 v[46:47], v[44:45], v[48:49]
	v_fma_f64 v[46:47], v[44:45], v[46:47], 1.0
	s_mov_b32 s26, 0
	s_mov_b32 s28, 0
	v_fma_f64 v[44:45], v[44:45], v[46:47], 1.0
	v_cvt_i32_f64_e32 v19, v[42:43]
	s_mov_b32 s27, 0x40900000
	s_mov_b32 s29, 0xc090cc00
	v_ldexp_f64 v[42:43], v[44:45], v19
	v_mov_b32_e32 v19, 0x7ff00000
	v_cmp_nlt_f64_e64 s[26:27], s[26:27], v[16:17]
	v_cmp_ngt_f64_e64 s[28:29], s[28:29], v[16:17]
	s_mov_b32 s37, 0x3fe62e42
	v_cndmask_b32_e64 v43, v19, v43, s[26:27]
	s_and_b64 s[26:27], s[28:29], s[26:27]
	v_cndmask_b32_e64 v17, 0, v43, s[28:29]
	v_cndmask_b32_e64 v16, 0, v42, s[26:27]
	v_add_f64 v[42:43], v[16:17], 1.0
	v_add_f64 v[44:45], v[42:43], -1.0
	v_add_f64 v[46:47], v[44:45], -v[42:43]
	v_add_f64 v[46:47], v[46:47], 1.0
	v_add_f64 v[44:45], v[16:17], -v[44:45]
	s_mov_b32 s26, 0x55555555
	v_add_f64 v[44:45], v[44:45], v[46:47]
	v_frexp_mant_f64_e32 v[46:47], v[42:43]
	s_mov_b32 s27, 0x3fe55555
	v_frexp_exp_i32_f64_e32 v48, v[42:43]
	v_cmp_gt_f64_e64 s[26:27], s[26:27], v[46:47]
	s_mov_b32 s39, 0x3c7abc9e
	v_cmp_ngt_f64_e64 s[28:29], -1.0, v[16:17]
	v_subbrev_co_u32_e64 v62, s[26:27], 0, v48, s[26:27]
	v_sub_u32_e32 v46, 0, v62
	v_ldexp_f64 v[42:43], v[42:43], v46
	v_ldexp_f64 v[44:45], v[44:45], v46
	v_add_f64 v[46:47], v[42:43], -1.0
	v_add_f64 v[52:53], v[42:43], 1.0
	v_add_f64 v[48:49], v[46:47], 1.0
	v_add_f64 v[54:55], v[52:53], -1.0
	v_add_f64 v[48:49], v[42:43], -v[48:49]
	v_add_f64 v[42:43], v[42:43], -v[54:55]
	v_add_f64 v[42:43], v[44:45], v[42:43]
	v_add_f64 v[48:49], v[44:45], v[48:49]
	;; [unrolled: 1-line block ×3, first 2 shown]
	v_rcp_f64_e32 v[54:55], v[44:45]
	v_add_f64 v[50:51], v[46:47], v[48:49]
	v_add_f64 v[46:47], v[50:51], -v[46:47]
	v_add_f64 v[46:47], v[48:49], -v[46:47]
	;; [unrolled: 1-line block ×4, first 2 shown]
	v_fma_f64 v[48:49], -v[44:45], v[54:55], 1.0
	v_fmac_f64_e32 v[54:55], v[48:49], v[54:55]
	v_fma_f64 v[48:49], -v[44:45], v[54:55], 1.0
	v_fmac_f64_e32 v[54:55], v[48:49], v[54:55]
	v_mul_f64 v[48:49], v[50:51], v[54:55]
	v_mul_f64 v[52:53], v[44:45], v[48:49]
	v_fma_f64 v[56:57], v[48:49], v[44:45], -v[52:53]
	v_fmac_f64_e32 v[56:57], v[48:49], v[42:43]
	v_add_f64 v[58:59], v[52:53], v[56:57]
	v_add_f64 v[60:61], v[50:51], -v[58:59]
	v_add_f64 v[50:51], v[50:51], -v[60:61]
	;; [unrolled: 1-line block ×4, first 2 shown]
	v_add_f64 v[46:47], v[46:47], v[50:51]
	v_add_f64 v[50:51], v[52:53], -v[56:57]
	v_add_f64 v[46:47], v[50:51], v[46:47]
	v_add_f64 v[50:51], v[60:61], v[46:47]
	v_add_f64 v[52:53], v[60:61], -v[50:51]
	v_add_f64 v[46:47], v[46:47], v[52:53]
	v_mul_f64 v[52:53], v[54:55], v[50:51]
	v_mul_f64 v[56:57], v[44:45], v[52:53]
	v_fma_f64 v[44:45], v[52:53], v[44:45], -v[56:57]
	v_fmac_f64_e32 v[44:45], v[52:53], v[42:43]
	v_add_f64 v[42:43], v[56:57], v[44:45]
	v_add_f64 v[58:59], v[50:51], -v[42:43]
	v_add_f64 v[50:51], v[50:51], -v[58:59]
	;; [unrolled: 1-line block ×4, first 2 shown]
	v_add_f64 v[42:43], v[46:47], v[42:43]
	v_add_f64 v[44:45], v[56:57], -v[44:45]
	v_add_f64 v[42:43], v[44:45], v[42:43]
	v_add_f64 v[44:45], v[48:49], v[52:53]
	;; [unrolled: 1-line block ×3, first 2 shown]
	v_add_f64 v[46:47], v[44:45], -v[48:49]
	v_mul_f64 v[42:43], v[54:55], v[42:43]
	v_add_f64 v[46:47], v[52:53], -v[46:47]
	v_add_f64 v[42:43], v[46:47], v[42:43]
	v_add_f64 v[46:47], v[44:45], v[42:43]
	v_add_f64 v[44:45], v[46:47], -v[44:45]
	s_mov_b32 s26, 0xbf559e2b
	v_add_f64 v[42:43], v[42:43], -v[44:45]
	v_mul_f64 v[44:45], v[46:47], v[46:47]
	v_mov_b32_e32 v48, 0x6b47b09a
	v_mov_b32_e32 v49, 0x3fc38538
	s_mov_b32 s27, 0x3fc3ab76
	v_fmac_f64_e32 v[48:49], s[26:27], v[44:45]
	v_mov_b32_e32 v50, 0xd7f4df2e
	v_mov_b32_e32 v51, 0x3fc7474d
	v_fmac_f64_e32 v[50:51], v[44:45], v[48:49]
	v_mov_b32_e32 v48, 0x16291751
	v_mov_b32_e32 v49, 0x3fcc71c0
	;; [unrolled: 3-line block ×5, first 2 shown]
	v_fmac_f64_e32 v[50:51], v[44:45], v[48:49]
	v_cvt_f64_i32_e32 v[48:49], v62
	v_mul_f64 v[52:53], v[48:49], s[36:37]
	v_fma_f64 v[54:55], v[48:49], s[36:37], -v[52:53]
	v_fmac_f64_e32 v[54:55], s[38:39], v[48:49]
	v_add_f64 v[48:49], v[52:53], v[54:55]
	v_add_f64 v[52:53], v[48:49], -v[52:53]
	v_mul_f64 v[44:45], v[46:47], v[44:45]
	v_add_f64 v[52:53], v[54:55], -v[52:53]
	v_ldexp_f64 v[54:55], v[46:47], 1
	v_mul_f64 v[44:45], v[44:45], v[50:51]
	v_add_f64 v[46:47], v[54:55], v[44:45]
	v_add_f64 v[50:51], v[46:47], -v[54:55]
	v_ldexp_f64 v[42:43], v[42:43], 1
	v_add_f64 v[44:45], v[44:45], -v[50:51]
	v_add_f64 v[42:43], v[42:43], v[44:45]
	v_add_f64 v[44:45], v[46:47], v[42:43]
	v_add_f64 v[46:47], v[44:45], -v[46:47]
	v_add_f64 v[42:43], v[42:43], -v[46:47]
	v_add_f64 v[46:47], v[48:49], v[44:45]
	v_add_f64 v[50:51], v[46:47], -v[48:49]
	v_add_f64 v[54:55], v[46:47], -v[50:51]
	;; [unrolled: 1-line block ×4, first 2 shown]
	v_add_f64 v[44:45], v[44:45], v[48:49]
	v_add_f64 v[48:49], v[52:53], v[42:43]
	v_add_f64 v[50:51], v[48:49], -v[52:53]
	v_add_f64 v[44:45], v[48:49], v[44:45]
	v_add_f64 v[54:55], v[48:49], -v[50:51]
	;; [unrolled: 2-line block ×3, first 2 shown]
	v_add_f64 v[42:43], v[42:43], -v[50:51]
	v_add_f64 v[46:47], v[48:49], -v[46:47]
	v_add_f64 v[42:43], v[42:43], v[52:53]
	v_add_f64 v[44:45], v[44:45], -v[46:47]
	s_mov_b32 s26, 0
	v_add_f64 v[42:43], v[42:43], v[44:45]
	s_mov_b32 s27, 0x7ff00000
	v_add_f64 v[42:43], v[48:49], v[42:43]
	v_cmp_neq_f64_e64 s[26:27], s[26:27], v[16:17]
	s_nop 1
	v_cndmask_b32_e64 v19, v19, v43, s[26:27]
	v_mov_b32_e32 v43, 0x7ff80000
	v_cndmask_b32_e64 v19, v43, v19, s[28:29]
	v_cmp_nge_f64_e64 s[28:29], -1.0, v[16:17]
	s_and_b64 s[26:27], s[28:29], s[26:27]
	v_cndmask_b32_e64 v42, 0, v42, s[26:27]
	v_mov_b32_e32 v43, 0xfff00000
	v_cmp_neq_f64_e64 s[26:27], -1.0, v[16:17]
	s_nop 1
	v_cndmask_b32_e64 v43, v43, v19, s[26:27]
	v_add_f64 v[16:17], v[40:41], v[42:43]
.LBB18_25:
	s_or_b64 exec, exec, s[34:35]
	ds_read_b64 v[40:41], v1 offset:16
	v_max_f64 v[44:45], v[16:17], v[16:17]
	v_cmp_u_f64_e64 s[26:27], v[16:17], v[16:17]
	s_waitcnt lgkmcnt(0)
	v_max_f64 v[46:47], v[40:41], v[40:41]
	v_min_f64 v[42:43], v[44:45], v[46:47]
	v_cndmask_b32_e64 v19, v42, v16, s[26:27]
	v_cndmask_b32_e64 v42, v43, v17, s[26:27]
	v_cmp_u_f64_e64 s[28:29], v[40:41], v[40:41]
	v_max_f64 v[44:45], v[44:45], v[46:47]
	s_nop 0
	v_cndmask_b32_e64 v43, v42, v41, s[28:29]
	v_cndmask_b32_e64 v42, v19, v40, s[28:29]
	;; [unrolled: 1-line block ×6, first 2 shown]
	v_cmp_neq_f64_e64 s[26:27], v[42:43], v[40:41]
	v_cmp_class_f64_e64 s[28:29], v[42:43], s33
	s_or_b64 s[26:27], s[26:27], s[28:29]
	s_and_saveexec_b64 s[34:35], s[26:27]
	s_cbranch_execz .LBB18_27
; %bb.26:
	s_mov_b32 s26, 0x652b82fe
	v_add_f64 v[16:17], v[42:43], -v[40:41]
	s_mov_b32 s27, 0x3ff71547
	v_mul_f64 v[42:43], v[16:17], s[26:27]
	v_rndne_f64_e32 v[42:43], v[42:43]
	s_mov_b32 s37, 0xbfe62e42
	s_mov_b32 s36, 0xfefa39ef
	v_fma_f64 v[44:45], s[36:37], v[42:43], v[16:17]
	s_mov_b32 s39, 0xbc7abc9e
	s_mov_b32 s38, 0x3b39803f
	;; [unrolled: 1-line block ×3, first 2 shown]
	v_fmac_f64_e32 v[44:45], s[38:39], v[42:43]
	v_mov_b32_e32 v46, 0xfca7ab0c
	v_mov_b32_e32 v47, 0x3e928af3
	s_mov_b32 s27, 0x3e5ade15
	v_fmac_f64_e32 v[46:47], s[26:27], v[44:45]
	v_mov_b32_e32 v48, 0x623fde64
	v_mov_b32_e32 v49, 0x3ec71dee
	v_fmac_f64_e32 v[48:49], v[44:45], v[46:47]
	v_mov_b32_e32 v46, 0x7c89e6b0
	v_mov_b32_e32 v47, 0x3efa0199
	;; [unrolled: 3-line block ×8, first 2 shown]
	v_fmac_f64_e32 v[46:47], v[44:45], v[48:49]
	v_fma_f64 v[46:47], v[44:45], v[46:47], 1.0
	s_mov_b32 s26, 0
	s_mov_b32 s28, 0
	v_fma_f64 v[44:45], v[44:45], v[46:47], 1.0
	v_cvt_i32_f64_e32 v19, v[42:43]
	s_mov_b32 s27, 0x40900000
	s_mov_b32 s29, 0xc090cc00
	v_ldexp_f64 v[42:43], v[44:45], v19
	v_mov_b32_e32 v19, 0x7ff00000
	v_cmp_nlt_f64_e64 s[26:27], s[26:27], v[16:17]
	v_cmp_ngt_f64_e64 s[28:29], s[28:29], v[16:17]
	s_mov_b32 s37, 0x3fe62e42
	v_cndmask_b32_e64 v43, v19, v43, s[26:27]
	s_and_b64 s[26:27], s[28:29], s[26:27]
	v_cndmask_b32_e64 v17, 0, v43, s[28:29]
	v_cndmask_b32_e64 v16, 0, v42, s[26:27]
	v_add_f64 v[42:43], v[16:17], 1.0
	v_add_f64 v[44:45], v[42:43], -1.0
	v_add_f64 v[46:47], v[44:45], -v[42:43]
	v_add_f64 v[46:47], v[46:47], 1.0
	v_add_f64 v[44:45], v[16:17], -v[44:45]
	s_mov_b32 s26, 0x55555555
	v_add_f64 v[44:45], v[44:45], v[46:47]
	v_frexp_mant_f64_e32 v[46:47], v[42:43]
	s_mov_b32 s27, 0x3fe55555
	v_frexp_exp_i32_f64_e32 v48, v[42:43]
	v_cmp_gt_f64_e64 s[26:27], s[26:27], v[46:47]
	s_mov_b32 s39, 0x3c7abc9e
	v_cmp_ngt_f64_e64 s[28:29], -1.0, v[16:17]
	v_subbrev_co_u32_e64 v62, s[26:27], 0, v48, s[26:27]
	v_sub_u32_e32 v46, 0, v62
	v_ldexp_f64 v[42:43], v[42:43], v46
	v_ldexp_f64 v[44:45], v[44:45], v46
	v_add_f64 v[46:47], v[42:43], -1.0
	v_add_f64 v[52:53], v[42:43], 1.0
	v_add_f64 v[48:49], v[46:47], 1.0
	v_add_f64 v[54:55], v[52:53], -1.0
	v_add_f64 v[48:49], v[42:43], -v[48:49]
	v_add_f64 v[42:43], v[42:43], -v[54:55]
	v_add_f64 v[42:43], v[44:45], v[42:43]
	v_add_f64 v[48:49], v[44:45], v[48:49]
	;; [unrolled: 1-line block ×3, first 2 shown]
	v_rcp_f64_e32 v[54:55], v[44:45]
	v_add_f64 v[50:51], v[46:47], v[48:49]
	v_add_f64 v[46:47], v[50:51], -v[46:47]
	v_add_f64 v[46:47], v[48:49], -v[46:47]
	;; [unrolled: 1-line block ×4, first 2 shown]
	v_fma_f64 v[48:49], -v[44:45], v[54:55], 1.0
	v_fmac_f64_e32 v[54:55], v[48:49], v[54:55]
	v_fma_f64 v[48:49], -v[44:45], v[54:55], 1.0
	v_fmac_f64_e32 v[54:55], v[48:49], v[54:55]
	v_mul_f64 v[48:49], v[50:51], v[54:55]
	v_mul_f64 v[52:53], v[44:45], v[48:49]
	v_fma_f64 v[56:57], v[48:49], v[44:45], -v[52:53]
	v_fmac_f64_e32 v[56:57], v[48:49], v[42:43]
	v_add_f64 v[58:59], v[52:53], v[56:57]
	v_add_f64 v[60:61], v[50:51], -v[58:59]
	v_add_f64 v[50:51], v[50:51], -v[60:61]
	;; [unrolled: 1-line block ×4, first 2 shown]
	v_add_f64 v[46:47], v[46:47], v[50:51]
	v_add_f64 v[50:51], v[52:53], -v[56:57]
	v_add_f64 v[46:47], v[50:51], v[46:47]
	v_add_f64 v[50:51], v[60:61], v[46:47]
	v_add_f64 v[52:53], v[60:61], -v[50:51]
	v_add_f64 v[46:47], v[46:47], v[52:53]
	v_mul_f64 v[52:53], v[54:55], v[50:51]
	v_mul_f64 v[56:57], v[44:45], v[52:53]
	v_fma_f64 v[44:45], v[52:53], v[44:45], -v[56:57]
	v_fmac_f64_e32 v[44:45], v[52:53], v[42:43]
	v_add_f64 v[42:43], v[56:57], v[44:45]
	v_add_f64 v[58:59], v[50:51], -v[42:43]
	v_add_f64 v[50:51], v[50:51], -v[58:59]
	;; [unrolled: 1-line block ×4, first 2 shown]
	v_add_f64 v[42:43], v[46:47], v[42:43]
	v_add_f64 v[44:45], v[56:57], -v[44:45]
	v_add_f64 v[42:43], v[44:45], v[42:43]
	v_add_f64 v[44:45], v[48:49], v[52:53]
	;; [unrolled: 1-line block ×3, first 2 shown]
	v_add_f64 v[46:47], v[44:45], -v[48:49]
	v_mul_f64 v[42:43], v[54:55], v[42:43]
	v_add_f64 v[46:47], v[52:53], -v[46:47]
	v_add_f64 v[42:43], v[46:47], v[42:43]
	v_add_f64 v[46:47], v[44:45], v[42:43]
	v_add_f64 v[44:45], v[46:47], -v[44:45]
	s_mov_b32 s26, 0xbf559e2b
	v_add_f64 v[42:43], v[42:43], -v[44:45]
	v_mul_f64 v[44:45], v[46:47], v[46:47]
	v_mov_b32_e32 v48, 0x6b47b09a
	v_mov_b32_e32 v49, 0x3fc38538
	s_mov_b32 s27, 0x3fc3ab76
	v_fmac_f64_e32 v[48:49], s[26:27], v[44:45]
	v_mov_b32_e32 v50, 0xd7f4df2e
	v_mov_b32_e32 v51, 0x3fc7474d
	v_fmac_f64_e32 v[50:51], v[44:45], v[48:49]
	v_mov_b32_e32 v48, 0x16291751
	v_mov_b32_e32 v49, 0x3fcc71c0
	;; [unrolled: 3-line block ×5, first 2 shown]
	v_fmac_f64_e32 v[50:51], v[44:45], v[48:49]
	v_cvt_f64_i32_e32 v[48:49], v62
	v_mul_f64 v[52:53], v[48:49], s[36:37]
	v_fma_f64 v[54:55], v[48:49], s[36:37], -v[52:53]
	v_fmac_f64_e32 v[54:55], s[38:39], v[48:49]
	v_add_f64 v[48:49], v[52:53], v[54:55]
	v_add_f64 v[52:53], v[48:49], -v[52:53]
	v_mul_f64 v[44:45], v[46:47], v[44:45]
	v_add_f64 v[52:53], v[54:55], -v[52:53]
	v_ldexp_f64 v[54:55], v[46:47], 1
	v_mul_f64 v[44:45], v[44:45], v[50:51]
	v_add_f64 v[46:47], v[54:55], v[44:45]
	v_add_f64 v[50:51], v[46:47], -v[54:55]
	v_ldexp_f64 v[42:43], v[42:43], 1
	v_add_f64 v[44:45], v[44:45], -v[50:51]
	v_add_f64 v[42:43], v[42:43], v[44:45]
	v_add_f64 v[44:45], v[46:47], v[42:43]
	v_add_f64 v[46:47], v[44:45], -v[46:47]
	v_add_f64 v[42:43], v[42:43], -v[46:47]
	v_add_f64 v[46:47], v[48:49], v[44:45]
	v_add_f64 v[50:51], v[46:47], -v[48:49]
	v_add_f64 v[54:55], v[46:47], -v[50:51]
	;; [unrolled: 1-line block ×4, first 2 shown]
	v_add_f64 v[44:45], v[44:45], v[48:49]
	v_add_f64 v[48:49], v[52:53], v[42:43]
	v_add_f64 v[50:51], v[48:49], -v[52:53]
	v_add_f64 v[44:45], v[48:49], v[44:45]
	v_add_f64 v[54:55], v[48:49], -v[50:51]
	;; [unrolled: 2-line block ×3, first 2 shown]
	v_add_f64 v[42:43], v[42:43], -v[50:51]
	v_add_f64 v[46:47], v[48:49], -v[46:47]
	v_add_f64 v[42:43], v[42:43], v[52:53]
	v_add_f64 v[44:45], v[44:45], -v[46:47]
	s_mov_b32 s26, 0
	v_add_f64 v[42:43], v[42:43], v[44:45]
	s_mov_b32 s27, 0x7ff00000
	v_add_f64 v[42:43], v[48:49], v[42:43]
	v_cmp_neq_f64_e64 s[26:27], s[26:27], v[16:17]
	s_nop 1
	v_cndmask_b32_e64 v19, v19, v43, s[26:27]
	v_mov_b32_e32 v43, 0x7ff80000
	v_cndmask_b32_e64 v19, v43, v19, s[28:29]
	v_cmp_nge_f64_e64 s[28:29], -1.0, v[16:17]
	s_and_b64 s[26:27], s[28:29], s[26:27]
	v_cndmask_b32_e64 v42, 0, v42, s[26:27]
	v_mov_b32_e32 v43, 0xfff00000
	v_cmp_neq_f64_e64 s[26:27], -1.0, v[16:17]
	s_nop 1
	v_cndmask_b32_e64 v43, v43, v19, s[26:27]
	v_add_f64 v[16:17], v[40:41], v[42:43]
.LBB18_27:
	s_or_b64 exec, exec, s[34:35]
	ds_read_b64 v[40:41], v1 offset:24
	v_max_f64 v[44:45], v[16:17], v[16:17]
	v_cmp_u_f64_e64 s[26:27], v[16:17], v[16:17]
	s_waitcnt lgkmcnt(0)
	v_max_f64 v[46:47], v[40:41], v[40:41]
	v_min_f64 v[42:43], v[44:45], v[46:47]
	v_cndmask_b32_e64 v19, v42, v16, s[26:27]
	v_cndmask_b32_e64 v42, v43, v17, s[26:27]
	v_cmp_u_f64_e64 s[28:29], v[40:41], v[40:41]
	v_max_f64 v[44:45], v[44:45], v[46:47]
	s_nop 0
	v_cndmask_b32_e64 v43, v42, v41, s[28:29]
	v_cndmask_b32_e64 v42, v19, v40, s[28:29]
	;; [unrolled: 1-line block ×6, first 2 shown]
	s_movk_i32 s28, 0x1f8
	v_cmp_neq_f64_e64 s[26:27], v[42:43], v[40:41]
	v_cmp_class_f64_e64 s[28:29], v[42:43], s28
	s_or_b64 s[26:27], s[26:27], s[28:29]
	s_and_saveexec_b64 s[34:35], s[26:27]
	s_cbranch_execz .LBB18_29
; %bb.28:
	s_mov_b32 s26, 0x652b82fe
	v_add_f64 v[16:17], v[42:43], -v[40:41]
	s_mov_b32 s27, 0x3ff71547
	v_mul_f64 v[42:43], v[16:17], s[26:27]
	v_rndne_f64_e32 v[42:43], v[42:43]
	s_mov_b32 s37, 0xbfe62e42
	s_mov_b32 s36, 0xfefa39ef
	v_fma_f64 v[44:45], s[36:37], v[42:43], v[16:17]
	s_mov_b32 s39, 0xbc7abc9e
	s_mov_b32 s38, 0x3b39803f
	;; [unrolled: 1-line block ×3, first 2 shown]
	v_fmac_f64_e32 v[44:45], s[38:39], v[42:43]
	v_mov_b32_e32 v46, 0xfca7ab0c
	v_mov_b32_e32 v47, 0x3e928af3
	s_mov_b32 s27, 0x3e5ade15
	v_fmac_f64_e32 v[46:47], s[26:27], v[44:45]
	v_mov_b32_e32 v48, 0x623fde64
	v_mov_b32_e32 v49, 0x3ec71dee
	v_fmac_f64_e32 v[48:49], v[44:45], v[46:47]
	v_mov_b32_e32 v46, 0x7c89e6b0
	v_mov_b32_e32 v47, 0x3efa0199
	;; [unrolled: 3-line block ×8, first 2 shown]
	v_fmac_f64_e32 v[46:47], v[44:45], v[48:49]
	v_fma_f64 v[46:47], v[44:45], v[46:47], 1.0
	s_mov_b32 s26, 0
	s_mov_b32 s28, 0
	v_fma_f64 v[44:45], v[44:45], v[46:47], 1.0
	v_cvt_i32_f64_e32 v19, v[42:43]
	s_mov_b32 s27, 0x40900000
	s_mov_b32 s29, 0xc090cc00
	v_ldexp_f64 v[42:43], v[44:45], v19
	v_mov_b32_e32 v19, 0x7ff00000
	v_cmp_nlt_f64_e64 s[26:27], s[26:27], v[16:17]
	v_cmp_ngt_f64_e64 s[28:29], s[28:29], v[16:17]
	s_mov_b32 s37, 0x3fe62e42
	v_cndmask_b32_e64 v43, v19, v43, s[26:27]
	s_and_b64 s[26:27], s[28:29], s[26:27]
	v_cndmask_b32_e64 v17, 0, v43, s[28:29]
	v_cndmask_b32_e64 v16, 0, v42, s[26:27]
	v_add_f64 v[42:43], v[16:17], 1.0
	v_add_f64 v[44:45], v[42:43], -1.0
	v_add_f64 v[46:47], v[44:45], -v[42:43]
	v_add_f64 v[46:47], v[46:47], 1.0
	v_add_f64 v[44:45], v[16:17], -v[44:45]
	s_mov_b32 s26, 0x55555555
	v_add_f64 v[44:45], v[44:45], v[46:47]
	v_frexp_mant_f64_e32 v[46:47], v[42:43]
	s_mov_b32 s27, 0x3fe55555
	v_frexp_exp_i32_f64_e32 v48, v[42:43]
	v_cmp_gt_f64_e64 s[26:27], s[26:27], v[46:47]
	s_mov_b32 s39, 0x3c7abc9e
	v_cmp_ngt_f64_e64 s[28:29], -1.0, v[16:17]
	v_subbrev_co_u32_e64 v62, s[26:27], 0, v48, s[26:27]
	v_sub_u32_e32 v46, 0, v62
	v_ldexp_f64 v[42:43], v[42:43], v46
	v_ldexp_f64 v[44:45], v[44:45], v46
	v_add_f64 v[46:47], v[42:43], -1.0
	v_add_f64 v[52:53], v[42:43], 1.0
	v_add_f64 v[48:49], v[46:47], 1.0
	v_add_f64 v[54:55], v[52:53], -1.0
	v_add_f64 v[48:49], v[42:43], -v[48:49]
	v_add_f64 v[42:43], v[42:43], -v[54:55]
	v_add_f64 v[42:43], v[44:45], v[42:43]
	v_add_f64 v[48:49], v[44:45], v[48:49]
	v_add_f64 v[44:45], v[52:53], v[42:43]
	v_rcp_f64_e32 v[54:55], v[44:45]
	v_add_f64 v[50:51], v[46:47], v[48:49]
	v_add_f64 v[46:47], v[50:51], -v[46:47]
	v_add_f64 v[46:47], v[48:49], -v[46:47]
	;; [unrolled: 1-line block ×4, first 2 shown]
	v_fma_f64 v[48:49], -v[44:45], v[54:55], 1.0
	v_fmac_f64_e32 v[54:55], v[48:49], v[54:55]
	v_fma_f64 v[48:49], -v[44:45], v[54:55], 1.0
	v_fmac_f64_e32 v[54:55], v[48:49], v[54:55]
	v_mul_f64 v[48:49], v[50:51], v[54:55]
	v_mul_f64 v[52:53], v[44:45], v[48:49]
	v_fma_f64 v[56:57], v[48:49], v[44:45], -v[52:53]
	v_fmac_f64_e32 v[56:57], v[48:49], v[42:43]
	v_add_f64 v[58:59], v[52:53], v[56:57]
	v_add_f64 v[60:61], v[50:51], -v[58:59]
	v_add_f64 v[50:51], v[50:51], -v[60:61]
	;; [unrolled: 1-line block ×4, first 2 shown]
	v_add_f64 v[46:47], v[46:47], v[50:51]
	v_add_f64 v[50:51], v[52:53], -v[56:57]
	v_add_f64 v[46:47], v[50:51], v[46:47]
	v_add_f64 v[50:51], v[60:61], v[46:47]
	v_add_f64 v[52:53], v[60:61], -v[50:51]
	v_add_f64 v[46:47], v[46:47], v[52:53]
	v_mul_f64 v[52:53], v[54:55], v[50:51]
	v_mul_f64 v[56:57], v[44:45], v[52:53]
	v_fma_f64 v[44:45], v[52:53], v[44:45], -v[56:57]
	v_fmac_f64_e32 v[44:45], v[52:53], v[42:43]
	v_add_f64 v[42:43], v[56:57], v[44:45]
	v_add_f64 v[58:59], v[50:51], -v[42:43]
	v_add_f64 v[50:51], v[50:51], -v[58:59]
	;; [unrolled: 1-line block ×4, first 2 shown]
	v_add_f64 v[42:43], v[46:47], v[42:43]
	v_add_f64 v[44:45], v[56:57], -v[44:45]
	v_add_f64 v[42:43], v[44:45], v[42:43]
	v_add_f64 v[44:45], v[48:49], v[52:53]
	;; [unrolled: 1-line block ×3, first 2 shown]
	v_add_f64 v[46:47], v[44:45], -v[48:49]
	v_mul_f64 v[42:43], v[54:55], v[42:43]
	v_add_f64 v[46:47], v[52:53], -v[46:47]
	v_add_f64 v[42:43], v[46:47], v[42:43]
	v_add_f64 v[46:47], v[44:45], v[42:43]
	v_add_f64 v[44:45], v[46:47], -v[44:45]
	s_mov_b32 s26, 0xbf559e2b
	v_add_f64 v[42:43], v[42:43], -v[44:45]
	v_mul_f64 v[44:45], v[46:47], v[46:47]
	v_mov_b32_e32 v48, 0x6b47b09a
	v_mov_b32_e32 v49, 0x3fc38538
	s_mov_b32 s27, 0x3fc3ab76
	v_fmac_f64_e32 v[48:49], s[26:27], v[44:45]
	v_mov_b32_e32 v50, 0xd7f4df2e
	v_mov_b32_e32 v51, 0x3fc7474d
	v_fmac_f64_e32 v[50:51], v[44:45], v[48:49]
	v_mov_b32_e32 v48, 0x16291751
	v_mov_b32_e32 v49, 0x3fcc71c0
	;; [unrolled: 3-line block ×5, first 2 shown]
	v_fmac_f64_e32 v[50:51], v[44:45], v[48:49]
	v_cvt_f64_i32_e32 v[48:49], v62
	v_mul_f64 v[52:53], v[48:49], s[36:37]
	v_fma_f64 v[54:55], v[48:49], s[36:37], -v[52:53]
	v_fmac_f64_e32 v[54:55], s[38:39], v[48:49]
	v_add_f64 v[48:49], v[52:53], v[54:55]
	v_add_f64 v[52:53], v[48:49], -v[52:53]
	v_mul_f64 v[44:45], v[46:47], v[44:45]
	v_add_f64 v[52:53], v[54:55], -v[52:53]
	v_ldexp_f64 v[54:55], v[46:47], 1
	v_mul_f64 v[44:45], v[44:45], v[50:51]
	v_add_f64 v[46:47], v[54:55], v[44:45]
	v_add_f64 v[50:51], v[46:47], -v[54:55]
	v_ldexp_f64 v[42:43], v[42:43], 1
	v_add_f64 v[44:45], v[44:45], -v[50:51]
	v_add_f64 v[42:43], v[42:43], v[44:45]
	v_add_f64 v[44:45], v[46:47], v[42:43]
	v_add_f64 v[46:47], v[44:45], -v[46:47]
	v_add_f64 v[42:43], v[42:43], -v[46:47]
	v_add_f64 v[46:47], v[48:49], v[44:45]
	v_add_f64 v[50:51], v[46:47], -v[48:49]
	v_add_f64 v[54:55], v[46:47], -v[50:51]
	;; [unrolled: 1-line block ×4, first 2 shown]
	v_add_f64 v[44:45], v[44:45], v[48:49]
	v_add_f64 v[48:49], v[52:53], v[42:43]
	v_add_f64 v[50:51], v[48:49], -v[52:53]
	v_add_f64 v[44:45], v[48:49], v[44:45]
	v_add_f64 v[54:55], v[48:49], -v[50:51]
	;; [unrolled: 2-line block ×3, first 2 shown]
	v_add_f64 v[42:43], v[42:43], -v[50:51]
	v_add_f64 v[46:47], v[48:49], -v[46:47]
	v_add_f64 v[42:43], v[42:43], v[52:53]
	v_add_f64 v[44:45], v[44:45], -v[46:47]
	s_mov_b32 s26, 0
	v_add_f64 v[42:43], v[42:43], v[44:45]
	s_mov_b32 s27, 0x7ff00000
	v_add_f64 v[42:43], v[48:49], v[42:43]
	v_cmp_neq_f64_e64 s[26:27], s[26:27], v[16:17]
	s_nop 1
	v_cndmask_b32_e64 v19, v19, v43, s[26:27]
	v_mov_b32_e32 v43, 0x7ff80000
	v_cndmask_b32_e64 v19, v43, v19, s[28:29]
	v_cmp_nge_f64_e64 s[28:29], -1.0, v[16:17]
	s_and_b64 s[26:27], s[28:29], s[26:27]
	v_cndmask_b32_e64 v42, 0, v42, s[26:27]
	v_mov_b32_e32 v43, 0xfff00000
	v_cmp_neq_f64_e64 s[26:27], -1.0, v[16:17]
	s_nop 1
	v_cndmask_b32_e64 v43, v43, v19, s[26:27]
	v_add_f64 v[16:17], v[40:41], v[42:43]
.LBB18_29:
	s_or_b64 exec, exec, s[34:35]
	v_mbcnt_lo_u32_b32 v19, -1, 0
	v_mbcnt_hi_u32_b32 v19, -1, v19
	v_and_b32_e32 v44, 15, v19
	v_mov_b32_dpp v40, v16 row_shr:1 row_mask:0xf bank_mask:0xf
	v_mov_b32_dpp v41, v17 row_shr:1 row_mask:0xf bank_mask:0xf
	v_cmp_ne_u32_e64 s[26:27], 0, v44
	v_mov_b32_e32 v42, v16
	v_mov_b32_e32 v43, v17
	s_and_saveexec_b64 s[28:29], s[26:27]
	s_xor_b64 s[34:35], exec, s[28:29]
	s_cbranch_execz .LBB18_33
; %bb.30:
	v_max_f64 v[46:47], v[40:41], v[40:41]
	v_max_f64 v[48:49], v[16:17], v[16:17]
	v_min_f64 v[42:43], v[46:47], v[48:49]
	v_cmp_u_f64_e64 s[26:27], v[40:41], v[40:41]
	v_max_f64 v[46:47], v[46:47], v[48:49]
	v_cmp_u_f64_e64 s[28:29], v[16:17], v[16:17]
	v_cndmask_b32_e64 v43, v43, v41, s[26:27]
	v_cndmask_b32_e64 v42, v42, v40, s[26:27]
	;; [unrolled: 1-line block ×8, first 2 shown]
	s_movk_i32 s28, 0x1f8
	v_cmp_neq_f64_e64 s[26:27], v[42:43], v[16:17]
	v_cmp_class_f64_e64 s[28:29], v[42:43], s28
	s_or_b64 s[26:27], s[26:27], s[28:29]
	s_and_saveexec_b64 s[36:37], s[26:27]
	s_cbranch_execz .LBB18_32
; %bb.31:
	s_mov_b32 s26, 0x652b82fe
	v_add_f64 v[40:41], v[42:43], -v[16:17]
	s_mov_b32 s27, 0x3ff71547
	v_mul_f64 v[42:43], v[40:41], s[26:27]
	v_rndne_f64_e32 v[42:43], v[42:43]
	s_mov_b32 s39, 0xbfe62e42
	s_mov_b32 s38, 0xfefa39ef
	v_fma_f64 v[46:47], s[38:39], v[42:43], v[40:41]
	s_mov_b32 s41, 0xbc7abc9e
	s_mov_b32 s40, 0x3b39803f
	;; [unrolled: 1-line block ×3, first 2 shown]
	v_fmac_f64_e32 v[46:47], s[40:41], v[42:43]
	v_mov_b32_e32 v48, 0xfca7ab0c
	v_mov_b32_e32 v49, 0x3e928af3
	s_mov_b32 s27, 0x3e5ade15
	v_fmac_f64_e32 v[48:49], s[26:27], v[46:47]
	v_mov_b32_e32 v50, 0x623fde64
	v_mov_b32_e32 v51, 0x3ec71dee
	v_fmac_f64_e32 v[50:51], v[46:47], v[48:49]
	v_mov_b32_e32 v48, 0x7c89e6b0
	v_mov_b32_e32 v49, 0x3efa0199
	;; [unrolled: 3-line block ×8, first 2 shown]
	v_fmac_f64_e32 v[48:49], v[46:47], v[50:51]
	v_fma_f64 v[48:49], v[46:47], v[48:49], 1.0
	s_mov_b32 s26, 0
	s_mov_b32 s28, 0
	v_fma_f64 v[46:47], v[46:47], v[48:49], 1.0
	v_cvt_i32_f64_e32 v42, v[42:43]
	s_mov_b32 s27, 0x40900000
	s_mov_b32 s29, 0xc090cc00
	v_ldexp_f64 v[42:43], v[46:47], v42
	v_mov_b32_e32 v45, 0x7ff00000
	v_cmp_nlt_f64_e64 s[26:27], s[26:27], v[40:41]
	v_cmp_ngt_f64_e64 s[28:29], s[28:29], v[40:41]
	s_mov_b32 s39, 0x3fe62e42
	v_cndmask_b32_e64 v43, v45, v43, s[26:27]
	s_and_b64 s[26:27], s[28:29], s[26:27]
	v_cndmask_b32_e64 v41, 0, v43, s[28:29]
	v_cndmask_b32_e64 v40, 0, v42, s[26:27]
	v_add_f64 v[42:43], v[40:41], 1.0
	v_add_f64 v[46:47], v[42:43], -1.0
	v_add_f64 v[48:49], v[46:47], -v[42:43]
	v_add_f64 v[48:49], v[48:49], 1.0
	v_add_f64 v[46:47], v[40:41], -v[46:47]
	s_mov_b32 s26, 0x55555555
	v_add_f64 v[46:47], v[46:47], v[48:49]
	v_frexp_mant_f64_e32 v[48:49], v[42:43]
	s_mov_b32 s27, 0x3fe55555
	v_frexp_exp_i32_f64_e32 v50, v[42:43]
	v_cmp_gt_f64_e64 s[26:27], s[26:27], v[48:49]
	s_mov_b32 s41, 0x3c7abc9e
	v_cmp_ngt_f64_e64 s[28:29], -1.0, v[40:41]
	v_subbrev_co_u32_e64 v64, s[26:27], 0, v50, s[26:27]
	v_sub_u32_e32 v48, 0, v64
	v_ldexp_f64 v[42:43], v[42:43], v48
	v_ldexp_f64 v[46:47], v[46:47], v48
	v_add_f64 v[48:49], v[42:43], -1.0
	v_add_f64 v[54:55], v[42:43], 1.0
	v_add_f64 v[50:51], v[48:49], 1.0
	v_add_f64 v[56:57], v[54:55], -1.0
	v_add_f64 v[50:51], v[42:43], -v[50:51]
	v_add_f64 v[42:43], v[42:43], -v[56:57]
	v_add_f64 v[42:43], v[46:47], v[42:43]
	v_add_f64 v[50:51], v[46:47], v[50:51]
	v_add_f64 v[46:47], v[54:55], v[42:43]
	v_rcp_f64_e32 v[56:57], v[46:47]
	v_add_f64 v[52:53], v[48:49], v[50:51]
	v_add_f64 v[48:49], v[52:53], -v[48:49]
	v_add_f64 v[48:49], v[50:51], -v[48:49]
	;; [unrolled: 1-line block ×4, first 2 shown]
	v_fma_f64 v[50:51], -v[46:47], v[56:57], 1.0
	v_fmac_f64_e32 v[56:57], v[50:51], v[56:57]
	v_fma_f64 v[50:51], -v[46:47], v[56:57], 1.0
	v_fmac_f64_e32 v[56:57], v[50:51], v[56:57]
	v_mul_f64 v[50:51], v[52:53], v[56:57]
	v_mul_f64 v[54:55], v[46:47], v[50:51]
	v_fma_f64 v[58:59], v[50:51], v[46:47], -v[54:55]
	v_fmac_f64_e32 v[58:59], v[50:51], v[42:43]
	v_add_f64 v[60:61], v[54:55], v[58:59]
	v_add_f64 v[62:63], v[52:53], -v[60:61]
	v_add_f64 v[52:53], v[52:53], -v[62:63]
	v_add_f64 v[54:55], v[60:61], -v[54:55]
	v_add_f64 v[52:53], v[52:53], -v[60:61]
	v_add_f64 v[48:49], v[48:49], v[52:53]
	v_add_f64 v[52:53], v[54:55], -v[58:59]
	v_add_f64 v[48:49], v[52:53], v[48:49]
	v_add_f64 v[52:53], v[62:63], v[48:49]
	v_add_f64 v[54:55], v[62:63], -v[52:53]
	v_add_f64 v[48:49], v[48:49], v[54:55]
	v_mul_f64 v[54:55], v[56:57], v[52:53]
	v_mul_f64 v[58:59], v[46:47], v[54:55]
	v_fma_f64 v[46:47], v[54:55], v[46:47], -v[58:59]
	v_fmac_f64_e32 v[46:47], v[54:55], v[42:43]
	v_add_f64 v[42:43], v[58:59], v[46:47]
	v_add_f64 v[60:61], v[52:53], -v[42:43]
	v_add_f64 v[52:53], v[52:53], -v[60:61]
	;; [unrolled: 1-line block ×4, first 2 shown]
	v_add_f64 v[42:43], v[48:49], v[42:43]
	v_add_f64 v[46:47], v[58:59], -v[46:47]
	v_add_f64 v[42:43], v[46:47], v[42:43]
	v_add_f64 v[46:47], v[50:51], v[54:55]
	;; [unrolled: 1-line block ×3, first 2 shown]
	v_add_f64 v[48:49], v[46:47], -v[50:51]
	v_mul_f64 v[42:43], v[56:57], v[42:43]
	v_add_f64 v[48:49], v[54:55], -v[48:49]
	v_add_f64 v[42:43], v[48:49], v[42:43]
	v_add_f64 v[48:49], v[46:47], v[42:43]
	v_add_f64 v[46:47], v[48:49], -v[46:47]
	s_mov_b32 s26, 0xbf559e2b
	v_add_f64 v[42:43], v[42:43], -v[46:47]
	v_mul_f64 v[46:47], v[48:49], v[48:49]
	v_mov_b32_e32 v50, 0x6b47b09a
	v_mov_b32_e32 v51, 0x3fc38538
	s_mov_b32 s27, 0x3fc3ab76
	v_fmac_f64_e32 v[50:51], s[26:27], v[46:47]
	v_mov_b32_e32 v52, 0xd7f4df2e
	v_mov_b32_e32 v53, 0x3fc7474d
	v_fmac_f64_e32 v[52:53], v[46:47], v[50:51]
	v_mov_b32_e32 v50, 0x16291751
	v_mov_b32_e32 v51, 0x3fcc71c0
	;; [unrolled: 3-line block ×5, first 2 shown]
	v_fmac_f64_e32 v[52:53], v[46:47], v[50:51]
	v_cvt_f64_i32_e32 v[50:51], v64
	v_mul_f64 v[54:55], v[50:51], s[38:39]
	v_fma_f64 v[56:57], v[50:51], s[38:39], -v[54:55]
	v_fmac_f64_e32 v[56:57], s[40:41], v[50:51]
	v_add_f64 v[50:51], v[54:55], v[56:57]
	v_add_f64 v[54:55], v[50:51], -v[54:55]
	v_mul_f64 v[46:47], v[48:49], v[46:47]
	v_add_f64 v[54:55], v[56:57], -v[54:55]
	v_ldexp_f64 v[56:57], v[48:49], 1
	v_mul_f64 v[46:47], v[46:47], v[52:53]
	v_add_f64 v[48:49], v[56:57], v[46:47]
	v_add_f64 v[52:53], v[48:49], -v[56:57]
	v_ldexp_f64 v[42:43], v[42:43], 1
	v_add_f64 v[46:47], v[46:47], -v[52:53]
	v_add_f64 v[42:43], v[42:43], v[46:47]
	v_add_f64 v[46:47], v[48:49], v[42:43]
	v_add_f64 v[48:49], v[46:47], -v[48:49]
	v_add_f64 v[42:43], v[42:43], -v[48:49]
	v_add_f64 v[48:49], v[50:51], v[46:47]
	v_add_f64 v[52:53], v[48:49], -v[50:51]
	v_add_f64 v[56:57], v[48:49], -v[52:53]
	;; [unrolled: 1-line block ×4, first 2 shown]
	v_add_f64 v[46:47], v[46:47], v[50:51]
	v_add_f64 v[50:51], v[54:55], v[42:43]
	v_add_f64 v[52:53], v[50:51], -v[54:55]
	v_add_f64 v[46:47], v[50:51], v[46:47]
	v_add_f64 v[56:57], v[50:51], -v[52:53]
	;; [unrolled: 2-line block ×3, first 2 shown]
	v_add_f64 v[42:43], v[42:43], -v[52:53]
	v_add_f64 v[48:49], v[50:51], -v[48:49]
	v_add_f64 v[42:43], v[42:43], v[54:55]
	v_add_f64 v[46:47], v[46:47], -v[48:49]
	s_mov_b32 s26, 0
	v_add_f64 v[42:43], v[42:43], v[46:47]
	s_mov_b32 s27, 0x7ff00000
	v_add_f64 v[42:43], v[50:51], v[42:43]
	v_cmp_neq_f64_e64 s[26:27], s[26:27], v[40:41]
	s_nop 1
	v_cndmask_b32_e64 v43, v45, v43, s[26:27]
	v_mov_b32_e32 v45, 0x7ff80000
	v_cndmask_b32_e64 v43, v45, v43, s[28:29]
	v_cmp_nge_f64_e64 s[28:29], -1.0, v[40:41]
	s_and_b64 s[26:27], s[28:29], s[26:27]
	v_cndmask_b32_e64 v42, 0, v42, s[26:27]
	v_mov_b32_e32 v45, 0xfff00000
	v_cmp_neq_f64_e64 s[26:27], -1.0, v[40:41]
	s_nop 1
	v_cndmask_b32_e64 v43, v45, v43, s[26:27]
	v_add_f64 v[40:41], v[16:17], v[42:43]
.LBB18_32:
	s_or_b64 exec, exec, s[36:37]
	v_mov_b32_e32 v42, v40
	v_mov_b32_e32 v43, v41
	v_mov_b64_e32 v[16:17], v[40:41]
.LBB18_33:
	s_or_b64 exec, exec, s[34:35]
	v_mov_b32_dpp v40, v42 row_shr:2 row_mask:0xf bank_mask:0xf
	v_mov_b32_dpp v41, v43 row_shr:2 row_mask:0xf bank_mask:0xf
	v_cmp_lt_u32_e64 s[26:27], 1, v44
	s_and_saveexec_b64 s[34:35], s[26:27]
	s_cbranch_execz .LBB18_37
; %bb.34:
	v_max_f64 v[46:47], v[40:41], v[40:41]
	v_max_f64 v[48:49], v[16:17], v[16:17]
	v_min_f64 v[42:43], v[46:47], v[48:49]
	v_cmp_u_f64_e64 s[26:27], v[40:41], v[40:41]
	v_max_f64 v[46:47], v[46:47], v[48:49]
	v_cmp_u_f64_e64 s[28:29], v[16:17], v[16:17]
	v_cndmask_b32_e64 v43, v43, v41, s[26:27]
	v_cndmask_b32_e64 v42, v42, v40, s[26:27]
	;; [unrolled: 1-line block ×8, first 2 shown]
	s_movk_i32 s28, 0x1f8
	v_cmp_neq_f64_e64 s[26:27], v[42:43], v[16:17]
	v_cmp_class_f64_e64 s[28:29], v[42:43], s28
	s_or_b64 s[26:27], s[26:27], s[28:29]
	s_and_saveexec_b64 s[36:37], s[26:27]
	s_cbranch_execz .LBB18_36
; %bb.35:
	s_mov_b32 s26, 0x652b82fe
	v_add_f64 v[40:41], v[42:43], -v[16:17]
	s_mov_b32 s27, 0x3ff71547
	v_mul_f64 v[42:43], v[40:41], s[26:27]
	v_rndne_f64_e32 v[42:43], v[42:43]
	s_mov_b32 s39, 0xbfe62e42
	s_mov_b32 s38, 0xfefa39ef
	v_fma_f64 v[46:47], s[38:39], v[42:43], v[40:41]
	s_mov_b32 s41, 0xbc7abc9e
	s_mov_b32 s40, 0x3b39803f
	;; [unrolled: 1-line block ×3, first 2 shown]
	v_fmac_f64_e32 v[46:47], s[40:41], v[42:43]
	v_mov_b32_e32 v48, 0xfca7ab0c
	v_mov_b32_e32 v49, 0x3e928af3
	s_mov_b32 s27, 0x3e5ade15
	v_fmac_f64_e32 v[48:49], s[26:27], v[46:47]
	v_mov_b32_e32 v50, 0x623fde64
	v_mov_b32_e32 v51, 0x3ec71dee
	v_fmac_f64_e32 v[50:51], v[46:47], v[48:49]
	v_mov_b32_e32 v48, 0x7c89e6b0
	v_mov_b32_e32 v49, 0x3efa0199
	;; [unrolled: 3-line block ×8, first 2 shown]
	v_fmac_f64_e32 v[48:49], v[46:47], v[50:51]
	v_fma_f64 v[48:49], v[46:47], v[48:49], 1.0
	s_mov_b32 s26, 0
	s_mov_b32 s28, 0
	v_fma_f64 v[46:47], v[46:47], v[48:49], 1.0
	v_cvt_i32_f64_e32 v42, v[42:43]
	s_mov_b32 s27, 0x40900000
	s_mov_b32 s29, 0xc090cc00
	v_ldexp_f64 v[42:43], v[46:47], v42
	v_mov_b32_e32 v45, 0x7ff00000
	v_cmp_nlt_f64_e64 s[26:27], s[26:27], v[40:41]
	v_cmp_ngt_f64_e64 s[28:29], s[28:29], v[40:41]
	s_mov_b32 s39, 0x3fe62e42
	v_cndmask_b32_e64 v43, v45, v43, s[26:27]
	s_and_b64 s[26:27], s[28:29], s[26:27]
	v_cndmask_b32_e64 v41, 0, v43, s[28:29]
	v_cndmask_b32_e64 v40, 0, v42, s[26:27]
	v_add_f64 v[42:43], v[40:41], 1.0
	v_add_f64 v[46:47], v[42:43], -1.0
	v_add_f64 v[48:49], v[46:47], -v[42:43]
	v_add_f64 v[48:49], v[48:49], 1.0
	v_add_f64 v[46:47], v[40:41], -v[46:47]
	s_mov_b32 s26, 0x55555555
	v_add_f64 v[46:47], v[46:47], v[48:49]
	v_frexp_mant_f64_e32 v[48:49], v[42:43]
	s_mov_b32 s27, 0x3fe55555
	v_frexp_exp_i32_f64_e32 v50, v[42:43]
	v_cmp_gt_f64_e64 s[26:27], s[26:27], v[48:49]
	s_mov_b32 s41, 0x3c7abc9e
	v_cmp_ngt_f64_e64 s[28:29], -1.0, v[40:41]
	v_subbrev_co_u32_e64 v64, s[26:27], 0, v50, s[26:27]
	v_sub_u32_e32 v48, 0, v64
	v_ldexp_f64 v[42:43], v[42:43], v48
	v_ldexp_f64 v[46:47], v[46:47], v48
	v_add_f64 v[48:49], v[42:43], -1.0
	v_add_f64 v[54:55], v[42:43], 1.0
	v_add_f64 v[50:51], v[48:49], 1.0
	v_add_f64 v[56:57], v[54:55], -1.0
	v_add_f64 v[50:51], v[42:43], -v[50:51]
	v_add_f64 v[42:43], v[42:43], -v[56:57]
	v_add_f64 v[42:43], v[46:47], v[42:43]
	v_add_f64 v[50:51], v[46:47], v[50:51]
	;; [unrolled: 1-line block ×3, first 2 shown]
	v_rcp_f64_e32 v[56:57], v[46:47]
	v_add_f64 v[52:53], v[48:49], v[50:51]
	v_add_f64 v[48:49], v[52:53], -v[48:49]
	v_add_f64 v[48:49], v[50:51], -v[48:49]
	;; [unrolled: 1-line block ×4, first 2 shown]
	v_fma_f64 v[50:51], -v[46:47], v[56:57], 1.0
	v_fmac_f64_e32 v[56:57], v[50:51], v[56:57]
	v_fma_f64 v[50:51], -v[46:47], v[56:57], 1.0
	v_fmac_f64_e32 v[56:57], v[50:51], v[56:57]
	v_mul_f64 v[50:51], v[52:53], v[56:57]
	v_mul_f64 v[54:55], v[46:47], v[50:51]
	v_fma_f64 v[58:59], v[50:51], v[46:47], -v[54:55]
	v_fmac_f64_e32 v[58:59], v[50:51], v[42:43]
	v_add_f64 v[60:61], v[54:55], v[58:59]
	v_add_f64 v[62:63], v[52:53], -v[60:61]
	v_add_f64 v[52:53], v[52:53], -v[62:63]
	;; [unrolled: 1-line block ×4, first 2 shown]
	v_add_f64 v[48:49], v[48:49], v[52:53]
	v_add_f64 v[52:53], v[54:55], -v[58:59]
	v_add_f64 v[48:49], v[52:53], v[48:49]
	v_add_f64 v[52:53], v[62:63], v[48:49]
	v_add_f64 v[54:55], v[62:63], -v[52:53]
	v_add_f64 v[48:49], v[48:49], v[54:55]
	v_mul_f64 v[54:55], v[56:57], v[52:53]
	v_mul_f64 v[58:59], v[46:47], v[54:55]
	v_fma_f64 v[46:47], v[54:55], v[46:47], -v[58:59]
	v_fmac_f64_e32 v[46:47], v[54:55], v[42:43]
	v_add_f64 v[42:43], v[58:59], v[46:47]
	v_add_f64 v[60:61], v[52:53], -v[42:43]
	v_add_f64 v[52:53], v[52:53], -v[60:61]
	;; [unrolled: 1-line block ×4, first 2 shown]
	v_add_f64 v[42:43], v[48:49], v[42:43]
	v_add_f64 v[46:47], v[58:59], -v[46:47]
	v_add_f64 v[42:43], v[46:47], v[42:43]
	v_add_f64 v[46:47], v[50:51], v[54:55]
	;; [unrolled: 1-line block ×3, first 2 shown]
	v_add_f64 v[48:49], v[46:47], -v[50:51]
	v_mul_f64 v[42:43], v[56:57], v[42:43]
	v_add_f64 v[48:49], v[54:55], -v[48:49]
	v_add_f64 v[42:43], v[48:49], v[42:43]
	v_add_f64 v[48:49], v[46:47], v[42:43]
	v_add_f64 v[46:47], v[48:49], -v[46:47]
	s_mov_b32 s26, 0xbf559e2b
	v_add_f64 v[42:43], v[42:43], -v[46:47]
	v_mul_f64 v[46:47], v[48:49], v[48:49]
	v_mov_b32_e32 v50, 0x6b47b09a
	v_mov_b32_e32 v51, 0x3fc38538
	s_mov_b32 s27, 0x3fc3ab76
	v_fmac_f64_e32 v[50:51], s[26:27], v[46:47]
	v_mov_b32_e32 v52, 0xd7f4df2e
	v_mov_b32_e32 v53, 0x3fc7474d
	v_fmac_f64_e32 v[52:53], v[46:47], v[50:51]
	v_mov_b32_e32 v50, 0x16291751
	v_mov_b32_e32 v51, 0x3fcc71c0
	;; [unrolled: 3-line block ×5, first 2 shown]
	v_fmac_f64_e32 v[52:53], v[46:47], v[50:51]
	v_cvt_f64_i32_e32 v[50:51], v64
	v_mul_f64 v[54:55], v[50:51], s[38:39]
	v_fma_f64 v[56:57], v[50:51], s[38:39], -v[54:55]
	v_fmac_f64_e32 v[56:57], s[40:41], v[50:51]
	v_add_f64 v[50:51], v[54:55], v[56:57]
	v_add_f64 v[54:55], v[50:51], -v[54:55]
	v_mul_f64 v[46:47], v[48:49], v[46:47]
	v_add_f64 v[54:55], v[56:57], -v[54:55]
	v_ldexp_f64 v[56:57], v[48:49], 1
	v_mul_f64 v[46:47], v[46:47], v[52:53]
	v_add_f64 v[48:49], v[56:57], v[46:47]
	v_add_f64 v[52:53], v[48:49], -v[56:57]
	v_ldexp_f64 v[42:43], v[42:43], 1
	v_add_f64 v[46:47], v[46:47], -v[52:53]
	v_add_f64 v[42:43], v[42:43], v[46:47]
	v_add_f64 v[46:47], v[48:49], v[42:43]
	v_add_f64 v[48:49], v[46:47], -v[48:49]
	v_add_f64 v[42:43], v[42:43], -v[48:49]
	v_add_f64 v[48:49], v[50:51], v[46:47]
	v_add_f64 v[52:53], v[48:49], -v[50:51]
	v_add_f64 v[56:57], v[48:49], -v[52:53]
	;; [unrolled: 1-line block ×4, first 2 shown]
	v_add_f64 v[46:47], v[46:47], v[50:51]
	v_add_f64 v[50:51], v[54:55], v[42:43]
	v_add_f64 v[52:53], v[50:51], -v[54:55]
	v_add_f64 v[46:47], v[50:51], v[46:47]
	v_add_f64 v[56:57], v[50:51], -v[52:53]
	;; [unrolled: 2-line block ×3, first 2 shown]
	v_add_f64 v[42:43], v[42:43], -v[52:53]
	v_add_f64 v[48:49], v[50:51], -v[48:49]
	v_add_f64 v[42:43], v[42:43], v[54:55]
	v_add_f64 v[46:47], v[46:47], -v[48:49]
	s_mov_b32 s26, 0
	v_add_f64 v[42:43], v[42:43], v[46:47]
	s_mov_b32 s27, 0x7ff00000
	v_add_f64 v[42:43], v[50:51], v[42:43]
	v_cmp_neq_f64_e64 s[26:27], s[26:27], v[40:41]
	s_nop 1
	v_cndmask_b32_e64 v43, v45, v43, s[26:27]
	v_mov_b32_e32 v45, 0x7ff80000
	v_cndmask_b32_e64 v43, v45, v43, s[28:29]
	v_cmp_nge_f64_e64 s[28:29], -1.0, v[40:41]
	s_and_b64 s[26:27], s[28:29], s[26:27]
	v_cndmask_b32_e64 v42, 0, v42, s[26:27]
	v_mov_b32_e32 v45, 0xfff00000
	v_cmp_neq_f64_e64 s[26:27], -1.0, v[40:41]
	s_nop 1
	v_cndmask_b32_e64 v43, v45, v43, s[26:27]
	v_add_f64 v[40:41], v[16:17], v[42:43]
.LBB18_36:
	s_or_b64 exec, exec, s[36:37]
	v_mov_b64_e32 v[16:17], v[40:41]
	v_mov_b32_e32 v42, v40
	v_mov_b32_e32 v43, v41
.LBB18_37:
	s_or_b64 exec, exec, s[34:35]
	v_mov_b32_dpp v40, v42 row_shr:4 row_mask:0xf bank_mask:0xf
	v_mov_b32_dpp v41, v43 row_shr:4 row_mask:0xf bank_mask:0xf
	v_cmp_lt_u32_e64 s[26:27], 3, v44
	s_and_saveexec_b64 s[34:35], s[26:27]
	s_cbranch_execz .LBB18_41
; %bb.38:
	v_max_f64 v[46:47], v[40:41], v[40:41]
	v_max_f64 v[48:49], v[16:17], v[16:17]
	v_min_f64 v[42:43], v[46:47], v[48:49]
	v_cmp_u_f64_e64 s[26:27], v[40:41], v[40:41]
	v_max_f64 v[46:47], v[46:47], v[48:49]
	v_cmp_u_f64_e64 s[28:29], v[16:17], v[16:17]
	v_cndmask_b32_e64 v43, v43, v41, s[26:27]
	v_cndmask_b32_e64 v42, v42, v40, s[26:27]
	;; [unrolled: 1-line block ×8, first 2 shown]
	s_movk_i32 s28, 0x1f8
	v_cmp_neq_f64_e64 s[26:27], v[42:43], v[16:17]
	v_cmp_class_f64_e64 s[28:29], v[42:43], s28
	s_or_b64 s[26:27], s[26:27], s[28:29]
	s_and_saveexec_b64 s[36:37], s[26:27]
	s_cbranch_execz .LBB18_40
; %bb.39:
	s_mov_b32 s26, 0x652b82fe
	v_add_f64 v[40:41], v[42:43], -v[16:17]
	s_mov_b32 s27, 0x3ff71547
	v_mul_f64 v[42:43], v[40:41], s[26:27]
	v_rndne_f64_e32 v[42:43], v[42:43]
	s_mov_b32 s39, 0xbfe62e42
	s_mov_b32 s38, 0xfefa39ef
	v_fma_f64 v[46:47], s[38:39], v[42:43], v[40:41]
	s_mov_b32 s41, 0xbc7abc9e
	s_mov_b32 s40, 0x3b39803f
	;; [unrolled: 1-line block ×3, first 2 shown]
	v_fmac_f64_e32 v[46:47], s[40:41], v[42:43]
	v_mov_b32_e32 v48, 0xfca7ab0c
	v_mov_b32_e32 v49, 0x3e928af3
	s_mov_b32 s27, 0x3e5ade15
	v_fmac_f64_e32 v[48:49], s[26:27], v[46:47]
	v_mov_b32_e32 v50, 0x623fde64
	v_mov_b32_e32 v51, 0x3ec71dee
	v_fmac_f64_e32 v[50:51], v[46:47], v[48:49]
	v_mov_b32_e32 v48, 0x7c89e6b0
	v_mov_b32_e32 v49, 0x3efa0199
	;; [unrolled: 3-line block ×8, first 2 shown]
	v_fmac_f64_e32 v[48:49], v[46:47], v[50:51]
	v_fma_f64 v[48:49], v[46:47], v[48:49], 1.0
	s_mov_b32 s26, 0
	s_mov_b32 s28, 0
	v_fma_f64 v[46:47], v[46:47], v[48:49], 1.0
	v_cvt_i32_f64_e32 v42, v[42:43]
	s_mov_b32 s27, 0x40900000
	s_mov_b32 s29, 0xc090cc00
	v_ldexp_f64 v[42:43], v[46:47], v42
	v_mov_b32_e32 v45, 0x7ff00000
	v_cmp_nlt_f64_e64 s[26:27], s[26:27], v[40:41]
	v_cmp_ngt_f64_e64 s[28:29], s[28:29], v[40:41]
	s_mov_b32 s39, 0x3fe62e42
	v_cndmask_b32_e64 v43, v45, v43, s[26:27]
	s_and_b64 s[26:27], s[28:29], s[26:27]
	v_cndmask_b32_e64 v41, 0, v43, s[28:29]
	v_cndmask_b32_e64 v40, 0, v42, s[26:27]
	v_add_f64 v[42:43], v[40:41], 1.0
	v_add_f64 v[46:47], v[42:43], -1.0
	v_add_f64 v[48:49], v[46:47], -v[42:43]
	v_add_f64 v[48:49], v[48:49], 1.0
	v_add_f64 v[46:47], v[40:41], -v[46:47]
	s_mov_b32 s26, 0x55555555
	v_add_f64 v[46:47], v[46:47], v[48:49]
	v_frexp_mant_f64_e32 v[48:49], v[42:43]
	s_mov_b32 s27, 0x3fe55555
	v_frexp_exp_i32_f64_e32 v50, v[42:43]
	v_cmp_gt_f64_e64 s[26:27], s[26:27], v[48:49]
	s_mov_b32 s41, 0x3c7abc9e
	v_cmp_ngt_f64_e64 s[28:29], -1.0, v[40:41]
	v_subbrev_co_u32_e64 v64, s[26:27], 0, v50, s[26:27]
	v_sub_u32_e32 v48, 0, v64
	v_ldexp_f64 v[42:43], v[42:43], v48
	v_ldexp_f64 v[46:47], v[46:47], v48
	v_add_f64 v[48:49], v[42:43], -1.0
	v_add_f64 v[54:55], v[42:43], 1.0
	v_add_f64 v[50:51], v[48:49], 1.0
	v_add_f64 v[56:57], v[54:55], -1.0
	v_add_f64 v[50:51], v[42:43], -v[50:51]
	v_add_f64 v[42:43], v[42:43], -v[56:57]
	v_add_f64 v[42:43], v[46:47], v[42:43]
	v_add_f64 v[50:51], v[46:47], v[50:51]
	;; [unrolled: 1-line block ×3, first 2 shown]
	v_rcp_f64_e32 v[56:57], v[46:47]
	v_add_f64 v[52:53], v[48:49], v[50:51]
	v_add_f64 v[48:49], v[52:53], -v[48:49]
	v_add_f64 v[48:49], v[50:51], -v[48:49]
	;; [unrolled: 1-line block ×4, first 2 shown]
	v_fma_f64 v[50:51], -v[46:47], v[56:57], 1.0
	v_fmac_f64_e32 v[56:57], v[50:51], v[56:57]
	v_fma_f64 v[50:51], -v[46:47], v[56:57], 1.0
	v_fmac_f64_e32 v[56:57], v[50:51], v[56:57]
	v_mul_f64 v[50:51], v[52:53], v[56:57]
	v_mul_f64 v[54:55], v[46:47], v[50:51]
	v_fma_f64 v[58:59], v[50:51], v[46:47], -v[54:55]
	v_fmac_f64_e32 v[58:59], v[50:51], v[42:43]
	v_add_f64 v[60:61], v[54:55], v[58:59]
	v_add_f64 v[62:63], v[52:53], -v[60:61]
	v_add_f64 v[52:53], v[52:53], -v[62:63]
	;; [unrolled: 1-line block ×4, first 2 shown]
	v_add_f64 v[48:49], v[48:49], v[52:53]
	v_add_f64 v[52:53], v[54:55], -v[58:59]
	v_add_f64 v[48:49], v[52:53], v[48:49]
	v_add_f64 v[52:53], v[62:63], v[48:49]
	v_add_f64 v[54:55], v[62:63], -v[52:53]
	v_add_f64 v[48:49], v[48:49], v[54:55]
	v_mul_f64 v[54:55], v[56:57], v[52:53]
	v_mul_f64 v[58:59], v[46:47], v[54:55]
	v_fma_f64 v[46:47], v[54:55], v[46:47], -v[58:59]
	v_fmac_f64_e32 v[46:47], v[54:55], v[42:43]
	v_add_f64 v[42:43], v[58:59], v[46:47]
	v_add_f64 v[60:61], v[52:53], -v[42:43]
	v_add_f64 v[52:53], v[52:53], -v[60:61]
	;; [unrolled: 1-line block ×4, first 2 shown]
	v_add_f64 v[42:43], v[48:49], v[42:43]
	v_add_f64 v[46:47], v[58:59], -v[46:47]
	v_add_f64 v[42:43], v[46:47], v[42:43]
	v_add_f64 v[46:47], v[50:51], v[54:55]
	;; [unrolled: 1-line block ×3, first 2 shown]
	v_add_f64 v[48:49], v[46:47], -v[50:51]
	v_mul_f64 v[42:43], v[56:57], v[42:43]
	v_add_f64 v[48:49], v[54:55], -v[48:49]
	v_add_f64 v[42:43], v[48:49], v[42:43]
	v_add_f64 v[48:49], v[46:47], v[42:43]
	v_add_f64 v[46:47], v[48:49], -v[46:47]
	s_mov_b32 s26, 0xbf559e2b
	v_add_f64 v[42:43], v[42:43], -v[46:47]
	v_mul_f64 v[46:47], v[48:49], v[48:49]
	v_mov_b32_e32 v50, 0x6b47b09a
	v_mov_b32_e32 v51, 0x3fc38538
	s_mov_b32 s27, 0x3fc3ab76
	v_fmac_f64_e32 v[50:51], s[26:27], v[46:47]
	v_mov_b32_e32 v52, 0xd7f4df2e
	v_mov_b32_e32 v53, 0x3fc7474d
	v_fmac_f64_e32 v[52:53], v[46:47], v[50:51]
	v_mov_b32_e32 v50, 0x16291751
	v_mov_b32_e32 v51, 0x3fcc71c0
	;; [unrolled: 3-line block ×5, first 2 shown]
	v_fmac_f64_e32 v[52:53], v[46:47], v[50:51]
	v_cvt_f64_i32_e32 v[50:51], v64
	v_mul_f64 v[54:55], v[50:51], s[38:39]
	v_fma_f64 v[56:57], v[50:51], s[38:39], -v[54:55]
	v_fmac_f64_e32 v[56:57], s[40:41], v[50:51]
	v_add_f64 v[50:51], v[54:55], v[56:57]
	v_add_f64 v[54:55], v[50:51], -v[54:55]
	v_mul_f64 v[46:47], v[48:49], v[46:47]
	v_add_f64 v[54:55], v[56:57], -v[54:55]
	v_ldexp_f64 v[56:57], v[48:49], 1
	v_mul_f64 v[46:47], v[46:47], v[52:53]
	v_add_f64 v[48:49], v[56:57], v[46:47]
	v_add_f64 v[52:53], v[48:49], -v[56:57]
	v_ldexp_f64 v[42:43], v[42:43], 1
	v_add_f64 v[46:47], v[46:47], -v[52:53]
	v_add_f64 v[42:43], v[42:43], v[46:47]
	v_add_f64 v[46:47], v[48:49], v[42:43]
	v_add_f64 v[48:49], v[46:47], -v[48:49]
	v_add_f64 v[42:43], v[42:43], -v[48:49]
	v_add_f64 v[48:49], v[50:51], v[46:47]
	v_add_f64 v[52:53], v[48:49], -v[50:51]
	v_add_f64 v[56:57], v[48:49], -v[52:53]
	;; [unrolled: 1-line block ×4, first 2 shown]
	v_add_f64 v[46:47], v[46:47], v[50:51]
	v_add_f64 v[50:51], v[54:55], v[42:43]
	v_add_f64 v[52:53], v[50:51], -v[54:55]
	v_add_f64 v[46:47], v[50:51], v[46:47]
	v_add_f64 v[56:57], v[50:51], -v[52:53]
	;; [unrolled: 2-line block ×3, first 2 shown]
	v_add_f64 v[42:43], v[42:43], -v[52:53]
	v_add_f64 v[48:49], v[50:51], -v[48:49]
	v_add_f64 v[42:43], v[42:43], v[54:55]
	v_add_f64 v[46:47], v[46:47], -v[48:49]
	s_mov_b32 s26, 0
	v_add_f64 v[42:43], v[42:43], v[46:47]
	s_mov_b32 s27, 0x7ff00000
	v_add_f64 v[42:43], v[50:51], v[42:43]
	v_cmp_neq_f64_e64 s[26:27], s[26:27], v[40:41]
	s_nop 1
	v_cndmask_b32_e64 v43, v45, v43, s[26:27]
	v_mov_b32_e32 v45, 0x7ff80000
	v_cndmask_b32_e64 v43, v45, v43, s[28:29]
	v_cmp_nge_f64_e64 s[28:29], -1.0, v[40:41]
	s_and_b64 s[26:27], s[28:29], s[26:27]
	v_cndmask_b32_e64 v42, 0, v42, s[26:27]
	v_mov_b32_e32 v45, 0xfff00000
	v_cmp_neq_f64_e64 s[26:27], -1.0, v[40:41]
	s_nop 1
	v_cndmask_b32_e64 v43, v45, v43, s[26:27]
	v_add_f64 v[40:41], v[16:17], v[42:43]
.LBB18_40:
	s_or_b64 exec, exec, s[36:37]
	v_mov_b64_e32 v[16:17], v[40:41]
	v_mov_b32_e32 v42, v40
	v_mov_b32_e32 v43, v41
.LBB18_41:
	s_or_b64 exec, exec, s[34:35]
	v_mov_b32_dpp v40, v42 row_shr:8 row_mask:0xf bank_mask:0xf
	v_mov_b32_dpp v41, v43 row_shr:8 row_mask:0xf bank_mask:0xf
	v_cmp_lt_u32_e64 s[26:27], 7, v44
	s_and_saveexec_b64 s[34:35], s[26:27]
	s_cbranch_execz .LBB18_45
; %bb.42:
	v_max_f64 v[44:45], v[40:41], v[40:41]
	v_max_f64 v[46:47], v[16:17], v[16:17]
	v_min_f64 v[42:43], v[44:45], v[46:47]
	v_cmp_u_f64_e64 s[26:27], v[40:41], v[40:41]
	v_max_f64 v[44:45], v[44:45], v[46:47]
	v_cmp_u_f64_e64 s[28:29], v[16:17], v[16:17]
	v_cndmask_b32_e64 v43, v43, v41, s[26:27]
	v_cndmask_b32_e64 v42, v42, v40, s[26:27]
	;; [unrolled: 1-line block ×8, first 2 shown]
	s_movk_i32 s28, 0x1f8
	v_cmp_neq_f64_e64 s[26:27], v[42:43], v[16:17]
	v_cmp_class_f64_e64 s[28:29], v[42:43], s28
	s_or_b64 s[26:27], s[26:27], s[28:29]
	s_and_saveexec_b64 s[36:37], s[26:27]
	s_cbranch_execz .LBB18_44
; %bb.43:
	s_mov_b32 s26, 0x652b82fe
	v_add_f64 v[40:41], v[42:43], -v[16:17]
	s_mov_b32 s27, 0x3ff71547
	v_mul_f64 v[42:43], v[40:41], s[26:27]
	v_rndne_f64_e32 v[42:43], v[42:43]
	s_mov_b32 s39, 0xbfe62e42
	s_mov_b32 s38, 0xfefa39ef
	v_fma_f64 v[44:45], s[38:39], v[42:43], v[40:41]
	s_mov_b32 s41, 0xbc7abc9e
	s_mov_b32 s40, 0x3b39803f
	;; [unrolled: 1-line block ×3, first 2 shown]
	v_fmac_f64_e32 v[44:45], s[40:41], v[42:43]
	v_mov_b32_e32 v46, 0xfca7ab0c
	v_mov_b32_e32 v47, 0x3e928af3
	s_mov_b32 s27, 0x3e5ade15
	v_fmac_f64_e32 v[46:47], s[26:27], v[44:45]
	v_mov_b32_e32 v48, 0x623fde64
	v_mov_b32_e32 v49, 0x3ec71dee
	v_fmac_f64_e32 v[48:49], v[44:45], v[46:47]
	v_mov_b32_e32 v46, 0x7c89e6b0
	v_mov_b32_e32 v47, 0x3efa0199
	;; [unrolled: 3-line block ×8, first 2 shown]
	v_fmac_f64_e32 v[46:47], v[44:45], v[48:49]
	v_fma_f64 v[46:47], v[44:45], v[46:47], 1.0
	s_mov_b32 s26, 0
	s_mov_b32 s28, 0
	v_fma_f64 v[44:45], v[44:45], v[46:47], 1.0
	v_cvt_i32_f64_e32 v42, v[42:43]
	s_mov_b32 s27, 0x40900000
	s_mov_b32 s29, 0xc090cc00
	v_ldexp_f64 v[42:43], v[44:45], v42
	v_mov_b32_e32 v62, 0x7ff00000
	v_cmp_nlt_f64_e64 s[26:27], s[26:27], v[40:41]
	v_cmp_ngt_f64_e64 s[28:29], s[28:29], v[40:41]
	s_mov_b32 s39, 0x3fe62e42
	v_cndmask_b32_e64 v43, v62, v43, s[26:27]
	s_and_b64 s[26:27], s[28:29], s[26:27]
	v_cndmask_b32_e64 v41, 0, v43, s[28:29]
	v_cndmask_b32_e64 v40, 0, v42, s[26:27]
	v_add_f64 v[42:43], v[40:41], 1.0
	v_add_f64 v[44:45], v[42:43], -1.0
	v_add_f64 v[46:47], v[44:45], -v[42:43]
	v_add_f64 v[46:47], v[46:47], 1.0
	v_add_f64 v[44:45], v[40:41], -v[44:45]
	s_mov_b32 s26, 0x55555555
	v_add_f64 v[44:45], v[44:45], v[46:47]
	v_frexp_mant_f64_e32 v[46:47], v[42:43]
	s_mov_b32 s27, 0x3fe55555
	v_frexp_exp_i32_f64_e32 v48, v[42:43]
	v_cmp_gt_f64_e64 s[26:27], s[26:27], v[46:47]
	s_mov_b32 s41, 0x3c7abc9e
	v_cmp_ngt_f64_e64 s[28:29], -1.0, v[40:41]
	v_subbrev_co_u32_e64 v63, s[26:27], 0, v48, s[26:27]
	v_sub_u32_e32 v46, 0, v63
	v_ldexp_f64 v[42:43], v[42:43], v46
	v_ldexp_f64 v[44:45], v[44:45], v46
	v_add_f64 v[46:47], v[42:43], -1.0
	v_add_f64 v[52:53], v[42:43], 1.0
	v_add_f64 v[48:49], v[46:47], 1.0
	v_add_f64 v[54:55], v[52:53], -1.0
	v_add_f64 v[48:49], v[42:43], -v[48:49]
	v_add_f64 v[42:43], v[42:43], -v[54:55]
	v_add_f64 v[42:43], v[44:45], v[42:43]
	v_add_f64 v[48:49], v[44:45], v[48:49]
	;; [unrolled: 1-line block ×3, first 2 shown]
	v_rcp_f64_e32 v[54:55], v[44:45]
	v_add_f64 v[50:51], v[46:47], v[48:49]
	v_add_f64 v[46:47], v[50:51], -v[46:47]
	v_add_f64 v[46:47], v[48:49], -v[46:47]
	;; [unrolled: 1-line block ×4, first 2 shown]
	v_fma_f64 v[48:49], -v[44:45], v[54:55], 1.0
	v_fmac_f64_e32 v[54:55], v[48:49], v[54:55]
	v_fma_f64 v[48:49], -v[44:45], v[54:55], 1.0
	v_fmac_f64_e32 v[54:55], v[48:49], v[54:55]
	v_mul_f64 v[48:49], v[50:51], v[54:55]
	v_mul_f64 v[52:53], v[44:45], v[48:49]
	v_fma_f64 v[56:57], v[48:49], v[44:45], -v[52:53]
	v_fmac_f64_e32 v[56:57], v[48:49], v[42:43]
	v_add_f64 v[58:59], v[52:53], v[56:57]
	v_add_f64 v[60:61], v[50:51], -v[58:59]
	v_add_f64 v[50:51], v[50:51], -v[60:61]
	;; [unrolled: 1-line block ×4, first 2 shown]
	v_add_f64 v[46:47], v[46:47], v[50:51]
	v_add_f64 v[50:51], v[52:53], -v[56:57]
	v_add_f64 v[46:47], v[50:51], v[46:47]
	v_add_f64 v[50:51], v[60:61], v[46:47]
	v_add_f64 v[52:53], v[60:61], -v[50:51]
	v_add_f64 v[46:47], v[46:47], v[52:53]
	v_mul_f64 v[52:53], v[54:55], v[50:51]
	v_mul_f64 v[56:57], v[44:45], v[52:53]
	v_fma_f64 v[44:45], v[52:53], v[44:45], -v[56:57]
	v_fmac_f64_e32 v[44:45], v[52:53], v[42:43]
	v_add_f64 v[42:43], v[56:57], v[44:45]
	v_add_f64 v[58:59], v[50:51], -v[42:43]
	v_add_f64 v[50:51], v[50:51], -v[58:59]
	;; [unrolled: 1-line block ×4, first 2 shown]
	v_add_f64 v[42:43], v[46:47], v[42:43]
	v_add_f64 v[44:45], v[56:57], -v[44:45]
	v_add_f64 v[42:43], v[44:45], v[42:43]
	v_add_f64 v[44:45], v[48:49], v[52:53]
	;; [unrolled: 1-line block ×3, first 2 shown]
	v_add_f64 v[46:47], v[44:45], -v[48:49]
	v_mul_f64 v[42:43], v[54:55], v[42:43]
	v_add_f64 v[46:47], v[52:53], -v[46:47]
	v_add_f64 v[42:43], v[46:47], v[42:43]
	v_add_f64 v[46:47], v[44:45], v[42:43]
	v_add_f64 v[44:45], v[46:47], -v[44:45]
	s_mov_b32 s26, 0xbf559e2b
	v_add_f64 v[42:43], v[42:43], -v[44:45]
	v_mul_f64 v[44:45], v[46:47], v[46:47]
	v_mov_b32_e32 v48, 0x6b47b09a
	v_mov_b32_e32 v49, 0x3fc38538
	s_mov_b32 s27, 0x3fc3ab76
	v_fmac_f64_e32 v[48:49], s[26:27], v[44:45]
	v_mov_b32_e32 v50, 0xd7f4df2e
	v_mov_b32_e32 v51, 0x3fc7474d
	v_fmac_f64_e32 v[50:51], v[44:45], v[48:49]
	v_mov_b32_e32 v48, 0x16291751
	v_mov_b32_e32 v49, 0x3fcc71c0
	v_fmac_f64_e32 v[48:49], v[44:45], v[50:51]
	v_mov_b32_e32 v50, 0x9b27acf1
	v_mov_b32_e32 v51, 0x3fd24924
	v_fmac_f64_e32 v[50:51], v[44:45], v[48:49]
	v_mov_b32_e32 v48, 0x998ef7b6
	v_mov_b32_e32 v49, 0x3fd99999
	v_fmac_f64_e32 v[48:49], v[44:45], v[50:51]
	v_mov_b32_e32 v50, 0x55555780
	v_mov_b32_e32 v51, 0x3fe55555
	v_fmac_f64_e32 v[50:51], v[44:45], v[48:49]
	v_cvt_f64_i32_e32 v[48:49], v63
	v_mul_f64 v[52:53], v[48:49], s[38:39]
	v_fma_f64 v[54:55], v[48:49], s[38:39], -v[52:53]
	v_fmac_f64_e32 v[54:55], s[40:41], v[48:49]
	v_add_f64 v[48:49], v[52:53], v[54:55]
	v_add_f64 v[52:53], v[48:49], -v[52:53]
	v_mul_f64 v[44:45], v[46:47], v[44:45]
	v_add_f64 v[52:53], v[54:55], -v[52:53]
	v_ldexp_f64 v[54:55], v[46:47], 1
	v_mul_f64 v[44:45], v[44:45], v[50:51]
	v_add_f64 v[46:47], v[54:55], v[44:45]
	v_add_f64 v[50:51], v[46:47], -v[54:55]
	v_ldexp_f64 v[42:43], v[42:43], 1
	v_add_f64 v[44:45], v[44:45], -v[50:51]
	v_add_f64 v[42:43], v[42:43], v[44:45]
	v_add_f64 v[44:45], v[46:47], v[42:43]
	v_add_f64 v[46:47], v[44:45], -v[46:47]
	v_add_f64 v[42:43], v[42:43], -v[46:47]
	v_add_f64 v[46:47], v[48:49], v[44:45]
	v_add_f64 v[50:51], v[46:47], -v[48:49]
	v_add_f64 v[54:55], v[46:47], -v[50:51]
	;; [unrolled: 1-line block ×4, first 2 shown]
	v_add_f64 v[44:45], v[44:45], v[48:49]
	v_add_f64 v[48:49], v[52:53], v[42:43]
	v_add_f64 v[50:51], v[48:49], -v[52:53]
	v_add_f64 v[44:45], v[48:49], v[44:45]
	v_add_f64 v[54:55], v[48:49], -v[50:51]
	;; [unrolled: 2-line block ×3, first 2 shown]
	v_add_f64 v[42:43], v[42:43], -v[50:51]
	v_add_f64 v[46:47], v[48:49], -v[46:47]
	v_add_f64 v[42:43], v[42:43], v[52:53]
	v_add_f64 v[44:45], v[44:45], -v[46:47]
	s_mov_b32 s26, 0
	v_add_f64 v[42:43], v[42:43], v[44:45]
	s_mov_b32 s27, 0x7ff00000
	v_add_f64 v[42:43], v[48:49], v[42:43]
	v_cmp_neq_f64_e64 s[26:27], s[26:27], v[40:41]
	v_mov_b32_e32 v44, 0x7ff80000
	s_nop 0
	v_cndmask_b32_e64 v43, v62, v43, s[26:27]
	v_cndmask_b32_e64 v43, v44, v43, s[28:29]
	v_cmp_nge_f64_e64 s[28:29], -1.0, v[40:41]
	s_and_b64 s[26:27], s[28:29], s[26:27]
	v_cndmask_b32_e64 v42, 0, v42, s[26:27]
	v_mov_b32_e32 v44, 0xfff00000
	v_cmp_neq_f64_e64 s[26:27], -1.0, v[40:41]
	s_nop 1
	v_cndmask_b32_e64 v43, v44, v43, s[26:27]
	v_add_f64 v[40:41], v[16:17], v[42:43]
.LBB18_44:
	s_or_b64 exec, exec, s[36:37]
	v_mov_b64_e32 v[16:17], v[40:41]
	v_mov_b32_e32 v42, v40
	v_mov_b32_e32 v43, v41
.LBB18_45:
	s_or_b64 exec, exec, s[34:35]
	v_and_b32_e32 v44, 16, v19
	v_mov_b32_dpp v40, v42 row_bcast:15 row_mask:0xf bank_mask:0xf
	v_mov_b32_dpp v41, v43 row_bcast:15 row_mask:0xf bank_mask:0xf
	v_cmp_ne_u32_e64 s[26:27], 0, v44
	s_and_saveexec_b64 s[34:35], s[26:27]
	s_cbranch_execz .LBB18_49
; %bb.46:
	v_max_f64 v[44:45], v[40:41], v[40:41]
	v_max_f64 v[46:47], v[16:17], v[16:17]
	v_min_f64 v[42:43], v[44:45], v[46:47]
	v_cmp_u_f64_e64 s[26:27], v[40:41], v[40:41]
	v_max_f64 v[44:45], v[44:45], v[46:47]
	v_cmp_u_f64_e64 s[28:29], v[16:17], v[16:17]
	v_cndmask_b32_e64 v43, v43, v41, s[26:27]
	v_cndmask_b32_e64 v42, v42, v40, s[26:27]
	;; [unrolled: 1-line block ×8, first 2 shown]
	s_movk_i32 s28, 0x1f8
	v_cmp_neq_f64_e64 s[26:27], v[42:43], v[16:17]
	v_cmp_class_f64_e64 s[28:29], v[42:43], s28
	s_or_b64 s[26:27], s[26:27], s[28:29]
	s_and_saveexec_b64 s[36:37], s[26:27]
	s_cbranch_execz .LBB18_48
; %bb.47:
	s_mov_b32 s26, 0x652b82fe
	v_add_f64 v[40:41], v[42:43], -v[16:17]
	s_mov_b32 s27, 0x3ff71547
	v_mul_f64 v[42:43], v[40:41], s[26:27]
	v_rndne_f64_e32 v[42:43], v[42:43]
	s_mov_b32 s39, 0xbfe62e42
	s_mov_b32 s38, 0xfefa39ef
	v_fma_f64 v[44:45], s[38:39], v[42:43], v[40:41]
	s_mov_b32 s41, 0xbc7abc9e
	s_mov_b32 s40, 0x3b39803f
	;; [unrolled: 1-line block ×3, first 2 shown]
	v_fmac_f64_e32 v[44:45], s[40:41], v[42:43]
	v_mov_b32_e32 v46, 0xfca7ab0c
	v_mov_b32_e32 v47, 0x3e928af3
	s_mov_b32 s27, 0x3e5ade15
	v_fmac_f64_e32 v[46:47], s[26:27], v[44:45]
	v_mov_b32_e32 v48, 0x623fde64
	v_mov_b32_e32 v49, 0x3ec71dee
	v_fmac_f64_e32 v[48:49], v[44:45], v[46:47]
	v_mov_b32_e32 v46, 0x7c89e6b0
	v_mov_b32_e32 v47, 0x3efa0199
	;; [unrolled: 3-line block ×8, first 2 shown]
	v_fmac_f64_e32 v[46:47], v[44:45], v[48:49]
	v_fma_f64 v[46:47], v[44:45], v[46:47], 1.0
	s_mov_b32 s26, 0
	s_mov_b32 s28, 0
	v_fma_f64 v[44:45], v[44:45], v[46:47], 1.0
	v_cvt_i32_f64_e32 v42, v[42:43]
	s_mov_b32 s27, 0x40900000
	s_mov_b32 s29, 0xc090cc00
	v_ldexp_f64 v[42:43], v[44:45], v42
	v_mov_b32_e32 v62, 0x7ff00000
	v_cmp_nlt_f64_e64 s[26:27], s[26:27], v[40:41]
	v_cmp_ngt_f64_e64 s[28:29], s[28:29], v[40:41]
	s_mov_b32 s39, 0x3fe62e42
	v_cndmask_b32_e64 v43, v62, v43, s[26:27]
	s_and_b64 s[26:27], s[28:29], s[26:27]
	v_cndmask_b32_e64 v41, 0, v43, s[28:29]
	v_cndmask_b32_e64 v40, 0, v42, s[26:27]
	v_add_f64 v[42:43], v[40:41], 1.0
	v_add_f64 v[44:45], v[42:43], -1.0
	v_add_f64 v[46:47], v[44:45], -v[42:43]
	v_add_f64 v[46:47], v[46:47], 1.0
	v_add_f64 v[44:45], v[40:41], -v[44:45]
	s_mov_b32 s26, 0x55555555
	v_add_f64 v[44:45], v[44:45], v[46:47]
	v_frexp_mant_f64_e32 v[46:47], v[42:43]
	s_mov_b32 s27, 0x3fe55555
	v_frexp_exp_i32_f64_e32 v48, v[42:43]
	v_cmp_gt_f64_e64 s[26:27], s[26:27], v[46:47]
	s_mov_b32 s41, 0x3c7abc9e
	v_cmp_ngt_f64_e64 s[28:29], -1.0, v[40:41]
	v_subbrev_co_u32_e64 v63, s[26:27], 0, v48, s[26:27]
	v_sub_u32_e32 v46, 0, v63
	v_ldexp_f64 v[42:43], v[42:43], v46
	v_ldexp_f64 v[44:45], v[44:45], v46
	v_add_f64 v[46:47], v[42:43], -1.0
	v_add_f64 v[52:53], v[42:43], 1.0
	v_add_f64 v[48:49], v[46:47], 1.0
	v_add_f64 v[54:55], v[52:53], -1.0
	v_add_f64 v[48:49], v[42:43], -v[48:49]
	v_add_f64 v[42:43], v[42:43], -v[54:55]
	v_add_f64 v[42:43], v[44:45], v[42:43]
	v_add_f64 v[48:49], v[44:45], v[48:49]
	;; [unrolled: 1-line block ×3, first 2 shown]
	v_rcp_f64_e32 v[54:55], v[44:45]
	v_add_f64 v[50:51], v[46:47], v[48:49]
	v_add_f64 v[46:47], v[50:51], -v[46:47]
	v_add_f64 v[46:47], v[48:49], -v[46:47]
	;; [unrolled: 1-line block ×4, first 2 shown]
	v_fma_f64 v[48:49], -v[44:45], v[54:55], 1.0
	v_fmac_f64_e32 v[54:55], v[48:49], v[54:55]
	v_fma_f64 v[48:49], -v[44:45], v[54:55], 1.0
	v_fmac_f64_e32 v[54:55], v[48:49], v[54:55]
	v_mul_f64 v[48:49], v[50:51], v[54:55]
	v_mul_f64 v[52:53], v[44:45], v[48:49]
	v_fma_f64 v[56:57], v[48:49], v[44:45], -v[52:53]
	v_fmac_f64_e32 v[56:57], v[48:49], v[42:43]
	v_add_f64 v[58:59], v[52:53], v[56:57]
	v_add_f64 v[60:61], v[50:51], -v[58:59]
	v_add_f64 v[50:51], v[50:51], -v[60:61]
	;; [unrolled: 1-line block ×4, first 2 shown]
	v_add_f64 v[46:47], v[46:47], v[50:51]
	v_add_f64 v[50:51], v[52:53], -v[56:57]
	v_add_f64 v[46:47], v[50:51], v[46:47]
	v_add_f64 v[50:51], v[60:61], v[46:47]
	v_add_f64 v[52:53], v[60:61], -v[50:51]
	v_add_f64 v[46:47], v[46:47], v[52:53]
	v_mul_f64 v[52:53], v[54:55], v[50:51]
	v_mul_f64 v[56:57], v[44:45], v[52:53]
	v_fma_f64 v[44:45], v[52:53], v[44:45], -v[56:57]
	v_fmac_f64_e32 v[44:45], v[52:53], v[42:43]
	v_add_f64 v[42:43], v[56:57], v[44:45]
	v_add_f64 v[58:59], v[50:51], -v[42:43]
	v_add_f64 v[50:51], v[50:51], -v[58:59]
	;; [unrolled: 1-line block ×4, first 2 shown]
	v_add_f64 v[42:43], v[46:47], v[42:43]
	v_add_f64 v[44:45], v[56:57], -v[44:45]
	v_add_f64 v[42:43], v[44:45], v[42:43]
	v_add_f64 v[44:45], v[48:49], v[52:53]
	;; [unrolled: 1-line block ×3, first 2 shown]
	v_add_f64 v[46:47], v[44:45], -v[48:49]
	v_mul_f64 v[42:43], v[54:55], v[42:43]
	v_add_f64 v[46:47], v[52:53], -v[46:47]
	v_add_f64 v[42:43], v[46:47], v[42:43]
	v_add_f64 v[46:47], v[44:45], v[42:43]
	v_add_f64 v[44:45], v[46:47], -v[44:45]
	s_mov_b32 s26, 0xbf559e2b
	v_add_f64 v[42:43], v[42:43], -v[44:45]
	v_mul_f64 v[44:45], v[46:47], v[46:47]
	v_mov_b32_e32 v48, 0x6b47b09a
	v_mov_b32_e32 v49, 0x3fc38538
	s_mov_b32 s27, 0x3fc3ab76
	v_fmac_f64_e32 v[48:49], s[26:27], v[44:45]
	v_mov_b32_e32 v50, 0xd7f4df2e
	v_mov_b32_e32 v51, 0x3fc7474d
	v_fmac_f64_e32 v[50:51], v[44:45], v[48:49]
	v_mov_b32_e32 v48, 0x16291751
	v_mov_b32_e32 v49, 0x3fcc71c0
	;; [unrolled: 3-line block ×5, first 2 shown]
	v_fmac_f64_e32 v[50:51], v[44:45], v[48:49]
	v_cvt_f64_i32_e32 v[48:49], v63
	v_mul_f64 v[52:53], v[48:49], s[38:39]
	v_fma_f64 v[54:55], v[48:49], s[38:39], -v[52:53]
	v_fmac_f64_e32 v[54:55], s[40:41], v[48:49]
	v_add_f64 v[48:49], v[52:53], v[54:55]
	v_add_f64 v[52:53], v[48:49], -v[52:53]
	v_mul_f64 v[44:45], v[46:47], v[44:45]
	v_add_f64 v[52:53], v[54:55], -v[52:53]
	v_ldexp_f64 v[54:55], v[46:47], 1
	v_mul_f64 v[44:45], v[44:45], v[50:51]
	v_add_f64 v[46:47], v[54:55], v[44:45]
	v_add_f64 v[50:51], v[46:47], -v[54:55]
	v_ldexp_f64 v[42:43], v[42:43], 1
	v_add_f64 v[44:45], v[44:45], -v[50:51]
	v_add_f64 v[42:43], v[42:43], v[44:45]
	v_add_f64 v[44:45], v[46:47], v[42:43]
	v_add_f64 v[46:47], v[44:45], -v[46:47]
	v_add_f64 v[42:43], v[42:43], -v[46:47]
	v_add_f64 v[46:47], v[48:49], v[44:45]
	v_add_f64 v[50:51], v[46:47], -v[48:49]
	v_add_f64 v[54:55], v[46:47], -v[50:51]
	;; [unrolled: 1-line block ×4, first 2 shown]
	v_add_f64 v[44:45], v[44:45], v[48:49]
	v_add_f64 v[48:49], v[52:53], v[42:43]
	v_add_f64 v[50:51], v[48:49], -v[52:53]
	v_add_f64 v[44:45], v[48:49], v[44:45]
	v_add_f64 v[54:55], v[48:49], -v[50:51]
	;; [unrolled: 2-line block ×3, first 2 shown]
	v_add_f64 v[42:43], v[42:43], -v[50:51]
	v_add_f64 v[46:47], v[48:49], -v[46:47]
	v_add_f64 v[42:43], v[42:43], v[52:53]
	v_add_f64 v[44:45], v[44:45], -v[46:47]
	s_mov_b32 s26, 0
	v_add_f64 v[42:43], v[42:43], v[44:45]
	s_mov_b32 s27, 0x7ff00000
	v_add_f64 v[42:43], v[48:49], v[42:43]
	v_cmp_neq_f64_e64 s[26:27], s[26:27], v[40:41]
	v_mov_b32_e32 v44, 0x7ff80000
	s_nop 0
	v_cndmask_b32_e64 v43, v62, v43, s[26:27]
	v_cndmask_b32_e64 v43, v44, v43, s[28:29]
	v_cmp_nge_f64_e64 s[28:29], -1.0, v[40:41]
	s_and_b64 s[26:27], s[28:29], s[26:27]
	v_cndmask_b32_e64 v42, 0, v42, s[26:27]
	v_mov_b32_e32 v44, 0xfff00000
	v_cmp_neq_f64_e64 s[26:27], -1.0, v[40:41]
	s_nop 1
	v_cndmask_b32_e64 v43, v44, v43, s[26:27]
	v_add_f64 v[40:41], v[16:17], v[42:43]
.LBB18_48:
	s_or_b64 exec, exec, s[36:37]
	v_mov_b32_e32 v42, v40
	v_mov_b32_e32 v43, v41
	v_mov_b64_e32 v[16:17], v[40:41]
.LBB18_49:
	s_or_b64 exec, exec, s[34:35]
	v_mov_b32_dpp v40, v42 row_bcast:31 row_mask:0xf bank_mask:0xf
	v_mov_b32_dpp v41, v43 row_bcast:31 row_mask:0xf bank_mask:0xf
	v_cmp_lt_u32_e64 s[26:27], 31, v19
	s_and_saveexec_b64 s[34:35], s[26:27]
	s_cbranch_execz .LBB18_53
; %bb.50:
	v_max_f64 v[44:45], v[40:41], v[40:41]
	v_max_f64 v[46:47], v[16:17], v[16:17]
	v_min_f64 v[42:43], v[44:45], v[46:47]
	v_cmp_u_f64_e64 s[26:27], v[40:41], v[40:41]
	v_max_f64 v[44:45], v[44:45], v[46:47]
	v_cmp_u_f64_e64 s[28:29], v[16:17], v[16:17]
	v_cndmask_b32_e64 v43, v43, v41, s[26:27]
	v_cndmask_b32_e64 v42, v42, v40, s[26:27]
	;; [unrolled: 1-line block ×8, first 2 shown]
	s_movk_i32 s28, 0x1f8
	v_cmp_neq_f64_e64 s[26:27], v[42:43], v[16:17]
	v_cmp_class_f64_e64 s[28:29], v[42:43], s28
	s_or_b64 s[26:27], s[26:27], s[28:29]
	s_and_saveexec_b64 s[36:37], s[26:27]
	s_cbranch_execz .LBB18_52
; %bb.51:
	s_mov_b32 s26, 0x652b82fe
	v_add_f64 v[40:41], v[42:43], -v[16:17]
	s_mov_b32 s27, 0x3ff71547
	v_mul_f64 v[42:43], v[40:41], s[26:27]
	v_rndne_f64_e32 v[42:43], v[42:43]
	s_mov_b32 s39, 0xbfe62e42
	s_mov_b32 s38, 0xfefa39ef
	v_fma_f64 v[44:45], s[38:39], v[42:43], v[40:41]
	s_mov_b32 s41, 0xbc7abc9e
	s_mov_b32 s40, 0x3b39803f
	;; [unrolled: 1-line block ×3, first 2 shown]
	v_fmac_f64_e32 v[44:45], s[40:41], v[42:43]
	v_mov_b32_e32 v46, 0xfca7ab0c
	v_mov_b32_e32 v47, 0x3e928af3
	s_mov_b32 s27, 0x3e5ade15
	v_fmac_f64_e32 v[46:47], s[26:27], v[44:45]
	v_mov_b32_e32 v48, 0x623fde64
	v_mov_b32_e32 v49, 0x3ec71dee
	v_fmac_f64_e32 v[48:49], v[44:45], v[46:47]
	v_mov_b32_e32 v46, 0x7c89e6b0
	v_mov_b32_e32 v47, 0x3efa0199
	;; [unrolled: 3-line block ×8, first 2 shown]
	v_fmac_f64_e32 v[46:47], v[44:45], v[48:49]
	v_fma_f64 v[46:47], v[44:45], v[46:47], 1.0
	s_mov_b32 s26, 0
	s_mov_b32 s28, 0
	v_fma_f64 v[44:45], v[44:45], v[46:47], 1.0
	v_cvt_i32_f64_e32 v42, v[42:43]
	s_mov_b32 s27, 0x40900000
	s_mov_b32 s29, 0xc090cc00
	v_ldexp_f64 v[42:43], v[44:45], v42
	v_mov_b32_e32 v62, 0x7ff00000
	v_cmp_nlt_f64_e64 s[26:27], s[26:27], v[40:41]
	v_cmp_ngt_f64_e64 s[28:29], s[28:29], v[40:41]
	s_mov_b32 s39, 0x3fe62e42
	v_cndmask_b32_e64 v43, v62, v43, s[26:27]
	s_and_b64 s[26:27], s[28:29], s[26:27]
	v_cndmask_b32_e64 v41, 0, v43, s[28:29]
	v_cndmask_b32_e64 v40, 0, v42, s[26:27]
	v_add_f64 v[42:43], v[40:41], 1.0
	v_add_f64 v[44:45], v[42:43], -1.0
	v_add_f64 v[46:47], v[44:45], -v[42:43]
	v_add_f64 v[46:47], v[46:47], 1.0
	v_add_f64 v[44:45], v[40:41], -v[44:45]
	s_mov_b32 s26, 0x55555555
	v_add_f64 v[44:45], v[44:45], v[46:47]
	v_frexp_mant_f64_e32 v[46:47], v[42:43]
	s_mov_b32 s27, 0x3fe55555
	v_frexp_exp_i32_f64_e32 v48, v[42:43]
	v_cmp_gt_f64_e64 s[26:27], s[26:27], v[46:47]
	s_mov_b32 s41, 0x3c7abc9e
	v_cmp_ngt_f64_e64 s[28:29], -1.0, v[40:41]
	v_subbrev_co_u32_e64 v63, s[26:27], 0, v48, s[26:27]
	v_sub_u32_e32 v46, 0, v63
	v_ldexp_f64 v[42:43], v[42:43], v46
	v_ldexp_f64 v[44:45], v[44:45], v46
	v_add_f64 v[46:47], v[42:43], -1.0
	v_add_f64 v[52:53], v[42:43], 1.0
	v_add_f64 v[48:49], v[46:47], 1.0
	v_add_f64 v[54:55], v[52:53], -1.0
	v_add_f64 v[48:49], v[42:43], -v[48:49]
	v_add_f64 v[42:43], v[42:43], -v[54:55]
	v_add_f64 v[42:43], v[44:45], v[42:43]
	v_add_f64 v[48:49], v[44:45], v[48:49]
	;; [unrolled: 1-line block ×3, first 2 shown]
	v_rcp_f64_e32 v[54:55], v[44:45]
	v_add_f64 v[50:51], v[46:47], v[48:49]
	v_add_f64 v[46:47], v[50:51], -v[46:47]
	v_add_f64 v[46:47], v[48:49], -v[46:47]
	;; [unrolled: 1-line block ×4, first 2 shown]
	v_fma_f64 v[48:49], -v[44:45], v[54:55], 1.0
	v_fmac_f64_e32 v[54:55], v[48:49], v[54:55]
	v_fma_f64 v[48:49], -v[44:45], v[54:55], 1.0
	v_fmac_f64_e32 v[54:55], v[48:49], v[54:55]
	v_mul_f64 v[48:49], v[50:51], v[54:55]
	v_mul_f64 v[52:53], v[44:45], v[48:49]
	v_fma_f64 v[56:57], v[48:49], v[44:45], -v[52:53]
	v_fmac_f64_e32 v[56:57], v[48:49], v[42:43]
	v_add_f64 v[58:59], v[52:53], v[56:57]
	v_add_f64 v[60:61], v[50:51], -v[58:59]
	v_add_f64 v[50:51], v[50:51], -v[60:61]
	;; [unrolled: 1-line block ×4, first 2 shown]
	v_add_f64 v[46:47], v[46:47], v[50:51]
	v_add_f64 v[50:51], v[52:53], -v[56:57]
	v_add_f64 v[46:47], v[50:51], v[46:47]
	v_add_f64 v[50:51], v[60:61], v[46:47]
	v_add_f64 v[52:53], v[60:61], -v[50:51]
	v_add_f64 v[46:47], v[46:47], v[52:53]
	v_mul_f64 v[52:53], v[54:55], v[50:51]
	v_mul_f64 v[56:57], v[44:45], v[52:53]
	v_fma_f64 v[44:45], v[52:53], v[44:45], -v[56:57]
	v_fmac_f64_e32 v[44:45], v[52:53], v[42:43]
	v_add_f64 v[42:43], v[56:57], v[44:45]
	v_add_f64 v[58:59], v[50:51], -v[42:43]
	v_add_f64 v[50:51], v[50:51], -v[58:59]
	v_add_f64 v[56:57], v[42:43], -v[56:57]
	v_add_f64 v[42:43], v[50:51], -v[42:43]
	v_add_f64 v[42:43], v[46:47], v[42:43]
	v_add_f64 v[44:45], v[56:57], -v[44:45]
	v_add_f64 v[42:43], v[44:45], v[42:43]
	v_add_f64 v[44:45], v[48:49], v[52:53]
	;; [unrolled: 1-line block ×3, first 2 shown]
	v_add_f64 v[46:47], v[44:45], -v[48:49]
	v_mul_f64 v[42:43], v[54:55], v[42:43]
	v_add_f64 v[46:47], v[52:53], -v[46:47]
	v_add_f64 v[42:43], v[46:47], v[42:43]
	v_add_f64 v[46:47], v[44:45], v[42:43]
	v_add_f64 v[44:45], v[46:47], -v[44:45]
	s_mov_b32 s26, 0xbf559e2b
	v_add_f64 v[42:43], v[42:43], -v[44:45]
	v_mul_f64 v[44:45], v[46:47], v[46:47]
	v_mov_b32_e32 v48, 0x6b47b09a
	v_mov_b32_e32 v49, 0x3fc38538
	s_mov_b32 s27, 0x3fc3ab76
	v_fmac_f64_e32 v[48:49], s[26:27], v[44:45]
	v_mov_b32_e32 v50, 0xd7f4df2e
	v_mov_b32_e32 v51, 0x3fc7474d
	v_fmac_f64_e32 v[50:51], v[44:45], v[48:49]
	v_mov_b32_e32 v48, 0x16291751
	v_mov_b32_e32 v49, 0x3fcc71c0
	;; [unrolled: 3-line block ×5, first 2 shown]
	v_fmac_f64_e32 v[50:51], v[44:45], v[48:49]
	v_cvt_f64_i32_e32 v[48:49], v63
	v_mul_f64 v[52:53], v[48:49], s[38:39]
	v_fma_f64 v[54:55], v[48:49], s[38:39], -v[52:53]
	v_fmac_f64_e32 v[54:55], s[40:41], v[48:49]
	v_add_f64 v[48:49], v[52:53], v[54:55]
	v_add_f64 v[52:53], v[48:49], -v[52:53]
	v_mul_f64 v[44:45], v[46:47], v[44:45]
	v_add_f64 v[52:53], v[54:55], -v[52:53]
	v_ldexp_f64 v[54:55], v[46:47], 1
	v_mul_f64 v[44:45], v[44:45], v[50:51]
	v_add_f64 v[46:47], v[54:55], v[44:45]
	v_add_f64 v[50:51], v[46:47], -v[54:55]
	v_ldexp_f64 v[42:43], v[42:43], 1
	v_add_f64 v[44:45], v[44:45], -v[50:51]
	v_add_f64 v[42:43], v[42:43], v[44:45]
	v_add_f64 v[44:45], v[46:47], v[42:43]
	v_add_f64 v[46:47], v[44:45], -v[46:47]
	v_add_f64 v[42:43], v[42:43], -v[46:47]
	v_add_f64 v[46:47], v[48:49], v[44:45]
	v_add_f64 v[50:51], v[46:47], -v[48:49]
	v_add_f64 v[54:55], v[46:47], -v[50:51]
	v_add_f64 v[48:49], v[48:49], -v[54:55]
	v_add_f64 v[44:45], v[44:45], -v[50:51]
	v_add_f64 v[44:45], v[44:45], v[48:49]
	v_add_f64 v[48:49], v[52:53], v[42:43]
	v_add_f64 v[50:51], v[48:49], -v[52:53]
	v_add_f64 v[44:45], v[48:49], v[44:45]
	v_add_f64 v[54:55], v[48:49], -v[50:51]
	;; [unrolled: 2-line block ×3, first 2 shown]
	v_add_f64 v[42:43], v[42:43], -v[50:51]
	v_add_f64 v[46:47], v[48:49], -v[46:47]
	v_add_f64 v[42:43], v[42:43], v[52:53]
	v_add_f64 v[44:45], v[44:45], -v[46:47]
	s_mov_b32 s26, 0
	v_add_f64 v[42:43], v[42:43], v[44:45]
	s_mov_b32 s27, 0x7ff00000
	v_add_f64 v[42:43], v[48:49], v[42:43]
	v_cmp_neq_f64_e64 s[26:27], s[26:27], v[40:41]
	v_mov_b32_e32 v44, 0x7ff80000
	s_nop 0
	v_cndmask_b32_e64 v43, v62, v43, s[26:27]
	v_cndmask_b32_e64 v43, v44, v43, s[28:29]
	v_cmp_nge_f64_e64 s[28:29], -1.0, v[40:41]
	s_and_b64 s[26:27], s[28:29], s[26:27]
	v_cndmask_b32_e64 v42, 0, v42, s[26:27]
	v_mov_b32_e32 v44, 0xfff00000
	v_cmp_neq_f64_e64 s[26:27], -1.0, v[40:41]
	s_nop 1
	v_cndmask_b32_e64 v43, v44, v43, s[26:27]
	v_add_f64 v[40:41], v[16:17], v[42:43]
.LBB18_52:
	s_or_b64 exec, exec, s[36:37]
	v_mov_b64_e32 v[16:17], v[40:41]
.LBB18_53:
	s_or_b64 exec, exec, s[34:35]
	v_add_u32_e32 v40, -1, v19
	v_and_b32_e32 v41, 64, v19
	v_cmp_lt_i32_e64 s[26:27], v40, v41
	s_nop 1
	v_cndmask_b32_e64 v19, v40, v19, s[26:27]
	v_lshlrev_b32_e32 v19, 2, v19
	ds_bpermute_b32 v16, v19, v16
	ds_bpermute_b32 v17, v19, v17
	s_waitcnt lgkmcnt(0)
	v_max_f64 v[42:43], v[16:17], v[16:17]
	v_min_f64 v[40:41], v[42:43], v[38:39]
	v_cmp_u_f64_e64 s[26:27], v[16:17], v[16:17]
	v_max_f64 v[38:39], v[42:43], v[38:39]
	s_nop 0
	v_cndmask_b32_e64 v19, v40, v16, s[26:27]
	v_cndmask_b32_e64 v40, v41, v17, s[26:27]
	;; [unrolled: 1-line block ×8, first 2 shown]
	v_cmp_neq_f64_e64 s[24:25], v[40:41], v[14:15]
	v_cmp_class_f64_e64 s[26:27], v[40:41], s33
	s_or_b64 s[24:25], s[24:25], s[26:27]
	s_and_saveexec_b64 s[28:29], s[24:25]
	s_cbranch_execz .LBB18_55
; %bb.54:
	s_mov_b32 s24, 0x652b82fe
	v_add_f64 v[16:17], v[40:41], -v[14:15]
	s_mov_b32 s25, 0x3ff71547
	v_mul_f64 v[38:39], v[16:17], s[24:25]
	v_rndne_f64_e32 v[38:39], v[38:39]
	s_mov_b32 s35, 0xbfe62e42
	s_mov_b32 s34, 0xfefa39ef
	v_fma_f64 v[40:41], s[34:35], v[38:39], v[16:17]
	s_mov_b32 s37, 0xbc7abc9e
	s_mov_b32 s36, 0x3b39803f
	s_mov_b32 s24, 0x6a5dcb37
	v_fmac_f64_e32 v[40:41], s[36:37], v[38:39]
	v_mov_b32_e32 v42, 0xfca7ab0c
	v_mov_b32_e32 v43, 0x3e928af3
	s_mov_b32 s25, 0x3e5ade15
	v_fmac_f64_e32 v[42:43], s[24:25], v[40:41]
	v_mov_b32_e32 v44, 0x623fde64
	v_mov_b32_e32 v45, 0x3ec71dee
	v_fmac_f64_e32 v[44:45], v[40:41], v[42:43]
	v_mov_b32_e32 v42, 0x7c89e6b0
	v_mov_b32_e32 v43, 0x3efa0199
	;; [unrolled: 3-line block ×8, first 2 shown]
	v_fmac_f64_e32 v[42:43], v[40:41], v[44:45]
	v_fma_f64 v[42:43], v[40:41], v[42:43], 1.0
	s_mov_b32 s24, 0
	s_mov_b32 s26, 0
	v_fma_f64 v[40:41], v[40:41], v[42:43], 1.0
	v_cvt_i32_f64_e32 v19, v[38:39]
	s_mov_b32 s25, 0x40900000
	s_mov_b32 s27, 0xc090cc00
	v_ldexp_f64 v[38:39], v[40:41], v19
	v_mov_b32_e32 v19, 0x7ff00000
	v_cmp_nlt_f64_e64 s[24:25], s[24:25], v[16:17]
	v_cmp_ngt_f64_e64 s[26:27], s[26:27], v[16:17]
	s_mov_b32 s35, 0x3fe62e42
	v_cndmask_b32_e64 v39, v19, v39, s[24:25]
	s_and_b64 s[24:25], s[26:27], s[24:25]
	v_cndmask_b32_e64 v17, 0, v39, s[26:27]
	v_cndmask_b32_e64 v16, 0, v38, s[24:25]
	v_add_f64 v[38:39], v[16:17], 1.0
	v_add_f64 v[40:41], v[38:39], -1.0
	v_add_f64 v[42:43], v[40:41], -v[38:39]
	v_add_f64 v[42:43], v[42:43], 1.0
	v_add_f64 v[40:41], v[16:17], -v[40:41]
	s_mov_b32 s24, 0x55555555
	v_add_f64 v[40:41], v[40:41], v[42:43]
	v_frexp_mant_f64_e32 v[42:43], v[38:39]
	s_mov_b32 s25, 0x3fe55555
	v_frexp_exp_i32_f64_e32 v44, v[38:39]
	v_cmp_gt_f64_e64 s[24:25], s[24:25], v[42:43]
	s_mov_b32 s37, 0x3c7abc9e
	v_cmp_ngt_f64_e64 s[26:27], -1.0, v[16:17]
	v_subbrev_co_u32_e64 v58, s[24:25], 0, v44, s[24:25]
	v_sub_u32_e32 v42, 0, v58
	v_ldexp_f64 v[38:39], v[38:39], v42
	v_ldexp_f64 v[40:41], v[40:41], v42
	v_add_f64 v[42:43], v[38:39], -1.0
	v_add_f64 v[48:49], v[38:39], 1.0
	v_add_f64 v[44:45], v[42:43], 1.0
	v_add_f64 v[50:51], v[48:49], -1.0
	v_add_f64 v[44:45], v[38:39], -v[44:45]
	v_add_f64 v[38:39], v[38:39], -v[50:51]
	v_add_f64 v[38:39], v[40:41], v[38:39]
	v_add_f64 v[44:45], v[40:41], v[44:45]
	;; [unrolled: 1-line block ×3, first 2 shown]
	v_rcp_f64_e32 v[50:51], v[40:41]
	v_add_f64 v[46:47], v[42:43], v[44:45]
	v_add_f64 v[42:43], v[46:47], -v[42:43]
	v_add_f64 v[42:43], v[44:45], -v[42:43]
	;; [unrolled: 1-line block ×4, first 2 shown]
	v_fma_f64 v[44:45], -v[40:41], v[50:51], 1.0
	v_fmac_f64_e32 v[50:51], v[44:45], v[50:51]
	v_fma_f64 v[44:45], -v[40:41], v[50:51], 1.0
	v_fmac_f64_e32 v[50:51], v[44:45], v[50:51]
	v_mul_f64 v[44:45], v[46:47], v[50:51]
	v_mul_f64 v[48:49], v[40:41], v[44:45]
	v_fma_f64 v[52:53], v[44:45], v[40:41], -v[48:49]
	v_fmac_f64_e32 v[52:53], v[44:45], v[38:39]
	v_add_f64 v[54:55], v[48:49], v[52:53]
	v_add_f64 v[56:57], v[46:47], -v[54:55]
	v_add_f64 v[46:47], v[46:47], -v[56:57]
	v_add_f64 v[48:49], v[54:55], -v[48:49]
	v_add_f64 v[46:47], v[46:47], -v[54:55]
	v_add_f64 v[42:43], v[42:43], v[46:47]
	v_add_f64 v[46:47], v[48:49], -v[52:53]
	v_add_f64 v[42:43], v[46:47], v[42:43]
	v_add_f64 v[46:47], v[56:57], v[42:43]
	v_add_f64 v[48:49], v[56:57], -v[46:47]
	v_add_f64 v[42:43], v[42:43], v[48:49]
	v_mul_f64 v[48:49], v[50:51], v[46:47]
	v_mul_f64 v[52:53], v[40:41], v[48:49]
	v_fma_f64 v[40:41], v[48:49], v[40:41], -v[52:53]
	v_fmac_f64_e32 v[40:41], v[48:49], v[38:39]
	v_add_f64 v[38:39], v[52:53], v[40:41]
	v_add_f64 v[54:55], v[46:47], -v[38:39]
	v_add_f64 v[46:47], v[46:47], -v[54:55]
	;; [unrolled: 1-line block ×4, first 2 shown]
	v_add_f64 v[38:39], v[42:43], v[38:39]
	v_add_f64 v[40:41], v[52:53], -v[40:41]
	v_add_f64 v[38:39], v[40:41], v[38:39]
	v_add_f64 v[40:41], v[44:45], v[48:49]
	;; [unrolled: 1-line block ×3, first 2 shown]
	v_add_f64 v[42:43], v[40:41], -v[44:45]
	v_mul_f64 v[38:39], v[50:51], v[38:39]
	v_add_f64 v[42:43], v[48:49], -v[42:43]
	v_add_f64 v[38:39], v[42:43], v[38:39]
	v_add_f64 v[42:43], v[40:41], v[38:39]
	v_add_f64 v[40:41], v[42:43], -v[40:41]
	s_mov_b32 s24, 0xbf559e2b
	v_add_f64 v[38:39], v[38:39], -v[40:41]
	v_mul_f64 v[40:41], v[42:43], v[42:43]
	v_mov_b32_e32 v44, 0x6b47b09a
	v_mov_b32_e32 v45, 0x3fc38538
	s_mov_b32 s25, 0x3fc3ab76
	v_fmac_f64_e32 v[44:45], s[24:25], v[40:41]
	v_mov_b32_e32 v46, 0xd7f4df2e
	v_mov_b32_e32 v47, 0x3fc7474d
	v_fmac_f64_e32 v[46:47], v[40:41], v[44:45]
	v_mov_b32_e32 v44, 0x16291751
	v_mov_b32_e32 v45, 0x3fcc71c0
	;; [unrolled: 3-line block ×5, first 2 shown]
	v_fmac_f64_e32 v[46:47], v[40:41], v[44:45]
	v_cvt_f64_i32_e32 v[44:45], v58
	v_mul_f64 v[48:49], v[44:45], s[34:35]
	v_fma_f64 v[50:51], v[44:45], s[34:35], -v[48:49]
	v_fmac_f64_e32 v[50:51], s[36:37], v[44:45]
	v_add_f64 v[44:45], v[48:49], v[50:51]
	v_add_f64 v[48:49], v[44:45], -v[48:49]
	v_mul_f64 v[40:41], v[42:43], v[40:41]
	v_add_f64 v[48:49], v[50:51], -v[48:49]
	v_ldexp_f64 v[50:51], v[42:43], 1
	v_mul_f64 v[40:41], v[40:41], v[46:47]
	v_add_f64 v[42:43], v[50:51], v[40:41]
	v_add_f64 v[46:47], v[42:43], -v[50:51]
	v_ldexp_f64 v[38:39], v[38:39], 1
	v_add_f64 v[40:41], v[40:41], -v[46:47]
	v_add_f64 v[38:39], v[38:39], v[40:41]
	v_add_f64 v[40:41], v[42:43], v[38:39]
	v_add_f64 v[42:43], v[40:41], -v[42:43]
	v_add_f64 v[38:39], v[38:39], -v[42:43]
	v_add_f64 v[42:43], v[44:45], v[40:41]
	v_add_f64 v[46:47], v[42:43], -v[44:45]
	v_add_f64 v[50:51], v[42:43], -v[46:47]
	;; [unrolled: 1-line block ×4, first 2 shown]
	v_add_f64 v[40:41], v[40:41], v[44:45]
	v_add_f64 v[44:45], v[48:49], v[38:39]
	v_add_f64 v[46:47], v[44:45], -v[48:49]
	v_add_f64 v[40:41], v[44:45], v[40:41]
	v_add_f64 v[50:51], v[44:45], -v[46:47]
	;; [unrolled: 2-line block ×3, first 2 shown]
	v_add_f64 v[38:39], v[38:39], -v[46:47]
	v_add_f64 v[42:43], v[44:45], -v[42:43]
	v_add_f64 v[38:39], v[38:39], v[48:49]
	v_add_f64 v[40:41], v[40:41], -v[42:43]
	s_mov_b32 s24, 0
	v_add_f64 v[38:39], v[38:39], v[40:41]
	s_mov_b32 s25, 0x7ff00000
	v_add_f64 v[38:39], v[44:45], v[38:39]
	v_cmp_neq_f64_e64 s[24:25], s[24:25], v[16:17]
	s_nop 1
	v_cndmask_b32_e64 v19, v19, v39, s[24:25]
	v_mov_b32_e32 v39, 0x7ff80000
	v_cndmask_b32_e64 v19, v39, v19, s[26:27]
	v_cmp_nge_f64_e64 s[26:27], -1.0, v[16:17]
	s_and_b64 s[24:25], s[26:27], s[24:25]
	v_cndmask_b32_e64 v38, 0, v38, s[24:25]
	v_mov_b32_e32 v39, 0xfff00000
	v_cmp_neq_f64_e64 s[24:25], -1.0, v[16:17]
	s_nop 1
	v_cndmask_b32_e64 v39, v39, v19, s[24:25]
	v_add_f64 v[16:17], v[14:15], v[38:39]
.LBB18_55:
	s_or_b64 exec, exec, s[28:29]
	v_cmp_eq_u32_e64 s[24:25], 0, v0
	; wave barrier
	s_nop 1
	v_cndmask_b32_e64 v17, v17, v37, s[24:25]
	v_cndmask_b32_e64 v16, v16, v36, s[24:25]
	ds_write_b64 v1, v[16:17]
	; wave barrier
	ds_read_b64 v[14:15], v1 offset:8
	v_max_f64 v[38:39], v[16:17], v[16:17]
	v_cmp_u_f64_e64 s[24:25], v[16:17], v[16:17]
	s_waitcnt lgkmcnt(0)
	v_max_f64 v[40:41], v[14:15], v[14:15]
	v_min_f64 v[36:37], v[38:39], v[40:41]
	v_cndmask_b32_e64 v19, v36, v16, s[24:25]
	v_cndmask_b32_e64 v36, v37, v17, s[24:25]
	v_cmp_u_f64_e64 s[26:27], v[14:15], v[14:15]
	v_max_f64 v[38:39], v[38:39], v[40:41]
	s_nop 0
	v_cndmask_b32_e64 v37, v36, v15, s[26:27]
	v_cndmask_b32_e64 v36, v19, v14, s[26:27]
	;; [unrolled: 1-line block ×6, first 2 shown]
	v_cmp_neq_f64_e64 s[24:25], v[36:37], v[14:15]
	v_cmp_class_f64_e64 s[26:27], v[36:37], s33
	s_or_b64 s[24:25], s[24:25], s[26:27]
	s_and_saveexec_b64 s[28:29], s[24:25]
	s_cbranch_execz .LBB18_57
; %bb.56:
	s_mov_b32 s24, 0x652b82fe
	v_add_f64 v[16:17], v[36:37], -v[14:15]
	s_mov_b32 s25, 0x3ff71547
	v_mul_f64 v[36:37], v[16:17], s[24:25]
	v_rndne_f64_e32 v[36:37], v[36:37]
	s_mov_b32 s35, 0xbfe62e42
	s_mov_b32 s34, 0xfefa39ef
	v_fma_f64 v[38:39], s[34:35], v[36:37], v[16:17]
	s_mov_b32 s37, 0xbc7abc9e
	s_mov_b32 s36, 0x3b39803f
	;; [unrolled: 1-line block ×3, first 2 shown]
	v_fmac_f64_e32 v[38:39], s[36:37], v[36:37]
	v_mov_b32_e32 v40, 0xfca7ab0c
	v_mov_b32_e32 v41, 0x3e928af3
	s_mov_b32 s25, 0x3e5ade15
	v_fmac_f64_e32 v[40:41], s[24:25], v[38:39]
	v_mov_b32_e32 v42, 0x623fde64
	v_mov_b32_e32 v43, 0x3ec71dee
	v_fmac_f64_e32 v[42:43], v[38:39], v[40:41]
	v_mov_b32_e32 v40, 0x7c89e6b0
	v_mov_b32_e32 v41, 0x3efa0199
	;; [unrolled: 3-line block ×8, first 2 shown]
	v_fmac_f64_e32 v[40:41], v[38:39], v[42:43]
	v_fma_f64 v[40:41], v[38:39], v[40:41], 1.0
	s_mov_b32 s24, 0
	s_mov_b32 s26, 0
	v_fma_f64 v[38:39], v[38:39], v[40:41], 1.0
	v_cvt_i32_f64_e32 v19, v[36:37]
	s_mov_b32 s25, 0x40900000
	s_mov_b32 s27, 0xc090cc00
	v_ldexp_f64 v[36:37], v[38:39], v19
	v_mov_b32_e32 v19, 0x7ff00000
	v_cmp_nlt_f64_e64 s[24:25], s[24:25], v[16:17]
	v_cmp_ngt_f64_e64 s[26:27], s[26:27], v[16:17]
	s_mov_b32 s35, 0x3fe62e42
	v_cndmask_b32_e64 v37, v19, v37, s[24:25]
	s_and_b64 s[24:25], s[26:27], s[24:25]
	v_cndmask_b32_e64 v17, 0, v37, s[26:27]
	v_cndmask_b32_e64 v16, 0, v36, s[24:25]
	v_add_f64 v[36:37], v[16:17], 1.0
	v_add_f64 v[38:39], v[36:37], -1.0
	v_add_f64 v[40:41], v[38:39], -v[36:37]
	v_add_f64 v[40:41], v[40:41], 1.0
	v_add_f64 v[38:39], v[16:17], -v[38:39]
	s_mov_b32 s24, 0x55555555
	v_add_f64 v[38:39], v[38:39], v[40:41]
	v_frexp_mant_f64_e32 v[40:41], v[36:37]
	s_mov_b32 s25, 0x3fe55555
	v_frexp_exp_i32_f64_e32 v42, v[36:37]
	v_cmp_gt_f64_e64 s[24:25], s[24:25], v[40:41]
	s_mov_b32 s37, 0x3c7abc9e
	v_cmp_ngt_f64_e64 s[26:27], -1.0, v[16:17]
	v_subbrev_co_u32_e64 v56, s[24:25], 0, v42, s[24:25]
	v_sub_u32_e32 v40, 0, v56
	v_ldexp_f64 v[36:37], v[36:37], v40
	v_ldexp_f64 v[38:39], v[38:39], v40
	v_add_f64 v[40:41], v[36:37], -1.0
	v_add_f64 v[46:47], v[36:37], 1.0
	v_add_f64 v[42:43], v[40:41], 1.0
	v_add_f64 v[48:49], v[46:47], -1.0
	v_add_f64 v[42:43], v[36:37], -v[42:43]
	v_add_f64 v[36:37], v[36:37], -v[48:49]
	v_add_f64 v[36:37], v[38:39], v[36:37]
	v_add_f64 v[42:43], v[38:39], v[42:43]
	;; [unrolled: 1-line block ×3, first 2 shown]
	v_rcp_f64_e32 v[48:49], v[38:39]
	v_add_f64 v[44:45], v[40:41], v[42:43]
	v_add_f64 v[40:41], v[44:45], -v[40:41]
	v_add_f64 v[40:41], v[42:43], -v[40:41]
	;; [unrolled: 1-line block ×4, first 2 shown]
	v_fma_f64 v[42:43], -v[38:39], v[48:49], 1.0
	v_fmac_f64_e32 v[48:49], v[42:43], v[48:49]
	v_fma_f64 v[42:43], -v[38:39], v[48:49], 1.0
	v_fmac_f64_e32 v[48:49], v[42:43], v[48:49]
	v_mul_f64 v[42:43], v[44:45], v[48:49]
	v_mul_f64 v[46:47], v[38:39], v[42:43]
	v_fma_f64 v[50:51], v[42:43], v[38:39], -v[46:47]
	v_fmac_f64_e32 v[50:51], v[42:43], v[36:37]
	v_add_f64 v[52:53], v[46:47], v[50:51]
	v_add_f64 v[54:55], v[44:45], -v[52:53]
	v_add_f64 v[44:45], v[44:45], -v[54:55]
	;; [unrolled: 1-line block ×4, first 2 shown]
	v_add_f64 v[40:41], v[40:41], v[44:45]
	v_add_f64 v[44:45], v[46:47], -v[50:51]
	v_add_f64 v[40:41], v[44:45], v[40:41]
	v_add_f64 v[44:45], v[54:55], v[40:41]
	v_add_f64 v[46:47], v[54:55], -v[44:45]
	v_add_f64 v[40:41], v[40:41], v[46:47]
	v_mul_f64 v[46:47], v[48:49], v[44:45]
	v_mul_f64 v[50:51], v[38:39], v[46:47]
	v_fma_f64 v[38:39], v[46:47], v[38:39], -v[50:51]
	v_fmac_f64_e32 v[38:39], v[46:47], v[36:37]
	v_add_f64 v[36:37], v[50:51], v[38:39]
	v_add_f64 v[52:53], v[44:45], -v[36:37]
	v_add_f64 v[44:45], v[44:45], -v[52:53]
	;; [unrolled: 1-line block ×4, first 2 shown]
	v_add_f64 v[36:37], v[40:41], v[36:37]
	v_add_f64 v[38:39], v[50:51], -v[38:39]
	v_add_f64 v[36:37], v[38:39], v[36:37]
	v_add_f64 v[38:39], v[42:43], v[46:47]
	;; [unrolled: 1-line block ×3, first 2 shown]
	v_add_f64 v[40:41], v[38:39], -v[42:43]
	v_mul_f64 v[36:37], v[48:49], v[36:37]
	v_add_f64 v[40:41], v[46:47], -v[40:41]
	v_add_f64 v[36:37], v[40:41], v[36:37]
	v_add_f64 v[40:41], v[38:39], v[36:37]
	v_add_f64 v[38:39], v[40:41], -v[38:39]
	s_mov_b32 s24, 0xbf559e2b
	v_add_f64 v[36:37], v[36:37], -v[38:39]
	v_mul_f64 v[38:39], v[40:41], v[40:41]
	v_mov_b32_e32 v42, 0x6b47b09a
	v_mov_b32_e32 v43, 0x3fc38538
	s_mov_b32 s25, 0x3fc3ab76
	v_fmac_f64_e32 v[42:43], s[24:25], v[38:39]
	v_mov_b32_e32 v44, 0xd7f4df2e
	v_mov_b32_e32 v45, 0x3fc7474d
	v_fmac_f64_e32 v[44:45], v[38:39], v[42:43]
	v_mov_b32_e32 v42, 0x16291751
	v_mov_b32_e32 v43, 0x3fcc71c0
	;; [unrolled: 3-line block ×5, first 2 shown]
	v_fmac_f64_e32 v[44:45], v[38:39], v[42:43]
	v_cvt_f64_i32_e32 v[42:43], v56
	v_mul_f64 v[46:47], v[42:43], s[34:35]
	v_fma_f64 v[48:49], v[42:43], s[34:35], -v[46:47]
	v_fmac_f64_e32 v[48:49], s[36:37], v[42:43]
	v_add_f64 v[42:43], v[46:47], v[48:49]
	v_add_f64 v[46:47], v[42:43], -v[46:47]
	v_mul_f64 v[38:39], v[40:41], v[38:39]
	v_add_f64 v[46:47], v[48:49], -v[46:47]
	v_ldexp_f64 v[48:49], v[40:41], 1
	v_mul_f64 v[38:39], v[38:39], v[44:45]
	v_add_f64 v[40:41], v[48:49], v[38:39]
	v_add_f64 v[44:45], v[40:41], -v[48:49]
	v_ldexp_f64 v[36:37], v[36:37], 1
	v_add_f64 v[38:39], v[38:39], -v[44:45]
	v_add_f64 v[36:37], v[36:37], v[38:39]
	v_add_f64 v[38:39], v[40:41], v[36:37]
	v_add_f64 v[40:41], v[38:39], -v[40:41]
	v_add_f64 v[36:37], v[36:37], -v[40:41]
	v_add_f64 v[40:41], v[42:43], v[38:39]
	v_add_f64 v[44:45], v[40:41], -v[42:43]
	v_add_f64 v[48:49], v[40:41], -v[44:45]
	;; [unrolled: 1-line block ×4, first 2 shown]
	v_add_f64 v[38:39], v[38:39], v[42:43]
	v_add_f64 v[42:43], v[46:47], v[36:37]
	v_add_f64 v[44:45], v[42:43], -v[46:47]
	v_add_f64 v[38:39], v[42:43], v[38:39]
	v_add_f64 v[48:49], v[42:43], -v[44:45]
	;; [unrolled: 2-line block ×3, first 2 shown]
	v_add_f64 v[36:37], v[36:37], -v[44:45]
	v_add_f64 v[40:41], v[42:43], -v[40:41]
	v_add_f64 v[36:37], v[36:37], v[46:47]
	v_add_f64 v[38:39], v[38:39], -v[40:41]
	s_mov_b32 s24, 0
	v_add_f64 v[36:37], v[36:37], v[38:39]
	s_mov_b32 s25, 0x7ff00000
	v_add_f64 v[36:37], v[42:43], v[36:37]
	v_cmp_neq_f64_e64 s[24:25], s[24:25], v[16:17]
	s_nop 1
	v_cndmask_b32_e64 v19, v19, v37, s[24:25]
	v_mov_b32_e32 v37, 0x7ff80000
	v_cndmask_b32_e64 v19, v37, v19, s[26:27]
	v_cmp_nge_f64_e64 s[26:27], -1.0, v[16:17]
	s_and_b64 s[24:25], s[26:27], s[24:25]
	v_cndmask_b32_e64 v36, 0, v36, s[24:25]
	v_mov_b32_e32 v37, 0xfff00000
	v_cmp_neq_f64_e64 s[24:25], -1.0, v[16:17]
	s_nop 1
	v_cndmask_b32_e64 v37, v37, v19, s[24:25]
	v_add_f64 v[16:17], v[14:15], v[36:37]
.LBB18_57:
	s_or_b64 exec, exec, s[28:29]
	ds_read_b64 v[14:15], v1 offset:16
	v_max_f64 v[38:39], v[16:17], v[16:17]
	v_cmp_u_f64_e64 s[24:25], v[16:17], v[16:17]
	ds_write_b64 v1, v[16:17] offset:8
	s_waitcnt lgkmcnt(1)
	v_max_f64 v[40:41], v[14:15], v[14:15]
	v_min_f64 v[36:37], v[38:39], v[40:41]
	v_cndmask_b32_e64 v19, v36, v16, s[24:25]
	v_cndmask_b32_e64 v36, v37, v17, s[24:25]
	v_cmp_u_f64_e64 s[26:27], v[14:15], v[14:15]
	v_max_f64 v[38:39], v[38:39], v[40:41]
	s_nop 0
	v_cndmask_b32_e64 v37, v36, v15, s[26:27]
	v_cndmask_b32_e64 v36, v19, v14, s[26:27]
	;; [unrolled: 1-line block ×6, first 2 shown]
	v_cmp_neq_f64_e64 s[24:25], v[36:37], v[14:15]
	v_cmp_class_f64_e64 s[26:27], v[36:37], s33
	s_or_b64 s[24:25], s[24:25], s[26:27]
	s_and_saveexec_b64 s[28:29], s[24:25]
	s_cbranch_execz .LBB18_59
; %bb.58:
	s_mov_b32 s24, 0x652b82fe
	v_add_f64 v[16:17], v[36:37], -v[14:15]
	s_mov_b32 s25, 0x3ff71547
	v_mul_f64 v[36:37], v[16:17], s[24:25]
	v_rndne_f64_e32 v[36:37], v[36:37]
	s_mov_b32 s35, 0xbfe62e42
	s_mov_b32 s34, 0xfefa39ef
	v_fma_f64 v[38:39], s[34:35], v[36:37], v[16:17]
	s_mov_b32 s37, 0xbc7abc9e
	s_mov_b32 s36, 0x3b39803f
	;; [unrolled: 1-line block ×3, first 2 shown]
	v_fmac_f64_e32 v[38:39], s[36:37], v[36:37]
	v_mov_b32_e32 v40, 0xfca7ab0c
	v_mov_b32_e32 v41, 0x3e928af3
	s_mov_b32 s25, 0x3e5ade15
	v_fmac_f64_e32 v[40:41], s[24:25], v[38:39]
	v_mov_b32_e32 v42, 0x623fde64
	v_mov_b32_e32 v43, 0x3ec71dee
	v_fmac_f64_e32 v[42:43], v[38:39], v[40:41]
	v_mov_b32_e32 v40, 0x7c89e6b0
	v_mov_b32_e32 v41, 0x3efa0199
	;; [unrolled: 3-line block ×8, first 2 shown]
	v_fmac_f64_e32 v[40:41], v[38:39], v[42:43]
	v_fma_f64 v[40:41], v[38:39], v[40:41], 1.0
	s_mov_b32 s24, 0
	s_mov_b32 s26, 0
	v_fma_f64 v[38:39], v[38:39], v[40:41], 1.0
	v_cvt_i32_f64_e32 v19, v[36:37]
	s_mov_b32 s25, 0x40900000
	s_mov_b32 s27, 0xc090cc00
	v_ldexp_f64 v[36:37], v[38:39], v19
	v_mov_b32_e32 v19, 0x7ff00000
	v_cmp_nlt_f64_e64 s[24:25], s[24:25], v[16:17]
	v_cmp_ngt_f64_e64 s[26:27], s[26:27], v[16:17]
	s_mov_b32 s35, 0x3fe62e42
	v_cndmask_b32_e64 v37, v19, v37, s[24:25]
	s_and_b64 s[24:25], s[26:27], s[24:25]
	v_cndmask_b32_e64 v17, 0, v37, s[26:27]
	v_cndmask_b32_e64 v16, 0, v36, s[24:25]
	v_add_f64 v[36:37], v[16:17], 1.0
	v_add_f64 v[38:39], v[36:37], -1.0
	v_add_f64 v[40:41], v[38:39], -v[36:37]
	v_add_f64 v[40:41], v[40:41], 1.0
	v_add_f64 v[38:39], v[16:17], -v[38:39]
	s_mov_b32 s24, 0x55555555
	v_add_f64 v[38:39], v[38:39], v[40:41]
	v_frexp_mant_f64_e32 v[40:41], v[36:37]
	s_mov_b32 s25, 0x3fe55555
	v_frexp_exp_i32_f64_e32 v42, v[36:37]
	v_cmp_gt_f64_e64 s[24:25], s[24:25], v[40:41]
	s_mov_b32 s37, 0x3c7abc9e
	v_cmp_ngt_f64_e64 s[26:27], -1.0, v[16:17]
	v_subbrev_co_u32_e64 v56, s[24:25], 0, v42, s[24:25]
	v_sub_u32_e32 v40, 0, v56
	v_ldexp_f64 v[36:37], v[36:37], v40
	v_ldexp_f64 v[38:39], v[38:39], v40
	v_add_f64 v[40:41], v[36:37], -1.0
	v_add_f64 v[46:47], v[36:37], 1.0
	v_add_f64 v[42:43], v[40:41], 1.0
	v_add_f64 v[48:49], v[46:47], -1.0
	v_add_f64 v[42:43], v[36:37], -v[42:43]
	v_add_f64 v[36:37], v[36:37], -v[48:49]
	v_add_f64 v[36:37], v[38:39], v[36:37]
	v_add_f64 v[42:43], v[38:39], v[42:43]
	;; [unrolled: 1-line block ×3, first 2 shown]
	v_rcp_f64_e32 v[48:49], v[38:39]
	v_add_f64 v[44:45], v[40:41], v[42:43]
	v_add_f64 v[40:41], v[44:45], -v[40:41]
	v_add_f64 v[40:41], v[42:43], -v[40:41]
	;; [unrolled: 1-line block ×4, first 2 shown]
	v_fma_f64 v[42:43], -v[38:39], v[48:49], 1.0
	v_fmac_f64_e32 v[48:49], v[42:43], v[48:49]
	v_fma_f64 v[42:43], -v[38:39], v[48:49], 1.0
	v_fmac_f64_e32 v[48:49], v[42:43], v[48:49]
	v_mul_f64 v[42:43], v[44:45], v[48:49]
	v_mul_f64 v[46:47], v[38:39], v[42:43]
	v_fma_f64 v[50:51], v[42:43], v[38:39], -v[46:47]
	v_fmac_f64_e32 v[50:51], v[42:43], v[36:37]
	v_add_f64 v[52:53], v[46:47], v[50:51]
	v_add_f64 v[54:55], v[44:45], -v[52:53]
	v_add_f64 v[44:45], v[44:45], -v[54:55]
	v_add_f64 v[46:47], v[52:53], -v[46:47]
	v_add_f64 v[44:45], v[44:45], -v[52:53]
	v_add_f64 v[40:41], v[40:41], v[44:45]
	v_add_f64 v[44:45], v[46:47], -v[50:51]
	v_add_f64 v[40:41], v[44:45], v[40:41]
	v_add_f64 v[44:45], v[54:55], v[40:41]
	v_add_f64 v[46:47], v[54:55], -v[44:45]
	v_add_f64 v[40:41], v[40:41], v[46:47]
	v_mul_f64 v[46:47], v[48:49], v[44:45]
	v_mul_f64 v[50:51], v[38:39], v[46:47]
	v_fma_f64 v[38:39], v[46:47], v[38:39], -v[50:51]
	v_fmac_f64_e32 v[38:39], v[46:47], v[36:37]
	v_add_f64 v[36:37], v[50:51], v[38:39]
	v_add_f64 v[52:53], v[44:45], -v[36:37]
	v_add_f64 v[44:45], v[44:45], -v[52:53]
	v_add_f64 v[50:51], v[36:37], -v[50:51]
	v_add_f64 v[36:37], v[44:45], -v[36:37]
	v_add_f64 v[36:37], v[40:41], v[36:37]
	v_add_f64 v[38:39], v[50:51], -v[38:39]
	v_add_f64 v[36:37], v[38:39], v[36:37]
	v_add_f64 v[38:39], v[42:43], v[46:47]
	;; [unrolled: 1-line block ×3, first 2 shown]
	v_add_f64 v[40:41], v[38:39], -v[42:43]
	v_mul_f64 v[36:37], v[48:49], v[36:37]
	v_add_f64 v[40:41], v[46:47], -v[40:41]
	v_add_f64 v[36:37], v[40:41], v[36:37]
	v_add_f64 v[40:41], v[38:39], v[36:37]
	v_add_f64 v[38:39], v[40:41], -v[38:39]
	s_mov_b32 s24, 0xbf559e2b
	v_add_f64 v[36:37], v[36:37], -v[38:39]
	v_mul_f64 v[38:39], v[40:41], v[40:41]
	v_mov_b32_e32 v42, 0x6b47b09a
	v_mov_b32_e32 v43, 0x3fc38538
	s_mov_b32 s25, 0x3fc3ab76
	v_fmac_f64_e32 v[42:43], s[24:25], v[38:39]
	v_mov_b32_e32 v44, 0xd7f4df2e
	v_mov_b32_e32 v45, 0x3fc7474d
	v_fmac_f64_e32 v[44:45], v[38:39], v[42:43]
	v_mov_b32_e32 v42, 0x16291751
	v_mov_b32_e32 v43, 0x3fcc71c0
	v_fmac_f64_e32 v[42:43], v[38:39], v[44:45]
	v_mov_b32_e32 v44, 0x9b27acf1
	v_mov_b32_e32 v45, 0x3fd24924
	v_fmac_f64_e32 v[44:45], v[38:39], v[42:43]
	v_mov_b32_e32 v42, 0x998ef7b6
	v_mov_b32_e32 v43, 0x3fd99999
	v_fmac_f64_e32 v[42:43], v[38:39], v[44:45]
	v_mov_b32_e32 v44, 0x55555780
	v_mov_b32_e32 v45, 0x3fe55555
	v_fmac_f64_e32 v[44:45], v[38:39], v[42:43]
	v_cvt_f64_i32_e32 v[42:43], v56
	v_mul_f64 v[46:47], v[42:43], s[34:35]
	v_fma_f64 v[48:49], v[42:43], s[34:35], -v[46:47]
	v_fmac_f64_e32 v[48:49], s[36:37], v[42:43]
	v_add_f64 v[42:43], v[46:47], v[48:49]
	v_add_f64 v[46:47], v[42:43], -v[46:47]
	v_mul_f64 v[38:39], v[40:41], v[38:39]
	v_add_f64 v[46:47], v[48:49], -v[46:47]
	v_ldexp_f64 v[48:49], v[40:41], 1
	v_mul_f64 v[38:39], v[38:39], v[44:45]
	v_add_f64 v[40:41], v[48:49], v[38:39]
	v_add_f64 v[44:45], v[40:41], -v[48:49]
	v_ldexp_f64 v[36:37], v[36:37], 1
	v_add_f64 v[38:39], v[38:39], -v[44:45]
	v_add_f64 v[36:37], v[36:37], v[38:39]
	v_add_f64 v[38:39], v[40:41], v[36:37]
	v_add_f64 v[40:41], v[38:39], -v[40:41]
	v_add_f64 v[36:37], v[36:37], -v[40:41]
	v_add_f64 v[40:41], v[42:43], v[38:39]
	v_add_f64 v[44:45], v[40:41], -v[42:43]
	v_add_f64 v[48:49], v[40:41], -v[44:45]
	;; [unrolled: 1-line block ×4, first 2 shown]
	v_add_f64 v[38:39], v[38:39], v[42:43]
	v_add_f64 v[42:43], v[46:47], v[36:37]
	v_add_f64 v[44:45], v[42:43], -v[46:47]
	v_add_f64 v[38:39], v[42:43], v[38:39]
	v_add_f64 v[48:49], v[42:43], -v[44:45]
	;; [unrolled: 2-line block ×3, first 2 shown]
	v_add_f64 v[36:37], v[36:37], -v[44:45]
	v_add_f64 v[40:41], v[42:43], -v[40:41]
	v_add_f64 v[36:37], v[36:37], v[46:47]
	v_add_f64 v[38:39], v[38:39], -v[40:41]
	s_mov_b32 s24, 0
	v_add_f64 v[36:37], v[36:37], v[38:39]
	s_mov_b32 s25, 0x7ff00000
	v_add_f64 v[36:37], v[42:43], v[36:37]
	v_cmp_neq_f64_e64 s[24:25], s[24:25], v[16:17]
	s_nop 1
	v_cndmask_b32_e64 v19, v19, v37, s[24:25]
	v_mov_b32_e32 v37, 0x7ff80000
	v_cndmask_b32_e64 v19, v37, v19, s[26:27]
	v_cmp_nge_f64_e64 s[26:27], -1.0, v[16:17]
	s_and_b64 s[24:25], s[26:27], s[24:25]
	v_cndmask_b32_e64 v36, 0, v36, s[24:25]
	v_mov_b32_e32 v37, 0xfff00000
	v_cmp_neq_f64_e64 s[24:25], -1.0, v[16:17]
	s_nop 1
	v_cndmask_b32_e64 v37, v37, v19, s[24:25]
	v_add_f64 v[16:17], v[14:15], v[36:37]
.LBB18_59:
	s_or_b64 exec, exec, s[28:29]
	ds_read_b64 v[14:15], v1 offset:24
	v_max_f64 v[38:39], v[16:17], v[16:17]
	v_cmp_u_f64_e64 s[24:25], v[16:17], v[16:17]
	ds_write_b64 v1, v[16:17] offset:16
	s_waitcnt lgkmcnt(1)
	v_max_f64 v[40:41], v[14:15], v[14:15]
	v_min_f64 v[36:37], v[38:39], v[40:41]
	v_cndmask_b32_e64 v19, v36, v16, s[24:25]
	v_cndmask_b32_e64 v36, v37, v17, s[24:25]
	v_cmp_u_f64_e64 s[26:27], v[14:15], v[14:15]
	v_max_f64 v[38:39], v[38:39], v[40:41]
	s_nop 0
	v_cndmask_b32_e64 v37, v36, v15, s[26:27]
	v_cndmask_b32_e64 v36, v19, v14, s[26:27]
	;; [unrolled: 1-line block ×6, first 2 shown]
	v_cmp_neq_f64_e64 s[24:25], v[36:37], v[14:15]
	v_cmp_class_f64_e64 s[26:27], v[36:37], s33
	s_or_b64 s[24:25], s[24:25], s[26:27]
	s_and_saveexec_b64 s[28:29], s[24:25]
	s_cbranch_execz .LBB18_61
; %bb.60:
	s_mov_b32 s24, 0x652b82fe
	v_add_f64 v[16:17], v[36:37], -v[14:15]
	s_mov_b32 s25, 0x3ff71547
	v_mul_f64 v[36:37], v[16:17], s[24:25]
	v_rndne_f64_e32 v[36:37], v[36:37]
	s_mov_b32 s35, 0xbfe62e42
	s_mov_b32 s34, 0xfefa39ef
	v_fma_f64 v[38:39], s[34:35], v[36:37], v[16:17]
	s_mov_b32 s37, 0xbc7abc9e
	s_mov_b32 s36, 0x3b39803f
	;; [unrolled: 1-line block ×3, first 2 shown]
	v_fmac_f64_e32 v[38:39], s[36:37], v[36:37]
	v_mov_b32_e32 v40, 0xfca7ab0c
	v_mov_b32_e32 v41, 0x3e928af3
	s_mov_b32 s25, 0x3e5ade15
	v_fmac_f64_e32 v[40:41], s[24:25], v[38:39]
	v_mov_b32_e32 v42, 0x623fde64
	v_mov_b32_e32 v43, 0x3ec71dee
	v_fmac_f64_e32 v[42:43], v[38:39], v[40:41]
	v_mov_b32_e32 v40, 0x7c89e6b0
	v_mov_b32_e32 v41, 0x3efa0199
	;; [unrolled: 3-line block ×8, first 2 shown]
	v_fmac_f64_e32 v[40:41], v[38:39], v[42:43]
	v_fma_f64 v[40:41], v[38:39], v[40:41], 1.0
	s_mov_b32 s24, 0
	s_mov_b32 s26, 0
	v_fma_f64 v[38:39], v[38:39], v[40:41], 1.0
	v_cvt_i32_f64_e32 v19, v[36:37]
	s_mov_b32 s25, 0x40900000
	s_mov_b32 s27, 0xc090cc00
	v_ldexp_f64 v[36:37], v[38:39], v19
	v_mov_b32_e32 v19, 0x7ff00000
	v_cmp_nlt_f64_e64 s[24:25], s[24:25], v[16:17]
	v_cmp_ngt_f64_e64 s[26:27], s[26:27], v[16:17]
	s_mov_b32 s35, 0x3fe62e42
	v_cndmask_b32_e64 v37, v19, v37, s[24:25]
	s_and_b64 s[24:25], s[26:27], s[24:25]
	v_cndmask_b32_e64 v17, 0, v37, s[26:27]
	v_cndmask_b32_e64 v16, 0, v36, s[24:25]
	v_add_f64 v[36:37], v[16:17], 1.0
	v_add_f64 v[38:39], v[36:37], -1.0
	v_add_f64 v[40:41], v[38:39], -v[36:37]
	v_add_f64 v[40:41], v[40:41], 1.0
	v_add_f64 v[38:39], v[16:17], -v[38:39]
	s_mov_b32 s24, 0x55555555
	v_add_f64 v[38:39], v[38:39], v[40:41]
	v_frexp_mant_f64_e32 v[40:41], v[36:37]
	s_mov_b32 s25, 0x3fe55555
	v_frexp_exp_i32_f64_e32 v42, v[36:37]
	v_cmp_gt_f64_e64 s[24:25], s[24:25], v[40:41]
	s_mov_b32 s37, 0x3c7abc9e
	v_cmp_ngt_f64_e64 s[26:27], -1.0, v[16:17]
	v_subbrev_co_u32_e64 v56, s[24:25], 0, v42, s[24:25]
	v_sub_u32_e32 v40, 0, v56
	v_ldexp_f64 v[36:37], v[36:37], v40
	v_ldexp_f64 v[38:39], v[38:39], v40
	v_add_f64 v[40:41], v[36:37], -1.0
	v_add_f64 v[46:47], v[36:37], 1.0
	v_add_f64 v[42:43], v[40:41], 1.0
	v_add_f64 v[48:49], v[46:47], -1.0
	v_add_f64 v[42:43], v[36:37], -v[42:43]
	v_add_f64 v[36:37], v[36:37], -v[48:49]
	v_add_f64 v[36:37], v[38:39], v[36:37]
	v_add_f64 v[42:43], v[38:39], v[42:43]
	;; [unrolled: 1-line block ×3, first 2 shown]
	v_rcp_f64_e32 v[48:49], v[38:39]
	v_add_f64 v[44:45], v[40:41], v[42:43]
	v_add_f64 v[40:41], v[44:45], -v[40:41]
	v_add_f64 v[40:41], v[42:43], -v[40:41]
	;; [unrolled: 1-line block ×4, first 2 shown]
	v_fma_f64 v[42:43], -v[38:39], v[48:49], 1.0
	v_fmac_f64_e32 v[48:49], v[42:43], v[48:49]
	v_fma_f64 v[42:43], -v[38:39], v[48:49], 1.0
	v_fmac_f64_e32 v[48:49], v[42:43], v[48:49]
	v_mul_f64 v[42:43], v[44:45], v[48:49]
	v_mul_f64 v[46:47], v[38:39], v[42:43]
	v_fma_f64 v[50:51], v[42:43], v[38:39], -v[46:47]
	v_fmac_f64_e32 v[50:51], v[42:43], v[36:37]
	v_add_f64 v[52:53], v[46:47], v[50:51]
	v_add_f64 v[54:55], v[44:45], -v[52:53]
	v_add_f64 v[44:45], v[44:45], -v[54:55]
	v_add_f64 v[46:47], v[52:53], -v[46:47]
	v_add_f64 v[44:45], v[44:45], -v[52:53]
	v_add_f64 v[40:41], v[40:41], v[44:45]
	v_add_f64 v[44:45], v[46:47], -v[50:51]
	v_add_f64 v[40:41], v[44:45], v[40:41]
	v_add_f64 v[44:45], v[54:55], v[40:41]
	v_add_f64 v[46:47], v[54:55], -v[44:45]
	v_add_f64 v[40:41], v[40:41], v[46:47]
	v_mul_f64 v[46:47], v[48:49], v[44:45]
	v_mul_f64 v[50:51], v[38:39], v[46:47]
	v_fma_f64 v[38:39], v[46:47], v[38:39], -v[50:51]
	v_fmac_f64_e32 v[38:39], v[46:47], v[36:37]
	v_add_f64 v[36:37], v[50:51], v[38:39]
	v_add_f64 v[52:53], v[44:45], -v[36:37]
	v_add_f64 v[44:45], v[44:45], -v[52:53]
	;; [unrolled: 1-line block ×4, first 2 shown]
	v_add_f64 v[36:37], v[40:41], v[36:37]
	v_add_f64 v[38:39], v[50:51], -v[38:39]
	v_add_f64 v[36:37], v[38:39], v[36:37]
	v_add_f64 v[38:39], v[42:43], v[46:47]
	;; [unrolled: 1-line block ×3, first 2 shown]
	v_add_f64 v[40:41], v[38:39], -v[42:43]
	v_mul_f64 v[36:37], v[48:49], v[36:37]
	v_add_f64 v[40:41], v[46:47], -v[40:41]
	v_add_f64 v[36:37], v[40:41], v[36:37]
	v_add_f64 v[40:41], v[38:39], v[36:37]
	v_add_f64 v[38:39], v[40:41], -v[38:39]
	s_mov_b32 s24, 0xbf559e2b
	v_add_f64 v[36:37], v[36:37], -v[38:39]
	v_mul_f64 v[38:39], v[40:41], v[40:41]
	v_mov_b32_e32 v42, 0x6b47b09a
	v_mov_b32_e32 v43, 0x3fc38538
	s_mov_b32 s25, 0x3fc3ab76
	v_fmac_f64_e32 v[42:43], s[24:25], v[38:39]
	v_mov_b32_e32 v44, 0xd7f4df2e
	v_mov_b32_e32 v45, 0x3fc7474d
	v_fmac_f64_e32 v[44:45], v[38:39], v[42:43]
	v_mov_b32_e32 v42, 0x16291751
	v_mov_b32_e32 v43, 0x3fcc71c0
	;; [unrolled: 3-line block ×5, first 2 shown]
	v_fmac_f64_e32 v[44:45], v[38:39], v[42:43]
	v_cvt_f64_i32_e32 v[42:43], v56
	v_mul_f64 v[46:47], v[42:43], s[34:35]
	v_fma_f64 v[48:49], v[42:43], s[34:35], -v[46:47]
	v_fmac_f64_e32 v[48:49], s[36:37], v[42:43]
	v_add_f64 v[42:43], v[46:47], v[48:49]
	v_add_f64 v[46:47], v[42:43], -v[46:47]
	v_mul_f64 v[38:39], v[40:41], v[38:39]
	v_add_f64 v[46:47], v[48:49], -v[46:47]
	v_ldexp_f64 v[48:49], v[40:41], 1
	v_mul_f64 v[38:39], v[38:39], v[44:45]
	v_add_f64 v[40:41], v[48:49], v[38:39]
	v_add_f64 v[44:45], v[40:41], -v[48:49]
	v_ldexp_f64 v[36:37], v[36:37], 1
	v_add_f64 v[38:39], v[38:39], -v[44:45]
	v_add_f64 v[36:37], v[36:37], v[38:39]
	v_add_f64 v[38:39], v[40:41], v[36:37]
	v_add_f64 v[40:41], v[38:39], -v[40:41]
	v_add_f64 v[36:37], v[36:37], -v[40:41]
	v_add_f64 v[40:41], v[42:43], v[38:39]
	v_add_f64 v[44:45], v[40:41], -v[42:43]
	v_add_f64 v[48:49], v[40:41], -v[44:45]
	;; [unrolled: 1-line block ×4, first 2 shown]
	v_add_f64 v[38:39], v[38:39], v[42:43]
	v_add_f64 v[42:43], v[46:47], v[36:37]
	v_add_f64 v[44:45], v[42:43], -v[46:47]
	v_add_f64 v[38:39], v[42:43], v[38:39]
	v_add_f64 v[48:49], v[42:43], -v[44:45]
	;; [unrolled: 2-line block ×3, first 2 shown]
	v_add_f64 v[36:37], v[36:37], -v[44:45]
	v_add_f64 v[40:41], v[42:43], -v[40:41]
	v_add_f64 v[36:37], v[36:37], v[46:47]
	v_add_f64 v[38:39], v[38:39], -v[40:41]
	s_mov_b32 s24, 0
	v_add_f64 v[36:37], v[36:37], v[38:39]
	s_mov_b32 s25, 0x7ff00000
	v_add_f64 v[36:37], v[42:43], v[36:37]
	v_cmp_neq_f64_e64 s[24:25], s[24:25], v[16:17]
	s_nop 1
	v_cndmask_b32_e64 v19, v19, v37, s[24:25]
	v_mov_b32_e32 v37, 0x7ff80000
	v_cndmask_b32_e64 v19, v37, v19, s[26:27]
	v_cmp_nge_f64_e64 s[26:27], -1.0, v[16:17]
	s_and_b64 s[24:25], s[26:27], s[24:25]
	v_cndmask_b32_e64 v36, 0, v36, s[24:25]
	v_mov_b32_e32 v37, 0xfff00000
	v_cmp_neq_f64_e64 s[24:25], -1.0, v[16:17]
	s_nop 1
	v_cndmask_b32_e64 v37, v37, v19, s[24:25]
	v_add_f64 v[16:17], v[14:15], v[36:37]
.LBB18_61:
	s_or_b64 exec, exec, s[28:29]
	ds_write_b64 v1, v[16:17] offset:24
.LBB18_62:
	s_or_b64 exec, exec, s[30:31]
	s_load_dwordx2 s[24:25], s[0:1], 0x20
	v_mul_u32_u24_e32 v19, 40, v0
	v_cmp_ne_u32_e64 s[0:1], 0, v0
	s_waitcnt lgkmcnt(0)
	s_barrier
	s_and_saveexec_b64 s[26:27], s[0:1]
	s_cbranch_execz .LBB18_66
; %bb.63:
	v_add_u32_e32 v0, -1, v0
	v_lshrrev_b32_e32 v1, 2, v0
	v_and_b32_e32 v1, 0x3ffffff8, v1
	v_lshl_add_u32 v0, v0, 3, v1
	ds_read_b64 v[14:15], v0
	s_waitcnt lgkmcnt(0)
	v_max_f64 v[0:1], v[14:15], v[14:15]
	v_min_f64 v[16:17], v[0:1], v[30:31]
	v_max_f64 v[0:1], v[0:1], v[30:31]
	v_cmp_u_f64_e64 s[0:1], v[14:15], v[14:15]
	s_nop 1
	v_cndmask_b32_e64 v16, v16, v14, s[0:1]
	v_cndmask_b32_e64 v17, v17, v15, s[0:1]
	;; [unrolled: 1-line block ×8, first 2 shown]
	s_movk_i32 s22, 0x1f8
	v_cmp_neq_f64_e64 s[0:1], v[16:17], v[0:1]
	v_cmp_class_f64_e64 s[22:23], v[16:17], s22
	s_or_b64 s[0:1], s[0:1], s[22:23]
	s_and_saveexec_b64 s[28:29], s[0:1]
	s_cbranch_execz .LBB18_65
; %bb.64:
	s_mov_b32 s0, 0x652b82fe
	v_add_f64 v[2:3], v[16:17], -v[0:1]
	s_mov_b32 s1, 0x3ff71547
	v_mul_f64 v[14:15], v[2:3], s[0:1]
	v_rndne_f64_e32 v[14:15], v[14:15]
	s_mov_b32 s31, 0xbfe62e42
	s_mov_b32 s30, 0xfefa39ef
	v_fma_f64 v[16:17], s[30:31], v[14:15], v[2:3]
	s_mov_b32 s35, 0xbc7abc9e
	s_mov_b32 s34, 0x3b39803f
	;; [unrolled: 1-line block ×3, first 2 shown]
	v_fmac_f64_e32 v[16:17], s[34:35], v[14:15]
	v_mov_b32_e32 v30, 0xfca7ab0c
	v_mov_b32_e32 v31, 0x3e928af3
	s_mov_b32 s1, 0x3e5ade15
	v_fmac_f64_e32 v[30:31], s[0:1], v[16:17]
	v_mov_b32_e32 v32, 0x623fde64
	v_mov_b32_e32 v33, 0x3ec71dee
	v_fmac_f64_e32 v[32:33], v[16:17], v[30:31]
	v_mov_b32_e32 v30, 0x7c89e6b0
	v_mov_b32_e32 v31, 0x3efa0199
	;; [unrolled: 3-line block ×8, first 2 shown]
	v_fmac_f64_e32 v[30:31], v[16:17], v[32:33]
	v_fma_f64 v[30:31], v[16:17], v[30:31], 1.0
	s_mov_b32 s0, 0
	s_mov_b32 s22, 0
	v_fma_f64 v[16:17], v[16:17], v[30:31], 1.0
	v_cvt_i32_f64_e32 v14, v[14:15]
	s_mov_b32 s1, 0x40900000
	s_mov_b32 s23, 0xc090cc00
	v_ldexp_f64 v[14:15], v[16:17], v14
	v_mov_b32_e32 v46, 0x7ff00000
	v_cmp_nlt_f64_e64 s[0:1], s[0:1], v[2:3]
	v_cmp_ngt_f64_e64 s[22:23], s[22:23], v[2:3]
	s_mov_b32 s31, 0x3fe62e42
	v_cndmask_b32_e64 v15, v46, v15, s[0:1]
	s_and_b64 s[0:1], s[22:23], s[0:1]
	v_cndmask_b32_e64 v3, 0, v15, s[22:23]
	v_cndmask_b32_e64 v2, 0, v14, s[0:1]
	v_add_f64 v[14:15], v[2:3], 1.0
	v_add_f64 v[16:17], v[14:15], -1.0
	v_add_f64 v[30:31], v[16:17], -v[14:15]
	v_add_f64 v[30:31], v[30:31], 1.0
	v_add_f64 v[16:17], v[2:3], -v[16:17]
	s_mov_b32 s0, 0x55555555
	v_add_f64 v[16:17], v[16:17], v[30:31]
	v_frexp_mant_f64_e32 v[30:31], v[14:15]
	s_mov_b32 s1, 0x3fe55555
	v_frexp_exp_i32_f64_e32 v32, v[14:15]
	v_cmp_gt_f64_e64 s[0:1], s[0:1], v[30:31]
	s_mov_b32 s35, 0x3c7abc9e
	v_cmp_ngt_f64_e64 s[22:23], -1.0, v[2:3]
	v_subbrev_co_u32_e64 v47, s[0:1], 0, v32, s[0:1]
	v_sub_u32_e32 v30, 0, v47
	v_ldexp_f64 v[14:15], v[14:15], v30
	v_ldexp_f64 v[16:17], v[16:17], v30
	v_add_f64 v[30:31], v[14:15], -1.0
	v_add_f64 v[36:37], v[14:15], 1.0
	v_add_f64 v[32:33], v[30:31], 1.0
	v_add_f64 v[38:39], v[36:37], -1.0
	v_add_f64 v[32:33], v[14:15], -v[32:33]
	v_add_f64 v[14:15], v[14:15], -v[38:39]
	v_add_f64 v[14:15], v[16:17], v[14:15]
	v_add_f64 v[32:33], v[16:17], v[32:33]
	;; [unrolled: 1-line block ×3, first 2 shown]
	v_rcp_f64_e32 v[38:39], v[16:17]
	v_add_f64 v[34:35], v[30:31], v[32:33]
	v_add_f64 v[30:31], v[34:35], -v[30:31]
	v_add_f64 v[30:31], v[32:33], -v[30:31]
	;; [unrolled: 1-line block ×4, first 2 shown]
	v_fma_f64 v[32:33], -v[16:17], v[38:39], 1.0
	v_fmac_f64_e32 v[38:39], v[32:33], v[38:39]
	v_fma_f64 v[32:33], -v[16:17], v[38:39], 1.0
	v_fmac_f64_e32 v[38:39], v[32:33], v[38:39]
	v_mul_f64 v[32:33], v[34:35], v[38:39]
	v_mul_f64 v[36:37], v[16:17], v[32:33]
	v_fma_f64 v[40:41], v[32:33], v[16:17], -v[36:37]
	v_fmac_f64_e32 v[40:41], v[32:33], v[14:15]
	v_add_f64 v[42:43], v[36:37], v[40:41]
	v_add_f64 v[44:45], v[34:35], -v[42:43]
	v_add_f64 v[34:35], v[34:35], -v[44:45]
	;; [unrolled: 1-line block ×4, first 2 shown]
	v_add_f64 v[30:31], v[30:31], v[34:35]
	v_add_f64 v[34:35], v[36:37], -v[40:41]
	v_add_f64 v[30:31], v[34:35], v[30:31]
	v_add_f64 v[34:35], v[44:45], v[30:31]
	v_add_f64 v[36:37], v[44:45], -v[34:35]
	v_add_f64 v[30:31], v[30:31], v[36:37]
	v_mul_f64 v[36:37], v[38:39], v[34:35]
	v_mul_f64 v[40:41], v[16:17], v[36:37]
	v_fma_f64 v[16:17], v[36:37], v[16:17], -v[40:41]
	v_fmac_f64_e32 v[16:17], v[36:37], v[14:15]
	v_add_f64 v[14:15], v[40:41], v[16:17]
	v_add_f64 v[42:43], v[34:35], -v[14:15]
	v_add_f64 v[34:35], v[34:35], -v[42:43]
	;; [unrolled: 1-line block ×4, first 2 shown]
	v_add_f64 v[14:15], v[30:31], v[14:15]
	v_add_f64 v[16:17], v[40:41], -v[16:17]
	v_add_f64 v[14:15], v[16:17], v[14:15]
	v_add_f64 v[16:17], v[32:33], v[36:37]
	;; [unrolled: 1-line block ×3, first 2 shown]
	v_add_f64 v[30:31], v[16:17], -v[32:33]
	v_mul_f64 v[14:15], v[38:39], v[14:15]
	v_add_f64 v[30:31], v[36:37], -v[30:31]
	v_add_f64 v[14:15], v[30:31], v[14:15]
	v_add_f64 v[30:31], v[16:17], v[14:15]
	v_add_f64 v[16:17], v[30:31], -v[16:17]
	s_mov_b32 s0, 0xbf559e2b
	v_add_f64 v[14:15], v[14:15], -v[16:17]
	v_mul_f64 v[16:17], v[30:31], v[30:31]
	v_mov_b32_e32 v32, 0x6b47b09a
	v_mov_b32_e32 v33, 0x3fc38538
	s_mov_b32 s1, 0x3fc3ab76
	v_fmac_f64_e32 v[32:33], s[0:1], v[16:17]
	v_mov_b32_e32 v34, 0xd7f4df2e
	v_mov_b32_e32 v35, 0x3fc7474d
	v_fmac_f64_e32 v[34:35], v[16:17], v[32:33]
	v_mov_b32_e32 v32, 0x16291751
	v_mov_b32_e32 v33, 0x3fcc71c0
	;; [unrolled: 3-line block ×5, first 2 shown]
	v_fmac_f64_e32 v[34:35], v[16:17], v[32:33]
	v_cvt_f64_i32_e32 v[32:33], v47
	v_mul_f64 v[36:37], v[32:33], s[30:31]
	v_fma_f64 v[38:39], v[32:33], s[30:31], -v[36:37]
	v_fmac_f64_e32 v[38:39], s[34:35], v[32:33]
	v_add_f64 v[32:33], v[36:37], v[38:39]
	v_add_f64 v[36:37], v[32:33], -v[36:37]
	v_mul_f64 v[16:17], v[30:31], v[16:17]
	v_add_f64 v[36:37], v[38:39], -v[36:37]
	v_ldexp_f64 v[38:39], v[30:31], 1
	v_mul_f64 v[16:17], v[16:17], v[34:35]
	v_add_f64 v[30:31], v[38:39], v[16:17]
	v_add_f64 v[34:35], v[30:31], -v[38:39]
	v_ldexp_f64 v[14:15], v[14:15], 1
	v_add_f64 v[16:17], v[16:17], -v[34:35]
	v_add_f64 v[14:15], v[14:15], v[16:17]
	v_add_f64 v[16:17], v[30:31], v[14:15]
	v_add_f64 v[30:31], v[16:17], -v[30:31]
	v_add_f64 v[14:15], v[14:15], -v[30:31]
	v_add_f64 v[30:31], v[32:33], v[16:17]
	v_add_f64 v[34:35], v[30:31], -v[32:33]
	v_add_f64 v[38:39], v[30:31], -v[34:35]
	;; [unrolled: 1-line block ×4, first 2 shown]
	v_add_f64 v[16:17], v[16:17], v[32:33]
	v_add_f64 v[32:33], v[36:37], v[14:15]
	v_add_f64 v[34:35], v[32:33], -v[36:37]
	v_add_f64 v[16:17], v[32:33], v[16:17]
	v_add_f64 v[38:39], v[32:33], -v[34:35]
	;; [unrolled: 2-line block ×3, first 2 shown]
	v_add_f64 v[14:15], v[14:15], -v[34:35]
	v_add_f64 v[30:31], v[32:33], -v[30:31]
	v_add_f64 v[14:15], v[14:15], v[36:37]
	v_add_f64 v[16:17], v[16:17], -v[30:31]
	s_mov_b32 s0, 0
	v_add_f64 v[14:15], v[14:15], v[16:17]
	s_mov_b32 s1, 0x7ff00000
	v_add_f64 v[14:15], v[32:33], v[14:15]
	v_cmp_neq_f64_e64 s[0:1], s[0:1], v[2:3]
	v_mov_b32_e32 v16, 0x7ff80000
	s_nop 0
	v_cndmask_b32_e64 v15, v46, v15, s[0:1]
	v_cndmask_b32_e64 v15, v16, v15, s[22:23]
	v_cmp_nge_f64_e64 s[22:23], -1.0, v[2:3]
	s_and_b64 s[0:1], s[22:23], s[0:1]
	v_cndmask_b32_e64 v14, 0, v14, s[0:1]
	v_mov_b32_e32 v16, 0xfff00000
	v_cmp_neq_f64_e64 s[0:1], -1.0, v[2:3]
	s_nop 1
	v_cndmask_b32_e64 v15, v16, v15, s[0:1]
	v_add_f64 v[14:15], v[0:1], v[14:15]
.LBB18_65:
	s_or_b64 exec, exec, s[28:29]
	v_max_f64 v[0:1], v[14:15], v[14:15]
	v_min_f64 v[32:33], v[0:1], v[28:29]
	v_max_f64 v[34:35], v[0:1], v[28:29]
	v_mov_b64_e32 v[2:3], v[14:15]
	;;#ASMSTART
	;;#ASMEND
.LBB18_66:
	s_or_b64 exec, exec, s[26:27]
	v_cmp_u_f64_e64 s[0:1], v[2:3], v[2:3]
	s_movk_i32 s30, 0x1f8
	s_nop 0
	v_cndmask_b32_e64 v0, v32, v2, s[0:1]
	v_cndmask_b32_e64 v1, v33, v3, s[0:1]
	;; [unrolled: 1-line block ×8, first 2 shown]
	v_cmp_neq_f64_e64 s[0:1], v[14:15], v[0:1]
	v_cmp_class_f64_e64 s[10:11], v[14:15], s30
	s_or_b64 s[0:1], s[0:1], s[10:11]
	v_mov_b64_e32 v[4:5], v[2:3]
	s_and_saveexec_b64 s[22:23], s[0:1]
	s_cbranch_execz .LBB18_68
; %bb.67:
	s_mov_b32 s0, 0x652b82fe
	v_add_f64 v[4:5], v[14:15], -v[0:1]
	s_mov_b32 s1, 0x3ff71547
	v_mul_f64 v[14:15], v[4:5], s[0:1]
	v_rndne_f64_e32 v[14:15], v[14:15]
	s_mov_b32 s27, 0xbfe62e42
	s_mov_b32 s26, 0xfefa39ef
	v_fma_f64 v[16:17], s[26:27], v[14:15], v[4:5]
	s_mov_b32 s29, 0xbc7abc9e
	s_mov_b32 s28, 0x3b39803f
	;; [unrolled: 1-line block ×3, first 2 shown]
	v_fmac_f64_e32 v[16:17], s[28:29], v[14:15]
	v_mov_b32_e32 v28, 0xfca7ab0c
	v_mov_b32_e32 v29, 0x3e928af3
	s_mov_b32 s1, 0x3e5ade15
	v_fmac_f64_e32 v[28:29], s[0:1], v[16:17]
	v_mov_b32_e32 v30, 0x623fde64
	v_mov_b32_e32 v31, 0x3ec71dee
	v_fmac_f64_e32 v[30:31], v[16:17], v[28:29]
	v_mov_b32_e32 v28, 0x7c89e6b0
	v_mov_b32_e32 v29, 0x3efa0199
	;; [unrolled: 3-line block ×8, first 2 shown]
	v_fmac_f64_e32 v[28:29], v[16:17], v[30:31]
	v_fma_f64 v[28:29], v[16:17], v[28:29], 1.0
	s_mov_b32 s0, 0
	s_mov_b32 s10, 0
	v_fma_f64 v[16:17], v[16:17], v[28:29], 1.0
	v_cvt_i32_f64_e32 v14, v[14:15]
	s_mov_b32 s1, 0x40900000
	s_mov_b32 s11, 0xc090cc00
	v_ldexp_f64 v[14:15], v[16:17], v14
	v_mov_b32_e32 v44, 0x7ff00000
	v_cmp_nlt_f64_e64 s[0:1], s[0:1], v[4:5]
	v_cmp_ngt_f64_e64 s[10:11], s[10:11], v[4:5]
	s_mov_b32 s27, 0x3fe62e42
	v_cndmask_b32_e64 v15, v44, v15, s[0:1]
	s_and_b64 s[0:1], s[10:11], s[0:1]
	v_cndmask_b32_e64 v5, 0, v15, s[10:11]
	v_cndmask_b32_e64 v4, 0, v14, s[0:1]
	v_add_f64 v[14:15], v[4:5], 1.0
	v_add_f64 v[16:17], v[14:15], -1.0
	v_add_f64 v[28:29], v[16:17], -v[14:15]
	v_add_f64 v[28:29], v[28:29], 1.0
	v_add_f64 v[16:17], v[4:5], -v[16:17]
	s_mov_b32 s0, 0x55555555
	v_add_f64 v[16:17], v[16:17], v[28:29]
	v_frexp_mant_f64_e32 v[28:29], v[14:15]
	s_mov_b32 s1, 0x3fe55555
	v_frexp_exp_i32_f64_e32 v30, v[14:15]
	v_cmp_gt_f64_e64 s[0:1], s[0:1], v[28:29]
	s_mov_b32 s29, 0x3c7abc9e
	v_cmp_ngt_f64_e64 s[10:11], -1.0, v[4:5]
	v_subbrev_co_u32_e64 v45, s[0:1], 0, v30, s[0:1]
	v_sub_u32_e32 v28, 0, v45
	v_ldexp_f64 v[14:15], v[14:15], v28
	v_ldexp_f64 v[16:17], v[16:17], v28
	v_add_f64 v[28:29], v[14:15], -1.0
	v_add_f64 v[34:35], v[14:15], 1.0
	v_add_f64 v[30:31], v[28:29], 1.0
	v_add_f64 v[36:37], v[34:35], -1.0
	v_add_f64 v[30:31], v[14:15], -v[30:31]
	v_add_f64 v[14:15], v[14:15], -v[36:37]
	v_add_f64 v[14:15], v[16:17], v[14:15]
	v_add_f64 v[30:31], v[16:17], v[30:31]
	;; [unrolled: 1-line block ×3, first 2 shown]
	v_rcp_f64_e32 v[36:37], v[16:17]
	v_add_f64 v[32:33], v[28:29], v[30:31]
	v_add_f64 v[28:29], v[32:33], -v[28:29]
	v_add_f64 v[28:29], v[30:31], -v[28:29]
	;; [unrolled: 1-line block ×4, first 2 shown]
	v_fma_f64 v[30:31], -v[16:17], v[36:37], 1.0
	v_fmac_f64_e32 v[36:37], v[30:31], v[36:37]
	v_fma_f64 v[30:31], -v[16:17], v[36:37], 1.0
	v_fmac_f64_e32 v[36:37], v[30:31], v[36:37]
	v_mul_f64 v[30:31], v[32:33], v[36:37]
	v_mul_f64 v[34:35], v[16:17], v[30:31]
	v_fma_f64 v[38:39], v[30:31], v[16:17], -v[34:35]
	v_fmac_f64_e32 v[38:39], v[30:31], v[14:15]
	v_add_f64 v[40:41], v[34:35], v[38:39]
	v_add_f64 v[42:43], v[32:33], -v[40:41]
	v_add_f64 v[32:33], v[32:33], -v[42:43]
	;; [unrolled: 1-line block ×4, first 2 shown]
	v_add_f64 v[28:29], v[28:29], v[32:33]
	v_add_f64 v[32:33], v[34:35], -v[38:39]
	v_add_f64 v[28:29], v[32:33], v[28:29]
	v_add_f64 v[32:33], v[42:43], v[28:29]
	v_add_f64 v[34:35], v[42:43], -v[32:33]
	v_add_f64 v[28:29], v[28:29], v[34:35]
	v_mul_f64 v[34:35], v[36:37], v[32:33]
	v_mul_f64 v[38:39], v[16:17], v[34:35]
	v_fma_f64 v[16:17], v[34:35], v[16:17], -v[38:39]
	v_fmac_f64_e32 v[16:17], v[34:35], v[14:15]
	v_add_f64 v[14:15], v[38:39], v[16:17]
	v_add_f64 v[40:41], v[32:33], -v[14:15]
	v_add_f64 v[32:33], v[32:33], -v[40:41]
	v_add_f64 v[38:39], v[14:15], -v[38:39]
	v_add_f64 v[14:15], v[32:33], -v[14:15]
	v_add_f64 v[14:15], v[28:29], v[14:15]
	v_add_f64 v[16:17], v[38:39], -v[16:17]
	v_add_f64 v[14:15], v[16:17], v[14:15]
	v_add_f64 v[16:17], v[30:31], v[34:35]
	v_add_f64 v[14:15], v[40:41], v[14:15]
	v_add_f64 v[28:29], v[16:17], -v[30:31]
	v_mul_f64 v[14:15], v[36:37], v[14:15]
	v_add_f64 v[28:29], v[34:35], -v[28:29]
	v_add_f64 v[14:15], v[28:29], v[14:15]
	v_add_f64 v[28:29], v[16:17], v[14:15]
	v_add_f64 v[16:17], v[28:29], -v[16:17]
	s_mov_b32 s0, 0xbf559e2b
	v_add_f64 v[14:15], v[14:15], -v[16:17]
	v_mul_f64 v[16:17], v[28:29], v[28:29]
	v_mov_b32_e32 v30, 0x6b47b09a
	v_mov_b32_e32 v31, 0x3fc38538
	s_mov_b32 s1, 0x3fc3ab76
	v_fmac_f64_e32 v[30:31], s[0:1], v[16:17]
	v_mov_b32_e32 v32, 0xd7f4df2e
	v_mov_b32_e32 v33, 0x3fc7474d
	v_fmac_f64_e32 v[32:33], v[16:17], v[30:31]
	v_mov_b32_e32 v30, 0x16291751
	v_mov_b32_e32 v31, 0x3fcc71c0
	;; [unrolled: 3-line block ×5, first 2 shown]
	v_fmac_f64_e32 v[32:33], v[16:17], v[30:31]
	v_cvt_f64_i32_e32 v[30:31], v45
	v_mul_f64 v[34:35], v[30:31], s[26:27]
	v_fma_f64 v[36:37], v[30:31], s[26:27], -v[34:35]
	v_fmac_f64_e32 v[36:37], s[28:29], v[30:31]
	v_add_f64 v[30:31], v[34:35], v[36:37]
	v_add_f64 v[34:35], v[30:31], -v[34:35]
	v_mul_f64 v[16:17], v[28:29], v[16:17]
	v_add_f64 v[34:35], v[36:37], -v[34:35]
	v_ldexp_f64 v[36:37], v[28:29], 1
	v_mul_f64 v[16:17], v[16:17], v[32:33]
	v_add_f64 v[28:29], v[36:37], v[16:17]
	v_add_f64 v[32:33], v[28:29], -v[36:37]
	v_ldexp_f64 v[14:15], v[14:15], 1
	v_add_f64 v[16:17], v[16:17], -v[32:33]
	v_add_f64 v[14:15], v[14:15], v[16:17]
	v_add_f64 v[16:17], v[28:29], v[14:15]
	v_add_f64 v[28:29], v[16:17], -v[28:29]
	v_add_f64 v[14:15], v[14:15], -v[28:29]
	v_add_f64 v[28:29], v[30:31], v[16:17]
	v_add_f64 v[32:33], v[28:29], -v[30:31]
	v_add_f64 v[36:37], v[28:29], -v[32:33]
	;; [unrolled: 1-line block ×4, first 2 shown]
	v_add_f64 v[16:17], v[16:17], v[30:31]
	v_add_f64 v[30:31], v[34:35], v[14:15]
	v_add_f64 v[32:33], v[30:31], -v[34:35]
	v_add_f64 v[16:17], v[30:31], v[16:17]
	v_add_f64 v[36:37], v[30:31], -v[32:33]
	;; [unrolled: 2-line block ×3, first 2 shown]
	v_add_f64 v[14:15], v[14:15], -v[32:33]
	v_add_f64 v[28:29], v[30:31], -v[28:29]
	v_add_f64 v[14:15], v[14:15], v[34:35]
	v_add_f64 v[16:17], v[16:17], -v[28:29]
	s_mov_b32 s0, 0
	v_add_f64 v[14:15], v[14:15], v[16:17]
	s_mov_b32 s1, 0x7ff00000
	v_add_f64 v[14:15], v[30:31], v[14:15]
	v_cmp_neq_f64_e64 s[0:1], s[0:1], v[4:5]
	v_mov_b32_e32 v16, 0x7ff80000
	s_nop 0
	v_cndmask_b32_e64 v15, v44, v15, s[0:1]
	v_cndmask_b32_e64 v15, v16, v15, s[10:11]
	v_cmp_nge_f64_e64 s[10:11], -1.0, v[4:5]
	s_and_b64 s[0:1], s[10:11], s[0:1]
	v_cndmask_b32_e64 v14, 0, v14, s[0:1]
	v_mov_b32_e32 v16, 0xfff00000
	v_cmp_neq_f64_e64 s[0:1], -1.0, v[4:5]
	s_nop 1
	v_cndmask_b32_e64 v15, v16, v15, s[0:1]
	v_add_f64 v[4:5], v[0:1], v[14:15]
.LBB18_68:
	s_or_b64 exec, exec, s[22:23]
	v_max_f64 v[0:1], v[4:5], v[4:5]
	v_min_f64 v[14:15], v[0:1], v[20:21]
	v_cmp_u_f64_e64 s[0:1], v[4:5], v[4:5]
	v_max_f64 v[0:1], v[0:1], v[20:21]
	s_nop 0
	v_cndmask_b32_e64 v14, v14, v4, s[0:1]
	v_cndmask_b32_e64 v15, v15, v5, s[0:1]
	;; [unrolled: 1-line block ×8, first 2 shown]
	v_cmp_neq_f64_e64 s[0:1], v[14:15], v[0:1]
	v_cmp_class_f64_e64 s[10:11], v[14:15], s30
	s_or_b64 s[0:1], s[0:1], s[10:11]
	v_mov_b64_e32 v[10:11], v[4:5]
	s_and_saveexec_b64 s[12:13], s[0:1]
	s_cbranch_execz .LBB18_70
; %bb.69:
	s_mov_b32 s0, 0x652b82fe
	v_add_f64 v[10:11], v[14:15], -v[0:1]
	s_mov_b32 s1, 0x3ff71547
	v_mul_f64 v[14:15], v[10:11], s[0:1]
	v_rndne_f64_e32 v[14:15], v[14:15]
	s_mov_b32 s23, 0xbfe62e42
	s_mov_b32 s22, 0xfefa39ef
	v_fma_f64 v[16:17], s[22:23], v[14:15], v[10:11]
	s_mov_b32 s27, 0xbc7abc9e
	s_mov_b32 s26, 0x3b39803f
	;; [unrolled: 1-line block ×3, first 2 shown]
	v_fmac_f64_e32 v[16:17], s[26:27], v[14:15]
	v_mov_b32_e32 v20, 0xfca7ab0c
	v_mov_b32_e32 v21, 0x3e928af3
	s_mov_b32 s1, 0x3e5ade15
	v_fmac_f64_e32 v[20:21], s[0:1], v[16:17]
	v_mov_b32_e32 v28, 0x623fde64
	v_mov_b32_e32 v29, 0x3ec71dee
	v_fmac_f64_e32 v[28:29], v[16:17], v[20:21]
	v_mov_b32_e32 v20, 0x7c89e6b0
	v_mov_b32_e32 v21, 0x3efa0199
	;; [unrolled: 3-line block ×8, first 2 shown]
	v_fmac_f64_e32 v[20:21], v[16:17], v[28:29]
	v_fma_f64 v[20:21], v[16:17], v[20:21], 1.0
	s_mov_b32 s0, 0
	s_mov_b32 s10, 0
	v_fma_f64 v[16:17], v[16:17], v[20:21], 1.0
	v_cvt_i32_f64_e32 v14, v[14:15]
	s_mov_b32 s1, 0x40900000
	s_mov_b32 s11, 0xc090cc00
	v_ldexp_f64 v[14:15], v[16:17], v14
	v_mov_b32_e32 v42, 0x7ff00000
	v_cmp_nlt_f64_e64 s[0:1], s[0:1], v[10:11]
	v_cmp_ngt_f64_e64 s[10:11], s[10:11], v[10:11]
	s_mov_b32 s23, 0x3fe62e42
	v_cndmask_b32_e64 v15, v42, v15, s[0:1]
	s_and_b64 s[0:1], s[10:11], s[0:1]
	v_cndmask_b32_e64 v11, 0, v15, s[10:11]
	v_cndmask_b32_e64 v10, 0, v14, s[0:1]
	v_add_f64 v[14:15], v[10:11], 1.0
	v_add_f64 v[16:17], v[14:15], -1.0
	v_add_f64 v[20:21], v[16:17], -v[14:15]
	v_add_f64 v[20:21], v[20:21], 1.0
	v_add_f64 v[16:17], v[10:11], -v[16:17]
	s_mov_b32 s0, 0x55555555
	v_add_f64 v[16:17], v[16:17], v[20:21]
	v_frexp_mant_f64_e32 v[20:21], v[14:15]
	s_mov_b32 s1, 0x3fe55555
	v_frexp_exp_i32_f64_e32 v28, v[14:15]
	v_cmp_gt_f64_e64 s[0:1], s[0:1], v[20:21]
	s_mov_b32 s27, 0x3c7abc9e
	v_cmp_ngt_f64_e64 s[10:11], -1.0, v[10:11]
	v_subbrev_co_u32_e64 v43, s[0:1], 0, v28, s[0:1]
	v_sub_u32_e32 v20, 0, v43
	v_ldexp_f64 v[14:15], v[14:15], v20
	v_ldexp_f64 v[16:17], v[16:17], v20
	v_add_f64 v[20:21], v[14:15], -1.0
	v_add_f64 v[32:33], v[14:15], 1.0
	v_add_f64 v[28:29], v[20:21], 1.0
	v_add_f64 v[34:35], v[32:33], -1.0
	v_add_f64 v[28:29], v[14:15], -v[28:29]
	v_add_f64 v[14:15], v[14:15], -v[34:35]
	v_add_f64 v[14:15], v[16:17], v[14:15]
	v_add_f64 v[28:29], v[16:17], v[28:29]
	;; [unrolled: 1-line block ×3, first 2 shown]
	v_rcp_f64_e32 v[34:35], v[16:17]
	v_add_f64 v[30:31], v[20:21], v[28:29]
	v_add_f64 v[20:21], v[30:31], -v[20:21]
	v_add_f64 v[20:21], v[28:29], -v[20:21]
	;; [unrolled: 1-line block ×4, first 2 shown]
	v_fma_f64 v[28:29], -v[16:17], v[34:35], 1.0
	v_fmac_f64_e32 v[34:35], v[28:29], v[34:35]
	v_fma_f64 v[28:29], -v[16:17], v[34:35], 1.0
	v_fmac_f64_e32 v[34:35], v[28:29], v[34:35]
	v_mul_f64 v[28:29], v[30:31], v[34:35]
	v_mul_f64 v[32:33], v[16:17], v[28:29]
	v_fma_f64 v[36:37], v[28:29], v[16:17], -v[32:33]
	v_fmac_f64_e32 v[36:37], v[28:29], v[14:15]
	v_add_f64 v[38:39], v[32:33], v[36:37]
	v_add_f64 v[40:41], v[30:31], -v[38:39]
	v_add_f64 v[30:31], v[30:31], -v[40:41]
	;; [unrolled: 1-line block ×4, first 2 shown]
	v_add_f64 v[20:21], v[20:21], v[30:31]
	v_add_f64 v[30:31], v[32:33], -v[36:37]
	v_add_f64 v[20:21], v[30:31], v[20:21]
	v_add_f64 v[30:31], v[40:41], v[20:21]
	v_add_f64 v[32:33], v[40:41], -v[30:31]
	v_add_f64 v[20:21], v[20:21], v[32:33]
	v_mul_f64 v[32:33], v[34:35], v[30:31]
	v_mul_f64 v[36:37], v[16:17], v[32:33]
	v_fma_f64 v[16:17], v[32:33], v[16:17], -v[36:37]
	v_fmac_f64_e32 v[16:17], v[32:33], v[14:15]
	v_add_f64 v[14:15], v[36:37], v[16:17]
	v_add_f64 v[38:39], v[30:31], -v[14:15]
	v_add_f64 v[30:31], v[30:31], -v[38:39]
	;; [unrolled: 1-line block ×4, first 2 shown]
	v_add_f64 v[14:15], v[20:21], v[14:15]
	v_add_f64 v[16:17], v[36:37], -v[16:17]
	v_add_f64 v[14:15], v[16:17], v[14:15]
	v_add_f64 v[16:17], v[28:29], v[32:33]
	v_add_f64 v[14:15], v[38:39], v[14:15]
	v_add_f64 v[20:21], v[16:17], -v[28:29]
	v_mul_f64 v[14:15], v[34:35], v[14:15]
	v_add_f64 v[20:21], v[32:33], -v[20:21]
	v_add_f64 v[14:15], v[20:21], v[14:15]
	v_add_f64 v[20:21], v[16:17], v[14:15]
	v_add_f64 v[16:17], v[20:21], -v[16:17]
	s_mov_b32 s0, 0xbf559e2b
	v_add_f64 v[14:15], v[14:15], -v[16:17]
	v_mul_f64 v[16:17], v[20:21], v[20:21]
	v_mov_b32_e32 v28, 0x6b47b09a
	v_mov_b32_e32 v29, 0x3fc38538
	s_mov_b32 s1, 0x3fc3ab76
	v_fmac_f64_e32 v[28:29], s[0:1], v[16:17]
	v_mov_b32_e32 v30, 0xd7f4df2e
	v_mov_b32_e32 v31, 0x3fc7474d
	v_fmac_f64_e32 v[30:31], v[16:17], v[28:29]
	v_mov_b32_e32 v28, 0x16291751
	v_mov_b32_e32 v29, 0x3fcc71c0
	;; [unrolled: 3-line block ×5, first 2 shown]
	v_fmac_f64_e32 v[30:31], v[16:17], v[28:29]
	v_cvt_f64_i32_e32 v[28:29], v43
	v_mul_f64 v[32:33], v[28:29], s[22:23]
	v_fma_f64 v[34:35], v[28:29], s[22:23], -v[32:33]
	v_fmac_f64_e32 v[34:35], s[26:27], v[28:29]
	v_add_f64 v[28:29], v[32:33], v[34:35]
	v_add_f64 v[32:33], v[28:29], -v[32:33]
	v_mul_f64 v[16:17], v[20:21], v[16:17]
	v_add_f64 v[32:33], v[34:35], -v[32:33]
	v_ldexp_f64 v[34:35], v[20:21], 1
	v_mul_f64 v[16:17], v[16:17], v[30:31]
	v_add_f64 v[20:21], v[34:35], v[16:17]
	v_add_f64 v[30:31], v[20:21], -v[34:35]
	v_ldexp_f64 v[14:15], v[14:15], 1
	v_add_f64 v[16:17], v[16:17], -v[30:31]
	v_add_f64 v[14:15], v[14:15], v[16:17]
	v_add_f64 v[16:17], v[20:21], v[14:15]
	v_add_f64 v[20:21], v[16:17], -v[20:21]
	v_add_f64 v[14:15], v[14:15], -v[20:21]
	v_add_f64 v[20:21], v[28:29], v[16:17]
	v_add_f64 v[30:31], v[20:21], -v[28:29]
	v_add_f64 v[34:35], v[20:21], -v[30:31]
	;; [unrolled: 1-line block ×4, first 2 shown]
	v_add_f64 v[16:17], v[16:17], v[28:29]
	v_add_f64 v[28:29], v[32:33], v[14:15]
	v_add_f64 v[30:31], v[28:29], -v[32:33]
	v_add_f64 v[16:17], v[28:29], v[16:17]
	v_add_f64 v[34:35], v[28:29], -v[30:31]
	;; [unrolled: 2-line block ×3, first 2 shown]
	v_add_f64 v[14:15], v[14:15], -v[30:31]
	v_add_f64 v[20:21], v[28:29], -v[20:21]
	v_add_f64 v[14:15], v[14:15], v[32:33]
	v_add_f64 v[16:17], v[16:17], -v[20:21]
	s_mov_b32 s0, 0
	v_add_f64 v[14:15], v[14:15], v[16:17]
	s_mov_b32 s1, 0x7ff00000
	v_add_f64 v[14:15], v[28:29], v[14:15]
	v_cmp_neq_f64_e64 s[0:1], s[0:1], v[10:11]
	v_mov_b32_e32 v16, 0x7ff80000
	s_nop 0
	v_cndmask_b32_e64 v15, v42, v15, s[0:1]
	v_cndmask_b32_e64 v15, v16, v15, s[10:11]
	v_cmp_nge_f64_e64 s[10:11], -1.0, v[10:11]
	s_and_b64 s[0:1], s[10:11], s[0:1]
	v_cndmask_b32_e64 v14, 0, v14, s[0:1]
	v_mov_b32_e32 v16, 0xfff00000
	v_cmp_neq_f64_e64 s[0:1], -1.0, v[10:11]
	s_nop 1
	v_cndmask_b32_e64 v15, v16, v15, s[0:1]
	v_add_f64 v[10:11], v[0:1], v[14:15]
.LBB18_70:
	s_or_b64 exec, exec, s[12:13]
	v_max_f64 v[0:1], v[10:11], v[10:11]
	v_min_f64 v[14:15], v[0:1], v[22:23]
	v_cmp_u_f64_e64 s[0:1], v[10:11], v[10:11]
	v_max_f64 v[0:1], v[0:1], v[22:23]
	s_movk_i32 s26, 0x1f8
	v_cndmask_b32_e64 v14, v14, v10, s[0:1]
	v_cndmask_b32_e64 v15, v15, v11, s[0:1]
	v_cndmask_b32_e64 v0, v0, v10, s[0:1]
	v_cndmask_b32_e64 v1, v1, v11, s[0:1]
	v_cndmask_b32_e64 v15, v15, v13, s[14:15]
	v_cndmask_b32_e64 v14, v14, v12, s[14:15]
	v_cndmask_b32_e64 v1, v1, v13, s[14:15]
	v_cndmask_b32_e64 v0, v0, v12, s[14:15]
	v_cmp_neq_f64_e64 s[0:1], v[14:15], v[0:1]
	v_cmp_class_f64_e64 s[10:11], v[14:15], s26
	s_or_b64 s[0:1], s[0:1], s[10:11]
	v_mov_b64_e32 v[12:13], v[10:11]
	s_and_saveexec_b64 s[12:13], s[0:1]
	s_cbranch_execz .LBB18_72
; %bb.71:
	s_mov_b32 s0, 0x652b82fe
	v_add_f64 v[12:13], v[14:15], -v[0:1]
	s_mov_b32 s1, 0x3ff71547
	v_mul_f64 v[14:15], v[12:13], s[0:1]
	v_rndne_f64_e32 v[14:15], v[14:15]
	s_mov_b32 s15, 0xbfe62e42
	s_mov_b32 s14, 0xfefa39ef
	v_fma_f64 v[16:17], s[14:15], v[14:15], v[12:13]
	s_mov_b32 s23, 0xbc7abc9e
	s_mov_b32 s22, 0x3b39803f
	;; [unrolled: 1-line block ×3, first 2 shown]
	v_fmac_f64_e32 v[16:17], s[22:23], v[14:15]
	v_mov_b32_e32 v20, 0xfca7ab0c
	v_mov_b32_e32 v21, 0x3e928af3
	s_mov_b32 s1, 0x3e5ade15
	v_fmac_f64_e32 v[20:21], s[0:1], v[16:17]
	v_mov_b32_e32 v22, 0x623fde64
	v_mov_b32_e32 v23, 0x3ec71dee
	v_fmac_f64_e32 v[22:23], v[16:17], v[20:21]
	v_mov_b32_e32 v20, 0x7c89e6b0
	v_mov_b32_e32 v21, 0x3efa0199
	;; [unrolled: 3-line block ×8, first 2 shown]
	v_fmac_f64_e32 v[20:21], v[16:17], v[22:23]
	v_fma_f64 v[20:21], v[16:17], v[20:21], 1.0
	s_mov_b32 s0, 0
	s_mov_b32 s10, 0
	v_fma_f64 v[16:17], v[16:17], v[20:21], 1.0
	v_cvt_i32_f64_e32 v14, v[14:15]
	s_mov_b32 s1, 0x40900000
	s_mov_b32 s11, 0xc090cc00
	v_ldexp_f64 v[14:15], v[16:17], v14
	v_mov_b32_e32 v40, 0x7ff00000
	v_cmp_nlt_f64_e64 s[0:1], s[0:1], v[12:13]
	v_cmp_ngt_f64_e64 s[10:11], s[10:11], v[12:13]
	s_mov_b32 s15, 0x3fe62e42
	v_cndmask_b32_e64 v15, v40, v15, s[0:1]
	s_and_b64 s[0:1], s[10:11], s[0:1]
	v_cndmask_b32_e64 v13, 0, v15, s[10:11]
	v_cndmask_b32_e64 v12, 0, v14, s[0:1]
	v_add_f64 v[14:15], v[12:13], 1.0
	v_add_f64 v[16:17], v[14:15], -1.0
	v_add_f64 v[20:21], v[16:17], -v[14:15]
	v_add_f64 v[20:21], v[20:21], 1.0
	v_add_f64 v[16:17], v[12:13], -v[16:17]
	s_mov_b32 s0, 0x55555555
	v_add_f64 v[16:17], v[16:17], v[20:21]
	v_frexp_mant_f64_e32 v[20:21], v[14:15]
	s_mov_b32 s1, 0x3fe55555
	v_frexp_exp_i32_f64_e32 v22, v[14:15]
	v_cmp_gt_f64_e64 s[0:1], s[0:1], v[20:21]
	s_mov_b32 s23, 0x3c7abc9e
	v_cmp_ngt_f64_e64 s[10:11], -1.0, v[12:13]
	v_subbrev_co_u32_e64 v41, s[0:1], 0, v22, s[0:1]
	v_sub_u32_e32 v20, 0, v41
	v_ldexp_f64 v[14:15], v[14:15], v20
	v_ldexp_f64 v[16:17], v[16:17], v20
	v_add_f64 v[20:21], v[14:15], -1.0
	v_add_f64 v[30:31], v[14:15], 1.0
	v_add_f64 v[22:23], v[20:21], 1.0
	v_add_f64 v[32:33], v[30:31], -1.0
	v_add_f64 v[22:23], v[14:15], -v[22:23]
	v_add_f64 v[14:15], v[14:15], -v[32:33]
	v_add_f64 v[14:15], v[16:17], v[14:15]
	v_add_f64 v[22:23], v[16:17], v[22:23]
	;; [unrolled: 1-line block ×3, first 2 shown]
	v_rcp_f64_e32 v[32:33], v[16:17]
	v_add_f64 v[28:29], v[20:21], v[22:23]
	v_add_f64 v[20:21], v[28:29], -v[20:21]
	v_add_f64 v[20:21], v[22:23], -v[20:21]
	;; [unrolled: 1-line block ×4, first 2 shown]
	v_fma_f64 v[22:23], -v[16:17], v[32:33], 1.0
	v_fmac_f64_e32 v[32:33], v[22:23], v[32:33]
	v_fma_f64 v[22:23], -v[16:17], v[32:33], 1.0
	v_fmac_f64_e32 v[32:33], v[22:23], v[32:33]
	v_mul_f64 v[22:23], v[28:29], v[32:33]
	v_mul_f64 v[30:31], v[16:17], v[22:23]
	v_fma_f64 v[34:35], v[22:23], v[16:17], -v[30:31]
	v_fmac_f64_e32 v[34:35], v[22:23], v[14:15]
	v_add_f64 v[36:37], v[30:31], v[34:35]
	v_add_f64 v[38:39], v[28:29], -v[36:37]
	v_add_f64 v[28:29], v[28:29], -v[38:39]
	;; [unrolled: 1-line block ×4, first 2 shown]
	v_add_f64 v[20:21], v[20:21], v[28:29]
	v_add_f64 v[28:29], v[30:31], -v[34:35]
	v_add_f64 v[20:21], v[28:29], v[20:21]
	v_add_f64 v[28:29], v[38:39], v[20:21]
	v_add_f64 v[30:31], v[38:39], -v[28:29]
	v_add_f64 v[20:21], v[20:21], v[30:31]
	v_mul_f64 v[30:31], v[32:33], v[28:29]
	v_mul_f64 v[34:35], v[16:17], v[30:31]
	v_fma_f64 v[16:17], v[30:31], v[16:17], -v[34:35]
	v_fmac_f64_e32 v[16:17], v[30:31], v[14:15]
	v_add_f64 v[14:15], v[34:35], v[16:17]
	v_add_f64 v[36:37], v[28:29], -v[14:15]
	v_add_f64 v[28:29], v[28:29], -v[36:37]
	;; [unrolled: 1-line block ×4, first 2 shown]
	v_add_f64 v[14:15], v[20:21], v[14:15]
	v_add_f64 v[16:17], v[34:35], -v[16:17]
	v_add_f64 v[14:15], v[16:17], v[14:15]
	v_add_f64 v[16:17], v[22:23], v[30:31]
	;; [unrolled: 1-line block ×3, first 2 shown]
	v_add_f64 v[20:21], v[16:17], -v[22:23]
	v_mul_f64 v[14:15], v[32:33], v[14:15]
	v_add_f64 v[20:21], v[30:31], -v[20:21]
	v_add_f64 v[14:15], v[20:21], v[14:15]
	v_add_f64 v[20:21], v[16:17], v[14:15]
	v_add_f64 v[16:17], v[20:21], -v[16:17]
	s_mov_b32 s0, 0xbf559e2b
	v_add_f64 v[14:15], v[14:15], -v[16:17]
	v_mul_f64 v[16:17], v[20:21], v[20:21]
	v_mov_b32_e32 v22, 0x6b47b09a
	v_mov_b32_e32 v23, 0x3fc38538
	s_mov_b32 s1, 0x3fc3ab76
	v_fmac_f64_e32 v[22:23], s[0:1], v[16:17]
	v_mov_b32_e32 v28, 0xd7f4df2e
	v_mov_b32_e32 v29, 0x3fc7474d
	v_fmac_f64_e32 v[28:29], v[16:17], v[22:23]
	v_mov_b32_e32 v22, 0x16291751
	v_mov_b32_e32 v23, 0x3fcc71c0
	;; [unrolled: 3-line block ×5, first 2 shown]
	v_fmac_f64_e32 v[28:29], v[16:17], v[22:23]
	v_cvt_f64_i32_e32 v[22:23], v41
	v_mul_f64 v[30:31], v[22:23], s[14:15]
	v_fma_f64 v[32:33], v[22:23], s[14:15], -v[30:31]
	v_fmac_f64_e32 v[32:33], s[22:23], v[22:23]
	v_add_f64 v[22:23], v[30:31], v[32:33]
	v_add_f64 v[30:31], v[22:23], -v[30:31]
	v_mul_f64 v[16:17], v[20:21], v[16:17]
	v_add_f64 v[30:31], v[32:33], -v[30:31]
	v_ldexp_f64 v[32:33], v[20:21], 1
	v_mul_f64 v[16:17], v[16:17], v[28:29]
	v_add_f64 v[20:21], v[32:33], v[16:17]
	v_add_f64 v[28:29], v[20:21], -v[32:33]
	v_ldexp_f64 v[14:15], v[14:15], 1
	v_add_f64 v[16:17], v[16:17], -v[28:29]
	v_add_f64 v[14:15], v[14:15], v[16:17]
	v_add_f64 v[16:17], v[20:21], v[14:15]
	v_add_f64 v[20:21], v[16:17], -v[20:21]
	v_add_f64 v[14:15], v[14:15], -v[20:21]
	v_add_f64 v[20:21], v[22:23], v[16:17]
	v_add_f64 v[28:29], v[20:21], -v[22:23]
	v_add_f64 v[32:33], v[20:21], -v[28:29]
	v_add_f64 v[22:23], v[22:23], -v[32:33]
	v_add_f64 v[16:17], v[16:17], -v[28:29]
	v_add_f64 v[16:17], v[16:17], v[22:23]
	v_add_f64 v[22:23], v[30:31], v[14:15]
	v_add_f64 v[28:29], v[22:23], -v[30:31]
	v_add_f64 v[16:17], v[22:23], v[16:17]
	v_add_f64 v[32:33], v[22:23], -v[28:29]
	;; [unrolled: 2-line block ×3, first 2 shown]
	v_add_f64 v[14:15], v[14:15], -v[28:29]
	v_add_f64 v[20:21], v[22:23], -v[20:21]
	v_add_f64 v[14:15], v[14:15], v[30:31]
	v_add_f64 v[16:17], v[16:17], -v[20:21]
	s_mov_b32 s0, 0
	v_add_f64 v[14:15], v[14:15], v[16:17]
	s_mov_b32 s1, 0x7ff00000
	v_add_f64 v[14:15], v[22:23], v[14:15]
	v_cmp_neq_f64_e64 s[0:1], s[0:1], v[12:13]
	v_mov_b32_e32 v16, 0x7ff80000
	s_nop 0
	v_cndmask_b32_e64 v15, v40, v15, s[0:1]
	v_cndmask_b32_e64 v15, v16, v15, s[10:11]
	v_cmp_nge_f64_e64 s[10:11], -1.0, v[12:13]
	s_and_b64 s[0:1], s[10:11], s[0:1]
	v_cndmask_b32_e64 v14, 0, v14, s[0:1]
	v_mov_b32_e32 v16, 0xfff00000
	v_cmp_neq_f64_e64 s[0:1], -1.0, v[12:13]
	s_nop 1
	v_cndmask_b32_e64 v15, v16, v15, s[0:1]
	v_add_f64 v[12:13], v[0:1], v[14:15]
.LBB18_72:
	s_or_b64 exec, exec, s[12:13]
	v_max_f64 v[0:1], v[12:13], v[12:13]
	v_min_f64 v[14:15], v[0:1], v[24:25]
	v_cmp_u_f64_e64 s[0:1], v[12:13], v[12:13]
	v_max_f64 v[0:1], v[0:1], v[24:25]
	s_nop 0
	v_cndmask_b32_e64 v14, v14, v12, s[0:1]
	v_cndmask_b32_e64 v15, v15, v13, s[0:1]
	;; [unrolled: 1-line block ×8, first 2 shown]
	v_cmp_neq_f64_e64 s[0:1], v[14:15], v[0:1]
	v_cmp_class_f64_e64 s[10:11], v[14:15], s26
	s_or_b64 s[0:1], s[0:1], s[10:11]
	v_mov_b64_e32 v[6:7], v[12:13]
	s_and_saveexec_b64 s[12:13], s[0:1]
	s_cbranch_execz .LBB18_74
; %bb.73:
	s_mov_b32 s0, 0x652b82fe
	v_add_f64 v[6:7], v[14:15], -v[0:1]
	s_mov_b32 s1, 0x3ff71547
	v_mul_f64 v[14:15], v[6:7], s[0:1]
	v_rndne_f64_e32 v[14:15], v[14:15]
	s_mov_b32 s15, 0xbfe62e42
	s_mov_b32 s14, 0xfefa39ef
	v_fma_f64 v[16:17], s[14:15], v[14:15], v[6:7]
	s_mov_b32 s17, 0xbc7abc9e
	s_mov_b32 s16, 0x3b39803f
	;; [unrolled: 1-line block ×3, first 2 shown]
	v_fmac_f64_e32 v[16:17], s[16:17], v[14:15]
	v_mov_b32_e32 v20, 0xfca7ab0c
	v_mov_b32_e32 v21, 0x3e928af3
	s_mov_b32 s1, 0x3e5ade15
	v_fmac_f64_e32 v[20:21], s[0:1], v[16:17]
	v_mov_b32_e32 v22, 0x623fde64
	v_mov_b32_e32 v23, 0x3ec71dee
	v_fmac_f64_e32 v[22:23], v[16:17], v[20:21]
	v_mov_b32_e32 v20, 0x7c89e6b0
	v_mov_b32_e32 v21, 0x3efa0199
	;; [unrolled: 3-line block ×8, first 2 shown]
	v_fmac_f64_e32 v[20:21], v[16:17], v[22:23]
	v_fma_f64 v[20:21], v[16:17], v[20:21], 1.0
	s_mov_b32 s0, 0
	s_mov_b32 s10, 0
	v_fma_f64 v[16:17], v[16:17], v[20:21], 1.0
	v_cvt_i32_f64_e32 v14, v[14:15]
	s_mov_b32 s1, 0x40900000
	s_mov_b32 s11, 0xc090cc00
	v_ldexp_f64 v[14:15], v[16:17], v14
	v_mov_b32_e32 v38, 0x7ff00000
	v_cmp_nlt_f64_e64 s[0:1], s[0:1], v[6:7]
	v_cmp_ngt_f64_e64 s[10:11], s[10:11], v[6:7]
	s_mov_b32 s15, 0x3fe62e42
	v_cndmask_b32_e64 v15, v38, v15, s[0:1]
	s_and_b64 s[0:1], s[10:11], s[0:1]
	v_cndmask_b32_e64 v7, 0, v15, s[10:11]
	v_cndmask_b32_e64 v6, 0, v14, s[0:1]
	v_add_f64 v[14:15], v[6:7], 1.0
	v_add_f64 v[16:17], v[14:15], -1.0
	v_add_f64 v[20:21], v[16:17], -v[14:15]
	v_add_f64 v[20:21], v[20:21], 1.0
	v_add_f64 v[16:17], v[6:7], -v[16:17]
	s_mov_b32 s0, 0x55555555
	v_add_f64 v[16:17], v[16:17], v[20:21]
	v_frexp_mant_f64_e32 v[20:21], v[14:15]
	s_mov_b32 s1, 0x3fe55555
	v_frexp_exp_i32_f64_e32 v22, v[14:15]
	v_cmp_gt_f64_e64 s[0:1], s[0:1], v[20:21]
	s_mov_b32 s17, 0x3c7abc9e
	v_cmp_ngt_f64_e64 s[10:11], -1.0, v[6:7]
	v_subbrev_co_u32_e64 v39, s[0:1], 0, v22, s[0:1]
	v_sub_u32_e32 v20, 0, v39
	v_ldexp_f64 v[14:15], v[14:15], v20
	v_ldexp_f64 v[16:17], v[16:17], v20
	v_add_f64 v[20:21], v[14:15], -1.0
	v_add_f64 v[28:29], v[14:15], 1.0
	v_add_f64 v[22:23], v[20:21], 1.0
	v_add_f64 v[30:31], v[28:29], -1.0
	v_add_f64 v[22:23], v[14:15], -v[22:23]
	v_add_f64 v[14:15], v[14:15], -v[30:31]
	v_add_f64 v[14:15], v[16:17], v[14:15]
	v_add_f64 v[22:23], v[16:17], v[22:23]
	;; [unrolled: 1-line block ×3, first 2 shown]
	v_rcp_f64_e32 v[30:31], v[16:17]
	v_add_f64 v[24:25], v[20:21], v[22:23]
	v_add_f64 v[20:21], v[24:25], -v[20:21]
	v_add_f64 v[20:21], v[22:23], -v[20:21]
	;; [unrolled: 1-line block ×4, first 2 shown]
	v_fma_f64 v[22:23], -v[16:17], v[30:31], 1.0
	v_fmac_f64_e32 v[30:31], v[22:23], v[30:31]
	v_fma_f64 v[22:23], -v[16:17], v[30:31], 1.0
	v_fmac_f64_e32 v[30:31], v[22:23], v[30:31]
	v_mul_f64 v[22:23], v[24:25], v[30:31]
	v_mul_f64 v[28:29], v[16:17], v[22:23]
	v_fma_f64 v[32:33], v[22:23], v[16:17], -v[28:29]
	v_fmac_f64_e32 v[32:33], v[22:23], v[14:15]
	v_add_f64 v[34:35], v[28:29], v[32:33]
	v_add_f64 v[36:37], v[24:25], -v[34:35]
	v_add_f64 v[24:25], v[24:25], -v[36:37]
	;; [unrolled: 1-line block ×4, first 2 shown]
	v_add_f64 v[20:21], v[20:21], v[24:25]
	v_add_f64 v[24:25], v[28:29], -v[32:33]
	v_add_f64 v[20:21], v[24:25], v[20:21]
	v_add_f64 v[24:25], v[36:37], v[20:21]
	v_add_f64 v[28:29], v[36:37], -v[24:25]
	v_add_f64 v[20:21], v[20:21], v[28:29]
	v_mul_f64 v[28:29], v[30:31], v[24:25]
	v_mul_f64 v[32:33], v[16:17], v[28:29]
	v_fma_f64 v[16:17], v[28:29], v[16:17], -v[32:33]
	v_fmac_f64_e32 v[16:17], v[28:29], v[14:15]
	v_add_f64 v[14:15], v[32:33], v[16:17]
	v_add_f64 v[34:35], v[24:25], -v[14:15]
	v_add_f64 v[24:25], v[24:25], -v[34:35]
	;; [unrolled: 1-line block ×4, first 2 shown]
	v_add_f64 v[14:15], v[20:21], v[14:15]
	v_add_f64 v[16:17], v[32:33], -v[16:17]
	v_add_f64 v[14:15], v[16:17], v[14:15]
	v_add_f64 v[16:17], v[22:23], v[28:29]
	;; [unrolled: 1-line block ×3, first 2 shown]
	v_add_f64 v[20:21], v[16:17], -v[22:23]
	v_mul_f64 v[14:15], v[30:31], v[14:15]
	v_add_f64 v[20:21], v[28:29], -v[20:21]
	v_add_f64 v[14:15], v[20:21], v[14:15]
	v_add_f64 v[20:21], v[16:17], v[14:15]
	v_add_f64 v[16:17], v[20:21], -v[16:17]
	s_mov_b32 s0, 0xbf559e2b
	v_add_f64 v[14:15], v[14:15], -v[16:17]
	v_mul_f64 v[16:17], v[20:21], v[20:21]
	v_mov_b32_e32 v22, 0x6b47b09a
	v_mov_b32_e32 v23, 0x3fc38538
	s_mov_b32 s1, 0x3fc3ab76
	v_fmac_f64_e32 v[22:23], s[0:1], v[16:17]
	v_mov_b32_e32 v24, 0xd7f4df2e
	v_mov_b32_e32 v25, 0x3fc7474d
	v_fmac_f64_e32 v[24:25], v[16:17], v[22:23]
	v_mov_b32_e32 v22, 0x16291751
	v_mov_b32_e32 v23, 0x3fcc71c0
	;; [unrolled: 3-line block ×5, first 2 shown]
	v_fmac_f64_e32 v[24:25], v[16:17], v[22:23]
	v_cvt_f64_i32_e32 v[22:23], v39
	v_mul_f64 v[28:29], v[22:23], s[14:15]
	v_fma_f64 v[30:31], v[22:23], s[14:15], -v[28:29]
	v_fmac_f64_e32 v[30:31], s[16:17], v[22:23]
	v_add_f64 v[22:23], v[28:29], v[30:31]
	v_add_f64 v[28:29], v[22:23], -v[28:29]
	v_mul_f64 v[16:17], v[20:21], v[16:17]
	v_add_f64 v[28:29], v[30:31], -v[28:29]
	v_ldexp_f64 v[30:31], v[20:21], 1
	v_mul_f64 v[16:17], v[16:17], v[24:25]
	v_add_f64 v[20:21], v[30:31], v[16:17]
	v_add_f64 v[24:25], v[20:21], -v[30:31]
	v_ldexp_f64 v[14:15], v[14:15], 1
	v_add_f64 v[16:17], v[16:17], -v[24:25]
	v_add_f64 v[14:15], v[14:15], v[16:17]
	v_add_f64 v[16:17], v[20:21], v[14:15]
	v_add_f64 v[20:21], v[16:17], -v[20:21]
	v_add_f64 v[14:15], v[14:15], -v[20:21]
	v_add_f64 v[20:21], v[22:23], v[16:17]
	v_add_f64 v[24:25], v[20:21], -v[22:23]
	v_add_f64 v[30:31], v[20:21], -v[24:25]
	;; [unrolled: 1-line block ×4, first 2 shown]
	v_add_f64 v[16:17], v[16:17], v[22:23]
	v_add_f64 v[22:23], v[28:29], v[14:15]
	v_add_f64 v[24:25], v[22:23], -v[28:29]
	v_add_f64 v[16:17], v[22:23], v[16:17]
	v_add_f64 v[30:31], v[22:23], -v[24:25]
	;; [unrolled: 2-line block ×3, first 2 shown]
	v_add_f64 v[14:15], v[14:15], -v[24:25]
	v_add_f64 v[20:21], v[22:23], -v[20:21]
	v_add_f64 v[14:15], v[14:15], v[28:29]
	v_add_f64 v[16:17], v[16:17], -v[20:21]
	s_mov_b32 s0, 0
	v_add_f64 v[14:15], v[14:15], v[16:17]
	s_mov_b32 s1, 0x7ff00000
	v_add_f64 v[14:15], v[22:23], v[14:15]
	v_cmp_neq_f64_e64 s[0:1], s[0:1], v[6:7]
	v_mov_b32_e32 v16, 0x7ff80000
	s_nop 0
	v_cndmask_b32_e64 v15, v38, v15, s[0:1]
	v_cndmask_b32_e64 v15, v16, v15, s[10:11]
	v_cmp_nge_f64_e64 s[10:11], -1.0, v[6:7]
	s_and_b64 s[0:1], s[10:11], s[0:1]
	v_cndmask_b32_e64 v14, 0, v14, s[0:1]
	v_mov_b32_e32 v16, 0xfff00000
	v_cmp_neq_f64_e64 s[0:1], -1.0, v[6:7]
	s_nop 1
	v_cndmask_b32_e64 v15, v16, v15, s[0:1]
	v_add_f64 v[6:7], v[0:1], v[14:15]
.LBB18_74:
	s_or_b64 exec, exec, s[12:13]
	v_max_f64 v[0:1], v[6:7], v[6:7]
	v_min_f64 v[14:15], v[0:1], v[26:27]
	v_cmp_u_f64_e64 s[0:1], v[6:7], v[6:7]
	v_max_f64 v[0:1], v[0:1], v[26:27]
	s_movk_i32 s10, 0x1f8
	v_cndmask_b32_e64 v14, v14, v6, s[0:1]
	v_cndmask_b32_e64 v15, v15, v7, s[0:1]
	;; [unrolled: 1-line block ×8, first 2 shown]
	v_cmp_neq_f64_e64 s[0:1], v[14:15], v[0:1]
	v_cmp_class_f64_e64 s[10:11], v[14:15], s10
	s_or_b64 s[0:1], s[0:1], s[10:11]
	v_mov_b64_e32 v[8:9], v[6:7]
	s_and_saveexec_b64 s[12:13], s[0:1]
	s_cbranch_execz .LBB18_76
; %bb.75:
	s_mov_b32 s0, 0x652b82fe
	v_add_f64 v[8:9], v[14:15], -v[0:1]
	s_mov_b32 s1, 0x3ff71547
	v_mul_f64 v[14:15], v[8:9], s[0:1]
	v_rndne_f64_e32 v[14:15], v[14:15]
	s_mov_b32 s15, 0xbfe62e42
	s_mov_b32 s14, 0xfefa39ef
	v_fma_f64 v[16:17], s[14:15], v[14:15], v[8:9]
	s_mov_b32 s17, 0xbc7abc9e
	s_mov_b32 s16, 0x3b39803f
	;; [unrolled: 1-line block ×3, first 2 shown]
	v_fmac_f64_e32 v[16:17], s[16:17], v[14:15]
	v_mov_b32_e32 v20, 0xfca7ab0c
	v_mov_b32_e32 v21, 0x3e928af3
	s_mov_b32 s1, 0x3e5ade15
	v_fmac_f64_e32 v[20:21], s[0:1], v[16:17]
	v_mov_b32_e32 v22, 0x623fde64
	v_mov_b32_e32 v23, 0x3ec71dee
	v_fmac_f64_e32 v[22:23], v[16:17], v[20:21]
	v_mov_b32_e32 v20, 0x7c89e6b0
	v_mov_b32_e32 v21, 0x3efa0199
	;; [unrolled: 3-line block ×8, first 2 shown]
	v_fmac_f64_e32 v[20:21], v[16:17], v[22:23]
	v_fma_f64 v[20:21], v[16:17], v[20:21], 1.0
	s_mov_b32 s0, 0
	s_mov_b32 s10, 0
	v_fma_f64 v[16:17], v[16:17], v[20:21], 1.0
	v_cvt_i32_f64_e32 v14, v[14:15]
	s_mov_b32 s1, 0x40900000
	s_mov_b32 s11, 0xc090cc00
	v_ldexp_f64 v[14:15], v[16:17], v14
	v_mov_b32_e32 v36, 0x7ff00000
	v_cmp_nlt_f64_e64 s[0:1], s[0:1], v[8:9]
	v_cmp_ngt_f64_e64 s[10:11], s[10:11], v[8:9]
	s_mov_b32 s15, 0x3fe62e42
	v_cndmask_b32_e64 v15, v36, v15, s[0:1]
	s_and_b64 s[0:1], s[10:11], s[0:1]
	v_cndmask_b32_e64 v9, 0, v15, s[10:11]
	v_cndmask_b32_e64 v8, 0, v14, s[0:1]
	v_add_f64 v[14:15], v[8:9], 1.0
	v_add_f64 v[16:17], v[14:15], -1.0
	v_add_f64 v[20:21], v[16:17], -v[14:15]
	v_add_f64 v[20:21], v[20:21], 1.0
	v_add_f64 v[16:17], v[8:9], -v[16:17]
	s_mov_b32 s0, 0x55555555
	v_add_f64 v[16:17], v[16:17], v[20:21]
	v_frexp_mant_f64_e32 v[20:21], v[14:15]
	s_mov_b32 s1, 0x3fe55555
	v_frexp_exp_i32_f64_e32 v22, v[14:15]
	v_cmp_gt_f64_e64 s[0:1], s[0:1], v[20:21]
	s_mov_b32 s17, 0x3c7abc9e
	v_cmp_ngt_f64_e64 s[10:11], -1.0, v[8:9]
	v_subbrev_co_u32_e64 v37, s[0:1], 0, v22, s[0:1]
	v_sub_u32_e32 v20, 0, v37
	v_ldexp_f64 v[14:15], v[14:15], v20
	v_ldexp_f64 v[16:17], v[16:17], v20
	v_add_f64 v[20:21], v[14:15], -1.0
	v_add_f64 v[26:27], v[14:15], 1.0
	v_add_f64 v[22:23], v[20:21], 1.0
	v_add_f64 v[28:29], v[26:27], -1.0
	v_add_f64 v[22:23], v[14:15], -v[22:23]
	v_add_f64 v[14:15], v[14:15], -v[28:29]
	v_add_f64 v[14:15], v[16:17], v[14:15]
	v_add_f64 v[22:23], v[16:17], v[22:23]
	;; [unrolled: 1-line block ×3, first 2 shown]
	v_rcp_f64_e32 v[28:29], v[16:17]
	v_add_f64 v[24:25], v[20:21], v[22:23]
	v_add_f64 v[20:21], v[24:25], -v[20:21]
	v_add_f64 v[20:21], v[22:23], -v[20:21]
	;; [unrolled: 1-line block ×4, first 2 shown]
	v_fma_f64 v[22:23], -v[16:17], v[28:29], 1.0
	v_fmac_f64_e32 v[28:29], v[22:23], v[28:29]
	v_fma_f64 v[22:23], -v[16:17], v[28:29], 1.0
	v_fmac_f64_e32 v[28:29], v[22:23], v[28:29]
	v_mul_f64 v[22:23], v[24:25], v[28:29]
	v_mul_f64 v[26:27], v[16:17], v[22:23]
	v_fma_f64 v[30:31], v[22:23], v[16:17], -v[26:27]
	v_fmac_f64_e32 v[30:31], v[22:23], v[14:15]
	v_add_f64 v[32:33], v[26:27], v[30:31]
	v_add_f64 v[34:35], v[24:25], -v[32:33]
	v_add_f64 v[24:25], v[24:25], -v[34:35]
	;; [unrolled: 1-line block ×4, first 2 shown]
	v_add_f64 v[20:21], v[20:21], v[24:25]
	v_add_f64 v[24:25], v[26:27], -v[30:31]
	v_add_f64 v[20:21], v[24:25], v[20:21]
	v_add_f64 v[24:25], v[34:35], v[20:21]
	v_add_f64 v[26:27], v[34:35], -v[24:25]
	v_add_f64 v[20:21], v[20:21], v[26:27]
	v_mul_f64 v[26:27], v[28:29], v[24:25]
	v_mul_f64 v[30:31], v[16:17], v[26:27]
	v_fma_f64 v[16:17], v[26:27], v[16:17], -v[30:31]
	v_fmac_f64_e32 v[16:17], v[26:27], v[14:15]
	v_add_f64 v[14:15], v[30:31], v[16:17]
	v_add_f64 v[32:33], v[24:25], -v[14:15]
	v_add_f64 v[24:25], v[24:25], -v[32:33]
	;; [unrolled: 1-line block ×4, first 2 shown]
	v_add_f64 v[14:15], v[20:21], v[14:15]
	v_add_f64 v[16:17], v[30:31], -v[16:17]
	v_add_f64 v[14:15], v[16:17], v[14:15]
	v_add_f64 v[16:17], v[22:23], v[26:27]
	;; [unrolled: 1-line block ×3, first 2 shown]
	v_add_f64 v[20:21], v[16:17], -v[22:23]
	v_mul_f64 v[14:15], v[28:29], v[14:15]
	v_add_f64 v[20:21], v[26:27], -v[20:21]
	v_add_f64 v[14:15], v[20:21], v[14:15]
	v_add_f64 v[20:21], v[16:17], v[14:15]
	v_add_f64 v[16:17], v[20:21], -v[16:17]
	s_mov_b32 s0, 0xbf559e2b
	v_add_f64 v[14:15], v[14:15], -v[16:17]
	v_mul_f64 v[16:17], v[20:21], v[20:21]
	v_mov_b32_e32 v22, 0x6b47b09a
	v_mov_b32_e32 v23, 0x3fc38538
	s_mov_b32 s1, 0x3fc3ab76
	v_fmac_f64_e32 v[22:23], s[0:1], v[16:17]
	v_mov_b32_e32 v24, 0xd7f4df2e
	v_mov_b32_e32 v25, 0x3fc7474d
	v_fmac_f64_e32 v[24:25], v[16:17], v[22:23]
	v_mov_b32_e32 v22, 0x16291751
	v_mov_b32_e32 v23, 0x3fcc71c0
	;; [unrolled: 3-line block ×5, first 2 shown]
	v_fmac_f64_e32 v[24:25], v[16:17], v[22:23]
	v_cvt_f64_i32_e32 v[22:23], v37
	v_mul_f64 v[26:27], v[22:23], s[14:15]
	v_fma_f64 v[28:29], v[22:23], s[14:15], -v[26:27]
	v_fmac_f64_e32 v[28:29], s[16:17], v[22:23]
	v_add_f64 v[22:23], v[26:27], v[28:29]
	v_add_f64 v[26:27], v[22:23], -v[26:27]
	v_mul_f64 v[16:17], v[20:21], v[16:17]
	v_add_f64 v[26:27], v[28:29], -v[26:27]
	v_ldexp_f64 v[28:29], v[20:21], 1
	v_mul_f64 v[16:17], v[16:17], v[24:25]
	v_add_f64 v[20:21], v[28:29], v[16:17]
	v_add_f64 v[24:25], v[20:21], -v[28:29]
	v_ldexp_f64 v[14:15], v[14:15], 1
	v_add_f64 v[16:17], v[16:17], -v[24:25]
	v_add_f64 v[14:15], v[14:15], v[16:17]
	v_add_f64 v[16:17], v[20:21], v[14:15]
	v_add_f64 v[20:21], v[16:17], -v[20:21]
	v_add_f64 v[14:15], v[14:15], -v[20:21]
	v_add_f64 v[20:21], v[22:23], v[16:17]
	v_add_f64 v[24:25], v[20:21], -v[22:23]
	v_add_f64 v[28:29], v[20:21], -v[24:25]
	;; [unrolled: 1-line block ×4, first 2 shown]
	v_add_f64 v[16:17], v[16:17], v[22:23]
	v_add_f64 v[22:23], v[26:27], v[14:15]
	v_add_f64 v[24:25], v[22:23], -v[26:27]
	v_add_f64 v[16:17], v[22:23], v[16:17]
	v_add_f64 v[28:29], v[22:23], -v[24:25]
	;; [unrolled: 2-line block ×3, first 2 shown]
	v_add_f64 v[14:15], v[14:15], -v[24:25]
	v_add_f64 v[20:21], v[22:23], -v[20:21]
	v_add_f64 v[14:15], v[14:15], v[26:27]
	v_add_f64 v[16:17], v[16:17], -v[20:21]
	s_mov_b32 s0, 0
	v_add_f64 v[14:15], v[14:15], v[16:17]
	s_mov_b32 s1, 0x7ff00000
	v_add_f64 v[14:15], v[22:23], v[14:15]
	v_cmp_neq_f64_e64 s[0:1], s[0:1], v[8:9]
	v_mov_b32_e32 v16, 0x7ff80000
	s_nop 0
	v_cndmask_b32_e64 v15, v36, v15, s[0:1]
	v_cndmask_b32_e64 v15, v16, v15, s[10:11]
	v_cmp_nge_f64_e64 s[10:11], -1.0, v[8:9]
	s_and_b64 s[0:1], s[10:11], s[0:1]
	v_cndmask_b32_e64 v14, 0, v14, s[0:1]
	v_mov_b32_e32 v16, 0xfff00000
	v_cmp_neq_f64_e64 s[0:1], -1.0, v[8:9]
	s_nop 1
	v_cndmask_b32_e64 v15, v16, v15, s[0:1]
	v_add_f64 v[8:9], v[0:1], v[14:15]
.LBB18_76:
	s_or_b64 exec, exec, s[12:13]
	v_add_u32_e32 v0, v18, v19
	s_barrier
	ds_write_b128 v0, v[2:5]
	ds_write_b128 v0, v[10:13] offset:16
	ds_write_b128 v0, v[6:9] offset:32
	s_waitcnt lgkmcnt(0)
	s_barrier
	ds_read2st64_b64 v[4:7], v18 offset0:4 offset1:8
	ds_read2st64_b64 v[0:3], v18 offset0:12 offset1:16
	ds_read_b64 v[8:9], v18 offset:10240
	v_mov_b32_e32 v19, 0
	v_lshl_add_u64 v[10:11], s[24:25], 0, v[18:19]
	s_and_saveexec_b64 s[0:1], vcc
	s_cbranch_execnz .LBB18_83
; %bb.77:
	s_or_b64 exec, exec, s[0:1]
	s_and_saveexec_b64 s[0:1], s[20:21]
	s_cbranch_execnz .LBB18_84
.LBB18_78:
	s_or_b64 exec, exec, s[0:1]
	s_and_saveexec_b64 s[0:1], s[2:3]
	s_cbranch_execnz .LBB18_85
.LBB18_79:
	s_or_b64 exec, exec, s[0:1]
	s_and_saveexec_b64 s[0:1], s[4:5]
	s_cbranch_execnz .LBB18_86
.LBB18_80:
	s_or_b64 exec, exec, s[0:1]
	s_and_saveexec_b64 s[0:1], s[6:7]
	s_cbranch_execnz .LBB18_87
.LBB18_81:
	s_or_b64 exec, exec, s[0:1]
	s_and_saveexec_b64 s[0:1], s[8:9]
	s_cbranch_execnz .LBB18_88
.LBB18_82:
	s_endpgm
.LBB18_83:
	ds_read_b64 v[12:13], v18
	s_waitcnt lgkmcnt(0)
	global_store_dwordx2 v[10:11], v[12:13], off
	s_or_b64 exec, exec, s[0:1]
	s_and_saveexec_b64 s[0:1], s[20:21]
	s_cbranch_execz .LBB18_78
.LBB18_84:
	s_waitcnt lgkmcnt(2)
	global_store_dwordx2 v[10:11], v[4:5], off offset:2048
	s_or_b64 exec, exec, s[0:1]
	s_and_saveexec_b64 s[0:1], s[2:3]
	s_cbranch_execz .LBB18_79
.LBB18_85:
	s_waitcnt lgkmcnt(2)
	v_add_co_u32_e32 v4, vcc, 0x1000, v10
	s_nop 1
	v_addc_co_u32_e32 v5, vcc, 0, v11, vcc
	global_store_dwordx2 v[4:5], v[6:7], off
	s_or_b64 exec, exec, s[0:1]
	s_and_saveexec_b64 s[0:1], s[4:5]
	s_cbranch_execz .LBB18_80
.LBB18_86:
	s_waitcnt lgkmcnt(2)
	v_add_co_u32_e32 v4, vcc, 0x1000, v10
	s_nop 1
	v_addc_co_u32_e32 v5, vcc, 0, v11, vcc
	s_waitcnt lgkmcnt(1)
	global_store_dwordx2 v[4:5], v[0:1], off offset:2048
	s_or_b64 exec, exec, s[0:1]
	s_and_saveexec_b64 s[0:1], s[6:7]
	s_cbranch_execz .LBB18_81
.LBB18_87:
	s_waitcnt lgkmcnt(1)
	v_add_co_u32_e32 v0, vcc, 0x2000, v10
	s_nop 1
	v_addc_co_u32_e32 v1, vcc, 0, v11, vcc
	global_store_dwordx2 v[0:1], v[2:3], off
	s_or_b64 exec, exec, s[0:1]
	s_and_saveexec_b64 s[0:1], s[8:9]
	s_cbranch_execz .LBB18_82
.LBB18_88:
	s_waitcnt lgkmcnt(1)
	v_add_co_u32_e32 v0, vcc, 0x2000, v10
	s_nop 1
	v_addc_co_u32_e32 v1, vcc, 0, v11, vcc
	s_waitcnt lgkmcnt(0)
	global_store_dwordx2 v[0:1], v[8:9], off offset:2048
	s_endpgm
	.section	.rodata,"a",@progbits
	.p2align	6, 0x0
	.amdhsa_kernel _ZN7rocprim17ROCPRIM_400000_NS6detail17trampoline_kernelINS0_14default_configENS1_20scan_config_selectorIdEEZZNS1_9scan_implILNS1_25lookback_scan_determinismE0ELb0ELb0ES3_PKdPddZZZN2at6native31launch_logcumsumexp_cuda_kernelERKNSB_10TensorBaseESF_lENKUlvE_clEvENKUlvE_clEvEUlddE_dEEDaPvRmT3_T4_T5_mT6_P12ihipStream_tbENKUlT_T0_E_clISt17integral_constantIbLb0EESW_EEDaSR_SS_EUlSR_E0_NS1_11comp_targetILNS1_3genE0ELNS1_11target_archE4294967295ELNS1_3gpuE0ELNS1_3repE0EEENS1_30default_config_static_selectorELNS0_4arch9wavefront6targetE1EEEvT1_
		.amdhsa_group_segment_fixed_size 12288
		.amdhsa_private_segment_fixed_size 0
		.amdhsa_kernarg_size 40
		.amdhsa_user_sgpr_count 2
		.amdhsa_user_sgpr_dispatch_ptr 0
		.amdhsa_user_sgpr_queue_ptr 0
		.amdhsa_user_sgpr_kernarg_segment_ptr 1
		.amdhsa_user_sgpr_dispatch_id 0
		.amdhsa_user_sgpr_kernarg_preload_length 0
		.amdhsa_user_sgpr_kernarg_preload_offset 0
		.amdhsa_user_sgpr_private_segment_size 0
		.amdhsa_uses_dynamic_stack 0
		.amdhsa_enable_private_segment 0
		.amdhsa_system_sgpr_workgroup_id_x 1
		.amdhsa_system_sgpr_workgroup_id_y 0
		.amdhsa_system_sgpr_workgroup_id_z 0
		.amdhsa_system_sgpr_workgroup_info 0
		.amdhsa_system_vgpr_workitem_id 0
		.amdhsa_next_free_vgpr 65
		.amdhsa_next_free_sgpr 42
		.amdhsa_accum_offset 68
		.amdhsa_reserve_vcc 1
		.amdhsa_float_round_mode_32 0
		.amdhsa_float_round_mode_16_64 0
		.amdhsa_float_denorm_mode_32 3
		.amdhsa_float_denorm_mode_16_64 3
		.amdhsa_dx10_clamp 1
		.amdhsa_ieee_mode 1
		.amdhsa_fp16_overflow 0
		.amdhsa_tg_split 0
		.amdhsa_exception_fp_ieee_invalid_op 0
		.amdhsa_exception_fp_denorm_src 0
		.amdhsa_exception_fp_ieee_div_zero 0
		.amdhsa_exception_fp_ieee_overflow 0
		.amdhsa_exception_fp_ieee_underflow 0
		.amdhsa_exception_fp_ieee_inexact 0
		.amdhsa_exception_int_div_zero 0
	.end_amdhsa_kernel
	.section	.text._ZN7rocprim17ROCPRIM_400000_NS6detail17trampoline_kernelINS0_14default_configENS1_20scan_config_selectorIdEEZZNS1_9scan_implILNS1_25lookback_scan_determinismE0ELb0ELb0ES3_PKdPddZZZN2at6native31launch_logcumsumexp_cuda_kernelERKNSB_10TensorBaseESF_lENKUlvE_clEvENKUlvE_clEvEUlddE_dEEDaPvRmT3_T4_T5_mT6_P12ihipStream_tbENKUlT_T0_E_clISt17integral_constantIbLb0EESW_EEDaSR_SS_EUlSR_E0_NS1_11comp_targetILNS1_3genE0ELNS1_11target_archE4294967295ELNS1_3gpuE0ELNS1_3repE0EEENS1_30default_config_static_selectorELNS0_4arch9wavefront6targetE1EEEvT1_,"axG",@progbits,_ZN7rocprim17ROCPRIM_400000_NS6detail17trampoline_kernelINS0_14default_configENS1_20scan_config_selectorIdEEZZNS1_9scan_implILNS1_25lookback_scan_determinismE0ELb0ELb0ES3_PKdPddZZZN2at6native31launch_logcumsumexp_cuda_kernelERKNSB_10TensorBaseESF_lENKUlvE_clEvENKUlvE_clEvEUlddE_dEEDaPvRmT3_T4_T5_mT6_P12ihipStream_tbENKUlT_T0_E_clISt17integral_constantIbLb0EESW_EEDaSR_SS_EUlSR_E0_NS1_11comp_targetILNS1_3genE0ELNS1_11target_archE4294967295ELNS1_3gpuE0ELNS1_3repE0EEENS1_30default_config_static_selectorELNS0_4arch9wavefront6targetE1EEEvT1_,comdat
.Lfunc_end18:
	.size	_ZN7rocprim17ROCPRIM_400000_NS6detail17trampoline_kernelINS0_14default_configENS1_20scan_config_selectorIdEEZZNS1_9scan_implILNS1_25lookback_scan_determinismE0ELb0ELb0ES3_PKdPddZZZN2at6native31launch_logcumsumexp_cuda_kernelERKNSB_10TensorBaseESF_lENKUlvE_clEvENKUlvE_clEvEUlddE_dEEDaPvRmT3_T4_T5_mT6_P12ihipStream_tbENKUlT_T0_E_clISt17integral_constantIbLb0EESW_EEDaSR_SS_EUlSR_E0_NS1_11comp_targetILNS1_3genE0ELNS1_11target_archE4294967295ELNS1_3gpuE0ELNS1_3repE0EEENS1_30default_config_static_selectorELNS0_4arch9wavefront6targetE1EEEvT1_, .Lfunc_end18-_ZN7rocprim17ROCPRIM_400000_NS6detail17trampoline_kernelINS0_14default_configENS1_20scan_config_selectorIdEEZZNS1_9scan_implILNS1_25lookback_scan_determinismE0ELb0ELb0ES3_PKdPddZZZN2at6native31launch_logcumsumexp_cuda_kernelERKNSB_10TensorBaseESF_lENKUlvE_clEvENKUlvE_clEvEUlddE_dEEDaPvRmT3_T4_T5_mT6_P12ihipStream_tbENKUlT_T0_E_clISt17integral_constantIbLb0EESW_EEDaSR_SS_EUlSR_E0_NS1_11comp_targetILNS1_3genE0ELNS1_11target_archE4294967295ELNS1_3gpuE0ELNS1_3repE0EEENS1_30default_config_static_selectorELNS0_4arch9wavefront6targetE1EEEvT1_
                                        ; -- End function
	.set _ZN7rocprim17ROCPRIM_400000_NS6detail17trampoline_kernelINS0_14default_configENS1_20scan_config_selectorIdEEZZNS1_9scan_implILNS1_25lookback_scan_determinismE0ELb0ELb0ES3_PKdPddZZZN2at6native31launch_logcumsumexp_cuda_kernelERKNSB_10TensorBaseESF_lENKUlvE_clEvENKUlvE_clEvEUlddE_dEEDaPvRmT3_T4_T5_mT6_P12ihipStream_tbENKUlT_T0_E_clISt17integral_constantIbLb0EESW_EEDaSR_SS_EUlSR_E0_NS1_11comp_targetILNS1_3genE0ELNS1_11target_archE4294967295ELNS1_3gpuE0ELNS1_3repE0EEENS1_30default_config_static_selectorELNS0_4arch9wavefront6targetE1EEEvT1_.num_vgpr, 65
	.set _ZN7rocprim17ROCPRIM_400000_NS6detail17trampoline_kernelINS0_14default_configENS1_20scan_config_selectorIdEEZZNS1_9scan_implILNS1_25lookback_scan_determinismE0ELb0ELb0ES3_PKdPddZZZN2at6native31launch_logcumsumexp_cuda_kernelERKNSB_10TensorBaseESF_lENKUlvE_clEvENKUlvE_clEvEUlddE_dEEDaPvRmT3_T4_T5_mT6_P12ihipStream_tbENKUlT_T0_E_clISt17integral_constantIbLb0EESW_EEDaSR_SS_EUlSR_E0_NS1_11comp_targetILNS1_3genE0ELNS1_11target_archE4294967295ELNS1_3gpuE0ELNS1_3repE0EEENS1_30default_config_static_selectorELNS0_4arch9wavefront6targetE1EEEvT1_.num_agpr, 0
	.set _ZN7rocprim17ROCPRIM_400000_NS6detail17trampoline_kernelINS0_14default_configENS1_20scan_config_selectorIdEEZZNS1_9scan_implILNS1_25lookback_scan_determinismE0ELb0ELb0ES3_PKdPddZZZN2at6native31launch_logcumsumexp_cuda_kernelERKNSB_10TensorBaseESF_lENKUlvE_clEvENKUlvE_clEvEUlddE_dEEDaPvRmT3_T4_T5_mT6_P12ihipStream_tbENKUlT_T0_E_clISt17integral_constantIbLb0EESW_EEDaSR_SS_EUlSR_E0_NS1_11comp_targetILNS1_3genE0ELNS1_11target_archE4294967295ELNS1_3gpuE0ELNS1_3repE0EEENS1_30default_config_static_selectorELNS0_4arch9wavefront6targetE1EEEvT1_.numbered_sgpr, 42
	.set _ZN7rocprim17ROCPRIM_400000_NS6detail17trampoline_kernelINS0_14default_configENS1_20scan_config_selectorIdEEZZNS1_9scan_implILNS1_25lookback_scan_determinismE0ELb0ELb0ES3_PKdPddZZZN2at6native31launch_logcumsumexp_cuda_kernelERKNSB_10TensorBaseESF_lENKUlvE_clEvENKUlvE_clEvEUlddE_dEEDaPvRmT3_T4_T5_mT6_P12ihipStream_tbENKUlT_T0_E_clISt17integral_constantIbLb0EESW_EEDaSR_SS_EUlSR_E0_NS1_11comp_targetILNS1_3genE0ELNS1_11target_archE4294967295ELNS1_3gpuE0ELNS1_3repE0EEENS1_30default_config_static_selectorELNS0_4arch9wavefront6targetE1EEEvT1_.num_named_barrier, 0
	.set _ZN7rocprim17ROCPRIM_400000_NS6detail17trampoline_kernelINS0_14default_configENS1_20scan_config_selectorIdEEZZNS1_9scan_implILNS1_25lookback_scan_determinismE0ELb0ELb0ES3_PKdPddZZZN2at6native31launch_logcumsumexp_cuda_kernelERKNSB_10TensorBaseESF_lENKUlvE_clEvENKUlvE_clEvEUlddE_dEEDaPvRmT3_T4_T5_mT6_P12ihipStream_tbENKUlT_T0_E_clISt17integral_constantIbLb0EESW_EEDaSR_SS_EUlSR_E0_NS1_11comp_targetILNS1_3genE0ELNS1_11target_archE4294967295ELNS1_3gpuE0ELNS1_3repE0EEENS1_30default_config_static_selectorELNS0_4arch9wavefront6targetE1EEEvT1_.private_seg_size, 0
	.set _ZN7rocprim17ROCPRIM_400000_NS6detail17trampoline_kernelINS0_14default_configENS1_20scan_config_selectorIdEEZZNS1_9scan_implILNS1_25lookback_scan_determinismE0ELb0ELb0ES3_PKdPddZZZN2at6native31launch_logcumsumexp_cuda_kernelERKNSB_10TensorBaseESF_lENKUlvE_clEvENKUlvE_clEvEUlddE_dEEDaPvRmT3_T4_T5_mT6_P12ihipStream_tbENKUlT_T0_E_clISt17integral_constantIbLb0EESW_EEDaSR_SS_EUlSR_E0_NS1_11comp_targetILNS1_3genE0ELNS1_11target_archE4294967295ELNS1_3gpuE0ELNS1_3repE0EEENS1_30default_config_static_selectorELNS0_4arch9wavefront6targetE1EEEvT1_.uses_vcc, 1
	.set _ZN7rocprim17ROCPRIM_400000_NS6detail17trampoline_kernelINS0_14default_configENS1_20scan_config_selectorIdEEZZNS1_9scan_implILNS1_25lookback_scan_determinismE0ELb0ELb0ES3_PKdPddZZZN2at6native31launch_logcumsumexp_cuda_kernelERKNSB_10TensorBaseESF_lENKUlvE_clEvENKUlvE_clEvEUlddE_dEEDaPvRmT3_T4_T5_mT6_P12ihipStream_tbENKUlT_T0_E_clISt17integral_constantIbLb0EESW_EEDaSR_SS_EUlSR_E0_NS1_11comp_targetILNS1_3genE0ELNS1_11target_archE4294967295ELNS1_3gpuE0ELNS1_3repE0EEENS1_30default_config_static_selectorELNS0_4arch9wavefront6targetE1EEEvT1_.uses_flat_scratch, 0
	.set _ZN7rocprim17ROCPRIM_400000_NS6detail17trampoline_kernelINS0_14default_configENS1_20scan_config_selectorIdEEZZNS1_9scan_implILNS1_25lookback_scan_determinismE0ELb0ELb0ES3_PKdPddZZZN2at6native31launch_logcumsumexp_cuda_kernelERKNSB_10TensorBaseESF_lENKUlvE_clEvENKUlvE_clEvEUlddE_dEEDaPvRmT3_T4_T5_mT6_P12ihipStream_tbENKUlT_T0_E_clISt17integral_constantIbLb0EESW_EEDaSR_SS_EUlSR_E0_NS1_11comp_targetILNS1_3genE0ELNS1_11target_archE4294967295ELNS1_3gpuE0ELNS1_3repE0EEENS1_30default_config_static_selectorELNS0_4arch9wavefront6targetE1EEEvT1_.has_dyn_sized_stack, 0
	.set _ZN7rocprim17ROCPRIM_400000_NS6detail17trampoline_kernelINS0_14default_configENS1_20scan_config_selectorIdEEZZNS1_9scan_implILNS1_25lookback_scan_determinismE0ELb0ELb0ES3_PKdPddZZZN2at6native31launch_logcumsumexp_cuda_kernelERKNSB_10TensorBaseESF_lENKUlvE_clEvENKUlvE_clEvEUlddE_dEEDaPvRmT3_T4_T5_mT6_P12ihipStream_tbENKUlT_T0_E_clISt17integral_constantIbLb0EESW_EEDaSR_SS_EUlSR_E0_NS1_11comp_targetILNS1_3genE0ELNS1_11target_archE4294967295ELNS1_3gpuE0ELNS1_3repE0EEENS1_30default_config_static_selectorELNS0_4arch9wavefront6targetE1EEEvT1_.has_recursion, 0
	.set _ZN7rocprim17ROCPRIM_400000_NS6detail17trampoline_kernelINS0_14default_configENS1_20scan_config_selectorIdEEZZNS1_9scan_implILNS1_25lookback_scan_determinismE0ELb0ELb0ES3_PKdPddZZZN2at6native31launch_logcumsumexp_cuda_kernelERKNSB_10TensorBaseESF_lENKUlvE_clEvENKUlvE_clEvEUlddE_dEEDaPvRmT3_T4_T5_mT6_P12ihipStream_tbENKUlT_T0_E_clISt17integral_constantIbLb0EESW_EEDaSR_SS_EUlSR_E0_NS1_11comp_targetILNS1_3genE0ELNS1_11target_archE4294967295ELNS1_3gpuE0ELNS1_3repE0EEENS1_30default_config_static_selectorELNS0_4arch9wavefront6targetE1EEEvT1_.has_indirect_call, 0
	.section	.AMDGPU.csdata,"",@progbits
; Kernel info:
; codeLenInByte = 39776
; TotalNumSgprs: 48
; NumVgprs: 65
; NumAgprs: 0
; TotalNumVgprs: 65
; ScratchSize: 0
; MemoryBound: 0
; FloatMode: 240
; IeeeMode: 1
; LDSByteSize: 12288 bytes/workgroup (compile time only)
; SGPRBlocks: 5
; VGPRBlocks: 8
; NumSGPRsForWavesPerEU: 48
; NumVGPRsForWavesPerEU: 65
; AccumOffset: 68
; Occupancy: 7
; WaveLimiterHint : 0
; COMPUTE_PGM_RSRC2:SCRATCH_EN: 0
; COMPUTE_PGM_RSRC2:USER_SGPR: 2
; COMPUTE_PGM_RSRC2:TRAP_HANDLER: 0
; COMPUTE_PGM_RSRC2:TGID_X_EN: 1
; COMPUTE_PGM_RSRC2:TGID_Y_EN: 0
; COMPUTE_PGM_RSRC2:TGID_Z_EN: 0
; COMPUTE_PGM_RSRC2:TIDIG_COMP_CNT: 0
; COMPUTE_PGM_RSRC3_GFX90A:ACCUM_OFFSET: 16
; COMPUTE_PGM_RSRC3_GFX90A:TG_SPLIT: 0
	.section	.text._ZN7rocprim17ROCPRIM_400000_NS6detail17trampoline_kernelINS0_14default_configENS1_20scan_config_selectorIdEEZZNS1_9scan_implILNS1_25lookback_scan_determinismE0ELb0ELb0ES3_PKdPddZZZN2at6native31launch_logcumsumexp_cuda_kernelERKNSB_10TensorBaseESF_lENKUlvE_clEvENKUlvE_clEvEUlddE_dEEDaPvRmT3_T4_T5_mT6_P12ihipStream_tbENKUlT_T0_E_clISt17integral_constantIbLb0EESW_EEDaSR_SS_EUlSR_E0_NS1_11comp_targetILNS1_3genE5ELNS1_11target_archE942ELNS1_3gpuE9ELNS1_3repE0EEENS1_30default_config_static_selectorELNS0_4arch9wavefront6targetE1EEEvT1_,"axG",@progbits,_ZN7rocprim17ROCPRIM_400000_NS6detail17trampoline_kernelINS0_14default_configENS1_20scan_config_selectorIdEEZZNS1_9scan_implILNS1_25lookback_scan_determinismE0ELb0ELb0ES3_PKdPddZZZN2at6native31launch_logcumsumexp_cuda_kernelERKNSB_10TensorBaseESF_lENKUlvE_clEvENKUlvE_clEvEUlddE_dEEDaPvRmT3_T4_T5_mT6_P12ihipStream_tbENKUlT_T0_E_clISt17integral_constantIbLb0EESW_EEDaSR_SS_EUlSR_E0_NS1_11comp_targetILNS1_3genE5ELNS1_11target_archE942ELNS1_3gpuE9ELNS1_3repE0EEENS1_30default_config_static_selectorELNS0_4arch9wavefront6targetE1EEEvT1_,comdat
	.globl	_ZN7rocprim17ROCPRIM_400000_NS6detail17trampoline_kernelINS0_14default_configENS1_20scan_config_selectorIdEEZZNS1_9scan_implILNS1_25lookback_scan_determinismE0ELb0ELb0ES3_PKdPddZZZN2at6native31launch_logcumsumexp_cuda_kernelERKNSB_10TensorBaseESF_lENKUlvE_clEvENKUlvE_clEvEUlddE_dEEDaPvRmT3_T4_T5_mT6_P12ihipStream_tbENKUlT_T0_E_clISt17integral_constantIbLb0EESW_EEDaSR_SS_EUlSR_E0_NS1_11comp_targetILNS1_3genE5ELNS1_11target_archE942ELNS1_3gpuE9ELNS1_3repE0EEENS1_30default_config_static_selectorELNS0_4arch9wavefront6targetE1EEEvT1_ ; -- Begin function _ZN7rocprim17ROCPRIM_400000_NS6detail17trampoline_kernelINS0_14default_configENS1_20scan_config_selectorIdEEZZNS1_9scan_implILNS1_25lookback_scan_determinismE0ELb0ELb0ES3_PKdPddZZZN2at6native31launch_logcumsumexp_cuda_kernelERKNSB_10TensorBaseESF_lENKUlvE_clEvENKUlvE_clEvEUlddE_dEEDaPvRmT3_T4_T5_mT6_P12ihipStream_tbENKUlT_T0_E_clISt17integral_constantIbLb0EESW_EEDaSR_SS_EUlSR_E0_NS1_11comp_targetILNS1_3genE5ELNS1_11target_archE942ELNS1_3gpuE9ELNS1_3repE0EEENS1_30default_config_static_selectorELNS0_4arch9wavefront6targetE1EEEvT1_
	.p2align	8
	.type	_ZN7rocprim17ROCPRIM_400000_NS6detail17trampoline_kernelINS0_14default_configENS1_20scan_config_selectorIdEEZZNS1_9scan_implILNS1_25lookback_scan_determinismE0ELb0ELb0ES3_PKdPddZZZN2at6native31launch_logcumsumexp_cuda_kernelERKNSB_10TensorBaseESF_lENKUlvE_clEvENKUlvE_clEvEUlddE_dEEDaPvRmT3_T4_T5_mT6_P12ihipStream_tbENKUlT_T0_E_clISt17integral_constantIbLb0EESW_EEDaSR_SS_EUlSR_E0_NS1_11comp_targetILNS1_3genE5ELNS1_11target_archE942ELNS1_3gpuE9ELNS1_3repE0EEENS1_30default_config_static_selectorELNS0_4arch9wavefront6targetE1EEEvT1_,@function
_ZN7rocprim17ROCPRIM_400000_NS6detail17trampoline_kernelINS0_14default_configENS1_20scan_config_selectorIdEEZZNS1_9scan_implILNS1_25lookback_scan_determinismE0ELb0ELb0ES3_PKdPddZZZN2at6native31launch_logcumsumexp_cuda_kernelERKNSB_10TensorBaseESF_lENKUlvE_clEvENKUlvE_clEvEUlddE_dEEDaPvRmT3_T4_T5_mT6_P12ihipStream_tbENKUlT_T0_E_clISt17integral_constantIbLb0EESW_EEDaSR_SS_EUlSR_E0_NS1_11comp_targetILNS1_3genE5ELNS1_11target_archE942ELNS1_3gpuE9ELNS1_3repE0EEENS1_30default_config_static_selectorELNS0_4arch9wavefront6targetE1EEEvT1_: ; @_ZN7rocprim17ROCPRIM_400000_NS6detail17trampoline_kernelINS0_14default_configENS1_20scan_config_selectorIdEEZZNS1_9scan_implILNS1_25lookback_scan_determinismE0ELb0ELb0ES3_PKdPddZZZN2at6native31launch_logcumsumexp_cuda_kernelERKNSB_10TensorBaseESF_lENKUlvE_clEvENKUlvE_clEvEUlddE_dEEDaPvRmT3_T4_T5_mT6_P12ihipStream_tbENKUlT_T0_E_clISt17integral_constantIbLb0EESW_EEDaSR_SS_EUlSR_E0_NS1_11comp_targetILNS1_3genE5ELNS1_11target_archE942ELNS1_3gpuE9ELNS1_3repE0EEENS1_30default_config_static_selectorELNS0_4arch9wavefront6targetE1EEEvT1_
; %bb.0:
	.section	.rodata,"a",@progbits
	.p2align	6, 0x0
	.amdhsa_kernel _ZN7rocprim17ROCPRIM_400000_NS6detail17trampoline_kernelINS0_14default_configENS1_20scan_config_selectorIdEEZZNS1_9scan_implILNS1_25lookback_scan_determinismE0ELb0ELb0ES3_PKdPddZZZN2at6native31launch_logcumsumexp_cuda_kernelERKNSB_10TensorBaseESF_lENKUlvE_clEvENKUlvE_clEvEUlddE_dEEDaPvRmT3_T4_T5_mT6_P12ihipStream_tbENKUlT_T0_E_clISt17integral_constantIbLb0EESW_EEDaSR_SS_EUlSR_E0_NS1_11comp_targetILNS1_3genE5ELNS1_11target_archE942ELNS1_3gpuE9ELNS1_3repE0EEENS1_30default_config_static_selectorELNS0_4arch9wavefront6targetE1EEEvT1_
		.amdhsa_group_segment_fixed_size 0
		.amdhsa_private_segment_fixed_size 0
		.amdhsa_kernarg_size 40
		.amdhsa_user_sgpr_count 2
		.amdhsa_user_sgpr_dispatch_ptr 0
		.amdhsa_user_sgpr_queue_ptr 0
		.amdhsa_user_sgpr_kernarg_segment_ptr 1
		.amdhsa_user_sgpr_dispatch_id 0
		.amdhsa_user_sgpr_kernarg_preload_length 0
		.amdhsa_user_sgpr_kernarg_preload_offset 0
		.amdhsa_user_sgpr_private_segment_size 0
		.amdhsa_uses_dynamic_stack 0
		.amdhsa_enable_private_segment 0
		.amdhsa_system_sgpr_workgroup_id_x 1
		.amdhsa_system_sgpr_workgroup_id_y 0
		.amdhsa_system_sgpr_workgroup_id_z 0
		.amdhsa_system_sgpr_workgroup_info 0
		.amdhsa_system_vgpr_workitem_id 0
		.amdhsa_next_free_vgpr 1
		.amdhsa_next_free_sgpr 0
		.amdhsa_accum_offset 4
		.amdhsa_reserve_vcc 0
		.amdhsa_float_round_mode_32 0
		.amdhsa_float_round_mode_16_64 0
		.amdhsa_float_denorm_mode_32 3
		.amdhsa_float_denorm_mode_16_64 3
		.amdhsa_dx10_clamp 1
		.amdhsa_ieee_mode 1
		.amdhsa_fp16_overflow 0
		.amdhsa_tg_split 0
		.amdhsa_exception_fp_ieee_invalid_op 0
		.amdhsa_exception_fp_denorm_src 0
		.amdhsa_exception_fp_ieee_div_zero 0
		.amdhsa_exception_fp_ieee_overflow 0
		.amdhsa_exception_fp_ieee_underflow 0
		.amdhsa_exception_fp_ieee_inexact 0
		.amdhsa_exception_int_div_zero 0
	.end_amdhsa_kernel
	.section	.text._ZN7rocprim17ROCPRIM_400000_NS6detail17trampoline_kernelINS0_14default_configENS1_20scan_config_selectorIdEEZZNS1_9scan_implILNS1_25lookback_scan_determinismE0ELb0ELb0ES3_PKdPddZZZN2at6native31launch_logcumsumexp_cuda_kernelERKNSB_10TensorBaseESF_lENKUlvE_clEvENKUlvE_clEvEUlddE_dEEDaPvRmT3_T4_T5_mT6_P12ihipStream_tbENKUlT_T0_E_clISt17integral_constantIbLb0EESW_EEDaSR_SS_EUlSR_E0_NS1_11comp_targetILNS1_3genE5ELNS1_11target_archE942ELNS1_3gpuE9ELNS1_3repE0EEENS1_30default_config_static_selectorELNS0_4arch9wavefront6targetE1EEEvT1_,"axG",@progbits,_ZN7rocprim17ROCPRIM_400000_NS6detail17trampoline_kernelINS0_14default_configENS1_20scan_config_selectorIdEEZZNS1_9scan_implILNS1_25lookback_scan_determinismE0ELb0ELb0ES3_PKdPddZZZN2at6native31launch_logcumsumexp_cuda_kernelERKNSB_10TensorBaseESF_lENKUlvE_clEvENKUlvE_clEvEUlddE_dEEDaPvRmT3_T4_T5_mT6_P12ihipStream_tbENKUlT_T0_E_clISt17integral_constantIbLb0EESW_EEDaSR_SS_EUlSR_E0_NS1_11comp_targetILNS1_3genE5ELNS1_11target_archE942ELNS1_3gpuE9ELNS1_3repE0EEENS1_30default_config_static_selectorELNS0_4arch9wavefront6targetE1EEEvT1_,comdat
.Lfunc_end19:
	.size	_ZN7rocprim17ROCPRIM_400000_NS6detail17trampoline_kernelINS0_14default_configENS1_20scan_config_selectorIdEEZZNS1_9scan_implILNS1_25lookback_scan_determinismE0ELb0ELb0ES3_PKdPddZZZN2at6native31launch_logcumsumexp_cuda_kernelERKNSB_10TensorBaseESF_lENKUlvE_clEvENKUlvE_clEvEUlddE_dEEDaPvRmT3_T4_T5_mT6_P12ihipStream_tbENKUlT_T0_E_clISt17integral_constantIbLb0EESW_EEDaSR_SS_EUlSR_E0_NS1_11comp_targetILNS1_3genE5ELNS1_11target_archE942ELNS1_3gpuE9ELNS1_3repE0EEENS1_30default_config_static_selectorELNS0_4arch9wavefront6targetE1EEEvT1_, .Lfunc_end19-_ZN7rocprim17ROCPRIM_400000_NS6detail17trampoline_kernelINS0_14default_configENS1_20scan_config_selectorIdEEZZNS1_9scan_implILNS1_25lookback_scan_determinismE0ELb0ELb0ES3_PKdPddZZZN2at6native31launch_logcumsumexp_cuda_kernelERKNSB_10TensorBaseESF_lENKUlvE_clEvENKUlvE_clEvEUlddE_dEEDaPvRmT3_T4_T5_mT6_P12ihipStream_tbENKUlT_T0_E_clISt17integral_constantIbLb0EESW_EEDaSR_SS_EUlSR_E0_NS1_11comp_targetILNS1_3genE5ELNS1_11target_archE942ELNS1_3gpuE9ELNS1_3repE0EEENS1_30default_config_static_selectorELNS0_4arch9wavefront6targetE1EEEvT1_
                                        ; -- End function
	.set _ZN7rocprim17ROCPRIM_400000_NS6detail17trampoline_kernelINS0_14default_configENS1_20scan_config_selectorIdEEZZNS1_9scan_implILNS1_25lookback_scan_determinismE0ELb0ELb0ES3_PKdPddZZZN2at6native31launch_logcumsumexp_cuda_kernelERKNSB_10TensorBaseESF_lENKUlvE_clEvENKUlvE_clEvEUlddE_dEEDaPvRmT3_T4_T5_mT6_P12ihipStream_tbENKUlT_T0_E_clISt17integral_constantIbLb0EESW_EEDaSR_SS_EUlSR_E0_NS1_11comp_targetILNS1_3genE5ELNS1_11target_archE942ELNS1_3gpuE9ELNS1_3repE0EEENS1_30default_config_static_selectorELNS0_4arch9wavefront6targetE1EEEvT1_.num_vgpr, 0
	.set _ZN7rocprim17ROCPRIM_400000_NS6detail17trampoline_kernelINS0_14default_configENS1_20scan_config_selectorIdEEZZNS1_9scan_implILNS1_25lookback_scan_determinismE0ELb0ELb0ES3_PKdPddZZZN2at6native31launch_logcumsumexp_cuda_kernelERKNSB_10TensorBaseESF_lENKUlvE_clEvENKUlvE_clEvEUlddE_dEEDaPvRmT3_T4_T5_mT6_P12ihipStream_tbENKUlT_T0_E_clISt17integral_constantIbLb0EESW_EEDaSR_SS_EUlSR_E0_NS1_11comp_targetILNS1_3genE5ELNS1_11target_archE942ELNS1_3gpuE9ELNS1_3repE0EEENS1_30default_config_static_selectorELNS0_4arch9wavefront6targetE1EEEvT1_.num_agpr, 0
	.set _ZN7rocprim17ROCPRIM_400000_NS6detail17trampoline_kernelINS0_14default_configENS1_20scan_config_selectorIdEEZZNS1_9scan_implILNS1_25lookback_scan_determinismE0ELb0ELb0ES3_PKdPddZZZN2at6native31launch_logcumsumexp_cuda_kernelERKNSB_10TensorBaseESF_lENKUlvE_clEvENKUlvE_clEvEUlddE_dEEDaPvRmT3_T4_T5_mT6_P12ihipStream_tbENKUlT_T0_E_clISt17integral_constantIbLb0EESW_EEDaSR_SS_EUlSR_E0_NS1_11comp_targetILNS1_3genE5ELNS1_11target_archE942ELNS1_3gpuE9ELNS1_3repE0EEENS1_30default_config_static_selectorELNS0_4arch9wavefront6targetE1EEEvT1_.numbered_sgpr, 0
	.set _ZN7rocprim17ROCPRIM_400000_NS6detail17trampoline_kernelINS0_14default_configENS1_20scan_config_selectorIdEEZZNS1_9scan_implILNS1_25lookback_scan_determinismE0ELb0ELb0ES3_PKdPddZZZN2at6native31launch_logcumsumexp_cuda_kernelERKNSB_10TensorBaseESF_lENKUlvE_clEvENKUlvE_clEvEUlddE_dEEDaPvRmT3_T4_T5_mT6_P12ihipStream_tbENKUlT_T0_E_clISt17integral_constantIbLb0EESW_EEDaSR_SS_EUlSR_E0_NS1_11comp_targetILNS1_3genE5ELNS1_11target_archE942ELNS1_3gpuE9ELNS1_3repE0EEENS1_30default_config_static_selectorELNS0_4arch9wavefront6targetE1EEEvT1_.num_named_barrier, 0
	.set _ZN7rocprim17ROCPRIM_400000_NS6detail17trampoline_kernelINS0_14default_configENS1_20scan_config_selectorIdEEZZNS1_9scan_implILNS1_25lookback_scan_determinismE0ELb0ELb0ES3_PKdPddZZZN2at6native31launch_logcumsumexp_cuda_kernelERKNSB_10TensorBaseESF_lENKUlvE_clEvENKUlvE_clEvEUlddE_dEEDaPvRmT3_T4_T5_mT6_P12ihipStream_tbENKUlT_T0_E_clISt17integral_constantIbLb0EESW_EEDaSR_SS_EUlSR_E0_NS1_11comp_targetILNS1_3genE5ELNS1_11target_archE942ELNS1_3gpuE9ELNS1_3repE0EEENS1_30default_config_static_selectorELNS0_4arch9wavefront6targetE1EEEvT1_.private_seg_size, 0
	.set _ZN7rocprim17ROCPRIM_400000_NS6detail17trampoline_kernelINS0_14default_configENS1_20scan_config_selectorIdEEZZNS1_9scan_implILNS1_25lookback_scan_determinismE0ELb0ELb0ES3_PKdPddZZZN2at6native31launch_logcumsumexp_cuda_kernelERKNSB_10TensorBaseESF_lENKUlvE_clEvENKUlvE_clEvEUlddE_dEEDaPvRmT3_T4_T5_mT6_P12ihipStream_tbENKUlT_T0_E_clISt17integral_constantIbLb0EESW_EEDaSR_SS_EUlSR_E0_NS1_11comp_targetILNS1_3genE5ELNS1_11target_archE942ELNS1_3gpuE9ELNS1_3repE0EEENS1_30default_config_static_selectorELNS0_4arch9wavefront6targetE1EEEvT1_.uses_vcc, 0
	.set _ZN7rocprim17ROCPRIM_400000_NS6detail17trampoline_kernelINS0_14default_configENS1_20scan_config_selectorIdEEZZNS1_9scan_implILNS1_25lookback_scan_determinismE0ELb0ELb0ES3_PKdPddZZZN2at6native31launch_logcumsumexp_cuda_kernelERKNSB_10TensorBaseESF_lENKUlvE_clEvENKUlvE_clEvEUlddE_dEEDaPvRmT3_T4_T5_mT6_P12ihipStream_tbENKUlT_T0_E_clISt17integral_constantIbLb0EESW_EEDaSR_SS_EUlSR_E0_NS1_11comp_targetILNS1_3genE5ELNS1_11target_archE942ELNS1_3gpuE9ELNS1_3repE0EEENS1_30default_config_static_selectorELNS0_4arch9wavefront6targetE1EEEvT1_.uses_flat_scratch, 0
	.set _ZN7rocprim17ROCPRIM_400000_NS6detail17trampoline_kernelINS0_14default_configENS1_20scan_config_selectorIdEEZZNS1_9scan_implILNS1_25lookback_scan_determinismE0ELb0ELb0ES3_PKdPddZZZN2at6native31launch_logcumsumexp_cuda_kernelERKNSB_10TensorBaseESF_lENKUlvE_clEvENKUlvE_clEvEUlddE_dEEDaPvRmT3_T4_T5_mT6_P12ihipStream_tbENKUlT_T0_E_clISt17integral_constantIbLb0EESW_EEDaSR_SS_EUlSR_E0_NS1_11comp_targetILNS1_3genE5ELNS1_11target_archE942ELNS1_3gpuE9ELNS1_3repE0EEENS1_30default_config_static_selectorELNS0_4arch9wavefront6targetE1EEEvT1_.has_dyn_sized_stack, 0
	.set _ZN7rocprim17ROCPRIM_400000_NS6detail17trampoline_kernelINS0_14default_configENS1_20scan_config_selectorIdEEZZNS1_9scan_implILNS1_25lookback_scan_determinismE0ELb0ELb0ES3_PKdPddZZZN2at6native31launch_logcumsumexp_cuda_kernelERKNSB_10TensorBaseESF_lENKUlvE_clEvENKUlvE_clEvEUlddE_dEEDaPvRmT3_T4_T5_mT6_P12ihipStream_tbENKUlT_T0_E_clISt17integral_constantIbLb0EESW_EEDaSR_SS_EUlSR_E0_NS1_11comp_targetILNS1_3genE5ELNS1_11target_archE942ELNS1_3gpuE9ELNS1_3repE0EEENS1_30default_config_static_selectorELNS0_4arch9wavefront6targetE1EEEvT1_.has_recursion, 0
	.set _ZN7rocprim17ROCPRIM_400000_NS6detail17trampoline_kernelINS0_14default_configENS1_20scan_config_selectorIdEEZZNS1_9scan_implILNS1_25lookback_scan_determinismE0ELb0ELb0ES3_PKdPddZZZN2at6native31launch_logcumsumexp_cuda_kernelERKNSB_10TensorBaseESF_lENKUlvE_clEvENKUlvE_clEvEUlddE_dEEDaPvRmT3_T4_T5_mT6_P12ihipStream_tbENKUlT_T0_E_clISt17integral_constantIbLb0EESW_EEDaSR_SS_EUlSR_E0_NS1_11comp_targetILNS1_3genE5ELNS1_11target_archE942ELNS1_3gpuE9ELNS1_3repE0EEENS1_30default_config_static_selectorELNS0_4arch9wavefront6targetE1EEEvT1_.has_indirect_call, 0
	.section	.AMDGPU.csdata,"",@progbits
; Kernel info:
; codeLenInByte = 0
; TotalNumSgprs: 6
; NumVgprs: 0
; NumAgprs: 0
; TotalNumVgprs: 0
; ScratchSize: 0
; MemoryBound: 0
; FloatMode: 240
; IeeeMode: 1
; LDSByteSize: 0 bytes/workgroup (compile time only)
; SGPRBlocks: 0
; VGPRBlocks: 0
; NumSGPRsForWavesPerEU: 6
; NumVGPRsForWavesPerEU: 1
; AccumOffset: 4
; Occupancy: 8
; WaveLimiterHint : 0
; COMPUTE_PGM_RSRC2:SCRATCH_EN: 0
; COMPUTE_PGM_RSRC2:USER_SGPR: 2
; COMPUTE_PGM_RSRC2:TRAP_HANDLER: 0
; COMPUTE_PGM_RSRC2:TGID_X_EN: 1
; COMPUTE_PGM_RSRC2:TGID_Y_EN: 0
; COMPUTE_PGM_RSRC2:TGID_Z_EN: 0
; COMPUTE_PGM_RSRC2:TIDIG_COMP_CNT: 0
; COMPUTE_PGM_RSRC3_GFX90A:ACCUM_OFFSET: 0
; COMPUTE_PGM_RSRC3_GFX90A:TG_SPLIT: 0
	.section	.text._ZN7rocprim17ROCPRIM_400000_NS6detail17trampoline_kernelINS0_14default_configENS1_20scan_config_selectorIdEEZZNS1_9scan_implILNS1_25lookback_scan_determinismE0ELb0ELb0ES3_PKdPddZZZN2at6native31launch_logcumsumexp_cuda_kernelERKNSB_10TensorBaseESF_lENKUlvE_clEvENKUlvE_clEvEUlddE_dEEDaPvRmT3_T4_T5_mT6_P12ihipStream_tbENKUlT_T0_E_clISt17integral_constantIbLb0EESW_EEDaSR_SS_EUlSR_E0_NS1_11comp_targetILNS1_3genE4ELNS1_11target_archE910ELNS1_3gpuE8ELNS1_3repE0EEENS1_30default_config_static_selectorELNS0_4arch9wavefront6targetE1EEEvT1_,"axG",@progbits,_ZN7rocprim17ROCPRIM_400000_NS6detail17trampoline_kernelINS0_14default_configENS1_20scan_config_selectorIdEEZZNS1_9scan_implILNS1_25lookback_scan_determinismE0ELb0ELb0ES3_PKdPddZZZN2at6native31launch_logcumsumexp_cuda_kernelERKNSB_10TensorBaseESF_lENKUlvE_clEvENKUlvE_clEvEUlddE_dEEDaPvRmT3_T4_T5_mT6_P12ihipStream_tbENKUlT_T0_E_clISt17integral_constantIbLb0EESW_EEDaSR_SS_EUlSR_E0_NS1_11comp_targetILNS1_3genE4ELNS1_11target_archE910ELNS1_3gpuE8ELNS1_3repE0EEENS1_30default_config_static_selectorELNS0_4arch9wavefront6targetE1EEEvT1_,comdat
	.globl	_ZN7rocprim17ROCPRIM_400000_NS6detail17trampoline_kernelINS0_14default_configENS1_20scan_config_selectorIdEEZZNS1_9scan_implILNS1_25lookback_scan_determinismE0ELb0ELb0ES3_PKdPddZZZN2at6native31launch_logcumsumexp_cuda_kernelERKNSB_10TensorBaseESF_lENKUlvE_clEvENKUlvE_clEvEUlddE_dEEDaPvRmT3_T4_T5_mT6_P12ihipStream_tbENKUlT_T0_E_clISt17integral_constantIbLb0EESW_EEDaSR_SS_EUlSR_E0_NS1_11comp_targetILNS1_3genE4ELNS1_11target_archE910ELNS1_3gpuE8ELNS1_3repE0EEENS1_30default_config_static_selectorELNS0_4arch9wavefront6targetE1EEEvT1_ ; -- Begin function _ZN7rocprim17ROCPRIM_400000_NS6detail17trampoline_kernelINS0_14default_configENS1_20scan_config_selectorIdEEZZNS1_9scan_implILNS1_25lookback_scan_determinismE0ELb0ELb0ES3_PKdPddZZZN2at6native31launch_logcumsumexp_cuda_kernelERKNSB_10TensorBaseESF_lENKUlvE_clEvENKUlvE_clEvEUlddE_dEEDaPvRmT3_T4_T5_mT6_P12ihipStream_tbENKUlT_T0_E_clISt17integral_constantIbLb0EESW_EEDaSR_SS_EUlSR_E0_NS1_11comp_targetILNS1_3genE4ELNS1_11target_archE910ELNS1_3gpuE8ELNS1_3repE0EEENS1_30default_config_static_selectorELNS0_4arch9wavefront6targetE1EEEvT1_
	.p2align	8
	.type	_ZN7rocprim17ROCPRIM_400000_NS6detail17trampoline_kernelINS0_14default_configENS1_20scan_config_selectorIdEEZZNS1_9scan_implILNS1_25lookback_scan_determinismE0ELb0ELb0ES3_PKdPddZZZN2at6native31launch_logcumsumexp_cuda_kernelERKNSB_10TensorBaseESF_lENKUlvE_clEvENKUlvE_clEvEUlddE_dEEDaPvRmT3_T4_T5_mT6_P12ihipStream_tbENKUlT_T0_E_clISt17integral_constantIbLb0EESW_EEDaSR_SS_EUlSR_E0_NS1_11comp_targetILNS1_3genE4ELNS1_11target_archE910ELNS1_3gpuE8ELNS1_3repE0EEENS1_30default_config_static_selectorELNS0_4arch9wavefront6targetE1EEEvT1_,@function
_ZN7rocprim17ROCPRIM_400000_NS6detail17trampoline_kernelINS0_14default_configENS1_20scan_config_selectorIdEEZZNS1_9scan_implILNS1_25lookback_scan_determinismE0ELb0ELb0ES3_PKdPddZZZN2at6native31launch_logcumsumexp_cuda_kernelERKNSB_10TensorBaseESF_lENKUlvE_clEvENKUlvE_clEvEUlddE_dEEDaPvRmT3_T4_T5_mT6_P12ihipStream_tbENKUlT_T0_E_clISt17integral_constantIbLb0EESW_EEDaSR_SS_EUlSR_E0_NS1_11comp_targetILNS1_3genE4ELNS1_11target_archE910ELNS1_3gpuE8ELNS1_3repE0EEENS1_30default_config_static_selectorELNS0_4arch9wavefront6targetE1EEEvT1_: ; @_ZN7rocprim17ROCPRIM_400000_NS6detail17trampoline_kernelINS0_14default_configENS1_20scan_config_selectorIdEEZZNS1_9scan_implILNS1_25lookback_scan_determinismE0ELb0ELb0ES3_PKdPddZZZN2at6native31launch_logcumsumexp_cuda_kernelERKNSB_10TensorBaseESF_lENKUlvE_clEvENKUlvE_clEvEUlddE_dEEDaPvRmT3_T4_T5_mT6_P12ihipStream_tbENKUlT_T0_E_clISt17integral_constantIbLb0EESW_EEDaSR_SS_EUlSR_E0_NS1_11comp_targetILNS1_3genE4ELNS1_11target_archE910ELNS1_3gpuE8ELNS1_3repE0EEENS1_30default_config_static_selectorELNS0_4arch9wavefront6targetE1EEEvT1_
; %bb.0:
	.section	.rodata,"a",@progbits
	.p2align	6, 0x0
	.amdhsa_kernel _ZN7rocprim17ROCPRIM_400000_NS6detail17trampoline_kernelINS0_14default_configENS1_20scan_config_selectorIdEEZZNS1_9scan_implILNS1_25lookback_scan_determinismE0ELb0ELb0ES3_PKdPddZZZN2at6native31launch_logcumsumexp_cuda_kernelERKNSB_10TensorBaseESF_lENKUlvE_clEvENKUlvE_clEvEUlddE_dEEDaPvRmT3_T4_T5_mT6_P12ihipStream_tbENKUlT_T0_E_clISt17integral_constantIbLb0EESW_EEDaSR_SS_EUlSR_E0_NS1_11comp_targetILNS1_3genE4ELNS1_11target_archE910ELNS1_3gpuE8ELNS1_3repE0EEENS1_30default_config_static_selectorELNS0_4arch9wavefront6targetE1EEEvT1_
		.amdhsa_group_segment_fixed_size 0
		.amdhsa_private_segment_fixed_size 0
		.amdhsa_kernarg_size 40
		.amdhsa_user_sgpr_count 2
		.amdhsa_user_sgpr_dispatch_ptr 0
		.amdhsa_user_sgpr_queue_ptr 0
		.amdhsa_user_sgpr_kernarg_segment_ptr 1
		.amdhsa_user_sgpr_dispatch_id 0
		.amdhsa_user_sgpr_kernarg_preload_length 0
		.amdhsa_user_sgpr_kernarg_preload_offset 0
		.amdhsa_user_sgpr_private_segment_size 0
		.amdhsa_uses_dynamic_stack 0
		.amdhsa_enable_private_segment 0
		.amdhsa_system_sgpr_workgroup_id_x 1
		.amdhsa_system_sgpr_workgroup_id_y 0
		.amdhsa_system_sgpr_workgroup_id_z 0
		.amdhsa_system_sgpr_workgroup_info 0
		.amdhsa_system_vgpr_workitem_id 0
		.amdhsa_next_free_vgpr 1
		.amdhsa_next_free_sgpr 0
		.amdhsa_accum_offset 4
		.amdhsa_reserve_vcc 0
		.amdhsa_float_round_mode_32 0
		.amdhsa_float_round_mode_16_64 0
		.amdhsa_float_denorm_mode_32 3
		.amdhsa_float_denorm_mode_16_64 3
		.amdhsa_dx10_clamp 1
		.amdhsa_ieee_mode 1
		.amdhsa_fp16_overflow 0
		.amdhsa_tg_split 0
		.amdhsa_exception_fp_ieee_invalid_op 0
		.amdhsa_exception_fp_denorm_src 0
		.amdhsa_exception_fp_ieee_div_zero 0
		.amdhsa_exception_fp_ieee_overflow 0
		.amdhsa_exception_fp_ieee_underflow 0
		.amdhsa_exception_fp_ieee_inexact 0
		.amdhsa_exception_int_div_zero 0
	.end_amdhsa_kernel
	.section	.text._ZN7rocprim17ROCPRIM_400000_NS6detail17trampoline_kernelINS0_14default_configENS1_20scan_config_selectorIdEEZZNS1_9scan_implILNS1_25lookback_scan_determinismE0ELb0ELb0ES3_PKdPddZZZN2at6native31launch_logcumsumexp_cuda_kernelERKNSB_10TensorBaseESF_lENKUlvE_clEvENKUlvE_clEvEUlddE_dEEDaPvRmT3_T4_T5_mT6_P12ihipStream_tbENKUlT_T0_E_clISt17integral_constantIbLb0EESW_EEDaSR_SS_EUlSR_E0_NS1_11comp_targetILNS1_3genE4ELNS1_11target_archE910ELNS1_3gpuE8ELNS1_3repE0EEENS1_30default_config_static_selectorELNS0_4arch9wavefront6targetE1EEEvT1_,"axG",@progbits,_ZN7rocprim17ROCPRIM_400000_NS6detail17trampoline_kernelINS0_14default_configENS1_20scan_config_selectorIdEEZZNS1_9scan_implILNS1_25lookback_scan_determinismE0ELb0ELb0ES3_PKdPddZZZN2at6native31launch_logcumsumexp_cuda_kernelERKNSB_10TensorBaseESF_lENKUlvE_clEvENKUlvE_clEvEUlddE_dEEDaPvRmT3_T4_T5_mT6_P12ihipStream_tbENKUlT_T0_E_clISt17integral_constantIbLb0EESW_EEDaSR_SS_EUlSR_E0_NS1_11comp_targetILNS1_3genE4ELNS1_11target_archE910ELNS1_3gpuE8ELNS1_3repE0EEENS1_30default_config_static_selectorELNS0_4arch9wavefront6targetE1EEEvT1_,comdat
.Lfunc_end20:
	.size	_ZN7rocprim17ROCPRIM_400000_NS6detail17trampoline_kernelINS0_14default_configENS1_20scan_config_selectorIdEEZZNS1_9scan_implILNS1_25lookback_scan_determinismE0ELb0ELb0ES3_PKdPddZZZN2at6native31launch_logcumsumexp_cuda_kernelERKNSB_10TensorBaseESF_lENKUlvE_clEvENKUlvE_clEvEUlddE_dEEDaPvRmT3_T4_T5_mT6_P12ihipStream_tbENKUlT_T0_E_clISt17integral_constantIbLb0EESW_EEDaSR_SS_EUlSR_E0_NS1_11comp_targetILNS1_3genE4ELNS1_11target_archE910ELNS1_3gpuE8ELNS1_3repE0EEENS1_30default_config_static_selectorELNS0_4arch9wavefront6targetE1EEEvT1_, .Lfunc_end20-_ZN7rocprim17ROCPRIM_400000_NS6detail17trampoline_kernelINS0_14default_configENS1_20scan_config_selectorIdEEZZNS1_9scan_implILNS1_25lookback_scan_determinismE0ELb0ELb0ES3_PKdPddZZZN2at6native31launch_logcumsumexp_cuda_kernelERKNSB_10TensorBaseESF_lENKUlvE_clEvENKUlvE_clEvEUlddE_dEEDaPvRmT3_T4_T5_mT6_P12ihipStream_tbENKUlT_T0_E_clISt17integral_constantIbLb0EESW_EEDaSR_SS_EUlSR_E0_NS1_11comp_targetILNS1_3genE4ELNS1_11target_archE910ELNS1_3gpuE8ELNS1_3repE0EEENS1_30default_config_static_selectorELNS0_4arch9wavefront6targetE1EEEvT1_
                                        ; -- End function
	.set _ZN7rocprim17ROCPRIM_400000_NS6detail17trampoline_kernelINS0_14default_configENS1_20scan_config_selectorIdEEZZNS1_9scan_implILNS1_25lookback_scan_determinismE0ELb0ELb0ES3_PKdPddZZZN2at6native31launch_logcumsumexp_cuda_kernelERKNSB_10TensorBaseESF_lENKUlvE_clEvENKUlvE_clEvEUlddE_dEEDaPvRmT3_T4_T5_mT6_P12ihipStream_tbENKUlT_T0_E_clISt17integral_constantIbLb0EESW_EEDaSR_SS_EUlSR_E0_NS1_11comp_targetILNS1_3genE4ELNS1_11target_archE910ELNS1_3gpuE8ELNS1_3repE0EEENS1_30default_config_static_selectorELNS0_4arch9wavefront6targetE1EEEvT1_.num_vgpr, 0
	.set _ZN7rocprim17ROCPRIM_400000_NS6detail17trampoline_kernelINS0_14default_configENS1_20scan_config_selectorIdEEZZNS1_9scan_implILNS1_25lookback_scan_determinismE0ELb0ELb0ES3_PKdPddZZZN2at6native31launch_logcumsumexp_cuda_kernelERKNSB_10TensorBaseESF_lENKUlvE_clEvENKUlvE_clEvEUlddE_dEEDaPvRmT3_T4_T5_mT6_P12ihipStream_tbENKUlT_T0_E_clISt17integral_constantIbLb0EESW_EEDaSR_SS_EUlSR_E0_NS1_11comp_targetILNS1_3genE4ELNS1_11target_archE910ELNS1_3gpuE8ELNS1_3repE0EEENS1_30default_config_static_selectorELNS0_4arch9wavefront6targetE1EEEvT1_.num_agpr, 0
	.set _ZN7rocprim17ROCPRIM_400000_NS6detail17trampoline_kernelINS0_14default_configENS1_20scan_config_selectorIdEEZZNS1_9scan_implILNS1_25lookback_scan_determinismE0ELb0ELb0ES3_PKdPddZZZN2at6native31launch_logcumsumexp_cuda_kernelERKNSB_10TensorBaseESF_lENKUlvE_clEvENKUlvE_clEvEUlddE_dEEDaPvRmT3_T4_T5_mT6_P12ihipStream_tbENKUlT_T0_E_clISt17integral_constantIbLb0EESW_EEDaSR_SS_EUlSR_E0_NS1_11comp_targetILNS1_3genE4ELNS1_11target_archE910ELNS1_3gpuE8ELNS1_3repE0EEENS1_30default_config_static_selectorELNS0_4arch9wavefront6targetE1EEEvT1_.numbered_sgpr, 0
	.set _ZN7rocprim17ROCPRIM_400000_NS6detail17trampoline_kernelINS0_14default_configENS1_20scan_config_selectorIdEEZZNS1_9scan_implILNS1_25lookback_scan_determinismE0ELb0ELb0ES3_PKdPddZZZN2at6native31launch_logcumsumexp_cuda_kernelERKNSB_10TensorBaseESF_lENKUlvE_clEvENKUlvE_clEvEUlddE_dEEDaPvRmT3_T4_T5_mT6_P12ihipStream_tbENKUlT_T0_E_clISt17integral_constantIbLb0EESW_EEDaSR_SS_EUlSR_E0_NS1_11comp_targetILNS1_3genE4ELNS1_11target_archE910ELNS1_3gpuE8ELNS1_3repE0EEENS1_30default_config_static_selectorELNS0_4arch9wavefront6targetE1EEEvT1_.num_named_barrier, 0
	.set _ZN7rocprim17ROCPRIM_400000_NS6detail17trampoline_kernelINS0_14default_configENS1_20scan_config_selectorIdEEZZNS1_9scan_implILNS1_25lookback_scan_determinismE0ELb0ELb0ES3_PKdPddZZZN2at6native31launch_logcumsumexp_cuda_kernelERKNSB_10TensorBaseESF_lENKUlvE_clEvENKUlvE_clEvEUlddE_dEEDaPvRmT3_T4_T5_mT6_P12ihipStream_tbENKUlT_T0_E_clISt17integral_constantIbLb0EESW_EEDaSR_SS_EUlSR_E0_NS1_11comp_targetILNS1_3genE4ELNS1_11target_archE910ELNS1_3gpuE8ELNS1_3repE0EEENS1_30default_config_static_selectorELNS0_4arch9wavefront6targetE1EEEvT1_.private_seg_size, 0
	.set _ZN7rocprim17ROCPRIM_400000_NS6detail17trampoline_kernelINS0_14default_configENS1_20scan_config_selectorIdEEZZNS1_9scan_implILNS1_25lookback_scan_determinismE0ELb0ELb0ES3_PKdPddZZZN2at6native31launch_logcumsumexp_cuda_kernelERKNSB_10TensorBaseESF_lENKUlvE_clEvENKUlvE_clEvEUlddE_dEEDaPvRmT3_T4_T5_mT6_P12ihipStream_tbENKUlT_T0_E_clISt17integral_constantIbLb0EESW_EEDaSR_SS_EUlSR_E0_NS1_11comp_targetILNS1_3genE4ELNS1_11target_archE910ELNS1_3gpuE8ELNS1_3repE0EEENS1_30default_config_static_selectorELNS0_4arch9wavefront6targetE1EEEvT1_.uses_vcc, 0
	.set _ZN7rocprim17ROCPRIM_400000_NS6detail17trampoline_kernelINS0_14default_configENS1_20scan_config_selectorIdEEZZNS1_9scan_implILNS1_25lookback_scan_determinismE0ELb0ELb0ES3_PKdPddZZZN2at6native31launch_logcumsumexp_cuda_kernelERKNSB_10TensorBaseESF_lENKUlvE_clEvENKUlvE_clEvEUlddE_dEEDaPvRmT3_T4_T5_mT6_P12ihipStream_tbENKUlT_T0_E_clISt17integral_constantIbLb0EESW_EEDaSR_SS_EUlSR_E0_NS1_11comp_targetILNS1_3genE4ELNS1_11target_archE910ELNS1_3gpuE8ELNS1_3repE0EEENS1_30default_config_static_selectorELNS0_4arch9wavefront6targetE1EEEvT1_.uses_flat_scratch, 0
	.set _ZN7rocprim17ROCPRIM_400000_NS6detail17trampoline_kernelINS0_14default_configENS1_20scan_config_selectorIdEEZZNS1_9scan_implILNS1_25lookback_scan_determinismE0ELb0ELb0ES3_PKdPddZZZN2at6native31launch_logcumsumexp_cuda_kernelERKNSB_10TensorBaseESF_lENKUlvE_clEvENKUlvE_clEvEUlddE_dEEDaPvRmT3_T4_T5_mT6_P12ihipStream_tbENKUlT_T0_E_clISt17integral_constantIbLb0EESW_EEDaSR_SS_EUlSR_E0_NS1_11comp_targetILNS1_3genE4ELNS1_11target_archE910ELNS1_3gpuE8ELNS1_3repE0EEENS1_30default_config_static_selectorELNS0_4arch9wavefront6targetE1EEEvT1_.has_dyn_sized_stack, 0
	.set _ZN7rocprim17ROCPRIM_400000_NS6detail17trampoline_kernelINS0_14default_configENS1_20scan_config_selectorIdEEZZNS1_9scan_implILNS1_25lookback_scan_determinismE0ELb0ELb0ES3_PKdPddZZZN2at6native31launch_logcumsumexp_cuda_kernelERKNSB_10TensorBaseESF_lENKUlvE_clEvENKUlvE_clEvEUlddE_dEEDaPvRmT3_T4_T5_mT6_P12ihipStream_tbENKUlT_T0_E_clISt17integral_constantIbLb0EESW_EEDaSR_SS_EUlSR_E0_NS1_11comp_targetILNS1_3genE4ELNS1_11target_archE910ELNS1_3gpuE8ELNS1_3repE0EEENS1_30default_config_static_selectorELNS0_4arch9wavefront6targetE1EEEvT1_.has_recursion, 0
	.set _ZN7rocprim17ROCPRIM_400000_NS6detail17trampoline_kernelINS0_14default_configENS1_20scan_config_selectorIdEEZZNS1_9scan_implILNS1_25lookback_scan_determinismE0ELb0ELb0ES3_PKdPddZZZN2at6native31launch_logcumsumexp_cuda_kernelERKNSB_10TensorBaseESF_lENKUlvE_clEvENKUlvE_clEvEUlddE_dEEDaPvRmT3_T4_T5_mT6_P12ihipStream_tbENKUlT_T0_E_clISt17integral_constantIbLb0EESW_EEDaSR_SS_EUlSR_E0_NS1_11comp_targetILNS1_3genE4ELNS1_11target_archE910ELNS1_3gpuE8ELNS1_3repE0EEENS1_30default_config_static_selectorELNS0_4arch9wavefront6targetE1EEEvT1_.has_indirect_call, 0
	.section	.AMDGPU.csdata,"",@progbits
; Kernel info:
; codeLenInByte = 0
; TotalNumSgprs: 6
; NumVgprs: 0
; NumAgprs: 0
; TotalNumVgprs: 0
; ScratchSize: 0
; MemoryBound: 0
; FloatMode: 240
; IeeeMode: 1
; LDSByteSize: 0 bytes/workgroup (compile time only)
; SGPRBlocks: 0
; VGPRBlocks: 0
; NumSGPRsForWavesPerEU: 6
; NumVGPRsForWavesPerEU: 1
; AccumOffset: 4
; Occupancy: 8
; WaveLimiterHint : 0
; COMPUTE_PGM_RSRC2:SCRATCH_EN: 0
; COMPUTE_PGM_RSRC2:USER_SGPR: 2
; COMPUTE_PGM_RSRC2:TRAP_HANDLER: 0
; COMPUTE_PGM_RSRC2:TGID_X_EN: 1
; COMPUTE_PGM_RSRC2:TGID_Y_EN: 0
; COMPUTE_PGM_RSRC2:TGID_Z_EN: 0
; COMPUTE_PGM_RSRC2:TIDIG_COMP_CNT: 0
; COMPUTE_PGM_RSRC3_GFX90A:ACCUM_OFFSET: 0
; COMPUTE_PGM_RSRC3_GFX90A:TG_SPLIT: 0
	.section	.text._ZN7rocprim17ROCPRIM_400000_NS6detail17trampoline_kernelINS0_14default_configENS1_20scan_config_selectorIdEEZZNS1_9scan_implILNS1_25lookback_scan_determinismE0ELb0ELb0ES3_PKdPddZZZN2at6native31launch_logcumsumexp_cuda_kernelERKNSB_10TensorBaseESF_lENKUlvE_clEvENKUlvE_clEvEUlddE_dEEDaPvRmT3_T4_T5_mT6_P12ihipStream_tbENKUlT_T0_E_clISt17integral_constantIbLb0EESW_EEDaSR_SS_EUlSR_E0_NS1_11comp_targetILNS1_3genE3ELNS1_11target_archE908ELNS1_3gpuE7ELNS1_3repE0EEENS1_30default_config_static_selectorELNS0_4arch9wavefront6targetE1EEEvT1_,"axG",@progbits,_ZN7rocprim17ROCPRIM_400000_NS6detail17trampoline_kernelINS0_14default_configENS1_20scan_config_selectorIdEEZZNS1_9scan_implILNS1_25lookback_scan_determinismE0ELb0ELb0ES3_PKdPddZZZN2at6native31launch_logcumsumexp_cuda_kernelERKNSB_10TensorBaseESF_lENKUlvE_clEvENKUlvE_clEvEUlddE_dEEDaPvRmT3_T4_T5_mT6_P12ihipStream_tbENKUlT_T0_E_clISt17integral_constantIbLb0EESW_EEDaSR_SS_EUlSR_E0_NS1_11comp_targetILNS1_3genE3ELNS1_11target_archE908ELNS1_3gpuE7ELNS1_3repE0EEENS1_30default_config_static_selectorELNS0_4arch9wavefront6targetE1EEEvT1_,comdat
	.globl	_ZN7rocprim17ROCPRIM_400000_NS6detail17trampoline_kernelINS0_14default_configENS1_20scan_config_selectorIdEEZZNS1_9scan_implILNS1_25lookback_scan_determinismE0ELb0ELb0ES3_PKdPddZZZN2at6native31launch_logcumsumexp_cuda_kernelERKNSB_10TensorBaseESF_lENKUlvE_clEvENKUlvE_clEvEUlddE_dEEDaPvRmT3_T4_T5_mT6_P12ihipStream_tbENKUlT_T0_E_clISt17integral_constantIbLb0EESW_EEDaSR_SS_EUlSR_E0_NS1_11comp_targetILNS1_3genE3ELNS1_11target_archE908ELNS1_3gpuE7ELNS1_3repE0EEENS1_30default_config_static_selectorELNS0_4arch9wavefront6targetE1EEEvT1_ ; -- Begin function _ZN7rocprim17ROCPRIM_400000_NS6detail17trampoline_kernelINS0_14default_configENS1_20scan_config_selectorIdEEZZNS1_9scan_implILNS1_25lookback_scan_determinismE0ELb0ELb0ES3_PKdPddZZZN2at6native31launch_logcumsumexp_cuda_kernelERKNSB_10TensorBaseESF_lENKUlvE_clEvENKUlvE_clEvEUlddE_dEEDaPvRmT3_T4_T5_mT6_P12ihipStream_tbENKUlT_T0_E_clISt17integral_constantIbLb0EESW_EEDaSR_SS_EUlSR_E0_NS1_11comp_targetILNS1_3genE3ELNS1_11target_archE908ELNS1_3gpuE7ELNS1_3repE0EEENS1_30default_config_static_selectorELNS0_4arch9wavefront6targetE1EEEvT1_
	.p2align	8
	.type	_ZN7rocprim17ROCPRIM_400000_NS6detail17trampoline_kernelINS0_14default_configENS1_20scan_config_selectorIdEEZZNS1_9scan_implILNS1_25lookback_scan_determinismE0ELb0ELb0ES3_PKdPddZZZN2at6native31launch_logcumsumexp_cuda_kernelERKNSB_10TensorBaseESF_lENKUlvE_clEvENKUlvE_clEvEUlddE_dEEDaPvRmT3_T4_T5_mT6_P12ihipStream_tbENKUlT_T0_E_clISt17integral_constantIbLb0EESW_EEDaSR_SS_EUlSR_E0_NS1_11comp_targetILNS1_3genE3ELNS1_11target_archE908ELNS1_3gpuE7ELNS1_3repE0EEENS1_30default_config_static_selectorELNS0_4arch9wavefront6targetE1EEEvT1_,@function
_ZN7rocprim17ROCPRIM_400000_NS6detail17trampoline_kernelINS0_14default_configENS1_20scan_config_selectorIdEEZZNS1_9scan_implILNS1_25lookback_scan_determinismE0ELb0ELb0ES3_PKdPddZZZN2at6native31launch_logcumsumexp_cuda_kernelERKNSB_10TensorBaseESF_lENKUlvE_clEvENKUlvE_clEvEUlddE_dEEDaPvRmT3_T4_T5_mT6_P12ihipStream_tbENKUlT_T0_E_clISt17integral_constantIbLb0EESW_EEDaSR_SS_EUlSR_E0_NS1_11comp_targetILNS1_3genE3ELNS1_11target_archE908ELNS1_3gpuE7ELNS1_3repE0EEENS1_30default_config_static_selectorELNS0_4arch9wavefront6targetE1EEEvT1_: ; @_ZN7rocprim17ROCPRIM_400000_NS6detail17trampoline_kernelINS0_14default_configENS1_20scan_config_selectorIdEEZZNS1_9scan_implILNS1_25lookback_scan_determinismE0ELb0ELb0ES3_PKdPddZZZN2at6native31launch_logcumsumexp_cuda_kernelERKNSB_10TensorBaseESF_lENKUlvE_clEvENKUlvE_clEvEUlddE_dEEDaPvRmT3_T4_T5_mT6_P12ihipStream_tbENKUlT_T0_E_clISt17integral_constantIbLb0EESW_EEDaSR_SS_EUlSR_E0_NS1_11comp_targetILNS1_3genE3ELNS1_11target_archE908ELNS1_3gpuE7ELNS1_3repE0EEENS1_30default_config_static_selectorELNS0_4arch9wavefront6targetE1EEEvT1_
; %bb.0:
	.section	.rodata,"a",@progbits
	.p2align	6, 0x0
	.amdhsa_kernel _ZN7rocprim17ROCPRIM_400000_NS6detail17trampoline_kernelINS0_14default_configENS1_20scan_config_selectorIdEEZZNS1_9scan_implILNS1_25lookback_scan_determinismE0ELb0ELb0ES3_PKdPddZZZN2at6native31launch_logcumsumexp_cuda_kernelERKNSB_10TensorBaseESF_lENKUlvE_clEvENKUlvE_clEvEUlddE_dEEDaPvRmT3_T4_T5_mT6_P12ihipStream_tbENKUlT_T0_E_clISt17integral_constantIbLb0EESW_EEDaSR_SS_EUlSR_E0_NS1_11comp_targetILNS1_3genE3ELNS1_11target_archE908ELNS1_3gpuE7ELNS1_3repE0EEENS1_30default_config_static_selectorELNS0_4arch9wavefront6targetE1EEEvT1_
		.amdhsa_group_segment_fixed_size 0
		.amdhsa_private_segment_fixed_size 0
		.amdhsa_kernarg_size 40
		.amdhsa_user_sgpr_count 2
		.amdhsa_user_sgpr_dispatch_ptr 0
		.amdhsa_user_sgpr_queue_ptr 0
		.amdhsa_user_sgpr_kernarg_segment_ptr 1
		.amdhsa_user_sgpr_dispatch_id 0
		.amdhsa_user_sgpr_kernarg_preload_length 0
		.amdhsa_user_sgpr_kernarg_preload_offset 0
		.amdhsa_user_sgpr_private_segment_size 0
		.amdhsa_uses_dynamic_stack 0
		.amdhsa_enable_private_segment 0
		.amdhsa_system_sgpr_workgroup_id_x 1
		.amdhsa_system_sgpr_workgroup_id_y 0
		.amdhsa_system_sgpr_workgroup_id_z 0
		.amdhsa_system_sgpr_workgroup_info 0
		.amdhsa_system_vgpr_workitem_id 0
		.amdhsa_next_free_vgpr 1
		.amdhsa_next_free_sgpr 0
		.amdhsa_accum_offset 4
		.amdhsa_reserve_vcc 0
		.amdhsa_float_round_mode_32 0
		.amdhsa_float_round_mode_16_64 0
		.amdhsa_float_denorm_mode_32 3
		.amdhsa_float_denorm_mode_16_64 3
		.amdhsa_dx10_clamp 1
		.amdhsa_ieee_mode 1
		.amdhsa_fp16_overflow 0
		.amdhsa_tg_split 0
		.amdhsa_exception_fp_ieee_invalid_op 0
		.amdhsa_exception_fp_denorm_src 0
		.amdhsa_exception_fp_ieee_div_zero 0
		.amdhsa_exception_fp_ieee_overflow 0
		.amdhsa_exception_fp_ieee_underflow 0
		.amdhsa_exception_fp_ieee_inexact 0
		.amdhsa_exception_int_div_zero 0
	.end_amdhsa_kernel
	.section	.text._ZN7rocprim17ROCPRIM_400000_NS6detail17trampoline_kernelINS0_14default_configENS1_20scan_config_selectorIdEEZZNS1_9scan_implILNS1_25lookback_scan_determinismE0ELb0ELb0ES3_PKdPddZZZN2at6native31launch_logcumsumexp_cuda_kernelERKNSB_10TensorBaseESF_lENKUlvE_clEvENKUlvE_clEvEUlddE_dEEDaPvRmT3_T4_T5_mT6_P12ihipStream_tbENKUlT_T0_E_clISt17integral_constantIbLb0EESW_EEDaSR_SS_EUlSR_E0_NS1_11comp_targetILNS1_3genE3ELNS1_11target_archE908ELNS1_3gpuE7ELNS1_3repE0EEENS1_30default_config_static_selectorELNS0_4arch9wavefront6targetE1EEEvT1_,"axG",@progbits,_ZN7rocprim17ROCPRIM_400000_NS6detail17trampoline_kernelINS0_14default_configENS1_20scan_config_selectorIdEEZZNS1_9scan_implILNS1_25lookback_scan_determinismE0ELb0ELb0ES3_PKdPddZZZN2at6native31launch_logcumsumexp_cuda_kernelERKNSB_10TensorBaseESF_lENKUlvE_clEvENKUlvE_clEvEUlddE_dEEDaPvRmT3_T4_T5_mT6_P12ihipStream_tbENKUlT_T0_E_clISt17integral_constantIbLb0EESW_EEDaSR_SS_EUlSR_E0_NS1_11comp_targetILNS1_3genE3ELNS1_11target_archE908ELNS1_3gpuE7ELNS1_3repE0EEENS1_30default_config_static_selectorELNS0_4arch9wavefront6targetE1EEEvT1_,comdat
.Lfunc_end21:
	.size	_ZN7rocprim17ROCPRIM_400000_NS6detail17trampoline_kernelINS0_14default_configENS1_20scan_config_selectorIdEEZZNS1_9scan_implILNS1_25lookback_scan_determinismE0ELb0ELb0ES3_PKdPddZZZN2at6native31launch_logcumsumexp_cuda_kernelERKNSB_10TensorBaseESF_lENKUlvE_clEvENKUlvE_clEvEUlddE_dEEDaPvRmT3_T4_T5_mT6_P12ihipStream_tbENKUlT_T0_E_clISt17integral_constantIbLb0EESW_EEDaSR_SS_EUlSR_E0_NS1_11comp_targetILNS1_3genE3ELNS1_11target_archE908ELNS1_3gpuE7ELNS1_3repE0EEENS1_30default_config_static_selectorELNS0_4arch9wavefront6targetE1EEEvT1_, .Lfunc_end21-_ZN7rocprim17ROCPRIM_400000_NS6detail17trampoline_kernelINS0_14default_configENS1_20scan_config_selectorIdEEZZNS1_9scan_implILNS1_25lookback_scan_determinismE0ELb0ELb0ES3_PKdPddZZZN2at6native31launch_logcumsumexp_cuda_kernelERKNSB_10TensorBaseESF_lENKUlvE_clEvENKUlvE_clEvEUlddE_dEEDaPvRmT3_T4_T5_mT6_P12ihipStream_tbENKUlT_T0_E_clISt17integral_constantIbLb0EESW_EEDaSR_SS_EUlSR_E0_NS1_11comp_targetILNS1_3genE3ELNS1_11target_archE908ELNS1_3gpuE7ELNS1_3repE0EEENS1_30default_config_static_selectorELNS0_4arch9wavefront6targetE1EEEvT1_
                                        ; -- End function
	.set _ZN7rocprim17ROCPRIM_400000_NS6detail17trampoline_kernelINS0_14default_configENS1_20scan_config_selectorIdEEZZNS1_9scan_implILNS1_25lookback_scan_determinismE0ELb0ELb0ES3_PKdPddZZZN2at6native31launch_logcumsumexp_cuda_kernelERKNSB_10TensorBaseESF_lENKUlvE_clEvENKUlvE_clEvEUlddE_dEEDaPvRmT3_T4_T5_mT6_P12ihipStream_tbENKUlT_T0_E_clISt17integral_constantIbLb0EESW_EEDaSR_SS_EUlSR_E0_NS1_11comp_targetILNS1_3genE3ELNS1_11target_archE908ELNS1_3gpuE7ELNS1_3repE0EEENS1_30default_config_static_selectorELNS0_4arch9wavefront6targetE1EEEvT1_.num_vgpr, 0
	.set _ZN7rocprim17ROCPRIM_400000_NS6detail17trampoline_kernelINS0_14default_configENS1_20scan_config_selectorIdEEZZNS1_9scan_implILNS1_25lookback_scan_determinismE0ELb0ELb0ES3_PKdPddZZZN2at6native31launch_logcumsumexp_cuda_kernelERKNSB_10TensorBaseESF_lENKUlvE_clEvENKUlvE_clEvEUlddE_dEEDaPvRmT3_T4_T5_mT6_P12ihipStream_tbENKUlT_T0_E_clISt17integral_constantIbLb0EESW_EEDaSR_SS_EUlSR_E0_NS1_11comp_targetILNS1_3genE3ELNS1_11target_archE908ELNS1_3gpuE7ELNS1_3repE0EEENS1_30default_config_static_selectorELNS0_4arch9wavefront6targetE1EEEvT1_.num_agpr, 0
	.set _ZN7rocprim17ROCPRIM_400000_NS6detail17trampoline_kernelINS0_14default_configENS1_20scan_config_selectorIdEEZZNS1_9scan_implILNS1_25lookback_scan_determinismE0ELb0ELb0ES3_PKdPddZZZN2at6native31launch_logcumsumexp_cuda_kernelERKNSB_10TensorBaseESF_lENKUlvE_clEvENKUlvE_clEvEUlddE_dEEDaPvRmT3_T4_T5_mT6_P12ihipStream_tbENKUlT_T0_E_clISt17integral_constantIbLb0EESW_EEDaSR_SS_EUlSR_E0_NS1_11comp_targetILNS1_3genE3ELNS1_11target_archE908ELNS1_3gpuE7ELNS1_3repE0EEENS1_30default_config_static_selectorELNS0_4arch9wavefront6targetE1EEEvT1_.numbered_sgpr, 0
	.set _ZN7rocprim17ROCPRIM_400000_NS6detail17trampoline_kernelINS0_14default_configENS1_20scan_config_selectorIdEEZZNS1_9scan_implILNS1_25lookback_scan_determinismE0ELb0ELb0ES3_PKdPddZZZN2at6native31launch_logcumsumexp_cuda_kernelERKNSB_10TensorBaseESF_lENKUlvE_clEvENKUlvE_clEvEUlddE_dEEDaPvRmT3_T4_T5_mT6_P12ihipStream_tbENKUlT_T0_E_clISt17integral_constantIbLb0EESW_EEDaSR_SS_EUlSR_E0_NS1_11comp_targetILNS1_3genE3ELNS1_11target_archE908ELNS1_3gpuE7ELNS1_3repE0EEENS1_30default_config_static_selectorELNS0_4arch9wavefront6targetE1EEEvT1_.num_named_barrier, 0
	.set _ZN7rocprim17ROCPRIM_400000_NS6detail17trampoline_kernelINS0_14default_configENS1_20scan_config_selectorIdEEZZNS1_9scan_implILNS1_25lookback_scan_determinismE0ELb0ELb0ES3_PKdPddZZZN2at6native31launch_logcumsumexp_cuda_kernelERKNSB_10TensorBaseESF_lENKUlvE_clEvENKUlvE_clEvEUlddE_dEEDaPvRmT3_T4_T5_mT6_P12ihipStream_tbENKUlT_T0_E_clISt17integral_constantIbLb0EESW_EEDaSR_SS_EUlSR_E0_NS1_11comp_targetILNS1_3genE3ELNS1_11target_archE908ELNS1_3gpuE7ELNS1_3repE0EEENS1_30default_config_static_selectorELNS0_4arch9wavefront6targetE1EEEvT1_.private_seg_size, 0
	.set _ZN7rocprim17ROCPRIM_400000_NS6detail17trampoline_kernelINS0_14default_configENS1_20scan_config_selectorIdEEZZNS1_9scan_implILNS1_25lookback_scan_determinismE0ELb0ELb0ES3_PKdPddZZZN2at6native31launch_logcumsumexp_cuda_kernelERKNSB_10TensorBaseESF_lENKUlvE_clEvENKUlvE_clEvEUlddE_dEEDaPvRmT3_T4_T5_mT6_P12ihipStream_tbENKUlT_T0_E_clISt17integral_constantIbLb0EESW_EEDaSR_SS_EUlSR_E0_NS1_11comp_targetILNS1_3genE3ELNS1_11target_archE908ELNS1_3gpuE7ELNS1_3repE0EEENS1_30default_config_static_selectorELNS0_4arch9wavefront6targetE1EEEvT1_.uses_vcc, 0
	.set _ZN7rocprim17ROCPRIM_400000_NS6detail17trampoline_kernelINS0_14default_configENS1_20scan_config_selectorIdEEZZNS1_9scan_implILNS1_25lookback_scan_determinismE0ELb0ELb0ES3_PKdPddZZZN2at6native31launch_logcumsumexp_cuda_kernelERKNSB_10TensorBaseESF_lENKUlvE_clEvENKUlvE_clEvEUlddE_dEEDaPvRmT3_T4_T5_mT6_P12ihipStream_tbENKUlT_T0_E_clISt17integral_constantIbLb0EESW_EEDaSR_SS_EUlSR_E0_NS1_11comp_targetILNS1_3genE3ELNS1_11target_archE908ELNS1_3gpuE7ELNS1_3repE0EEENS1_30default_config_static_selectorELNS0_4arch9wavefront6targetE1EEEvT1_.uses_flat_scratch, 0
	.set _ZN7rocprim17ROCPRIM_400000_NS6detail17trampoline_kernelINS0_14default_configENS1_20scan_config_selectorIdEEZZNS1_9scan_implILNS1_25lookback_scan_determinismE0ELb0ELb0ES3_PKdPddZZZN2at6native31launch_logcumsumexp_cuda_kernelERKNSB_10TensorBaseESF_lENKUlvE_clEvENKUlvE_clEvEUlddE_dEEDaPvRmT3_T4_T5_mT6_P12ihipStream_tbENKUlT_T0_E_clISt17integral_constantIbLb0EESW_EEDaSR_SS_EUlSR_E0_NS1_11comp_targetILNS1_3genE3ELNS1_11target_archE908ELNS1_3gpuE7ELNS1_3repE0EEENS1_30default_config_static_selectorELNS0_4arch9wavefront6targetE1EEEvT1_.has_dyn_sized_stack, 0
	.set _ZN7rocprim17ROCPRIM_400000_NS6detail17trampoline_kernelINS0_14default_configENS1_20scan_config_selectorIdEEZZNS1_9scan_implILNS1_25lookback_scan_determinismE0ELb0ELb0ES3_PKdPddZZZN2at6native31launch_logcumsumexp_cuda_kernelERKNSB_10TensorBaseESF_lENKUlvE_clEvENKUlvE_clEvEUlddE_dEEDaPvRmT3_T4_T5_mT6_P12ihipStream_tbENKUlT_T0_E_clISt17integral_constantIbLb0EESW_EEDaSR_SS_EUlSR_E0_NS1_11comp_targetILNS1_3genE3ELNS1_11target_archE908ELNS1_3gpuE7ELNS1_3repE0EEENS1_30default_config_static_selectorELNS0_4arch9wavefront6targetE1EEEvT1_.has_recursion, 0
	.set _ZN7rocprim17ROCPRIM_400000_NS6detail17trampoline_kernelINS0_14default_configENS1_20scan_config_selectorIdEEZZNS1_9scan_implILNS1_25lookback_scan_determinismE0ELb0ELb0ES3_PKdPddZZZN2at6native31launch_logcumsumexp_cuda_kernelERKNSB_10TensorBaseESF_lENKUlvE_clEvENKUlvE_clEvEUlddE_dEEDaPvRmT3_T4_T5_mT6_P12ihipStream_tbENKUlT_T0_E_clISt17integral_constantIbLb0EESW_EEDaSR_SS_EUlSR_E0_NS1_11comp_targetILNS1_3genE3ELNS1_11target_archE908ELNS1_3gpuE7ELNS1_3repE0EEENS1_30default_config_static_selectorELNS0_4arch9wavefront6targetE1EEEvT1_.has_indirect_call, 0
	.section	.AMDGPU.csdata,"",@progbits
; Kernel info:
; codeLenInByte = 0
; TotalNumSgprs: 6
; NumVgprs: 0
; NumAgprs: 0
; TotalNumVgprs: 0
; ScratchSize: 0
; MemoryBound: 0
; FloatMode: 240
; IeeeMode: 1
; LDSByteSize: 0 bytes/workgroup (compile time only)
; SGPRBlocks: 0
; VGPRBlocks: 0
; NumSGPRsForWavesPerEU: 6
; NumVGPRsForWavesPerEU: 1
; AccumOffset: 4
; Occupancy: 8
; WaveLimiterHint : 0
; COMPUTE_PGM_RSRC2:SCRATCH_EN: 0
; COMPUTE_PGM_RSRC2:USER_SGPR: 2
; COMPUTE_PGM_RSRC2:TRAP_HANDLER: 0
; COMPUTE_PGM_RSRC2:TGID_X_EN: 1
; COMPUTE_PGM_RSRC2:TGID_Y_EN: 0
; COMPUTE_PGM_RSRC2:TGID_Z_EN: 0
; COMPUTE_PGM_RSRC2:TIDIG_COMP_CNT: 0
; COMPUTE_PGM_RSRC3_GFX90A:ACCUM_OFFSET: 0
; COMPUTE_PGM_RSRC3_GFX90A:TG_SPLIT: 0
	.section	.text._ZN7rocprim17ROCPRIM_400000_NS6detail17trampoline_kernelINS0_14default_configENS1_20scan_config_selectorIdEEZZNS1_9scan_implILNS1_25lookback_scan_determinismE0ELb0ELb0ES3_PKdPddZZZN2at6native31launch_logcumsumexp_cuda_kernelERKNSB_10TensorBaseESF_lENKUlvE_clEvENKUlvE_clEvEUlddE_dEEDaPvRmT3_T4_T5_mT6_P12ihipStream_tbENKUlT_T0_E_clISt17integral_constantIbLb0EESW_EEDaSR_SS_EUlSR_E0_NS1_11comp_targetILNS1_3genE2ELNS1_11target_archE906ELNS1_3gpuE6ELNS1_3repE0EEENS1_30default_config_static_selectorELNS0_4arch9wavefront6targetE1EEEvT1_,"axG",@progbits,_ZN7rocprim17ROCPRIM_400000_NS6detail17trampoline_kernelINS0_14default_configENS1_20scan_config_selectorIdEEZZNS1_9scan_implILNS1_25lookback_scan_determinismE0ELb0ELb0ES3_PKdPddZZZN2at6native31launch_logcumsumexp_cuda_kernelERKNSB_10TensorBaseESF_lENKUlvE_clEvENKUlvE_clEvEUlddE_dEEDaPvRmT3_T4_T5_mT6_P12ihipStream_tbENKUlT_T0_E_clISt17integral_constantIbLb0EESW_EEDaSR_SS_EUlSR_E0_NS1_11comp_targetILNS1_3genE2ELNS1_11target_archE906ELNS1_3gpuE6ELNS1_3repE0EEENS1_30default_config_static_selectorELNS0_4arch9wavefront6targetE1EEEvT1_,comdat
	.globl	_ZN7rocprim17ROCPRIM_400000_NS6detail17trampoline_kernelINS0_14default_configENS1_20scan_config_selectorIdEEZZNS1_9scan_implILNS1_25lookback_scan_determinismE0ELb0ELb0ES3_PKdPddZZZN2at6native31launch_logcumsumexp_cuda_kernelERKNSB_10TensorBaseESF_lENKUlvE_clEvENKUlvE_clEvEUlddE_dEEDaPvRmT3_T4_T5_mT6_P12ihipStream_tbENKUlT_T0_E_clISt17integral_constantIbLb0EESW_EEDaSR_SS_EUlSR_E0_NS1_11comp_targetILNS1_3genE2ELNS1_11target_archE906ELNS1_3gpuE6ELNS1_3repE0EEENS1_30default_config_static_selectorELNS0_4arch9wavefront6targetE1EEEvT1_ ; -- Begin function _ZN7rocprim17ROCPRIM_400000_NS6detail17trampoline_kernelINS0_14default_configENS1_20scan_config_selectorIdEEZZNS1_9scan_implILNS1_25lookback_scan_determinismE0ELb0ELb0ES3_PKdPddZZZN2at6native31launch_logcumsumexp_cuda_kernelERKNSB_10TensorBaseESF_lENKUlvE_clEvENKUlvE_clEvEUlddE_dEEDaPvRmT3_T4_T5_mT6_P12ihipStream_tbENKUlT_T0_E_clISt17integral_constantIbLb0EESW_EEDaSR_SS_EUlSR_E0_NS1_11comp_targetILNS1_3genE2ELNS1_11target_archE906ELNS1_3gpuE6ELNS1_3repE0EEENS1_30default_config_static_selectorELNS0_4arch9wavefront6targetE1EEEvT1_
	.p2align	8
	.type	_ZN7rocprim17ROCPRIM_400000_NS6detail17trampoline_kernelINS0_14default_configENS1_20scan_config_selectorIdEEZZNS1_9scan_implILNS1_25lookback_scan_determinismE0ELb0ELb0ES3_PKdPddZZZN2at6native31launch_logcumsumexp_cuda_kernelERKNSB_10TensorBaseESF_lENKUlvE_clEvENKUlvE_clEvEUlddE_dEEDaPvRmT3_T4_T5_mT6_P12ihipStream_tbENKUlT_T0_E_clISt17integral_constantIbLb0EESW_EEDaSR_SS_EUlSR_E0_NS1_11comp_targetILNS1_3genE2ELNS1_11target_archE906ELNS1_3gpuE6ELNS1_3repE0EEENS1_30default_config_static_selectorELNS0_4arch9wavefront6targetE1EEEvT1_,@function
_ZN7rocprim17ROCPRIM_400000_NS6detail17trampoline_kernelINS0_14default_configENS1_20scan_config_selectorIdEEZZNS1_9scan_implILNS1_25lookback_scan_determinismE0ELb0ELb0ES3_PKdPddZZZN2at6native31launch_logcumsumexp_cuda_kernelERKNSB_10TensorBaseESF_lENKUlvE_clEvENKUlvE_clEvEUlddE_dEEDaPvRmT3_T4_T5_mT6_P12ihipStream_tbENKUlT_T0_E_clISt17integral_constantIbLb0EESW_EEDaSR_SS_EUlSR_E0_NS1_11comp_targetILNS1_3genE2ELNS1_11target_archE906ELNS1_3gpuE6ELNS1_3repE0EEENS1_30default_config_static_selectorELNS0_4arch9wavefront6targetE1EEEvT1_: ; @_ZN7rocprim17ROCPRIM_400000_NS6detail17trampoline_kernelINS0_14default_configENS1_20scan_config_selectorIdEEZZNS1_9scan_implILNS1_25lookback_scan_determinismE0ELb0ELb0ES3_PKdPddZZZN2at6native31launch_logcumsumexp_cuda_kernelERKNSB_10TensorBaseESF_lENKUlvE_clEvENKUlvE_clEvEUlddE_dEEDaPvRmT3_T4_T5_mT6_P12ihipStream_tbENKUlT_T0_E_clISt17integral_constantIbLb0EESW_EEDaSR_SS_EUlSR_E0_NS1_11comp_targetILNS1_3genE2ELNS1_11target_archE906ELNS1_3gpuE6ELNS1_3repE0EEENS1_30default_config_static_selectorELNS0_4arch9wavefront6targetE1EEEvT1_
; %bb.0:
	.section	.rodata,"a",@progbits
	.p2align	6, 0x0
	.amdhsa_kernel _ZN7rocprim17ROCPRIM_400000_NS6detail17trampoline_kernelINS0_14default_configENS1_20scan_config_selectorIdEEZZNS1_9scan_implILNS1_25lookback_scan_determinismE0ELb0ELb0ES3_PKdPddZZZN2at6native31launch_logcumsumexp_cuda_kernelERKNSB_10TensorBaseESF_lENKUlvE_clEvENKUlvE_clEvEUlddE_dEEDaPvRmT3_T4_T5_mT6_P12ihipStream_tbENKUlT_T0_E_clISt17integral_constantIbLb0EESW_EEDaSR_SS_EUlSR_E0_NS1_11comp_targetILNS1_3genE2ELNS1_11target_archE906ELNS1_3gpuE6ELNS1_3repE0EEENS1_30default_config_static_selectorELNS0_4arch9wavefront6targetE1EEEvT1_
		.amdhsa_group_segment_fixed_size 0
		.amdhsa_private_segment_fixed_size 0
		.amdhsa_kernarg_size 40
		.amdhsa_user_sgpr_count 2
		.amdhsa_user_sgpr_dispatch_ptr 0
		.amdhsa_user_sgpr_queue_ptr 0
		.amdhsa_user_sgpr_kernarg_segment_ptr 1
		.amdhsa_user_sgpr_dispatch_id 0
		.amdhsa_user_sgpr_kernarg_preload_length 0
		.amdhsa_user_sgpr_kernarg_preload_offset 0
		.amdhsa_user_sgpr_private_segment_size 0
		.amdhsa_uses_dynamic_stack 0
		.amdhsa_enable_private_segment 0
		.amdhsa_system_sgpr_workgroup_id_x 1
		.amdhsa_system_sgpr_workgroup_id_y 0
		.amdhsa_system_sgpr_workgroup_id_z 0
		.amdhsa_system_sgpr_workgroup_info 0
		.amdhsa_system_vgpr_workitem_id 0
		.amdhsa_next_free_vgpr 1
		.amdhsa_next_free_sgpr 0
		.amdhsa_accum_offset 4
		.amdhsa_reserve_vcc 0
		.amdhsa_float_round_mode_32 0
		.amdhsa_float_round_mode_16_64 0
		.amdhsa_float_denorm_mode_32 3
		.amdhsa_float_denorm_mode_16_64 3
		.amdhsa_dx10_clamp 1
		.amdhsa_ieee_mode 1
		.amdhsa_fp16_overflow 0
		.amdhsa_tg_split 0
		.amdhsa_exception_fp_ieee_invalid_op 0
		.amdhsa_exception_fp_denorm_src 0
		.amdhsa_exception_fp_ieee_div_zero 0
		.amdhsa_exception_fp_ieee_overflow 0
		.amdhsa_exception_fp_ieee_underflow 0
		.amdhsa_exception_fp_ieee_inexact 0
		.amdhsa_exception_int_div_zero 0
	.end_amdhsa_kernel
	.section	.text._ZN7rocprim17ROCPRIM_400000_NS6detail17trampoline_kernelINS0_14default_configENS1_20scan_config_selectorIdEEZZNS1_9scan_implILNS1_25lookback_scan_determinismE0ELb0ELb0ES3_PKdPddZZZN2at6native31launch_logcumsumexp_cuda_kernelERKNSB_10TensorBaseESF_lENKUlvE_clEvENKUlvE_clEvEUlddE_dEEDaPvRmT3_T4_T5_mT6_P12ihipStream_tbENKUlT_T0_E_clISt17integral_constantIbLb0EESW_EEDaSR_SS_EUlSR_E0_NS1_11comp_targetILNS1_3genE2ELNS1_11target_archE906ELNS1_3gpuE6ELNS1_3repE0EEENS1_30default_config_static_selectorELNS0_4arch9wavefront6targetE1EEEvT1_,"axG",@progbits,_ZN7rocprim17ROCPRIM_400000_NS6detail17trampoline_kernelINS0_14default_configENS1_20scan_config_selectorIdEEZZNS1_9scan_implILNS1_25lookback_scan_determinismE0ELb0ELb0ES3_PKdPddZZZN2at6native31launch_logcumsumexp_cuda_kernelERKNSB_10TensorBaseESF_lENKUlvE_clEvENKUlvE_clEvEUlddE_dEEDaPvRmT3_T4_T5_mT6_P12ihipStream_tbENKUlT_T0_E_clISt17integral_constantIbLb0EESW_EEDaSR_SS_EUlSR_E0_NS1_11comp_targetILNS1_3genE2ELNS1_11target_archE906ELNS1_3gpuE6ELNS1_3repE0EEENS1_30default_config_static_selectorELNS0_4arch9wavefront6targetE1EEEvT1_,comdat
.Lfunc_end22:
	.size	_ZN7rocprim17ROCPRIM_400000_NS6detail17trampoline_kernelINS0_14default_configENS1_20scan_config_selectorIdEEZZNS1_9scan_implILNS1_25lookback_scan_determinismE0ELb0ELb0ES3_PKdPddZZZN2at6native31launch_logcumsumexp_cuda_kernelERKNSB_10TensorBaseESF_lENKUlvE_clEvENKUlvE_clEvEUlddE_dEEDaPvRmT3_T4_T5_mT6_P12ihipStream_tbENKUlT_T0_E_clISt17integral_constantIbLb0EESW_EEDaSR_SS_EUlSR_E0_NS1_11comp_targetILNS1_3genE2ELNS1_11target_archE906ELNS1_3gpuE6ELNS1_3repE0EEENS1_30default_config_static_selectorELNS0_4arch9wavefront6targetE1EEEvT1_, .Lfunc_end22-_ZN7rocprim17ROCPRIM_400000_NS6detail17trampoline_kernelINS0_14default_configENS1_20scan_config_selectorIdEEZZNS1_9scan_implILNS1_25lookback_scan_determinismE0ELb0ELb0ES3_PKdPddZZZN2at6native31launch_logcumsumexp_cuda_kernelERKNSB_10TensorBaseESF_lENKUlvE_clEvENKUlvE_clEvEUlddE_dEEDaPvRmT3_T4_T5_mT6_P12ihipStream_tbENKUlT_T0_E_clISt17integral_constantIbLb0EESW_EEDaSR_SS_EUlSR_E0_NS1_11comp_targetILNS1_3genE2ELNS1_11target_archE906ELNS1_3gpuE6ELNS1_3repE0EEENS1_30default_config_static_selectorELNS0_4arch9wavefront6targetE1EEEvT1_
                                        ; -- End function
	.set _ZN7rocprim17ROCPRIM_400000_NS6detail17trampoline_kernelINS0_14default_configENS1_20scan_config_selectorIdEEZZNS1_9scan_implILNS1_25lookback_scan_determinismE0ELb0ELb0ES3_PKdPddZZZN2at6native31launch_logcumsumexp_cuda_kernelERKNSB_10TensorBaseESF_lENKUlvE_clEvENKUlvE_clEvEUlddE_dEEDaPvRmT3_T4_T5_mT6_P12ihipStream_tbENKUlT_T0_E_clISt17integral_constantIbLb0EESW_EEDaSR_SS_EUlSR_E0_NS1_11comp_targetILNS1_3genE2ELNS1_11target_archE906ELNS1_3gpuE6ELNS1_3repE0EEENS1_30default_config_static_selectorELNS0_4arch9wavefront6targetE1EEEvT1_.num_vgpr, 0
	.set _ZN7rocprim17ROCPRIM_400000_NS6detail17trampoline_kernelINS0_14default_configENS1_20scan_config_selectorIdEEZZNS1_9scan_implILNS1_25lookback_scan_determinismE0ELb0ELb0ES3_PKdPddZZZN2at6native31launch_logcumsumexp_cuda_kernelERKNSB_10TensorBaseESF_lENKUlvE_clEvENKUlvE_clEvEUlddE_dEEDaPvRmT3_T4_T5_mT6_P12ihipStream_tbENKUlT_T0_E_clISt17integral_constantIbLb0EESW_EEDaSR_SS_EUlSR_E0_NS1_11comp_targetILNS1_3genE2ELNS1_11target_archE906ELNS1_3gpuE6ELNS1_3repE0EEENS1_30default_config_static_selectorELNS0_4arch9wavefront6targetE1EEEvT1_.num_agpr, 0
	.set _ZN7rocprim17ROCPRIM_400000_NS6detail17trampoline_kernelINS0_14default_configENS1_20scan_config_selectorIdEEZZNS1_9scan_implILNS1_25lookback_scan_determinismE0ELb0ELb0ES3_PKdPddZZZN2at6native31launch_logcumsumexp_cuda_kernelERKNSB_10TensorBaseESF_lENKUlvE_clEvENKUlvE_clEvEUlddE_dEEDaPvRmT3_T4_T5_mT6_P12ihipStream_tbENKUlT_T0_E_clISt17integral_constantIbLb0EESW_EEDaSR_SS_EUlSR_E0_NS1_11comp_targetILNS1_3genE2ELNS1_11target_archE906ELNS1_3gpuE6ELNS1_3repE0EEENS1_30default_config_static_selectorELNS0_4arch9wavefront6targetE1EEEvT1_.numbered_sgpr, 0
	.set _ZN7rocprim17ROCPRIM_400000_NS6detail17trampoline_kernelINS0_14default_configENS1_20scan_config_selectorIdEEZZNS1_9scan_implILNS1_25lookback_scan_determinismE0ELb0ELb0ES3_PKdPddZZZN2at6native31launch_logcumsumexp_cuda_kernelERKNSB_10TensorBaseESF_lENKUlvE_clEvENKUlvE_clEvEUlddE_dEEDaPvRmT3_T4_T5_mT6_P12ihipStream_tbENKUlT_T0_E_clISt17integral_constantIbLb0EESW_EEDaSR_SS_EUlSR_E0_NS1_11comp_targetILNS1_3genE2ELNS1_11target_archE906ELNS1_3gpuE6ELNS1_3repE0EEENS1_30default_config_static_selectorELNS0_4arch9wavefront6targetE1EEEvT1_.num_named_barrier, 0
	.set _ZN7rocprim17ROCPRIM_400000_NS6detail17trampoline_kernelINS0_14default_configENS1_20scan_config_selectorIdEEZZNS1_9scan_implILNS1_25lookback_scan_determinismE0ELb0ELb0ES3_PKdPddZZZN2at6native31launch_logcumsumexp_cuda_kernelERKNSB_10TensorBaseESF_lENKUlvE_clEvENKUlvE_clEvEUlddE_dEEDaPvRmT3_T4_T5_mT6_P12ihipStream_tbENKUlT_T0_E_clISt17integral_constantIbLb0EESW_EEDaSR_SS_EUlSR_E0_NS1_11comp_targetILNS1_3genE2ELNS1_11target_archE906ELNS1_3gpuE6ELNS1_3repE0EEENS1_30default_config_static_selectorELNS0_4arch9wavefront6targetE1EEEvT1_.private_seg_size, 0
	.set _ZN7rocprim17ROCPRIM_400000_NS6detail17trampoline_kernelINS0_14default_configENS1_20scan_config_selectorIdEEZZNS1_9scan_implILNS1_25lookback_scan_determinismE0ELb0ELb0ES3_PKdPddZZZN2at6native31launch_logcumsumexp_cuda_kernelERKNSB_10TensorBaseESF_lENKUlvE_clEvENKUlvE_clEvEUlddE_dEEDaPvRmT3_T4_T5_mT6_P12ihipStream_tbENKUlT_T0_E_clISt17integral_constantIbLb0EESW_EEDaSR_SS_EUlSR_E0_NS1_11comp_targetILNS1_3genE2ELNS1_11target_archE906ELNS1_3gpuE6ELNS1_3repE0EEENS1_30default_config_static_selectorELNS0_4arch9wavefront6targetE1EEEvT1_.uses_vcc, 0
	.set _ZN7rocprim17ROCPRIM_400000_NS6detail17trampoline_kernelINS0_14default_configENS1_20scan_config_selectorIdEEZZNS1_9scan_implILNS1_25lookback_scan_determinismE0ELb0ELb0ES3_PKdPddZZZN2at6native31launch_logcumsumexp_cuda_kernelERKNSB_10TensorBaseESF_lENKUlvE_clEvENKUlvE_clEvEUlddE_dEEDaPvRmT3_T4_T5_mT6_P12ihipStream_tbENKUlT_T0_E_clISt17integral_constantIbLb0EESW_EEDaSR_SS_EUlSR_E0_NS1_11comp_targetILNS1_3genE2ELNS1_11target_archE906ELNS1_3gpuE6ELNS1_3repE0EEENS1_30default_config_static_selectorELNS0_4arch9wavefront6targetE1EEEvT1_.uses_flat_scratch, 0
	.set _ZN7rocprim17ROCPRIM_400000_NS6detail17trampoline_kernelINS0_14default_configENS1_20scan_config_selectorIdEEZZNS1_9scan_implILNS1_25lookback_scan_determinismE0ELb0ELb0ES3_PKdPddZZZN2at6native31launch_logcumsumexp_cuda_kernelERKNSB_10TensorBaseESF_lENKUlvE_clEvENKUlvE_clEvEUlddE_dEEDaPvRmT3_T4_T5_mT6_P12ihipStream_tbENKUlT_T0_E_clISt17integral_constantIbLb0EESW_EEDaSR_SS_EUlSR_E0_NS1_11comp_targetILNS1_3genE2ELNS1_11target_archE906ELNS1_3gpuE6ELNS1_3repE0EEENS1_30default_config_static_selectorELNS0_4arch9wavefront6targetE1EEEvT1_.has_dyn_sized_stack, 0
	.set _ZN7rocprim17ROCPRIM_400000_NS6detail17trampoline_kernelINS0_14default_configENS1_20scan_config_selectorIdEEZZNS1_9scan_implILNS1_25lookback_scan_determinismE0ELb0ELb0ES3_PKdPddZZZN2at6native31launch_logcumsumexp_cuda_kernelERKNSB_10TensorBaseESF_lENKUlvE_clEvENKUlvE_clEvEUlddE_dEEDaPvRmT3_T4_T5_mT6_P12ihipStream_tbENKUlT_T0_E_clISt17integral_constantIbLb0EESW_EEDaSR_SS_EUlSR_E0_NS1_11comp_targetILNS1_3genE2ELNS1_11target_archE906ELNS1_3gpuE6ELNS1_3repE0EEENS1_30default_config_static_selectorELNS0_4arch9wavefront6targetE1EEEvT1_.has_recursion, 0
	.set _ZN7rocprim17ROCPRIM_400000_NS6detail17trampoline_kernelINS0_14default_configENS1_20scan_config_selectorIdEEZZNS1_9scan_implILNS1_25lookback_scan_determinismE0ELb0ELb0ES3_PKdPddZZZN2at6native31launch_logcumsumexp_cuda_kernelERKNSB_10TensorBaseESF_lENKUlvE_clEvENKUlvE_clEvEUlddE_dEEDaPvRmT3_T4_T5_mT6_P12ihipStream_tbENKUlT_T0_E_clISt17integral_constantIbLb0EESW_EEDaSR_SS_EUlSR_E0_NS1_11comp_targetILNS1_3genE2ELNS1_11target_archE906ELNS1_3gpuE6ELNS1_3repE0EEENS1_30default_config_static_selectorELNS0_4arch9wavefront6targetE1EEEvT1_.has_indirect_call, 0
	.section	.AMDGPU.csdata,"",@progbits
; Kernel info:
; codeLenInByte = 0
; TotalNumSgprs: 6
; NumVgprs: 0
; NumAgprs: 0
; TotalNumVgprs: 0
; ScratchSize: 0
; MemoryBound: 0
; FloatMode: 240
; IeeeMode: 1
; LDSByteSize: 0 bytes/workgroup (compile time only)
; SGPRBlocks: 0
; VGPRBlocks: 0
; NumSGPRsForWavesPerEU: 6
; NumVGPRsForWavesPerEU: 1
; AccumOffset: 4
; Occupancy: 8
; WaveLimiterHint : 0
; COMPUTE_PGM_RSRC2:SCRATCH_EN: 0
; COMPUTE_PGM_RSRC2:USER_SGPR: 2
; COMPUTE_PGM_RSRC2:TRAP_HANDLER: 0
; COMPUTE_PGM_RSRC2:TGID_X_EN: 1
; COMPUTE_PGM_RSRC2:TGID_Y_EN: 0
; COMPUTE_PGM_RSRC2:TGID_Z_EN: 0
; COMPUTE_PGM_RSRC2:TIDIG_COMP_CNT: 0
; COMPUTE_PGM_RSRC3_GFX90A:ACCUM_OFFSET: 0
; COMPUTE_PGM_RSRC3_GFX90A:TG_SPLIT: 0
	.section	.text._ZN7rocprim17ROCPRIM_400000_NS6detail17trampoline_kernelINS0_14default_configENS1_20scan_config_selectorIdEEZZNS1_9scan_implILNS1_25lookback_scan_determinismE0ELb0ELb0ES3_PKdPddZZZN2at6native31launch_logcumsumexp_cuda_kernelERKNSB_10TensorBaseESF_lENKUlvE_clEvENKUlvE_clEvEUlddE_dEEDaPvRmT3_T4_T5_mT6_P12ihipStream_tbENKUlT_T0_E_clISt17integral_constantIbLb0EESW_EEDaSR_SS_EUlSR_E0_NS1_11comp_targetILNS1_3genE10ELNS1_11target_archE1201ELNS1_3gpuE5ELNS1_3repE0EEENS1_30default_config_static_selectorELNS0_4arch9wavefront6targetE1EEEvT1_,"axG",@progbits,_ZN7rocprim17ROCPRIM_400000_NS6detail17trampoline_kernelINS0_14default_configENS1_20scan_config_selectorIdEEZZNS1_9scan_implILNS1_25lookback_scan_determinismE0ELb0ELb0ES3_PKdPddZZZN2at6native31launch_logcumsumexp_cuda_kernelERKNSB_10TensorBaseESF_lENKUlvE_clEvENKUlvE_clEvEUlddE_dEEDaPvRmT3_T4_T5_mT6_P12ihipStream_tbENKUlT_T0_E_clISt17integral_constantIbLb0EESW_EEDaSR_SS_EUlSR_E0_NS1_11comp_targetILNS1_3genE10ELNS1_11target_archE1201ELNS1_3gpuE5ELNS1_3repE0EEENS1_30default_config_static_selectorELNS0_4arch9wavefront6targetE1EEEvT1_,comdat
	.globl	_ZN7rocprim17ROCPRIM_400000_NS6detail17trampoline_kernelINS0_14default_configENS1_20scan_config_selectorIdEEZZNS1_9scan_implILNS1_25lookback_scan_determinismE0ELb0ELb0ES3_PKdPddZZZN2at6native31launch_logcumsumexp_cuda_kernelERKNSB_10TensorBaseESF_lENKUlvE_clEvENKUlvE_clEvEUlddE_dEEDaPvRmT3_T4_T5_mT6_P12ihipStream_tbENKUlT_T0_E_clISt17integral_constantIbLb0EESW_EEDaSR_SS_EUlSR_E0_NS1_11comp_targetILNS1_3genE10ELNS1_11target_archE1201ELNS1_3gpuE5ELNS1_3repE0EEENS1_30default_config_static_selectorELNS0_4arch9wavefront6targetE1EEEvT1_ ; -- Begin function _ZN7rocprim17ROCPRIM_400000_NS6detail17trampoline_kernelINS0_14default_configENS1_20scan_config_selectorIdEEZZNS1_9scan_implILNS1_25lookback_scan_determinismE0ELb0ELb0ES3_PKdPddZZZN2at6native31launch_logcumsumexp_cuda_kernelERKNSB_10TensorBaseESF_lENKUlvE_clEvENKUlvE_clEvEUlddE_dEEDaPvRmT3_T4_T5_mT6_P12ihipStream_tbENKUlT_T0_E_clISt17integral_constantIbLb0EESW_EEDaSR_SS_EUlSR_E0_NS1_11comp_targetILNS1_3genE10ELNS1_11target_archE1201ELNS1_3gpuE5ELNS1_3repE0EEENS1_30default_config_static_selectorELNS0_4arch9wavefront6targetE1EEEvT1_
	.p2align	8
	.type	_ZN7rocprim17ROCPRIM_400000_NS6detail17trampoline_kernelINS0_14default_configENS1_20scan_config_selectorIdEEZZNS1_9scan_implILNS1_25lookback_scan_determinismE0ELb0ELb0ES3_PKdPddZZZN2at6native31launch_logcumsumexp_cuda_kernelERKNSB_10TensorBaseESF_lENKUlvE_clEvENKUlvE_clEvEUlddE_dEEDaPvRmT3_T4_T5_mT6_P12ihipStream_tbENKUlT_T0_E_clISt17integral_constantIbLb0EESW_EEDaSR_SS_EUlSR_E0_NS1_11comp_targetILNS1_3genE10ELNS1_11target_archE1201ELNS1_3gpuE5ELNS1_3repE0EEENS1_30default_config_static_selectorELNS0_4arch9wavefront6targetE1EEEvT1_,@function
_ZN7rocprim17ROCPRIM_400000_NS6detail17trampoline_kernelINS0_14default_configENS1_20scan_config_selectorIdEEZZNS1_9scan_implILNS1_25lookback_scan_determinismE0ELb0ELb0ES3_PKdPddZZZN2at6native31launch_logcumsumexp_cuda_kernelERKNSB_10TensorBaseESF_lENKUlvE_clEvENKUlvE_clEvEUlddE_dEEDaPvRmT3_T4_T5_mT6_P12ihipStream_tbENKUlT_T0_E_clISt17integral_constantIbLb0EESW_EEDaSR_SS_EUlSR_E0_NS1_11comp_targetILNS1_3genE10ELNS1_11target_archE1201ELNS1_3gpuE5ELNS1_3repE0EEENS1_30default_config_static_selectorELNS0_4arch9wavefront6targetE1EEEvT1_: ; @_ZN7rocprim17ROCPRIM_400000_NS6detail17trampoline_kernelINS0_14default_configENS1_20scan_config_selectorIdEEZZNS1_9scan_implILNS1_25lookback_scan_determinismE0ELb0ELb0ES3_PKdPddZZZN2at6native31launch_logcumsumexp_cuda_kernelERKNSB_10TensorBaseESF_lENKUlvE_clEvENKUlvE_clEvEUlddE_dEEDaPvRmT3_T4_T5_mT6_P12ihipStream_tbENKUlT_T0_E_clISt17integral_constantIbLb0EESW_EEDaSR_SS_EUlSR_E0_NS1_11comp_targetILNS1_3genE10ELNS1_11target_archE1201ELNS1_3gpuE5ELNS1_3repE0EEENS1_30default_config_static_selectorELNS0_4arch9wavefront6targetE1EEEvT1_
; %bb.0:
	.section	.rodata,"a",@progbits
	.p2align	6, 0x0
	.amdhsa_kernel _ZN7rocprim17ROCPRIM_400000_NS6detail17trampoline_kernelINS0_14default_configENS1_20scan_config_selectorIdEEZZNS1_9scan_implILNS1_25lookback_scan_determinismE0ELb0ELb0ES3_PKdPddZZZN2at6native31launch_logcumsumexp_cuda_kernelERKNSB_10TensorBaseESF_lENKUlvE_clEvENKUlvE_clEvEUlddE_dEEDaPvRmT3_T4_T5_mT6_P12ihipStream_tbENKUlT_T0_E_clISt17integral_constantIbLb0EESW_EEDaSR_SS_EUlSR_E0_NS1_11comp_targetILNS1_3genE10ELNS1_11target_archE1201ELNS1_3gpuE5ELNS1_3repE0EEENS1_30default_config_static_selectorELNS0_4arch9wavefront6targetE1EEEvT1_
		.amdhsa_group_segment_fixed_size 0
		.amdhsa_private_segment_fixed_size 0
		.amdhsa_kernarg_size 40
		.amdhsa_user_sgpr_count 2
		.amdhsa_user_sgpr_dispatch_ptr 0
		.amdhsa_user_sgpr_queue_ptr 0
		.amdhsa_user_sgpr_kernarg_segment_ptr 1
		.amdhsa_user_sgpr_dispatch_id 0
		.amdhsa_user_sgpr_kernarg_preload_length 0
		.amdhsa_user_sgpr_kernarg_preload_offset 0
		.amdhsa_user_sgpr_private_segment_size 0
		.amdhsa_uses_dynamic_stack 0
		.amdhsa_enable_private_segment 0
		.amdhsa_system_sgpr_workgroup_id_x 1
		.amdhsa_system_sgpr_workgroup_id_y 0
		.amdhsa_system_sgpr_workgroup_id_z 0
		.amdhsa_system_sgpr_workgroup_info 0
		.amdhsa_system_vgpr_workitem_id 0
		.amdhsa_next_free_vgpr 1
		.amdhsa_next_free_sgpr 0
		.amdhsa_accum_offset 4
		.amdhsa_reserve_vcc 0
		.amdhsa_float_round_mode_32 0
		.amdhsa_float_round_mode_16_64 0
		.amdhsa_float_denorm_mode_32 3
		.amdhsa_float_denorm_mode_16_64 3
		.amdhsa_dx10_clamp 1
		.amdhsa_ieee_mode 1
		.amdhsa_fp16_overflow 0
		.amdhsa_tg_split 0
		.amdhsa_exception_fp_ieee_invalid_op 0
		.amdhsa_exception_fp_denorm_src 0
		.amdhsa_exception_fp_ieee_div_zero 0
		.amdhsa_exception_fp_ieee_overflow 0
		.amdhsa_exception_fp_ieee_underflow 0
		.amdhsa_exception_fp_ieee_inexact 0
		.amdhsa_exception_int_div_zero 0
	.end_amdhsa_kernel
	.section	.text._ZN7rocprim17ROCPRIM_400000_NS6detail17trampoline_kernelINS0_14default_configENS1_20scan_config_selectorIdEEZZNS1_9scan_implILNS1_25lookback_scan_determinismE0ELb0ELb0ES3_PKdPddZZZN2at6native31launch_logcumsumexp_cuda_kernelERKNSB_10TensorBaseESF_lENKUlvE_clEvENKUlvE_clEvEUlddE_dEEDaPvRmT3_T4_T5_mT6_P12ihipStream_tbENKUlT_T0_E_clISt17integral_constantIbLb0EESW_EEDaSR_SS_EUlSR_E0_NS1_11comp_targetILNS1_3genE10ELNS1_11target_archE1201ELNS1_3gpuE5ELNS1_3repE0EEENS1_30default_config_static_selectorELNS0_4arch9wavefront6targetE1EEEvT1_,"axG",@progbits,_ZN7rocprim17ROCPRIM_400000_NS6detail17trampoline_kernelINS0_14default_configENS1_20scan_config_selectorIdEEZZNS1_9scan_implILNS1_25lookback_scan_determinismE0ELb0ELb0ES3_PKdPddZZZN2at6native31launch_logcumsumexp_cuda_kernelERKNSB_10TensorBaseESF_lENKUlvE_clEvENKUlvE_clEvEUlddE_dEEDaPvRmT3_T4_T5_mT6_P12ihipStream_tbENKUlT_T0_E_clISt17integral_constantIbLb0EESW_EEDaSR_SS_EUlSR_E0_NS1_11comp_targetILNS1_3genE10ELNS1_11target_archE1201ELNS1_3gpuE5ELNS1_3repE0EEENS1_30default_config_static_selectorELNS0_4arch9wavefront6targetE1EEEvT1_,comdat
.Lfunc_end23:
	.size	_ZN7rocprim17ROCPRIM_400000_NS6detail17trampoline_kernelINS0_14default_configENS1_20scan_config_selectorIdEEZZNS1_9scan_implILNS1_25lookback_scan_determinismE0ELb0ELb0ES3_PKdPddZZZN2at6native31launch_logcumsumexp_cuda_kernelERKNSB_10TensorBaseESF_lENKUlvE_clEvENKUlvE_clEvEUlddE_dEEDaPvRmT3_T4_T5_mT6_P12ihipStream_tbENKUlT_T0_E_clISt17integral_constantIbLb0EESW_EEDaSR_SS_EUlSR_E0_NS1_11comp_targetILNS1_3genE10ELNS1_11target_archE1201ELNS1_3gpuE5ELNS1_3repE0EEENS1_30default_config_static_selectorELNS0_4arch9wavefront6targetE1EEEvT1_, .Lfunc_end23-_ZN7rocprim17ROCPRIM_400000_NS6detail17trampoline_kernelINS0_14default_configENS1_20scan_config_selectorIdEEZZNS1_9scan_implILNS1_25lookback_scan_determinismE0ELb0ELb0ES3_PKdPddZZZN2at6native31launch_logcumsumexp_cuda_kernelERKNSB_10TensorBaseESF_lENKUlvE_clEvENKUlvE_clEvEUlddE_dEEDaPvRmT3_T4_T5_mT6_P12ihipStream_tbENKUlT_T0_E_clISt17integral_constantIbLb0EESW_EEDaSR_SS_EUlSR_E0_NS1_11comp_targetILNS1_3genE10ELNS1_11target_archE1201ELNS1_3gpuE5ELNS1_3repE0EEENS1_30default_config_static_selectorELNS0_4arch9wavefront6targetE1EEEvT1_
                                        ; -- End function
	.set _ZN7rocprim17ROCPRIM_400000_NS6detail17trampoline_kernelINS0_14default_configENS1_20scan_config_selectorIdEEZZNS1_9scan_implILNS1_25lookback_scan_determinismE0ELb0ELb0ES3_PKdPddZZZN2at6native31launch_logcumsumexp_cuda_kernelERKNSB_10TensorBaseESF_lENKUlvE_clEvENKUlvE_clEvEUlddE_dEEDaPvRmT3_T4_T5_mT6_P12ihipStream_tbENKUlT_T0_E_clISt17integral_constantIbLb0EESW_EEDaSR_SS_EUlSR_E0_NS1_11comp_targetILNS1_3genE10ELNS1_11target_archE1201ELNS1_3gpuE5ELNS1_3repE0EEENS1_30default_config_static_selectorELNS0_4arch9wavefront6targetE1EEEvT1_.num_vgpr, 0
	.set _ZN7rocprim17ROCPRIM_400000_NS6detail17trampoline_kernelINS0_14default_configENS1_20scan_config_selectorIdEEZZNS1_9scan_implILNS1_25lookback_scan_determinismE0ELb0ELb0ES3_PKdPddZZZN2at6native31launch_logcumsumexp_cuda_kernelERKNSB_10TensorBaseESF_lENKUlvE_clEvENKUlvE_clEvEUlddE_dEEDaPvRmT3_T4_T5_mT6_P12ihipStream_tbENKUlT_T0_E_clISt17integral_constantIbLb0EESW_EEDaSR_SS_EUlSR_E0_NS1_11comp_targetILNS1_3genE10ELNS1_11target_archE1201ELNS1_3gpuE5ELNS1_3repE0EEENS1_30default_config_static_selectorELNS0_4arch9wavefront6targetE1EEEvT1_.num_agpr, 0
	.set _ZN7rocprim17ROCPRIM_400000_NS6detail17trampoline_kernelINS0_14default_configENS1_20scan_config_selectorIdEEZZNS1_9scan_implILNS1_25lookback_scan_determinismE0ELb0ELb0ES3_PKdPddZZZN2at6native31launch_logcumsumexp_cuda_kernelERKNSB_10TensorBaseESF_lENKUlvE_clEvENKUlvE_clEvEUlddE_dEEDaPvRmT3_T4_T5_mT6_P12ihipStream_tbENKUlT_T0_E_clISt17integral_constantIbLb0EESW_EEDaSR_SS_EUlSR_E0_NS1_11comp_targetILNS1_3genE10ELNS1_11target_archE1201ELNS1_3gpuE5ELNS1_3repE0EEENS1_30default_config_static_selectorELNS0_4arch9wavefront6targetE1EEEvT1_.numbered_sgpr, 0
	.set _ZN7rocprim17ROCPRIM_400000_NS6detail17trampoline_kernelINS0_14default_configENS1_20scan_config_selectorIdEEZZNS1_9scan_implILNS1_25lookback_scan_determinismE0ELb0ELb0ES3_PKdPddZZZN2at6native31launch_logcumsumexp_cuda_kernelERKNSB_10TensorBaseESF_lENKUlvE_clEvENKUlvE_clEvEUlddE_dEEDaPvRmT3_T4_T5_mT6_P12ihipStream_tbENKUlT_T0_E_clISt17integral_constantIbLb0EESW_EEDaSR_SS_EUlSR_E0_NS1_11comp_targetILNS1_3genE10ELNS1_11target_archE1201ELNS1_3gpuE5ELNS1_3repE0EEENS1_30default_config_static_selectorELNS0_4arch9wavefront6targetE1EEEvT1_.num_named_barrier, 0
	.set _ZN7rocprim17ROCPRIM_400000_NS6detail17trampoline_kernelINS0_14default_configENS1_20scan_config_selectorIdEEZZNS1_9scan_implILNS1_25lookback_scan_determinismE0ELb0ELb0ES3_PKdPddZZZN2at6native31launch_logcumsumexp_cuda_kernelERKNSB_10TensorBaseESF_lENKUlvE_clEvENKUlvE_clEvEUlddE_dEEDaPvRmT3_T4_T5_mT6_P12ihipStream_tbENKUlT_T0_E_clISt17integral_constantIbLb0EESW_EEDaSR_SS_EUlSR_E0_NS1_11comp_targetILNS1_3genE10ELNS1_11target_archE1201ELNS1_3gpuE5ELNS1_3repE0EEENS1_30default_config_static_selectorELNS0_4arch9wavefront6targetE1EEEvT1_.private_seg_size, 0
	.set _ZN7rocprim17ROCPRIM_400000_NS6detail17trampoline_kernelINS0_14default_configENS1_20scan_config_selectorIdEEZZNS1_9scan_implILNS1_25lookback_scan_determinismE0ELb0ELb0ES3_PKdPddZZZN2at6native31launch_logcumsumexp_cuda_kernelERKNSB_10TensorBaseESF_lENKUlvE_clEvENKUlvE_clEvEUlddE_dEEDaPvRmT3_T4_T5_mT6_P12ihipStream_tbENKUlT_T0_E_clISt17integral_constantIbLb0EESW_EEDaSR_SS_EUlSR_E0_NS1_11comp_targetILNS1_3genE10ELNS1_11target_archE1201ELNS1_3gpuE5ELNS1_3repE0EEENS1_30default_config_static_selectorELNS0_4arch9wavefront6targetE1EEEvT1_.uses_vcc, 0
	.set _ZN7rocprim17ROCPRIM_400000_NS6detail17trampoline_kernelINS0_14default_configENS1_20scan_config_selectorIdEEZZNS1_9scan_implILNS1_25lookback_scan_determinismE0ELb0ELb0ES3_PKdPddZZZN2at6native31launch_logcumsumexp_cuda_kernelERKNSB_10TensorBaseESF_lENKUlvE_clEvENKUlvE_clEvEUlddE_dEEDaPvRmT3_T4_T5_mT6_P12ihipStream_tbENKUlT_T0_E_clISt17integral_constantIbLb0EESW_EEDaSR_SS_EUlSR_E0_NS1_11comp_targetILNS1_3genE10ELNS1_11target_archE1201ELNS1_3gpuE5ELNS1_3repE0EEENS1_30default_config_static_selectorELNS0_4arch9wavefront6targetE1EEEvT1_.uses_flat_scratch, 0
	.set _ZN7rocprim17ROCPRIM_400000_NS6detail17trampoline_kernelINS0_14default_configENS1_20scan_config_selectorIdEEZZNS1_9scan_implILNS1_25lookback_scan_determinismE0ELb0ELb0ES3_PKdPddZZZN2at6native31launch_logcumsumexp_cuda_kernelERKNSB_10TensorBaseESF_lENKUlvE_clEvENKUlvE_clEvEUlddE_dEEDaPvRmT3_T4_T5_mT6_P12ihipStream_tbENKUlT_T0_E_clISt17integral_constantIbLb0EESW_EEDaSR_SS_EUlSR_E0_NS1_11comp_targetILNS1_3genE10ELNS1_11target_archE1201ELNS1_3gpuE5ELNS1_3repE0EEENS1_30default_config_static_selectorELNS0_4arch9wavefront6targetE1EEEvT1_.has_dyn_sized_stack, 0
	.set _ZN7rocprim17ROCPRIM_400000_NS6detail17trampoline_kernelINS0_14default_configENS1_20scan_config_selectorIdEEZZNS1_9scan_implILNS1_25lookback_scan_determinismE0ELb0ELb0ES3_PKdPddZZZN2at6native31launch_logcumsumexp_cuda_kernelERKNSB_10TensorBaseESF_lENKUlvE_clEvENKUlvE_clEvEUlddE_dEEDaPvRmT3_T4_T5_mT6_P12ihipStream_tbENKUlT_T0_E_clISt17integral_constantIbLb0EESW_EEDaSR_SS_EUlSR_E0_NS1_11comp_targetILNS1_3genE10ELNS1_11target_archE1201ELNS1_3gpuE5ELNS1_3repE0EEENS1_30default_config_static_selectorELNS0_4arch9wavefront6targetE1EEEvT1_.has_recursion, 0
	.set _ZN7rocprim17ROCPRIM_400000_NS6detail17trampoline_kernelINS0_14default_configENS1_20scan_config_selectorIdEEZZNS1_9scan_implILNS1_25lookback_scan_determinismE0ELb0ELb0ES3_PKdPddZZZN2at6native31launch_logcumsumexp_cuda_kernelERKNSB_10TensorBaseESF_lENKUlvE_clEvENKUlvE_clEvEUlddE_dEEDaPvRmT3_T4_T5_mT6_P12ihipStream_tbENKUlT_T0_E_clISt17integral_constantIbLb0EESW_EEDaSR_SS_EUlSR_E0_NS1_11comp_targetILNS1_3genE10ELNS1_11target_archE1201ELNS1_3gpuE5ELNS1_3repE0EEENS1_30default_config_static_selectorELNS0_4arch9wavefront6targetE1EEEvT1_.has_indirect_call, 0
	.section	.AMDGPU.csdata,"",@progbits
; Kernel info:
; codeLenInByte = 0
; TotalNumSgprs: 6
; NumVgprs: 0
; NumAgprs: 0
; TotalNumVgprs: 0
; ScratchSize: 0
; MemoryBound: 0
; FloatMode: 240
; IeeeMode: 1
; LDSByteSize: 0 bytes/workgroup (compile time only)
; SGPRBlocks: 0
; VGPRBlocks: 0
; NumSGPRsForWavesPerEU: 6
; NumVGPRsForWavesPerEU: 1
; AccumOffset: 4
; Occupancy: 8
; WaveLimiterHint : 0
; COMPUTE_PGM_RSRC2:SCRATCH_EN: 0
; COMPUTE_PGM_RSRC2:USER_SGPR: 2
; COMPUTE_PGM_RSRC2:TRAP_HANDLER: 0
; COMPUTE_PGM_RSRC2:TGID_X_EN: 1
; COMPUTE_PGM_RSRC2:TGID_Y_EN: 0
; COMPUTE_PGM_RSRC2:TGID_Z_EN: 0
; COMPUTE_PGM_RSRC2:TIDIG_COMP_CNT: 0
; COMPUTE_PGM_RSRC3_GFX90A:ACCUM_OFFSET: 0
; COMPUTE_PGM_RSRC3_GFX90A:TG_SPLIT: 0
	.section	.text._ZN7rocprim17ROCPRIM_400000_NS6detail17trampoline_kernelINS0_14default_configENS1_20scan_config_selectorIdEEZZNS1_9scan_implILNS1_25lookback_scan_determinismE0ELb0ELb0ES3_PKdPddZZZN2at6native31launch_logcumsumexp_cuda_kernelERKNSB_10TensorBaseESF_lENKUlvE_clEvENKUlvE_clEvEUlddE_dEEDaPvRmT3_T4_T5_mT6_P12ihipStream_tbENKUlT_T0_E_clISt17integral_constantIbLb0EESW_EEDaSR_SS_EUlSR_E0_NS1_11comp_targetILNS1_3genE10ELNS1_11target_archE1200ELNS1_3gpuE4ELNS1_3repE0EEENS1_30default_config_static_selectorELNS0_4arch9wavefront6targetE1EEEvT1_,"axG",@progbits,_ZN7rocprim17ROCPRIM_400000_NS6detail17trampoline_kernelINS0_14default_configENS1_20scan_config_selectorIdEEZZNS1_9scan_implILNS1_25lookback_scan_determinismE0ELb0ELb0ES3_PKdPddZZZN2at6native31launch_logcumsumexp_cuda_kernelERKNSB_10TensorBaseESF_lENKUlvE_clEvENKUlvE_clEvEUlddE_dEEDaPvRmT3_T4_T5_mT6_P12ihipStream_tbENKUlT_T0_E_clISt17integral_constantIbLb0EESW_EEDaSR_SS_EUlSR_E0_NS1_11comp_targetILNS1_3genE10ELNS1_11target_archE1200ELNS1_3gpuE4ELNS1_3repE0EEENS1_30default_config_static_selectorELNS0_4arch9wavefront6targetE1EEEvT1_,comdat
	.globl	_ZN7rocprim17ROCPRIM_400000_NS6detail17trampoline_kernelINS0_14default_configENS1_20scan_config_selectorIdEEZZNS1_9scan_implILNS1_25lookback_scan_determinismE0ELb0ELb0ES3_PKdPddZZZN2at6native31launch_logcumsumexp_cuda_kernelERKNSB_10TensorBaseESF_lENKUlvE_clEvENKUlvE_clEvEUlddE_dEEDaPvRmT3_T4_T5_mT6_P12ihipStream_tbENKUlT_T0_E_clISt17integral_constantIbLb0EESW_EEDaSR_SS_EUlSR_E0_NS1_11comp_targetILNS1_3genE10ELNS1_11target_archE1200ELNS1_3gpuE4ELNS1_3repE0EEENS1_30default_config_static_selectorELNS0_4arch9wavefront6targetE1EEEvT1_ ; -- Begin function _ZN7rocprim17ROCPRIM_400000_NS6detail17trampoline_kernelINS0_14default_configENS1_20scan_config_selectorIdEEZZNS1_9scan_implILNS1_25lookback_scan_determinismE0ELb0ELb0ES3_PKdPddZZZN2at6native31launch_logcumsumexp_cuda_kernelERKNSB_10TensorBaseESF_lENKUlvE_clEvENKUlvE_clEvEUlddE_dEEDaPvRmT3_T4_T5_mT6_P12ihipStream_tbENKUlT_T0_E_clISt17integral_constantIbLb0EESW_EEDaSR_SS_EUlSR_E0_NS1_11comp_targetILNS1_3genE10ELNS1_11target_archE1200ELNS1_3gpuE4ELNS1_3repE0EEENS1_30default_config_static_selectorELNS0_4arch9wavefront6targetE1EEEvT1_
	.p2align	8
	.type	_ZN7rocprim17ROCPRIM_400000_NS6detail17trampoline_kernelINS0_14default_configENS1_20scan_config_selectorIdEEZZNS1_9scan_implILNS1_25lookback_scan_determinismE0ELb0ELb0ES3_PKdPddZZZN2at6native31launch_logcumsumexp_cuda_kernelERKNSB_10TensorBaseESF_lENKUlvE_clEvENKUlvE_clEvEUlddE_dEEDaPvRmT3_T4_T5_mT6_P12ihipStream_tbENKUlT_T0_E_clISt17integral_constantIbLb0EESW_EEDaSR_SS_EUlSR_E0_NS1_11comp_targetILNS1_3genE10ELNS1_11target_archE1200ELNS1_3gpuE4ELNS1_3repE0EEENS1_30default_config_static_selectorELNS0_4arch9wavefront6targetE1EEEvT1_,@function
_ZN7rocprim17ROCPRIM_400000_NS6detail17trampoline_kernelINS0_14default_configENS1_20scan_config_selectorIdEEZZNS1_9scan_implILNS1_25lookback_scan_determinismE0ELb0ELb0ES3_PKdPddZZZN2at6native31launch_logcumsumexp_cuda_kernelERKNSB_10TensorBaseESF_lENKUlvE_clEvENKUlvE_clEvEUlddE_dEEDaPvRmT3_T4_T5_mT6_P12ihipStream_tbENKUlT_T0_E_clISt17integral_constantIbLb0EESW_EEDaSR_SS_EUlSR_E0_NS1_11comp_targetILNS1_3genE10ELNS1_11target_archE1200ELNS1_3gpuE4ELNS1_3repE0EEENS1_30default_config_static_selectorELNS0_4arch9wavefront6targetE1EEEvT1_: ; @_ZN7rocprim17ROCPRIM_400000_NS6detail17trampoline_kernelINS0_14default_configENS1_20scan_config_selectorIdEEZZNS1_9scan_implILNS1_25lookback_scan_determinismE0ELb0ELb0ES3_PKdPddZZZN2at6native31launch_logcumsumexp_cuda_kernelERKNSB_10TensorBaseESF_lENKUlvE_clEvENKUlvE_clEvEUlddE_dEEDaPvRmT3_T4_T5_mT6_P12ihipStream_tbENKUlT_T0_E_clISt17integral_constantIbLb0EESW_EEDaSR_SS_EUlSR_E0_NS1_11comp_targetILNS1_3genE10ELNS1_11target_archE1200ELNS1_3gpuE4ELNS1_3repE0EEENS1_30default_config_static_selectorELNS0_4arch9wavefront6targetE1EEEvT1_
; %bb.0:
	.section	.rodata,"a",@progbits
	.p2align	6, 0x0
	.amdhsa_kernel _ZN7rocprim17ROCPRIM_400000_NS6detail17trampoline_kernelINS0_14default_configENS1_20scan_config_selectorIdEEZZNS1_9scan_implILNS1_25lookback_scan_determinismE0ELb0ELb0ES3_PKdPddZZZN2at6native31launch_logcumsumexp_cuda_kernelERKNSB_10TensorBaseESF_lENKUlvE_clEvENKUlvE_clEvEUlddE_dEEDaPvRmT3_T4_T5_mT6_P12ihipStream_tbENKUlT_T0_E_clISt17integral_constantIbLb0EESW_EEDaSR_SS_EUlSR_E0_NS1_11comp_targetILNS1_3genE10ELNS1_11target_archE1200ELNS1_3gpuE4ELNS1_3repE0EEENS1_30default_config_static_selectorELNS0_4arch9wavefront6targetE1EEEvT1_
		.amdhsa_group_segment_fixed_size 0
		.amdhsa_private_segment_fixed_size 0
		.amdhsa_kernarg_size 40
		.amdhsa_user_sgpr_count 2
		.amdhsa_user_sgpr_dispatch_ptr 0
		.amdhsa_user_sgpr_queue_ptr 0
		.amdhsa_user_sgpr_kernarg_segment_ptr 1
		.amdhsa_user_sgpr_dispatch_id 0
		.amdhsa_user_sgpr_kernarg_preload_length 0
		.amdhsa_user_sgpr_kernarg_preload_offset 0
		.amdhsa_user_sgpr_private_segment_size 0
		.amdhsa_uses_dynamic_stack 0
		.amdhsa_enable_private_segment 0
		.amdhsa_system_sgpr_workgroup_id_x 1
		.amdhsa_system_sgpr_workgroup_id_y 0
		.amdhsa_system_sgpr_workgroup_id_z 0
		.amdhsa_system_sgpr_workgroup_info 0
		.amdhsa_system_vgpr_workitem_id 0
		.amdhsa_next_free_vgpr 1
		.amdhsa_next_free_sgpr 0
		.amdhsa_accum_offset 4
		.amdhsa_reserve_vcc 0
		.amdhsa_float_round_mode_32 0
		.amdhsa_float_round_mode_16_64 0
		.amdhsa_float_denorm_mode_32 3
		.amdhsa_float_denorm_mode_16_64 3
		.amdhsa_dx10_clamp 1
		.amdhsa_ieee_mode 1
		.amdhsa_fp16_overflow 0
		.amdhsa_tg_split 0
		.amdhsa_exception_fp_ieee_invalid_op 0
		.amdhsa_exception_fp_denorm_src 0
		.amdhsa_exception_fp_ieee_div_zero 0
		.amdhsa_exception_fp_ieee_overflow 0
		.amdhsa_exception_fp_ieee_underflow 0
		.amdhsa_exception_fp_ieee_inexact 0
		.amdhsa_exception_int_div_zero 0
	.end_amdhsa_kernel
	.section	.text._ZN7rocprim17ROCPRIM_400000_NS6detail17trampoline_kernelINS0_14default_configENS1_20scan_config_selectorIdEEZZNS1_9scan_implILNS1_25lookback_scan_determinismE0ELb0ELb0ES3_PKdPddZZZN2at6native31launch_logcumsumexp_cuda_kernelERKNSB_10TensorBaseESF_lENKUlvE_clEvENKUlvE_clEvEUlddE_dEEDaPvRmT3_T4_T5_mT6_P12ihipStream_tbENKUlT_T0_E_clISt17integral_constantIbLb0EESW_EEDaSR_SS_EUlSR_E0_NS1_11comp_targetILNS1_3genE10ELNS1_11target_archE1200ELNS1_3gpuE4ELNS1_3repE0EEENS1_30default_config_static_selectorELNS0_4arch9wavefront6targetE1EEEvT1_,"axG",@progbits,_ZN7rocprim17ROCPRIM_400000_NS6detail17trampoline_kernelINS0_14default_configENS1_20scan_config_selectorIdEEZZNS1_9scan_implILNS1_25lookback_scan_determinismE0ELb0ELb0ES3_PKdPddZZZN2at6native31launch_logcumsumexp_cuda_kernelERKNSB_10TensorBaseESF_lENKUlvE_clEvENKUlvE_clEvEUlddE_dEEDaPvRmT3_T4_T5_mT6_P12ihipStream_tbENKUlT_T0_E_clISt17integral_constantIbLb0EESW_EEDaSR_SS_EUlSR_E0_NS1_11comp_targetILNS1_3genE10ELNS1_11target_archE1200ELNS1_3gpuE4ELNS1_3repE0EEENS1_30default_config_static_selectorELNS0_4arch9wavefront6targetE1EEEvT1_,comdat
.Lfunc_end24:
	.size	_ZN7rocprim17ROCPRIM_400000_NS6detail17trampoline_kernelINS0_14default_configENS1_20scan_config_selectorIdEEZZNS1_9scan_implILNS1_25lookback_scan_determinismE0ELb0ELb0ES3_PKdPddZZZN2at6native31launch_logcumsumexp_cuda_kernelERKNSB_10TensorBaseESF_lENKUlvE_clEvENKUlvE_clEvEUlddE_dEEDaPvRmT3_T4_T5_mT6_P12ihipStream_tbENKUlT_T0_E_clISt17integral_constantIbLb0EESW_EEDaSR_SS_EUlSR_E0_NS1_11comp_targetILNS1_3genE10ELNS1_11target_archE1200ELNS1_3gpuE4ELNS1_3repE0EEENS1_30default_config_static_selectorELNS0_4arch9wavefront6targetE1EEEvT1_, .Lfunc_end24-_ZN7rocprim17ROCPRIM_400000_NS6detail17trampoline_kernelINS0_14default_configENS1_20scan_config_selectorIdEEZZNS1_9scan_implILNS1_25lookback_scan_determinismE0ELb0ELb0ES3_PKdPddZZZN2at6native31launch_logcumsumexp_cuda_kernelERKNSB_10TensorBaseESF_lENKUlvE_clEvENKUlvE_clEvEUlddE_dEEDaPvRmT3_T4_T5_mT6_P12ihipStream_tbENKUlT_T0_E_clISt17integral_constantIbLb0EESW_EEDaSR_SS_EUlSR_E0_NS1_11comp_targetILNS1_3genE10ELNS1_11target_archE1200ELNS1_3gpuE4ELNS1_3repE0EEENS1_30default_config_static_selectorELNS0_4arch9wavefront6targetE1EEEvT1_
                                        ; -- End function
	.set _ZN7rocprim17ROCPRIM_400000_NS6detail17trampoline_kernelINS0_14default_configENS1_20scan_config_selectorIdEEZZNS1_9scan_implILNS1_25lookback_scan_determinismE0ELb0ELb0ES3_PKdPddZZZN2at6native31launch_logcumsumexp_cuda_kernelERKNSB_10TensorBaseESF_lENKUlvE_clEvENKUlvE_clEvEUlddE_dEEDaPvRmT3_T4_T5_mT6_P12ihipStream_tbENKUlT_T0_E_clISt17integral_constantIbLb0EESW_EEDaSR_SS_EUlSR_E0_NS1_11comp_targetILNS1_3genE10ELNS1_11target_archE1200ELNS1_3gpuE4ELNS1_3repE0EEENS1_30default_config_static_selectorELNS0_4arch9wavefront6targetE1EEEvT1_.num_vgpr, 0
	.set _ZN7rocprim17ROCPRIM_400000_NS6detail17trampoline_kernelINS0_14default_configENS1_20scan_config_selectorIdEEZZNS1_9scan_implILNS1_25lookback_scan_determinismE0ELb0ELb0ES3_PKdPddZZZN2at6native31launch_logcumsumexp_cuda_kernelERKNSB_10TensorBaseESF_lENKUlvE_clEvENKUlvE_clEvEUlddE_dEEDaPvRmT3_T4_T5_mT6_P12ihipStream_tbENKUlT_T0_E_clISt17integral_constantIbLb0EESW_EEDaSR_SS_EUlSR_E0_NS1_11comp_targetILNS1_3genE10ELNS1_11target_archE1200ELNS1_3gpuE4ELNS1_3repE0EEENS1_30default_config_static_selectorELNS0_4arch9wavefront6targetE1EEEvT1_.num_agpr, 0
	.set _ZN7rocprim17ROCPRIM_400000_NS6detail17trampoline_kernelINS0_14default_configENS1_20scan_config_selectorIdEEZZNS1_9scan_implILNS1_25lookback_scan_determinismE0ELb0ELb0ES3_PKdPddZZZN2at6native31launch_logcumsumexp_cuda_kernelERKNSB_10TensorBaseESF_lENKUlvE_clEvENKUlvE_clEvEUlddE_dEEDaPvRmT3_T4_T5_mT6_P12ihipStream_tbENKUlT_T0_E_clISt17integral_constantIbLb0EESW_EEDaSR_SS_EUlSR_E0_NS1_11comp_targetILNS1_3genE10ELNS1_11target_archE1200ELNS1_3gpuE4ELNS1_3repE0EEENS1_30default_config_static_selectorELNS0_4arch9wavefront6targetE1EEEvT1_.numbered_sgpr, 0
	.set _ZN7rocprim17ROCPRIM_400000_NS6detail17trampoline_kernelINS0_14default_configENS1_20scan_config_selectorIdEEZZNS1_9scan_implILNS1_25lookback_scan_determinismE0ELb0ELb0ES3_PKdPddZZZN2at6native31launch_logcumsumexp_cuda_kernelERKNSB_10TensorBaseESF_lENKUlvE_clEvENKUlvE_clEvEUlddE_dEEDaPvRmT3_T4_T5_mT6_P12ihipStream_tbENKUlT_T0_E_clISt17integral_constantIbLb0EESW_EEDaSR_SS_EUlSR_E0_NS1_11comp_targetILNS1_3genE10ELNS1_11target_archE1200ELNS1_3gpuE4ELNS1_3repE0EEENS1_30default_config_static_selectorELNS0_4arch9wavefront6targetE1EEEvT1_.num_named_barrier, 0
	.set _ZN7rocprim17ROCPRIM_400000_NS6detail17trampoline_kernelINS0_14default_configENS1_20scan_config_selectorIdEEZZNS1_9scan_implILNS1_25lookback_scan_determinismE0ELb0ELb0ES3_PKdPddZZZN2at6native31launch_logcumsumexp_cuda_kernelERKNSB_10TensorBaseESF_lENKUlvE_clEvENKUlvE_clEvEUlddE_dEEDaPvRmT3_T4_T5_mT6_P12ihipStream_tbENKUlT_T0_E_clISt17integral_constantIbLb0EESW_EEDaSR_SS_EUlSR_E0_NS1_11comp_targetILNS1_3genE10ELNS1_11target_archE1200ELNS1_3gpuE4ELNS1_3repE0EEENS1_30default_config_static_selectorELNS0_4arch9wavefront6targetE1EEEvT1_.private_seg_size, 0
	.set _ZN7rocprim17ROCPRIM_400000_NS6detail17trampoline_kernelINS0_14default_configENS1_20scan_config_selectorIdEEZZNS1_9scan_implILNS1_25lookback_scan_determinismE0ELb0ELb0ES3_PKdPddZZZN2at6native31launch_logcumsumexp_cuda_kernelERKNSB_10TensorBaseESF_lENKUlvE_clEvENKUlvE_clEvEUlddE_dEEDaPvRmT3_T4_T5_mT6_P12ihipStream_tbENKUlT_T0_E_clISt17integral_constantIbLb0EESW_EEDaSR_SS_EUlSR_E0_NS1_11comp_targetILNS1_3genE10ELNS1_11target_archE1200ELNS1_3gpuE4ELNS1_3repE0EEENS1_30default_config_static_selectorELNS0_4arch9wavefront6targetE1EEEvT1_.uses_vcc, 0
	.set _ZN7rocprim17ROCPRIM_400000_NS6detail17trampoline_kernelINS0_14default_configENS1_20scan_config_selectorIdEEZZNS1_9scan_implILNS1_25lookback_scan_determinismE0ELb0ELb0ES3_PKdPddZZZN2at6native31launch_logcumsumexp_cuda_kernelERKNSB_10TensorBaseESF_lENKUlvE_clEvENKUlvE_clEvEUlddE_dEEDaPvRmT3_T4_T5_mT6_P12ihipStream_tbENKUlT_T0_E_clISt17integral_constantIbLb0EESW_EEDaSR_SS_EUlSR_E0_NS1_11comp_targetILNS1_3genE10ELNS1_11target_archE1200ELNS1_3gpuE4ELNS1_3repE0EEENS1_30default_config_static_selectorELNS0_4arch9wavefront6targetE1EEEvT1_.uses_flat_scratch, 0
	.set _ZN7rocprim17ROCPRIM_400000_NS6detail17trampoline_kernelINS0_14default_configENS1_20scan_config_selectorIdEEZZNS1_9scan_implILNS1_25lookback_scan_determinismE0ELb0ELb0ES3_PKdPddZZZN2at6native31launch_logcumsumexp_cuda_kernelERKNSB_10TensorBaseESF_lENKUlvE_clEvENKUlvE_clEvEUlddE_dEEDaPvRmT3_T4_T5_mT6_P12ihipStream_tbENKUlT_T0_E_clISt17integral_constantIbLb0EESW_EEDaSR_SS_EUlSR_E0_NS1_11comp_targetILNS1_3genE10ELNS1_11target_archE1200ELNS1_3gpuE4ELNS1_3repE0EEENS1_30default_config_static_selectorELNS0_4arch9wavefront6targetE1EEEvT1_.has_dyn_sized_stack, 0
	.set _ZN7rocprim17ROCPRIM_400000_NS6detail17trampoline_kernelINS0_14default_configENS1_20scan_config_selectorIdEEZZNS1_9scan_implILNS1_25lookback_scan_determinismE0ELb0ELb0ES3_PKdPddZZZN2at6native31launch_logcumsumexp_cuda_kernelERKNSB_10TensorBaseESF_lENKUlvE_clEvENKUlvE_clEvEUlddE_dEEDaPvRmT3_T4_T5_mT6_P12ihipStream_tbENKUlT_T0_E_clISt17integral_constantIbLb0EESW_EEDaSR_SS_EUlSR_E0_NS1_11comp_targetILNS1_3genE10ELNS1_11target_archE1200ELNS1_3gpuE4ELNS1_3repE0EEENS1_30default_config_static_selectorELNS0_4arch9wavefront6targetE1EEEvT1_.has_recursion, 0
	.set _ZN7rocprim17ROCPRIM_400000_NS6detail17trampoline_kernelINS0_14default_configENS1_20scan_config_selectorIdEEZZNS1_9scan_implILNS1_25lookback_scan_determinismE0ELb0ELb0ES3_PKdPddZZZN2at6native31launch_logcumsumexp_cuda_kernelERKNSB_10TensorBaseESF_lENKUlvE_clEvENKUlvE_clEvEUlddE_dEEDaPvRmT3_T4_T5_mT6_P12ihipStream_tbENKUlT_T0_E_clISt17integral_constantIbLb0EESW_EEDaSR_SS_EUlSR_E0_NS1_11comp_targetILNS1_3genE10ELNS1_11target_archE1200ELNS1_3gpuE4ELNS1_3repE0EEENS1_30default_config_static_selectorELNS0_4arch9wavefront6targetE1EEEvT1_.has_indirect_call, 0
	.section	.AMDGPU.csdata,"",@progbits
; Kernel info:
; codeLenInByte = 0
; TotalNumSgprs: 6
; NumVgprs: 0
; NumAgprs: 0
; TotalNumVgprs: 0
; ScratchSize: 0
; MemoryBound: 0
; FloatMode: 240
; IeeeMode: 1
; LDSByteSize: 0 bytes/workgroup (compile time only)
; SGPRBlocks: 0
; VGPRBlocks: 0
; NumSGPRsForWavesPerEU: 6
; NumVGPRsForWavesPerEU: 1
; AccumOffset: 4
; Occupancy: 8
; WaveLimiterHint : 0
; COMPUTE_PGM_RSRC2:SCRATCH_EN: 0
; COMPUTE_PGM_RSRC2:USER_SGPR: 2
; COMPUTE_PGM_RSRC2:TRAP_HANDLER: 0
; COMPUTE_PGM_RSRC2:TGID_X_EN: 1
; COMPUTE_PGM_RSRC2:TGID_Y_EN: 0
; COMPUTE_PGM_RSRC2:TGID_Z_EN: 0
; COMPUTE_PGM_RSRC2:TIDIG_COMP_CNT: 0
; COMPUTE_PGM_RSRC3_GFX90A:ACCUM_OFFSET: 0
; COMPUTE_PGM_RSRC3_GFX90A:TG_SPLIT: 0
	.section	.text._ZN7rocprim17ROCPRIM_400000_NS6detail17trampoline_kernelINS0_14default_configENS1_20scan_config_selectorIdEEZZNS1_9scan_implILNS1_25lookback_scan_determinismE0ELb0ELb0ES3_PKdPddZZZN2at6native31launch_logcumsumexp_cuda_kernelERKNSB_10TensorBaseESF_lENKUlvE_clEvENKUlvE_clEvEUlddE_dEEDaPvRmT3_T4_T5_mT6_P12ihipStream_tbENKUlT_T0_E_clISt17integral_constantIbLb0EESW_EEDaSR_SS_EUlSR_E0_NS1_11comp_targetILNS1_3genE9ELNS1_11target_archE1100ELNS1_3gpuE3ELNS1_3repE0EEENS1_30default_config_static_selectorELNS0_4arch9wavefront6targetE1EEEvT1_,"axG",@progbits,_ZN7rocprim17ROCPRIM_400000_NS6detail17trampoline_kernelINS0_14default_configENS1_20scan_config_selectorIdEEZZNS1_9scan_implILNS1_25lookback_scan_determinismE0ELb0ELb0ES3_PKdPddZZZN2at6native31launch_logcumsumexp_cuda_kernelERKNSB_10TensorBaseESF_lENKUlvE_clEvENKUlvE_clEvEUlddE_dEEDaPvRmT3_T4_T5_mT6_P12ihipStream_tbENKUlT_T0_E_clISt17integral_constantIbLb0EESW_EEDaSR_SS_EUlSR_E0_NS1_11comp_targetILNS1_3genE9ELNS1_11target_archE1100ELNS1_3gpuE3ELNS1_3repE0EEENS1_30default_config_static_selectorELNS0_4arch9wavefront6targetE1EEEvT1_,comdat
	.globl	_ZN7rocprim17ROCPRIM_400000_NS6detail17trampoline_kernelINS0_14default_configENS1_20scan_config_selectorIdEEZZNS1_9scan_implILNS1_25lookback_scan_determinismE0ELb0ELb0ES3_PKdPddZZZN2at6native31launch_logcumsumexp_cuda_kernelERKNSB_10TensorBaseESF_lENKUlvE_clEvENKUlvE_clEvEUlddE_dEEDaPvRmT3_T4_T5_mT6_P12ihipStream_tbENKUlT_T0_E_clISt17integral_constantIbLb0EESW_EEDaSR_SS_EUlSR_E0_NS1_11comp_targetILNS1_3genE9ELNS1_11target_archE1100ELNS1_3gpuE3ELNS1_3repE0EEENS1_30default_config_static_selectorELNS0_4arch9wavefront6targetE1EEEvT1_ ; -- Begin function _ZN7rocprim17ROCPRIM_400000_NS6detail17trampoline_kernelINS0_14default_configENS1_20scan_config_selectorIdEEZZNS1_9scan_implILNS1_25lookback_scan_determinismE0ELb0ELb0ES3_PKdPddZZZN2at6native31launch_logcumsumexp_cuda_kernelERKNSB_10TensorBaseESF_lENKUlvE_clEvENKUlvE_clEvEUlddE_dEEDaPvRmT3_T4_T5_mT6_P12ihipStream_tbENKUlT_T0_E_clISt17integral_constantIbLb0EESW_EEDaSR_SS_EUlSR_E0_NS1_11comp_targetILNS1_3genE9ELNS1_11target_archE1100ELNS1_3gpuE3ELNS1_3repE0EEENS1_30default_config_static_selectorELNS0_4arch9wavefront6targetE1EEEvT1_
	.p2align	8
	.type	_ZN7rocprim17ROCPRIM_400000_NS6detail17trampoline_kernelINS0_14default_configENS1_20scan_config_selectorIdEEZZNS1_9scan_implILNS1_25lookback_scan_determinismE0ELb0ELb0ES3_PKdPddZZZN2at6native31launch_logcumsumexp_cuda_kernelERKNSB_10TensorBaseESF_lENKUlvE_clEvENKUlvE_clEvEUlddE_dEEDaPvRmT3_T4_T5_mT6_P12ihipStream_tbENKUlT_T0_E_clISt17integral_constantIbLb0EESW_EEDaSR_SS_EUlSR_E0_NS1_11comp_targetILNS1_3genE9ELNS1_11target_archE1100ELNS1_3gpuE3ELNS1_3repE0EEENS1_30default_config_static_selectorELNS0_4arch9wavefront6targetE1EEEvT1_,@function
_ZN7rocprim17ROCPRIM_400000_NS6detail17trampoline_kernelINS0_14default_configENS1_20scan_config_selectorIdEEZZNS1_9scan_implILNS1_25lookback_scan_determinismE0ELb0ELb0ES3_PKdPddZZZN2at6native31launch_logcumsumexp_cuda_kernelERKNSB_10TensorBaseESF_lENKUlvE_clEvENKUlvE_clEvEUlddE_dEEDaPvRmT3_T4_T5_mT6_P12ihipStream_tbENKUlT_T0_E_clISt17integral_constantIbLb0EESW_EEDaSR_SS_EUlSR_E0_NS1_11comp_targetILNS1_3genE9ELNS1_11target_archE1100ELNS1_3gpuE3ELNS1_3repE0EEENS1_30default_config_static_selectorELNS0_4arch9wavefront6targetE1EEEvT1_: ; @_ZN7rocprim17ROCPRIM_400000_NS6detail17trampoline_kernelINS0_14default_configENS1_20scan_config_selectorIdEEZZNS1_9scan_implILNS1_25lookback_scan_determinismE0ELb0ELb0ES3_PKdPddZZZN2at6native31launch_logcumsumexp_cuda_kernelERKNSB_10TensorBaseESF_lENKUlvE_clEvENKUlvE_clEvEUlddE_dEEDaPvRmT3_T4_T5_mT6_P12ihipStream_tbENKUlT_T0_E_clISt17integral_constantIbLb0EESW_EEDaSR_SS_EUlSR_E0_NS1_11comp_targetILNS1_3genE9ELNS1_11target_archE1100ELNS1_3gpuE3ELNS1_3repE0EEENS1_30default_config_static_selectorELNS0_4arch9wavefront6targetE1EEEvT1_
; %bb.0:
	.section	.rodata,"a",@progbits
	.p2align	6, 0x0
	.amdhsa_kernel _ZN7rocprim17ROCPRIM_400000_NS6detail17trampoline_kernelINS0_14default_configENS1_20scan_config_selectorIdEEZZNS1_9scan_implILNS1_25lookback_scan_determinismE0ELb0ELb0ES3_PKdPddZZZN2at6native31launch_logcumsumexp_cuda_kernelERKNSB_10TensorBaseESF_lENKUlvE_clEvENKUlvE_clEvEUlddE_dEEDaPvRmT3_T4_T5_mT6_P12ihipStream_tbENKUlT_T0_E_clISt17integral_constantIbLb0EESW_EEDaSR_SS_EUlSR_E0_NS1_11comp_targetILNS1_3genE9ELNS1_11target_archE1100ELNS1_3gpuE3ELNS1_3repE0EEENS1_30default_config_static_selectorELNS0_4arch9wavefront6targetE1EEEvT1_
		.amdhsa_group_segment_fixed_size 0
		.amdhsa_private_segment_fixed_size 0
		.amdhsa_kernarg_size 40
		.amdhsa_user_sgpr_count 2
		.amdhsa_user_sgpr_dispatch_ptr 0
		.amdhsa_user_sgpr_queue_ptr 0
		.amdhsa_user_sgpr_kernarg_segment_ptr 1
		.amdhsa_user_sgpr_dispatch_id 0
		.amdhsa_user_sgpr_kernarg_preload_length 0
		.amdhsa_user_sgpr_kernarg_preload_offset 0
		.amdhsa_user_sgpr_private_segment_size 0
		.amdhsa_uses_dynamic_stack 0
		.amdhsa_enable_private_segment 0
		.amdhsa_system_sgpr_workgroup_id_x 1
		.amdhsa_system_sgpr_workgroup_id_y 0
		.amdhsa_system_sgpr_workgroup_id_z 0
		.amdhsa_system_sgpr_workgroup_info 0
		.amdhsa_system_vgpr_workitem_id 0
		.amdhsa_next_free_vgpr 1
		.amdhsa_next_free_sgpr 0
		.amdhsa_accum_offset 4
		.amdhsa_reserve_vcc 0
		.amdhsa_float_round_mode_32 0
		.amdhsa_float_round_mode_16_64 0
		.amdhsa_float_denorm_mode_32 3
		.amdhsa_float_denorm_mode_16_64 3
		.amdhsa_dx10_clamp 1
		.amdhsa_ieee_mode 1
		.amdhsa_fp16_overflow 0
		.amdhsa_tg_split 0
		.amdhsa_exception_fp_ieee_invalid_op 0
		.amdhsa_exception_fp_denorm_src 0
		.amdhsa_exception_fp_ieee_div_zero 0
		.amdhsa_exception_fp_ieee_overflow 0
		.amdhsa_exception_fp_ieee_underflow 0
		.amdhsa_exception_fp_ieee_inexact 0
		.amdhsa_exception_int_div_zero 0
	.end_amdhsa_kernel
	.section	.text._ZN7rocprim17ROCPRIM_400000_NS6detail17trampoline_kernelINS0_14default_configENS1_20scan_config_selectorIdEEZZNS1_9scan_implILNS1_25lookback_scan_determinismE0ELb0ELb0ES3_PKdPddZZZN2at6native31launch_logcumsumexp_cuda_kernelERKNSB_10TensorBaseESF_lENKUlvE_clEvENKUlvE_clEvEUlddE_dEEDaPvRmT3_T4_T5_mT6_P12ihipStream_tbENKUlT_T0_E_clISt17integral_constantIbLb0EESW_EEDaSR_SS_EUlSR_E0_NS1_11comp_targetILNS1_3genE9ELNS1_11target_archE1100ELNS1_3gpuE3ELNS1_3repE0EEENS1_30default_config_static_selectorELNS0_4arch9wavefront6targetE1EEEvT1_,"axG",@progbits,_ZN7rocprim17ROCPRIM_400000_NS6detail17trampoline_kernelINS0_14default_configENS1_20scan_config_selectorIdEEZZNS1_9scan_implILNS1_25lookback_scan_determinismE0ELb0ELb0ES3_PKdPddZZZN2at6native31launch_logcumsumexp_cuda_kernelERKNSB_10TensorBaseESF_lENKUlvE_clEvENKUlvE_clEvEUlddE_dEEDaPvRmT3_T4_T5_mT6_P12ihipStream_tbENKUlT_T0_E_clISt17integral_constantIbLb0EESW_EEDaSR_SS_EUlSR_E0_NS1_11comp_targetILNS1_3genE9ELNS1_11target_archE1100ELNS1_3gpuE3ELNS1_3repE0EEENS1_30default_config_static_selectorELNS0_4arch9wavefront6targetE1EEEvT1_,comdat
.Lfunc_end25:
	.size	_ZN7rocprim17ROCPRIM_400000_NS6detail17trampoline_kernelINS0_14default_configENS1_20scan_config_selectorIdEEZZNS1_9scan_implILNS1_25lookback_scan_determinismE0ELb0ELb0ES3_PKdPddZZZN2at6native31launch_logcumsumexp_cuda_kernelERKNSB_10TensorBaseESF_lENKUlvE_clEvENKUlvE_clEvEUlddE_dEEDaPvRmT3_T4_T5_mT6_P12ihipStream_tbENKUlT_T0_E_clISt17integral_constantIbLb0EESW_EEDaSR_SS_EUlSR_E0_NS1_11comp_targetILNS1_3genE9ELNS1_11target_archE1100ELNS1_3gpuE3ELNS1_3repE0EEENS1_30default_config_static_selectorELNS0_4arch9wavefront6targetE1EEEvT1_, .Lfunc_end25-_ZN7rocprim17ROCPRIM_400000_NS6detail17trampoline_kernelINS0_14default_configENS1_20scan_config_selectorIdEEZZNS1_9scan_implILNS1_25lookback_scan_determinismE0ELb0ELb0ES3_PKdPddZZZN2at6native31launch_logcumsumexp_cuda_kernelERKNSB_10TensorBaseESF_lENKUlvE_clEvENKUlvE_clEvEUlddE_dEEDaPvRmT3_T4_T5_mT6_P12ihipStream_tbENKUlT_T0_E_clISt17integral_constantIbLb0EESW_EEDaSR_SS_EUlSR_E0_NS1_11comp_targetILNS1_3genE9ELNS1_11target_archE1100ELNS1_3gpuE3ELNS1_3repE0EEENS1_30default_config_static_selectorELNS0_4arch9wavefront6targetE1EEEvT1_
                                        ; -- End function
	.set _ZN7rocprim17ROCPRIM_400000_NS6detail17trampoline_kernelINS0_14default_configENS1_20scan_config_selectorIdEEZZNS1_9scan_implILNS1_25lookback_scan_determinismE0ELb0ELb0ES3_PKdPddZZZN2at6native31launch_logcumsumexp_cuda_kernelERKNSB_10TensorBaseESF_lENKUlvE_clEvENKUlvE_clEvEUlddE_dEEDaPvRmT3_T4_T5_mT6_P12ihipStream_tbENKUlT_T0_E_clISt17integral_constantIbLb0EESW_EEDaSR_SS_EUlSR_E0_NS1_11comp_targetILNS1_3genE9ELNS1_11target_archE1100ELNS1_3gpuE3ELNS1_3repE0EEENS1_30default_config_static_selectorELNS0_4arch9wavefront6targetE1EEEvT1_.num_vgpr, 0
	.set _ZN7rocprim17ROCPRIM_400000_NS6detail17trampoline_kernelINS0_14default_configENS1_20scan_config_selectorIdEEZZNS1_9scan_implILNS1_25lookback_scan_determinismE0ELb0ELb0ES3_PKdPddZZZN2at6native31launch_logcumsumexp_cuda_kernelERKNSB_10TensorBaseESF_lENKUlvE_clEvENKUlvE_clEvEUlddE_dEEDaPvRmT3_T4_T5_mT6_P12ihipStream_tbENKUlT_T0_E_clISt17integral_constantIbLb0EESW_EEDaSR_SS_EUlSR_E0_NS1_11comp_targetILNS1_3genE9ELNS1_11target_archE1100ELNS1_3gpuE3ELNS1_3repE0EEENS1_30default_config_static_selectorELNS0_4arch9wavefront6targetE1EEEvT1_.num_agpr, 0
	.set _ZN7rocprim17ROCPRIM_400000_NS6detail17trampoline_kernelINS0_14default_configENS1_20scan_config_selectorIdEEZZNS1_9scan_implILNS1_25lookback_scan_determinismE0ELb0ELb0ES3_PKdPddZZZN2at6native31launch_logcumsumexp_cuda_kernelERKNSB_10TensorBaseESF_lENKUlvE_clEvENKUlvE_clEvEUlddE_dEEDaPvRmT3_T4_T5_mT6_P12ihipStream_tbENKUlT_T0_E_clISt17integral_constantIbLb0EESW_EEDaSR_SS_EUlSR_E0_NS1_11comp_targetILNS1_3genE9ELNS1_11target_archE1100ELNS1_3gpuE3ELNS1_3repE0EEENS1_30default_config_static_selectorELNS0_4arch9wavefront6targetE1EEEvT1_.numbered_sgpr, 0
	.set _ZN7rocprim17ROCPRIM_400000_NS6detail17trampoline_kernelINS0_14default_configENS1_20scan_config_selectorIdEEZZNS1_9scan_implILNS1_25lookback_scan_determinismE0ELb0ELb0ES3_PKdPddZZZN2at6native31launch_logcumsumexp_cuda_kernelERKNSB_10TensorBaseESF_lENKUlvE_clEvENKUlvE_clEvEUlddE_dEEDaPvRmT3_T4_T5_mT6_P12ihipStream_tbENKUlT_T0_E_clISt17integral_constantIbLb0EESW_EEDaSR_SS_EUlSR_E0_NS1_11comp_targetILNS1_3genE9ELNS1_11target_archE1100ELNS1_3gpuE3ELNS1_3repE0EEENS1_30default_config_static_selectorELNS0_4arch9wavefront6targetE1EEEvT1_.num_named_barrier, 0
	.set _ZN7rocprim17ROCPRIM_400000_NS6detail17trampoline_kernelINS0_14default_configENS1_20scan_config_selectorIdEEZZNS1_9scan_implILNS1_25lookback_scan_determinismE0ELb0ELb0ES3_PKdPddZZZN2at6native31launch_logcumsumexp_cuda_kernelERKNSB_10TensorBaseESF_lENKUlvE_clEvENKUlvE_clEvEUlddE_dEEDaPvRmT3_T4_T5_mT6_P12ihipStream_tbENKUlT_T0_E_clISt17integral_constantIbLb0EESW_EEDaSR_SS_EUlSR_E0_NS1_11comp_targetILNS1_3genE9ELNS1_11target_archE1100ELNS1_3gpuE3ELNS1_3repE0EEENS1_30default_config_static_selectorELNS0_4arch9wavefront6targetE1EEEvT1_.private_seg_size, 0
	.set _ZN7rocprim17ROCPRIM_400000_NS6detail17trampoline_kernelINS0_14default_configENS1_20scan_config_selectorIdEEZZNS1_9scan_implILNS1_25lookback_scan_determinismE0ELb0ELb0ES3_PKdPddZZZN2at6native31launch_logcumsumexp_cuda_kernelERKNSB_10TensorBaseESF_lENKUlvE_clEvENKUlvE_clEvEUlddE_dEEDaPvRmT3_T4_T5_mT6_P12ihipStream_tbENKUlT_T0_E_clISt17integral_constantIbLb0EESW_EEDaSR_SS_EUlSR_E0_NS1_11comp_targetILNS1_3genE9ELNS1_11target_archE1100ELNS1_3gpuE3ELNS1_3repE0EEENS1_30default_config_static_selectorELNS0_4arch9wavefront6targetE1EEEvT1_.uses_vcc, 0
	.set _ZN7rocprim17ROCPRIM_400000_NS6detail17trampoline_kernelINS0_14default_configENS1_20scan_config_selectorIdEEZZNS1_9scan_implILNS1_25lookback_scan_determinismE0ELb0ELb0ES3_PKdPddZZZN2at6native31launch_logcumsumexp_cuda_kernelERKNSB_10TensorBaseESF_lENKUlvE_clEvENKUlvE_clEvEUlddE_dEEDaPvRmT3_T4_T5_mT6_P12ihipStream_tbENKUlT_T0_E_clISt17integral_constantIbLb0EESW_EEDaSR_SS_EUlSR_E0_NS1_11comp_targetILNS1_3genE9ELNS1_11target_archE1100ELNS1_3gpuE3ELNS1_3repE0EEENS1_30default_config_static_selectorELNS0_4arch9wavefront6targetE1EEEvT1_.uses_flat_scratch, 0
	.set _ZN7rocprim17ROCPRIM_400000_NS6detail17trampoline_kernelINS0_14default_configENS1_20scan_config_selectorIdEEZZNS1_9scan_implILNS1_25lookback_scan_determinismE0ELb0ELb0ES3_PKdPddZZZN2at6native31launch_logcumsumexp_cuda_kernelERKNSB_10TensorBaseESF_lENKUlvE_clEvENKUlvE_clEvEUlddE_dEEDaPvRmT3_T4_T5_mT6_P12ihipStream_tbENKUlT_T0_E_clISt17integral_constantIbLb0EESW_EEDaSR_SS_EUlSR_E0_NS1_11comp_targetILNS1_3genE9ELNS1_11target_archE1100ELNS1_3gpuE3ELNS1_3repE0EEENS1_30default_config_static_selectorELNS0_4arch9wavefront6targetE1EEEvT1_.has_dyn_sized_stack, 0
	.set _ZN7rocprim17ROCPRIM_400000_NS6detail17trampoline_kernelINS0_14default_configENS1_20scan_config_selectorIdEEZZNS1_9scan_implILNS1_25lookback_scan_determinismE0ELb0ELb0ES3_PKdPddZZZN2at6native31launch_logcumsumexp_cuda_kernelERKNSB_10TensorBaseESF_lENKUlvE_clEvENKUlvE_clEvEUlddE_dEEDaPvRmT3_T4_T5_mT6_P12ihipStream_tbENKUlT_T0_E_clISt17integral_constantIbLb0EESW_EEDaSR_SS_EUlSR_E0_NS1_11comp_targetILNS1_3genE9ELNS1_11target_archE1100ELNS1_3gpuE3ELNS1_3repE0EEENS1_30default_config_static_selectorELNS0_4arch9wavefront6targetE1EEEvT1_.has_recursion, 0
	.set _ZN7rocprim17ROCPRIM_400000_NS6detail17trampoline_kernelINS0_14default_configENS1_20scan_config_selectorIdEEZZNS1_9scan_implILNS1_25lookback_scan_determinismE0ELb0ELb0ES3_PKdPddZZZN2at6native31launch_logcumsumexp_cuda_kernelERKNSB_10TensorBaseESF_lENKUlvE_clEvENKUlvE_clEvEUlddE_dEEDaPvRmT3_T4_T5_mT6_P12ihipStream_tbENKUlT_T0_E_clISt17integral_constantIbLb0EESW_EEDaSR_SS_EUlSR_E0_NS1_11comp_targetILNS1_3genE9ELNS1_11target_archE1100ELNS1_3gpuE3ELNS1_3repE0EEENS1_30default_config_static_selectorELNS0_4arch9wavefront6targetE1EEEvT1_.has_indirect_call, 0
	.section	.AMDGPU.csdata,"",@progbits
; Kernel info:
; codeLenInByte = 0
; TotalNumSgprs: 6
; NumVgprs: 0
; NumAgprs: 0
; TotalNumVgprs: 0
; ScratchSize: 0
; MemoryBound: 0
; FloatMode: 240
; IeeeMode: 1
; LDSByteSize: 0 bytes/workgroup (compile time only)
; SGPRBlocks: 0
; VGPRBlocks: 0
; NumSGPRsForWavesPerEU: 6
; NumVGPRsForWavesPerEU: 1
; AccumOffset: 4
; Occupancy: 8
; WaveLimiterHint : 0
; COMPUTE_PGM_RSRC2:SCRATCH_EN: 0
; COMPUTE_PGM_RSRC2:USER_SGPR: 2
; COMPUTE_PGM_RSRC2:TRAP_HANDLER: 0
; COMPUTE_PGM_RSRC2:TGID_X_EN: 1
; COMPUTE_PGM_RSRC2:TGID_Y_EN: 0
; COMPUTE_PGM_RSRC2:TGID_Z_EN: 0
; COMPUTE_PGM_RSRC2:TIDIG_COMP_CNT: 0
; COMPUTE_PGM_RSRC3_GFX90A:ACCUM_OFFSET: 0
; COMPUTE_PGM_RSRC3_GFX90A:TG_SPLIT: 0
	.section	.text._ZN7rocprim17ROCPRIM_400000_NS6detail17trampoline_kernelINS0_14default_configENS1_20scan_config_selectorIdEEZZNS1_9scan_implILNS1_25lookback_scan_determinismE0ELb0ELb0ES3_PKdPddZZZN2at6native31launch_logcumsumexp_cuda_kernelERKNSB_10TensorBaseESF_lENKUlvE_clEvENKUlvE_clEvEUlddE_dEEDaPvRmT3_T4_T5_mT6_P12ihipStream_tbENKUlT_T0_E_clISt17integral_constantIbLb0EESW_EEDaSR_SS_EUlSR_E0_NS1_11comp_targetILNS1_3genE8ELNS1_11target_archE1030ELNS1_3gpuE2ELNS1_3repE0EEENS1_30default_config_static_selectorELNS0_4arch9wavefront6targetE1EEEvT1_,"axG",@progbits,_ZN7rocprim17ROCPRIM_400000_NS6detail17trampoline_kernelINS0_14default_configENS1_20scan_config_selectorIdEEZZNS1_9scan_implILNS1_25lookback_scan_determinismE0ELb0ELb0ES3_PKdPddZZZN2at6native31launch_logcumsumexp_cuda_kernelERKNSB_10TensorBaseESF_lENKUlvE_clEvENKUlvE_clEvEUlddE_dEEDaPvRmT3_T4_T5_mT6_P12ihipStream_tbENKUlT_T0_E_clISt17integral_constantIbLb0EESW_EEDaSR_SS_EUlSR_E0_NS1_11comp_targetILNS1_3genE8ELNS1_11target_archE1030ELNS1_3gpuE2ELNS1_3repE0EEENS1_30default_config_static_selectorELNS0_4arch9wavefront6targetE1EEEvT1_,comdat
	.globl	_ZN7rocprim17ROCPRIM_400000_NS6detail17trampoline_kernelINS0_14default_configENS1_20scan_config_selectorIdEEZZNS1_9scan_implILNS1_25lookback_scan_determinismE0ELb0ELb0ES3_PKdPddZZZN2at6native31launch_logcumsumexp_cuda_kernelERKNSB_10TensorBaseESF_lENKUlvE_clEvENKUlvE_clEvEUlddE_dEEDaPvRmT3_T4_T5_mT6_P12ihipStream_tbENKUlT_T0_E_clISt17integral_constantIbLb0EESW_EEDaSR_SS_EUlSR_E0_NS1_11comp_targetILNS1_3genE8ELNS1_11target_archE1030ELNS1_3gpuE2ELNS1_3repE0EEENS1_30default_config_static_selectorELNS0_4arch9wavefront6targetE1EEEvT1_ ; -- Begin function _ZN7rocprim17ROCPRIM_400000_NS6detail17trampoline_kernelINS0_14default_configENS1_20scan_config_selectorIdEEZZNS1_9scan_implILNS1_25lookback_scan_determinismE0ELb0ELb0ES3_PKdPddZZZN2at6native31launch_logcumsumexp_cuda_kernelERKNSB_10TensorBaseESF_lENKUlvE_clEvENKUlvE_clEvEUlddE_dEEDaPvRmT3_T4_T5_mT6_P12ihipStream_tbENKUlT_T0_E_clISt17integral_constantIbLb0EESW_EEDaSR_SS_EUlSR_E0_NS1_11comp_targetILNS1_3genE8ELNS1_11target_archE1030ELNS1_3gpuE2ELNS1_3repE0EEENS1_30default_config_static_selectorELNS0_4arch9wavefront6targetE1EEEvT1_
	.p2align	8
	.type	_ZN7rocprim17ROCPRIM_400000_NS6detail17trampoline_kernelINS0_14default_configENS1_20scan_config_selectorIdEEZZNS1_9scan_implILNS1_25lookback_scan_determinismE0ELb0ELb0ES3_PKdPddZZZN2at6native31launch_logcumsumexp_cuda_kernelERKNSB_10TensorBaseESF_lENKUlvE_clEvENKUlvE_clEvEUlddE_dEEDaPvRmT3_T4_T5_mT6_P12ihipStream_tbENKUlT_T0_E_clISt17integral_constantIbLb0EESW_EEDaSR_SS_EUlSR_E0_NS1_11comp_targetILNS1_3genE8ELNS1_11target_archE1030ELNS1_3gpuE2ELNS1_3repE0EEENS1_30default_config_static_selectorELNS0_4arch9wavefront6targetE1EEEvT1_,@function
_ZN7rocprim17ROCPRIM_400000_NS6detail17trampoline_kernelINS0_14default_configENS1_20scan_config_selectorIdEEZZNS1_9scan_implILNS1_25lookback_scan_determinismE0ELb0ELb0ES3_PKdPddZZZN2at6native31launch_logcumsumexp_cuda_kernelERKNSB_10TensorBaseESF_lENKUlvE_clEvENKUlvE_clEvEUlddE_dEEDaPvRmT3_T4_T5_mT6_P12ihipStream_tbENKUlT_T0_E_clISt17integral_constantIbLb0EESW_EEDaSR_SS_EUlSR_E0_NS1_11comp_targetILNS1_3genE8ELNS1_11target_archE1030ELNS1_3gpuE2ELNS1_3repE0EEENS1_30default_config_static_selectorELNS0_4arch9wavefront6targetE1EEEvT1_: ; @_ZN7rocprim17ROCPRIM_400000_NS6detail17trampoline_kernelINS0_14default_configENS1_20scan_config_selectorIdEEZZNS1_9scan_implILNS1_25lookback_scan_determinismE0ELb0ELb0ES3_PKdPddZZZN2at6native31launch_logcumsumexp_cuda_kernelERKNSB_10TensorBaseESF_lENKUlvE_clEvENKUlvE_clEvEUlddE_dEEDaPvRmT3_T4_T5_mT6_P12ihipStream_tbENKUlT_T0_E_clISt17integral_constantIbLb0EESW_EEDaSR_SS_EUlSR_E0_NS1_11comp_targetILNS1_3genE8ELNS1_11target_archE1030ELNS1_3gpuE2ELNS1_3repE0EEENS1_30default_config_static_selectorELNS0_4arch9wavefront6targetE1EEEvT1_
; %bb.0:
	.section	.rodata,"a",@progbits
	.p2align	6, 0x0
	.amdhsa_kernel _ZN7rocprim17ROCPRIM_400000_NS6detail17trampoline_kernelINS0_14default_configENS1_20scan_config_selectorIdEEZZNS1_9scan_implILNS1_25lookback_scan_determinismE0ELb0ELb0ES3_PKdPddZZZN2at6native31launch_logcumsumexp_cuda_kernelERKNSB_10TensorBaseESF_lENKUlvE_clEvENKUlvE_clEvEUlddE_dEEDaPvRmT3_T4_T5_mT6_P12ihipStream_tbENKUlT_T0_E_clISt17integral_constantIbLb0EESW_EEDaSR_SS_EUlSR_E0_NS1_11comp_targetILNS1_3genE8ELNS1_11target_archE1030ELNS1_3gpuE2ELNS1_3repE0EEENS1_30default_config_static_selectorELNS0_4arch9wavefront6targetE1EEEvT1_
		.amdhsa_group_segment_fixed_size 0
		.amdhsa_private_segment_fixed_size 0
		.amdhsa_kernarg_size 40
		.amdhsa_user_sgpr_count 2
		.amdhsa_user_sgpr_dispatch_ptr 0
		.amdhsa_user_sgpr_queue_ptr 0
		.amdhsa_user_sgpr_kernarg_segment_ptr 1
		.amdhsa_user_sgpr_dispatch_id 0
		.amdhsa_user_sgpr_kernarg_preload_length 0
		.amdhsa_user_sgpr_kernarg_preload_offset 0
		.amdhsa_user_sgpr_private_segment_size 0
		.amdhsa_uses_dynamic_stack 0
		.amdhsa_enable_private_segment 0
		.amdhsa_system_sgpr_workgroup_id_x 1
		.amdhsa_system_sgpr_workgroup_id_y 0
		.amdhsa_system_sgpr_workgroup_id_z 0
		.amdhsa_system_sgpr_workgroup_info 0
		.amdhsa_system_vgpr_workitem_id 0
		.amdhsa_next_free_vgpr 1
		.amdhsa_next_free_sgpr 0
		.amdhsa_accum_offset 4
		.amdhsa_reserve_vcc 0
		.amdhsa_float_round_mode_32 0
		.amdhsa_float_round_mode_16_64 0
		.amdhsa_float_denorm_mode_32 3
		.amdhsa_float_denorm_mode_16_64 3
		.amdhsa_dx10_clamp 1
		.amdhsa_ieee_mode 1
		.amdhsa_fp16_overflow 0
		.amdhsa_tg_split 0
		.amdhsa_exception_fp_ieee_invalid_op 0
		.amdhsa_exception_fp_denorm_src 0
		.amdhsa_exception_fp_ieee_div_zero 0
		.amdhsa_exception_fp_ieee_overflow 0
		.amdhsa_exception_fp_ieee_underflow 0
		.amdhsa_exception_fp_ieee_inexact 0
		.amdhsa_exception_int_div_zero 0
	.end_amdhsa_kernel
	.section	.text._ZN7rocprim17ROCPRIM_400000_NS6detail17trampoline_kernelINS0_14default_configENS1_20scan_config_selectorIdEEZZNS1_9scan_implILNS1_25lookback_scan_determinismE0ELb0ELb0ES3_PKdPddZZZN2at6native31launch_logcumsumexp_cuda_kernelERKNSB_10TensorBaseESF_lENKUlvE_clEvENKUlvE_clEvEUlddE_dEEDaPvRmT3_T4_T5_mT6_P12ihipStream_tbENKUlT_T0_E_clISt17integral_constantIbLb0EESW_EEDaSR_SS_EUlSR_E0_NS1_11comp_targetILNS1_3genE8ELNS1_11target_archE1030ELNS1_3gpuE2ELNS1_3repE0EEENS1_30default_config_static_selectorELNS0_4arch9wavefront6targetE1EEEvT1_,"axG",@progbits,_ZN7rocprim17ROCPRIM_400000_NS6detail17trampoline_kernelINS0_14default_configENS1_20scan_config_selectorIdEEZZNS1_9scan_implILNS1_25lookback_scan_determinismE0ELb0ELb0ES3_PKdPddZZZN2at6native31launch_logcumsumexp_cuda_kernelERKNSB_10TensorBaseESF_lENKUlvE_clEvENKUlvE_clEvEUlddE_dEEDaPvRmT3_T4_T5_mT6_P12ihipStream_tbENKUlT_T0_E_clISt17integral_constantIbLb0EESW_EEDaSR_SS_EUlSR_E0_NS1_11comp_targetILNS1_3genE8ELNS1_11target_archE1030ELNS1_3gpuE2ELNS1_3repE0EEENS1_30default_config_static_selectorELNS0_4arch9wavefront6targetE1EEEvT1_,comdat
.Lfunc_end26:
	.size	_ZN7rocprim17ROCPRIM_400000_NS6detail17trampoline_kernelINS0_14default_configENS1_20scan_config_selectorIdEEZZNS1_9scan_implILNS1_25lookback_scan_determinismE0ELb0ELb0ES3_PKdPddZZZN2at6native31launch_logcumsumexp_cuda_kernelERKNSB_10TensorBaseESF_lENKUlvE_clEvENKUlvE_clEvEUlddE_dEEDaPvRmT3_T4_T5_mT6_P12ihipStream_tbENKUlT_T0_E_clISt17integral_constantIbLb0EESW_EEDaSR_SS_EUlSR_E0_NS1_11comp_targetILNS1_3genE8ELNS1_11target_archE1030ELNS1_3gpuE2ELNS1_3repE0EEENS1_30default_config_static_selectorELNS0_4arch9wavefront6targetE1EEEvT1_, .Lfunc_end26-_ZN7rocprim17ROCPRIM_400000_NS6detail17trampoline_kernelINS0_14default_configENS1_20scan_config_selectorIdEEZZNS1_9scan_implILNS1_25lookback_scan_determinismE0ELb0ELb0ES3_PKdPddZZZN2at6native31launch_logcumsumexp_cuda_kernelERKNSB_10TensorBaseESF_lENKUlvE_clEvENKUlvE_clEvEUlddE_dEEDaPvRmT3_T4_T5_mT6_P12ihipStream_tbENKUlT_T0_E_clISt17integral_constantIbLb0EESW_EEDaSR_SS_EUlSR_E0_NS1_11comp_targetILNS1_3genE8ELNS1_11target_archE1030ELNS1_3gpuE2ELNS1_3repE0EEENS1_30default_config_static_selectorELNS0_4arch9wavefront6targetE1EEEvT1_
                                        ; -- End function
	.set _ZN7rocprim17ROCPRIM_400000_NS6detail17trampoline_kernelINS0_14default_configENS1_20scan_config_selectorIdEEZZNS1_9scan_implILNS1_25lookback_scan_determinismE0ELb0ELb0ES3_PKdPddZZZN2at6native31launch_logcumsumexp_cuda_kernelERKNSB_10TensorBaseESF_lENKUlvE_clEvENKUlvE_clEvEUlddE_dEEDaPvRmT3_T4_T5_mT6_P12ihipStream_tbENKUlT_T0_E_clISt17integral_constantIbLb0EESW_EEDaSR_SS_EUlSR_E0_NS1_11comp_targetILNS1_3genE8ELNS1_11target_archE1030ELNS1_3gpuE2ELNS1_3repE0EEENS1_30default_config_static_selectorELNS0_4arch9wavefront6targetE1EEEvT1_.num_vgpr, 0
	.set _ZN7rocprim17ROCPRIM_400000_NS6detail17trampoline_kernelINS0_14default_configENS1_20scan_config_selectorIdEEZZNS1_9scan_implILNS1_25lookback_scan_determinismE0ELb0ELb0ES3_PKdPddZZZN2at6native31launch_logcumsumexp_cuda_kernelERKNSB_10TensorBaseESF_lENKUlvE_clEvENKUlvE_clEvEUlddE_dEEDaPvRmT3_T4_T5_mT6_P12ihipStream_tbENKUlT_T0_E_clISt17integral_constantIbLb0EESW_EEDaSR_SS_EUlSR_E0_NS1_11comp_targetILNS1_3genE8ELNS1_11target_archE1030ELNS1_3gpuE2ELNS1_3repE0EEENS1_30default_config_static_selectorELNS0_4arch9wavefront6targetE1EEEvT1_.num_agpr, 0
	.set _ZN7rocprim17ROCPRIM_400000_NS6detail17trampoline_kernelINS0_14default_configENS1_20scan_config_selectorIdEEZZNS1_9scan_implILNS1_25lookback_scan_determinismE0ELb0ELb0ES3_PKdPddZZZN2at6native31launch_logcumsumexp_cuda_kernelERKNSB_10TensorBaseESF_lENKUlvE_clEvENKUlvE_clEvEUlddE_dEEDaPvRmT3_T4_T5_mT6_P12ihipStream_tbENKUlT_T0_E_clISt17integral_constantIbLb0EESW_EEDaSR_SS_EUlSR_E0_NS1_11comp_targetILNS1_3genE8ELNS1_11target_archE1030ELNS1_3gpuE2ELNS1_3repE0EEENS1_30default_config_static_selectorELNS0_4arch9wavefront6targetE1EEEvT1_.numbered_sgpr, 0
	.set _ZN7rocprim17ROCPRIM_400000_NS6detail17trampoline_kernelINS0_14default_configENS1_20scan_config_selectorIdEEZZNS1_9scan_implILNS1_25lookback_scan_determinismE0ELb0ELb0ES3_PKdPddZZZN2at6native31launch_logcumsumexp_cuda_kernelERKNSB_10TensorBaseESF_lENKUlvE_clEvENKUlvE_clEvEUlddE_dEEDaPvRmT3_T4_T5_mT6_P12ihipStream_tbENKUlT_T0_E_clISt17integral_constantIbLb0EESW_EEDaSR_SS_EUlSR_E0_NS1_11comp_targetILNS1_3genE8ELNS1_11target_archE1030ELNS1_3gpuE2ELNS1_3repE0EEENS1_30default_config_static_selectorELNS0_4arch9wavefront6targetE1EEEvT1_.num_named_barrier, 0
	.set _ZN7rocprim17ROCPRIM_400000_NS6detail17trampoline_kernelINS0_14default_configENS1_20scan_config_selectorIdEEZZNS1_9scan_implILNS1_25lookback_scan_determinismE0ELb0ELb0ES3_PKdPddZZZN2at6native31launch_logcumsumexp_cuda_kernelERKNSB_10TensorBaseESF_lENKUlvE_clEvENKUlvE_clEvEUlddE_dEEDaPvRmT3_T4_T5_mT6_P12ihipStream_tbENKUlT_T0_E_clISt17integral_constantIbLb0EESW_EEDaSR_SS_EUlSR_E0_NS1_11comp_targetILNS1_3genE8ELNS1_11target_archE1030ELNS1_3gpuE2ELNS1_3repE0EEENS1_30default_config_static_selectorELNS0_4arch9wavefront6targetE1EEEvT1_.private_seg_size, 0
	.set _ZN7rocprim17ROCPRIM_400000_NS6detail17trampoline_kernelINS0_14default_configENS1_20scan_config_selectorIdEEZZNS1_9scan_implILNS1_25lookback_scan_determinismE0ELb0ELb0ES3_PKdPddZZZN2at6native31launch_logcumsumexp_cuda_kernelERKNSB_10TensorBaseESF_lENKUlvE_clEvENKUlvE_clEvEUlddE_dEEDaPvRmT3_T4_T5_mT6_P12ihipStream_tbENKUlT_T0_E_clISt17integral_constantIbLb0EESW_EEDaSR_SS_EUlSR_E0_NS1_11comp_targetILNS1_3genE8ELNS1_11target_archE1030ELNS1_3gpuE2ELNS1_3repE0EEENS1_30default_config_static_selectorELNS0_4arch9wavefront6targetE1EEEvT1_.uses_vcc, 0
	.set _ZN7rocprim17ROCPRIM_400000_NS6detail17trampoline_kernelINS0_14default_configENS1_20scan_config_selectorIdEEZZNS1_9scan_implILNS1_25lookback_scan_determinismE0ELb0ELb0ES3_PKdPddZZZN2at6native31launch_logcumsumexp_cuda_kernelERKNSB_10TensorBaseESF_lENKUlvE_clEvENKUlvE_clEvEUlddE_dEEDaPvRmT3_T4_T5_mT6_P12ihipStream_tbENKUlT_T0_E_clISt17integral_constantIbLb0EESW_EEDaSR_SS_EUlSR_E0_NS1_11comp_targetILNS1_3genE8ELNS1_11target_archE1030ELNS1_3gpuE2ELNS1_3repE0EEENS1_30default_config_static_selectorELNS0_4arch9wavefront6targetE1EEEvT1_.uses_flat_scratch, 0
	.set _ZN7rocprim17ROCPRIM_400000_NS6detail17trampoline_kernelINS0_14default_configENS1_20scan_config_selectorIdEEZZNS1_9scan_implILNS1_25lookback_scan_determinismE0ELb0ELb0ES3_PKdPddZZZN2at6native31launch_logcumsumexp_cuda_kernelERKNSB_10TensorBaseESF_lENKUlvE_clEvENKUlvE_clEvEUlddE_dEEDaPvRmT3_T4_T5_mT6_P12ihipStream_tbENKUlT_T0_E_clISt17integral_constantIbLb0EESW_EEDaSR_SS_EUlSR_E0_NS1_11comp_targetILNS1_3genE8ELNS1_11target_archE1030ELNS1_3gpuE2ELNS1_3repE0EEENS1_30default_config_static_selectorELNS0_4arch9wavefront6targetE1EEEvT1_.has_dyn_sized_stack, 0
	.set _ZN7rocprim17ROCPRIM_400000_NS6detail17trampoline_kernelINS0_14default_configENS1_20scan_config_selectorIdEEZZNS1_9scan_implILNS1_25lookback_scan_determinismE0ELb0ELb0ES3_PKdPddZZZN2at6native31launch_logcumsumexp_cuda_kernelERKNSB_10TensorBaseESF_lENKUlvE_clEvENKUlvE_clEvEUlddE_dEEDaPvRmT3_T4_T5_mT6_P12ihipStream_tbENKUlT_T0_E_clISt17integral_constantIbLb0EESW_EEDaSR_SS_EUlSR_E0_NS1_11comp_targetILNS1_3genE8ELNS1_11target_archE1030ELNS1_3gpuE2ELNS1_3repE0EEENS1_30default_config_static_selectorELNS0_4arch9wavefront6targetE1EEEvT1_.has_recursion, 0
	.set _ZN7rocprim17ROCPRIM_400000_NS6detail17trampoline_kernelINS0_14default_configENS1_20scan_config_selectorIdEEZZNS1_9scan_implILNS1_25lookback_scan_determinismE0ELb0ELb0ES3_PKdPddZZZN2at6native31launch_logcumsumexp_cuda_kernelERKNSB_10TensorBaseESF_lENKUlvE_clEvENKUlvE_clEvEUlddE_dEEDaPvRmT3_T4_T5_mT6_P12ihipStream_tbENKUlT_T0_E_clISt17integral_constantIbLb0EESW_EEDaSR_SS_EUlSR_E0_NS1_11comp_targetILNS1_3genE8ELNS1_11target_archE1030ELNS1_3gpuE2ELNS1_3repE0EEENS1_30default_config_static_selectorELNS0_4arch9wavefront6targetE1EEEvT1_.has_indirect_call, 0
	.section	.AMDGPU.csdata,"",@progbits
; Kernel info:
; codeLenInByte = 0
; TotalNumSgprs: 6
; NumVgprs: 0
; NumAgprs: 0
; TotalNumVgprs: 0
; ScratchSize: 0
; MemoryBound: 0
; FloatMode: 240
; IeeeMode: 1
; LDSByteSize: 0 bytes/workgroup (compile time only)
; SGPRBlocks: 0
; VGPRBlocks: 0
; NumSGPRsForWavesPerEU: 6
; NumVGPRsForWavesPerEU: 1
; AccumOffset: 4
; Occupancy: 8
; WaveLimiterHint : 0
; COMPUTE_PGM_RSRC2:SCRATCH_EN: 0
; COMPUTE_PGM_RSRC2:USER_SGPR: 2
; COMPUTE_PGM_RSRC2:TRAP_HANDLER: 0
; COMPUTE_PGM_RSRC2:TGID_X_EN: 1
; COMPUTE_PGM_RSRC2:TGID_Y_EN: 0
; COMPUTE_PGM_RSRC2:TGID_Z_EN: 0
; COMPUTE_PGM_RSRC2:TIDIG_COMP_CNT: 0
; COMPUTE_PGM_RSRC3_GFX90A:ACCUM_OFFSET: 0
; COMPUTE_PGM_RSRC3_GFX90A:TG_SPLIT: 0
	.section	.text._ZN7rocprim17ROCPRIM_400000_NS6detail31init_lookback_scan_state_kernelINS1_19lookback_scan_stateIdLb1ELb1EEENS1_16block_id_wrapperIjLb1EEEEEvT_jT0_jPNS7_10value_typeE,"axG",@progbits,_ZN7rocprim17ROCPRIM_400000_NS6detail31init_lookback_scan_state_kernelINS1_19lookback_scan_stateIdLb1ELb1EEENS1_16block_id_wrapperIjLb1EEEEEvT_jT0_jPNS7_10value_typeE,comdat
	.protected	_ZN7rocprim17ROCPRIM_400000_NS6detail31init_lookback_scan_state_kernelINS1_19lookback_scan_stateIdLb1ELb1EEENS1_16block_id_wrapperIjLb1EEEEEvT_jT0_jPNS7_10value_typeE ; -- Begin function _ZN7rocprim17ROCPRIM_400000_NS6detail31init_lookback_scan_state_kernelINS1_19lookback_scan_stateIdLb1ELb1EEENS1_16block_id_wrapperIjLb1EEEEEvT_jT0_jPNS7_10value_typeE
	.globl	_ZN7rocprim17ROCPRIM_400000_NS6detail31init_lookback_scan_state_kernelINS1_19lookback_scan_stateIdLb1ELb1EEENS1_16block_id_wrapperIjLb1EEEEEvT_jT0_jPNS7_10value_typeE
	.p2align	8
	.type	_ZN7rocprim17ROCPRIM_400000_NS6detail31init_lookback_scan_state_kernelINS1_19lookback_scan_stateIdLb1ELb1EEENS1_16block_id_wrapperIjLb1EEEEEvT_jT0_jPNS7_10value_typeE,@function
_ZN7rocprim17ROCPRIM_400000_NS6detail31init_lookback_scan_state_kernelINS1_19lookback_scan_stateIdLb1ELb1EEENS1_16block_id_wrapperIjLb1EEEEEvT_jT0_jPNS7_10value_typeE: ; @_ZN7rocprim17ROCPRIM_400000_NS6detail31init_lookback_scan_state_kernelINS1_19lookback_scan_stateIdLb1ELb1EEENS1_16block_id_wrapperIjLb1EEEEEvT_jT0_jPNS7_10value_typeE
; %bb.0:
	s_load_dword s3, s[0:1], 0x34
	s_load_dwordx2 s[6:7], s[0:1], 0x20
	s_load_dwordx2 s[4:5], s[0:1], 0x0
	s_load_dword s14, s[0:1], 0x8
	s_waitcnt lgkmcnt(0)
	s_and_b32 s3, s3, 0xffff
	s_mul_i32 s2, s2, s3
	s_cmp_eq_u64 s[6:7], 0
	v_add_u32_e32 v0, s2, v0
	s_cbranch_scc1 .LBB27_10
; %bb.1:
	s_load_dword s8, s[0:1], 0x18
	s_mov_b32 s9, 0
	s_waitcnt lgkmcnt(0)
	s_cmp_lt_u32 s8, s14
	s_cselect_b32 s2, s8, 0
	v_cmp_eq_u32_e32 vcc, s2, v0
	s_and_saveexec_b64 s[2:3], vcc
	s_cbranch_execz .LBB27_9
; %bb.2:
	s_add_i32 s8, s8, 64
	s_lshl_b64 s[8:9], s[8:9], 4
	s_add_u32 s12, s4, s8
	s_addc_u32 s13, s5, s9
	v_mov_b64_e32 v[2:3], s[12:13]
	;;#ASMSTART
	global_load_dwordx4 v[2:5], v[2:3] off sc1	
s_waitcnt vmcnt(0)
	;;#ASMEND
	v_mov_b32_e32 v7, 0
	v_and_b32_e32 v6, 0xff, v4
	s_mov_b64 s[10:11], 0
	v_cmp_eq_u64_e32 vcc, 0, v[6:7]
	s_and_saveexec_b64 s[8:9], vcc
	s_cbranch_execz .LBB27_8
; %bb.3:
	s_mov_b32 s15, 1
	v_mov_b64_e32 v[8:9], s[12:13]
.LBB27_4:                               ; =>This Loop Header: Depth=1
                                        ;     Child Loop BB27_5 Depth 2
	s_mov_b32 s12, s15
.LBB27_5:                               ;   Parent Loop BB27_4 Depth=1
                                        ; =>  This Inner Loop Header: Depth=2
	s_add_i32 s12, s12, -1
	s_cmp_eq_u32 s12, 0
	s_sleep 1
	s_cbranch_scc0 .LBB27_5
; %bb.6:                                ;   in Loop: Header=BB27_4 Depth=1
	s_cmp_lt_u32 s15, 32
	s_cselect_b64 s[12:13], -1, 0
	s_cmp_lg_u64 s[12:13], 0
	;;#ASMSTART
	global_load_dwordx4 v[2:5], v[8:9] off sc1	
s_waitcnt vmcnt(0)
	;;#ASMEND
	s_addc_u32 s15, s15, 0
	v_and_b32_e32 v6, 0xff, v4
	v_cmp_ne_u64_e32 vcc, 0, v[6:7]
	s_or_b64 s[10:11], vcc, s[10:11]
	s_andn2_b64 exec, exec, s[10:11]
	s_cbranch_execnz .LBB27_4
; %bb.7:
	s_or_b64 exec, exec, s[10:11]
.LBB27_8:
	s_or_b64 exec, exec, s[8:9]
	v_mov_b32_e32 v1, 0
	global_store_dwordx2 v1, v[2:3], s[6:7]
.LBB27_9:
	s_or_b64 exec, exec, s[2:3]
.LBB27_10:
	v_cmp_eq_u32_e32 vcc, 0, v0
	s_and_saveexec_b64 s[2:3], vcc
	s_cbranch_execnz .LBB27_14
; %bb.11:
	s_or_b64 exec, exec, s[2:3]
	v_cmp_gt_u32_e32 vcc, s14, v0
	s_and_saveexec_b64 s[0:1], vcc
	s_cbranch_execnz .LBB27_15
.LBB27_12:
	s_or_b64 exec, exec, s[0:1]
	v_cmp_gt_u32_e32 vcc, 64, v0
	s_and_saveexec_b64 s[0:1], vcc
	s_cbranch_execnz .LBB27_16
.LBB27_13:
	s_endpgm
.LBB27_14:
	s_load_dwordx2 s[0:1], s[0:1], 0x10
	v_mov_b32_e32 v1, 0
	s_waitcnt lgkmcnt(0)
	global_store_dword v1, v1, s[0:1]
	s_or_b64 exec, exec, s[2:3]
	v_cmp_gt_u32_e32 vcc, s14, v0
	s_and_saveexec_b64 s[0:1], vcc
	s_cbranch_execz .LBB27_12
.LBB27_15:
	v_add_u32_e32 v2, 64, v0
	v_mov_b32_e32 v3, 0
	v_lshl_add_u64 v[6:7], v[2:3], 4, s[4:5]
	v_mov_b32_e32 v2, v3
	v_mov_b32_e32 v4, v3
	v_mov_b32_e32 v5, v3
	global_store_dwordx4 v[6:7], v[2:5], off
	s_or_b64 exec, exec, s[0:1]
	v_cmp_gt_u32_e32 vcc, 64, v0
	s_and_saveexec_b64 s[0:1], vcc
	s_cbranch_execz .LBB27_13
.LBB27_16:
	v_mov_b32_e32 v1, 0
	v_lshl_add_u64 v[4:5], v[0:1], 4, s[4:5]
	v_mov_b32_e32 v2, 0xff
	v_mov_b32_e32 v0, v1
	;; [unrolled: 1-line block ×3, first 2 shown]
	global_store_dwordx4 v[4:5], v[0:3], off
	s_endpgm
	.section	.rodata,"a",@progbits
	.p2align	6, 0x0
	.amdhsa_kernel _ZN7rocprim17ROCPRIM_400000_NS6detail31init_lookback_scan_state_kernelINS1_19lookback_scan_stateIdLb1ELb1EEENS1_16block_id_wrapperIjLb1EEEEEvT_jT0_jPNS7_10value_typeE
		.amdhsa_group_segment_fixed_size 0
		.amdhsa_private_segment_fixed_size 0
		.amdhsa_kernarg_size 296
		.amdhsa_user_sgpr_count 2
		.amdhsa_user_sgpr_dispatch_ptr 0
		.amdhsa_user_sgpr_queue_ptr 0
		.amdhsa_user_sgpr_kernarg_segment_ptr 1
		.amdhsa_user_sgpr_dispatch_id 0
		.amdhsa_user_sgpr_kernarg_preload_length 0
		.amdhsa_user_sgpr_kernarg_preload_offset 0
		.amdhsa_user_sgpr_private_segment_size 0
		.amdhsa_uses_dynamic_stack 0
		.amdhsa_enable_private_segment 0
		.amdhsa_system_sgpr_workgroup_id_x 1
		.amdhsa_system_sgpr_workgroup_id_y 0
		.amdhsa_system_sgpr_workgroup_id_z 0
		.amdhsa_system_sgpr_workgroup_info 0
		.amdhsa_system_vgpr_workitem_id 0
		.amdhsa_next_free_vgpr 10
		.amdhsa_next_free_sgpr 16
		.amdhsa_accum_offset 12
		.amdhsa_reserve_vcc 1
		.amdhsa_float_round_mode_32 0
		.amdhsa_float_round_mode_16_64 0
		.amdhsa_float_denorm_mode_32 3
		.amdhsa_float_denorm_mode_16_64 3
		.amdhsa_dx10_clamp 1
		.amdhsa_ieee_mode 1
		.amdhsa_fp16_overflow 0
		.amdhsa_tg_split 0
		.amdhsa_exception_fp_ieee_invalid_op 0
		.amdhsa_exception_fp_denorm_src 0
		.amdhsa_exception_fp_ieee_div_zero 0
		.amdhsa_exception_fp_ieee_overflow 0
		.amdhsa_exception_fp_ieee_underflow 0
		.amdhsa_exception_fp_ieee_inexact 0
		.amdhsa_exception_int_div_zero 0
	.end_amdhsa_kernel
	.section	.text._ZN7rocprim17ROCPRIM_400000_NS6detail31init_lookback_scan_state_kernelINS1_19lookback_scan_stateIdLb1ELb1EEENS1_16block_id_wrapperIjLb1EEEEEvT_jT0_jPNS7_10value_typeE,"axG",@progbits,_ZN7rocprim17ROCPRIM_400000_NS6detail31init_lookback_scan_state_kernelINS1_19lookback_scan_stateIdLb1ELb1EEENS1_16block_id_wrapperIjLb1EEEEEvT_jT0_jPNS7_10value_typeE,comdat
.Lfunc_end27:
	.size	_ZN7rocprim17ROCPRIM_400000_NS6detail31init_lookback_scan_state_kernelINS1_19lookback_scan_stateIdLb1ELb1EEENS1_16block_id_wrapperIjLb1EEEEEvT_jT0_jPNS7_10value_typeE, .Lfunc_end27-_ZN7rocprim17ROCPRIM_400000_NS6detail31init_lookback_scan_state_kernelINS1_19lookback_scan_stateIdLb1ELb1EEENS1_16block_id_wrapperIjLb1EEEEEvT_jT0_jPNS7_10value_typeE
                                        ; -- End function
	.set _ZN7rocprim17ROCPRIM_400000_NS6detail31init_lookback_scan_state_kernelINS1_19lookback_scan_stateIdLb1ELb1EEENS1_16block_id_wrapperIjLb1EEEEEvT_jT0_jPNS7_10value_typeE.num_vgpr, 10
	.set _ZN7rocprim17ROCPRIM_400000_NS6detail31init_lookback_scan_state_kernelINS1_19lookback_scan_stateIdLb1ELb1EEENS1_16block_id_wrapperIjLb1EEEEEvT_jT0_jPNS7_10value_typeE.num_agpr, 0
	.set _ZN7rocprim17ROCPRIM_400000_NS6detail31init_lookback_scan_state_kernelINS1_19lookback_scan_stateIdLb1ELb1EEENS1_16block_id_wrapperIjLb1EEEEEvT_jT0_jPNS7_10value_typeE.numbered_sgpr, 16
	.set _ZN7rocprim17ROCPRIM_400000_NS6detail31init_lookback_scan_state_kernelINS1_19lookback_scan_stateIdLb1ELb1EEENS1_16block_id_wrapperIjLb1EEEEEvT_jT0_jPNS7_10value_typeE.num_named_barrier, 0
	.set _ZN7rocprim17ROCPRIM_400000_NS6detail31init_lookback_scan_state_kernelINS1_19lookback_scan_stateIdLb1ELb1EEENS1_16block_id_wrapperIjLb1EEEEEvT_jT0_jPNS7_10value_typeE.private_seg_size, 0
	.set _ZN7rocprim17ROCPRIM_400000_NS6detail31init_lookback_scan_state_kernelINS1_19lookback_scan_stateIdLb1ELb1EEENS1_16block_id_wrapperIjLb1EEEEEvT_jT0_jPNS7_10value_typeE.uses_vcc, 1
	.set _ZN7rocprim17ROCPRIM_400000_NS6detail31init_lookback_scan_state_kernelINS1_19lookback_scan_stateIdLb1ELb1EEENS1_16block_id_wrapperIjLb1EEEEEvT_jT0_jPNS7_10value_typeE.uses_flat_scratch, 0
	.set _ZN7rocprim17ROCPRIM_400000_NS6detail31init_lookback_scan_state_kernelINS1_19lookback_scan_stateIdLb1ELb1EEENS1_16block_id_wrapperIjLb1EEEEEvT_jT0_jPNS7_10value_typeE.has_dyn_sized_stack, 0
	.set _ZN7rocprim17ROCPRIM_400000_NS6detail31init_lookback_scan_state_kernelINS1_19lookback_scan_stateIdLb1ELb1EEENS1_16block_id_wrapperIjLb1EEEEEvT_jT0_jPNS7_10value_typeE.has_recursion, 0
	.set _ZN7rocprim17ROCPRIM_400000_NS6detail31init_lookback_scan_state_kernelINS1_19lookback_scan_stateIdLb1ELb1EEENS1_16block_id_wrapperIjLb1EEEEEvT_jT0_jPNS7_10value_typeE.has_indirect_call, 0
	.section	.AMDGPU.csdata,"",@progbits
; Kernel info:
; codeLenInByte = 480
; TotalNumSgprs: 22
; NumVgprs: 10
; NumAgprs: 0
; TotalNumVgprs: 10
; ScratchSize: 0
; MemoryBound: 0
; FloatMode: 240
; IeeeMode: 1
; LDSByteSize: 0 bytes/workgroup (compile time only)
; SGPRBlocks: 2
; VGPRBlocks: 1
; NumSGPRsForWavesPerEU: 22
; NumVGPRsForWavesPerEU: 10
; AccumOffset: 12
; Occupancy: 8
; WaveLimiterHint : 0
; COMPUTE_PGM_RSRC2:SCRATCH_EN: 0
; COMPUTE_PGM_RSRC2:USER_SGPR: 2
; COMPUTE_PGM_RSRC2:TRAP_HANDLER: 0
; COMPUTE_PGM_RSRC2:TGID_X_EN: 1
; COMPUTE_PGM_RSRC2:TGID_Y_EN: 0
; COMPUTE_PGM_RSRC2:TGID_Z_EN: 0
; COMPUTE_PGM_RSRC2:TIDIG_COMP_CNT: 0
; COMPUTE_PGM_RSRC3_GFX90A:ACCUM_OFFSET: 2
; COMPUTE_PGM_RSRC3_GFX90A:TG_SPLIT: 0
	.section	.text._ZN7rocprim17ROCPRIM_400000_NS6detail17trampoline_kernelINS0_14default_configENS1_20scan_config_selectorIdEEZZNS1_9scan_implILNS1_25lookback_scan_determinismE0ELb0ELb0ES3_PKdPddZZZN2at6native31launch_logcumsumexp_cuda_kernelERKNSB_10TensorBaseESF_lENKUlvE_clEvENKUlvE_clEvEUlddE_dEEDaPvRmT3_T4_T5_mT6_P12ihipStream_tbENKUlT_T0_E_clISt17integral_constantIbLb1EESW_EEDaSR_SS_EUlSR_E_NS1_11comp_targetILNS1_3genE0ELNS1_11target_archE4294967295ELNS1_3gpuE0ELNS1_3repE0EEENS1_30default_config_static_selectorELNS0_4arch9wavefront6targetE1EEEvT1_,"axG",@progbits,_ZN7rocprim17ROCPRIM_400000_NS6detail17trampoline_kernelINS0_14default_configENS1_20scan_config_selectorIdEEZZNS1_9scan_implILNS1_25lookback_scan_determinismE0ELb0ELb0ES3_PKdPddZZZN2at6native31launch_logcumsumexp_cuda_kernelERKNSB_10TensorBaseESF_lENKUlvE_clEvENKUlvE_clEvEUlddE_dEEDaPvRmT3_T4_T5_mT6_P12ihipStream_tbENKUlT_T0_E_clISt17integral_constantIbLb1EESW_EEDaSR_SS_EUlSR_E_NS1_11comp_targetILNS1_3genE0ELNS1_11target_archE4294967295ELNS1_3gpuE0ELNS1_3repE0EEENS1_30default_config_static_selectorELNS0_4arch9wavefront6targetE1EEEvT1_,comdat
	.globl	_ZN7rocprim17ROCPRIM_400000_NS6detail17trampoline_kernelINS0_14default_configENS1_20scan_config_selectorIdEEZZNS1_9scan_implILNS1_25lookback_scan_determinismE0ELb0ELb0ES3_PKdPddZZZN2at6native31launch_logcumsumexp_cuda_kernelERKNSB_10TensorBaseESF_lENKUlvE_clEvENKUlvE_clEvEUlddE_dEEDaPvRmT3_T4_T5_mT6_P12ihipStream_tbENKUlT_T0_E_clISt17integral_constantIbLb1EESW_EEDaSR_SS_EUlSR_E_NS1_11comp_targetILNS1_3genE0ELNS1_11target_archE4294967295ELNS1_3gpuE0ELNS1_3repE0EEENS1_30default_config_static_selectorELNS0_4arch9wavefront6targetE1EEEvT1_ ; -- Begin function _ZN7rocprim17ROCPRIM_400000_NS6detail17trampoline_kernelINS0_14default_configENS1_20scan_config_selectorIdEEZZNS1_9scan_implILNS1_25lookback_scan_determinismE0ELb0ELb0ES3_PKdPddZZZN2at6native31launch_logcumsumexp_cuda_kernelERKNSB_10TensorBaseESF_lENKUlvE_clEvENKUlvE_clEvEUlddE_dEEDaPvRmT3_T4_T5_mT6_P12ihipStream_tbENKUlT_T0_E_clISt17integral_constantIbLb1EESW_EEDaSR_SS_EUlSR_E_NS1_11comp_targetILNS1_3genE0ELNS1_11target_archE4294967295ELNS1_3gpuE0ELNS1_3repE0EEENS1_30default_config_static_selectorELNS0_4arch9wavefront6targetE1EEEvT1_
	.p2align	8
	.type	_ZN7rocprim17ROCPRIM_400000_NS6detail17trampoline_kernelINS0_14default_configENS1_20scan_config_selectorIdEEZZNS1_9scan_implILNS1_25lookback_scan_determinismE0ELb0ELb0ES3_PKdPddZZZN2at6native31launch_logcumsumexp_cuda_kernelERKNSB_10TensorBaseESF_lENKUlvE_clEvENKUlvE_clEvEUlddE_dEEDaPvRmT3_T4_T5_mT6_P12ihipStream_tbENKUlT_T0_E_clISt17integral_constantIbLb1EESW_EEDaSR_SS_EUlSR_E_NS1_11comp_targetILNS1_3genE0ELNS1_11target_archE4294967295ELNS1_3gpuE0ELNS1_3repE0EEENS1_30default_config_static_selectorELNS0_4arch9wavefront6targetE1EEEvT1_,@function
_ZN7rocprim17ROCPRIM_400000_NS6detail17trampoline_kernelINS0_14default_configENS1_20scan_config_selectorIdEEZZNS1_9scan_implILNS1_25lookback_scan_determinismE0ELb0ELb0ES3_PKdPddZZZN2at6native31launch_logcumsumexp_cuda_kernelERKNSB_10TensorBaseESF_lENKUlvE_clEvENKUlvE_clEvEUlddE_dEEDaPvRmT3_T4_T5_mT6_P12ihipStream_tbENKUlT_T0_E_clISt17integral_constantIbLb1EESW_EEDaSR_SS_EUlSR_E_NS1_11comp_targetILNS1_3genE0ELNS1_11target_archE4294967295ELNS1_3gpuE0ELNS1_3repE0EEENS1_30default_config_static_selectorELNS0_4arch9wavefront6targetE1EEEvT1_: ; @_ZN7rocprim17ROCPRIM_400000_NS6detail17trampoline_kernelINS0_14default_configENS1_20scan_config_selectorIdEEZZNS1_9scan_implILNS1_25lookback_scan_determinismE0ELb0ELb0ES3_PKdPddZZZN2at6native31launch_logcumsumexp_cuda_kernelERKNSB_10TensorBaseESF_lENKUlvE_clEvENKUlvE_clEvEUlddE_dEEDaPvRmT3_T4_T5_mT6_P12ihipStream_tbENKUlT_T0_E_clISt17integral_constantIbLb1EESW_EEDaSR_SS_EUlSR_E_NS1_11comp_targetILNS1_3genE0ELNS1_11target_archE4294967295ELNS1_3gpuE0ELNS1_3repE0EEENS1_30default_config_static_selectorELNS0_4arch9wavefront6targetE1EEEvT1_
; %bb.0:
	s_endpgm
	.section	.rodata,"a",@progbits
	.p2align	6, 0x0
	.amdhsa_kernel _ZN7rocprim17ROCPRIM_400000_NS6detail17trampoline_kernelINS0_14default_configENS1_20scan_config_selectorIdEEZZNS1_9scan_implILNS1_25lookback_scan_determinismE0ELb0ELb0ES3_PKdPddZZZN2at6native31launch_logcumsumexp_cuda_kernelERKNSB_10TensorBaseESF_lENKUlvE_clEvENKUlvE_clEvEUlddE_dEEDaPvRmT3_T4_T5_mT6_P12ihipStream_tbENKUlT_T0_E_clISt17integral_constantIbLb1EESW_EEDaSR_SS_EUlSR_E_NS1_11comp_targetILNS1_3genE0ELNS1_11target_archE4294967295ELNS1_3gpuE0ELNS1_3repE0EEENS1_30default_config_static_selectorELNS0_4arch9wavefront6targetE1EEEvT1_
		.amdhsa_group_segment_fixed_size 0
		.amdhsa_private_segment_fixed_size 0
		.amdhsa_kernarg_size 104
		.amdhsa_user_sgpr_count 2
		.amdhsa_user_sgpr_dispatch_ptr 0
		.amdhsa_user_sgpr_queue_ptr 0
		.amdhsa_user_sgpr_kernarg_segment_ptr 1
		.amdhsa_user_sgpr_dispatch_id 0
		.amdhsa_user_sgpr_kernarg_preload_length 0
		.amdhsa_user_sgpr_kernarg_preload_offset 0
		.amdhsa_user_sgpr_private_segment_size 0
		.amdhsa_uses_dynamic_stack 0
		.amdhsa_enable_private_segment 0
		.amdhsa_system_sgpr_workgroup_id_x 1
		.amdhsa_system_sgpr_workgroup_id_y 0
		.amdhsa_system_sgpr_workgroup_id_z 0
		.amdhsa_system_sgpr_workgroup_info 0
		.amdhsa_system_vgpr_workitem_id 0
		.amdhsa_next_free_vgpr 1
		.amdhsa_next_free_sgpr 0
		.amdhsa_accum_offset 4
		.amdhsa_reserve_vcc 0
		.amdhsa_float_round_mode_32 0
		.amdhsa_float_round_mode_16_64 0
		.amdhsa_float_denorm_mode_32 3
		.amdhsa_float_denorm_mode_16_64 3
		.amdhsa_dx10_clamp 1
		.amdhsa_ieee_mode 1
		.amdhsa_fp16_overflow 0
		.amdhsa_tg_split 0
		.amdhsa_exception_fp_ieee_invalid_op 0
		.amdhsa_exception_fp_denorm_src 0
		.amdhsa_exception_fp_ieee_div_zero 0
		.amdhsa_exception_fp_ieee_overflow 0
		.amdhsa_exception_fp_ieee_underflow 0
		.amdhsa_exception_fp_ieee_inexact 0
		.amdhsa_exception_int_div_zero 0
	.end_amdhsa_kernel
	.section	.text._ZN7rocprim17ROCPRIM_400000_NS6detail17trampoline_kernelINS0_14default_configENS1_20scan_config_selectorIdEEZZNS1_9scan_implILNS1_25lookback_scan_determinismE0ELb0ELb0ES3_PKdPddZZZN2at6native31launch_logcumsumexp_cuda_kernelERKNSB_10TensorBaseESF_lENKUlvE_clEvENKUlvE_clEvEUlddE_dEEDaPvRmT3_T4_T5_mT6_P12ihipStream_tbENKUlT_T0_E_clISt17integral_constantIbLb1EESW_EEDaSR_SS_EUlSR_E_NS1_11comp_targetILNS1_3genE0ELNS1_11target_archE4294967295ELNS1_3gpuE0ELNS1_3repE0EEENS1_30default_config_static_selectorELNS0_4arch9wavefront6targetE1EEEvT1_,"axG",@progbits,_ZN7rocprim17ROCPRIM_400000_NS6detail17trampoline_kernelINS0_14default_configENS1_20scan_config_selectorIdEEZZNS1_9scan_implILNS1_25lookback_scan_determinismE0ELb0ELb0ES3_PKdPddZZZN2at6native31launch_logcumsumexp_cuda_kernelERKNSB_10TensorBaseESF_lENKUlvE_clEvENKUlvE_clEvEUlddE_dEEDaPvRmT3_T4_T5_mT6_P12ihipStream_tbENKUlT_T0_E_clISt17integral_constantIbLb1EESW_EEDaSR_SS_EUlSR_E_NS1_11comp_targetILNS1_3genE0ELNS1_11target_archE4294967295ELNS1_3gpuE0ELNS1_3repE0EEENS1_30default_config_static_selectorELNS0_4arch9wavefront6targetE1EEEvT1_,comdat
.Lfunc_end28:
	.size	_ZN7rocprim17ROCPRIM_400000_NS6detail17trampoline_kernelINS0_14default_configENS1_20scan_config_selectorIdEEZZNS1_9scan_implILNS1_25lookback_scan_determinismE0ELb0ELb0ES3_PKdPddZZZN2at6native31launch_logcumsumexp_cuda_kernelERKNSB_10TensorBaseESF_lENKUlvE_clEvENKUlvE_clEvEUlddE_dEEDaPvRmT3_T4_T5_mT6_P12ihipStream_tbENKUlT_T0_E_clISt17integral_constantIbLb1EESW_EEDaSR_SS_EUlSR_E_NS1_11comp_targetILNS1_3genE0ELNS1_11target_archE4294967295ELNS1_3gpuE0ELNS1_3repE0EEENS1_30default_config_static_selectorELNS0_4arch9wavefront6targetE1EEEvT1_, .Lfunc_end28-_ZN7rocprim17ROCPRIM_400000_NS6detail17trampoline_kernelINS0_14default_configENS1_20scan_config_selectorIdEEZZNS1_9scan_implILNS1_25lookback_scan_determinismE0ELb0ELb0ES3_PKdPddZZZN2at6native31launch_logcumsumexp_cuda_kernelERKNSB_10TensorBaseESF_lENKUlvE_clEvENKUlvE_clEvEUlddE_dEEDaPvRmT3_T4_T5_mT6_P12ihipStream_tbENKUlT_T0_E_clISt17integral_constantIbLb1EESW_EEDaSR_SS_EUlSR_E_NS1_11comp_targetILNS1_3genE0ELNS1_11target_archE4294967295ELNS1_3gpuE0ELNS1_3repE0EEENS1_30default_config_static_selectorELNS0_4arch9wavefront6targetE1EEEvT1_
                                        ; -- End function
	.set _ZN7rocprim17ROCPRIM_400000_NS6detail17trampoline_kernelINS0_14default_configENS1_20scan_config_selectorIdEEZZNS1_9scan_implILNS1_25lookback_scan_determinismE0ELb0ELb0ES3_PKdPddZZZN2at6native31launch_logcumsumexp_cuda_kernelERKNSB_10TensorBaseESF_lENKUlvE_clEvENKUlvE_clEvEUlddE_dEEDaPvRmT3_T4_T5_mT6_P12ihipStream_tbENKUlT_T0_E_clISt17integral_constantIbLb1EESW_EEDaSR_SS_EUlSR_E_NS1_11comp_targetILNS1_3genE0ELNS1_11target_archE4294967295ELNS1_3gpuE0ELNS1_3repE0EEENS1_30default_config_static_selectorELNS0_4arch9wavefront6targetE1EEEvT1_.num_vgpr, 0
	.set _ZN7rocprim17ROCPRIM_400000_NS6detail17trampoline_kernelINS0_14default_configENS1_20scan_config_selectorIdEEZZNS1_9scan_implILNS1_25lookback_scan_determinismE0ELb0ELb0ES3_PKdPddZZZN2at6native31launch_logcumsumexp_cuda_kernelERKNSB_10TensorBaseESF_lENKUlvE_clEvENKUlvE_clEvEUlddE_dEEDaPvRmT3_T4_T5_mT6_P12ihipStream_tbENKUlT_T0_E_clISt17integral_constantIbLb1EESW_EEDaSR_SS_EUlSR_E_NS1_11comp_targetILNS1_3genE0ELNS1_11target_archE4294967295ELNS1_3gpuE0ELNS1_3repE0EEENS1_30default_config_static_selectorELNS0_4arch9wavefront6targetE1EEEvT1_.num_agpr, 0
	.set _ZN7rocprim17ROCPRIM_400000_NS6detail17trampoline_kernelINS0_14default_configENS1_20scan_config_selectorIdEEZZNS1_9scan_implILNS1_25lookback_scan_determinismE0ELb0ELb0ES3_PKdPddZZZN2at6native31launch_logcumsumexp_cuda_kernelERKNSB_10TensorBaseESF_lENKUlvE_clEvENKUlvE_clEvEUlddE_dEEDaPvRmT3_T4_T5_mT6_P12ihipStream_tbENKUlT_T0_E_clISt17integral_constantIbLb1EESW_EEDaSR_SS_EUlSR_E_NS1_11comp_targetILNS1_3genE0ELNS1_11target_archE4294967295ELNS1_3gpuE0ELNS1_3repE0EEENS1_30default_config_static_selectorELNS0_4arch9wavefront6targetE1EEEvT1_.numbered_sgpr, 0
	.set _ZN7rocprim17ROCPRIM_400000_NS6detail17trampoline_kernelINS0_14default_configENS1_20scan_config_selectorIdEEZZNS1_9scan_implILNS1_25lookback_scan_determinismE0ELb0ELb0ES3_PKdPddZZZN2at6native31launch_logcumsumexp_cuda_kernelERKNSB_10TensorBaseESF_lENKUlvE_clEvENKUlvE_clEvEUlddE_dEEDaPvRmT3_T4_T5_mT6_P12ihipStream_tbENKUlT_T0_E_clISt17integral_constantIbLb1EESW_EEDaSR_SS_EUlSR_E_NS1_11comp_targetILNS1_3genE0ELNS1_11target_archE4294967295ELNS1_3gpuE0ELNS1_3repE0EEENS1_30default_config_static_selectorELNS0_4arch9wavefront6targetE1EEEvT1_.num_named_barrier, 0
	.set _ZN7rocprim17ROCPRIM_400000_NS6detail17trampoline_kernelINS0_14default_configENS1_20scan_config_selectorIdEEZZNS1_9scan_implILNS1_25lookback_scan_determinismE0ELb0ELb0ES3_PKdPddZZZN2at6native31launch_logcumsumexp_cuda_kernelERKNSB_10TensorBaseESF_lENKUlvE_clEvENKUlvE_clEvEUlddE_dEEDaPvRmT3_T4_T5_mT6_P12ihipStream_tbENKUlT_T0_E_clISt17integral_constantIbLb1EESW_EEDaSR_SS_EUlSR_E_NS1_11comp_targetILNS1_3genE0ELNS1_11target_archE4294967295ELNS1_3gpuE0ELNS1_3repE0EEENS1_30default_config_static_selectorELNS0_4arch9wavefront6targetE1EEEvT1_.private_seg_size, 0
	.set _ZN7rocprim17ROCPRIM_400000_NS6detail17trampoline_kernelINS0_14default_configENS1_20scan_config_selectorIdEEZZNS1_9scan_implILNS1_25lookback_scan_determinismE0ELb0ELb0ES3_PKdPddZZZN2at6native31launch_logcumsumexp_cuda_kernelERKNSB_10TensorBaseESF_lENKUlvE_clEvENKUlvE_clEvEUlddE_dEEDaPvRmT3_T4_T5_mT6_P12ihipStream_tbENKUlT_T0_E_clISt17integral_constantIbLb1EESW_EEDaSR_SS_EUlSR_E_NS1_11comp_targetILNS1_3genE0ELNS1_11target_archE4294967295ELNS1_3gpuE0ELNS1_3repE0EEENS1_30default_config_static_selectorELNS0_4arch9wavefront6targetE1EEEvT1_.uses_vcc, 0
	.set _ZN7rocprim17ROCPRIM_400000_NS6detail17trampoline_kernelINS0_14default_configENS1_20scan_config_selectorIdEEZZNS1_9scan_implILNS1_25lookback_scan_determinismE0ELb0ELb0ES3_PKdPddZZZN2at6native31launch_logcumsumexp_cuda_kernelERKNSB_10TensorBaseESF_lENKUlvE_clEvENKUlvE_clEvEUlddE_dEEDaPvRmT3_T4_T5_mT6_P12ihipStream_tbENKUlT_T0_E_clISt17integral_constantIbLb1EESW_EEDaSR_SS_EUlSR_E_NS1_11comp_targetILNS1_3genE0ELNS1_11target_archE4294967295ELNS1_3gpuE0ELNS1_3repE0EEENS1_30default_config_static_selectorELNS0_4arch9wavefront6targetE1EEEvT1_.uses_flat_scratch, 0
	.set _ZN7rocprim17ROCPRIM_400000_NS6detail17trampoline_kernelINS0_14default_configENS1_20scan_config_selectorIdEEZZNS1_9scan_implILNS1_25lookback_scan_determinismE0ELb0ELb0ES3_PKdPddZZZN2at6native31launch_logcumsumexp_cuda_kernelERKNSB_10TensorBaseESF_lENKUlvE_clEvENKUlvE_clEvEUlddE_dEEDaPvRmT3_T4_T5_mT6_P12ihipStream_tbENKUlT_T0_E_clISt17integral_constantIbLb1EESW_EEDaSR_SS_EUlSR_E_NS1_11comp_targetILNS1_3genE0ELNS1_11target_archE4294967295ELNS1_3gpuE0ELNS1_3repE0EEENS1_30default_config_static_selectorELNS0_4arch9wavefront6targetE1EEEvT1_.has_dyn_sized_stack, 0
	.set _ZN7rocprim17ROCPRIM_400000_NS6detail17trampoline_kernelINS0_14default_configENS1_20scan_config_selectorIdEEZZNS1_9scan_implILNS1_25lookback_scan_determinismE0ELb0ELb0ES3_PKdPddZZZN2at6native31launch_logcumsumexp_cuda_kernelERKNSB_10TensorBaseESF_lENKUlvE_clEvENKUlvE_clEvEUlddE_dEEDaPvRmT3_T4_T5_mT6_P12ihipStream_tbENKUlT_T0_E_clISt17integral_constantIbLb1EESW_EEDaSR_SS_EUlSR_E_NS1_11comp_targetILNS1_3genE0ELNS1_11target_archE4294967295ELNS1_3gpuE0ELNS1_3repE0EEENS1_30default_config_static_selectorELNS0_4arch9wavefront6targetE1EEEvT1_.has_recursion, 0
	.set _ZN7rocprim17ROCPRIM_400000_NS6detail17trampoline_kernelINS0_14default_configENS1_20scan_config_selectorIdEEZZNS1_9scan_implILNS1_25lookback_scan_determinismE0ELb0ELb0ES3_PKdPddZZZN2at6native31launch_logcumsumexp_cuda_kernelERKNSB_10TensorBaseESF_lENKUlvE_clEvENKUlvE_clEvEUlddE_dEEDaPvRmT3_T4_T5_mT6_P12ihipStream_tbENKUlT_T0_E_clISt17integral_constantIbLb1EESW_EEDaSR_SS_EUlSR_E_NS1_11comp_targetILNS1_3genE0ELNS1_11target_archE4294967295ELNS1_3gpuE0ELNS1_3repE0EEENS1_30default_config_static_selectorELNS0_4arch9wavefront6targetE1EEEvT1_.has_indirect_call, 0
	.section	.AMDGPU.csdata,"",@progbits
; Kernel info:
; codeLenInByte = 4
; TotalNumSgprs: 6
; NumVgprs: 0
; NumAgprs: 0
; TotalNumVgprs: 0
; ScratchSize: 0
; MemoryBound: 0
; FloatMode: 240
; IeeeMode: 1
; LDSByteSize: 0 bytes/workgroup (compile time only)
; SGPRBlocks: 0
; VGPRBlocks: 0
; NumSGPRsForWavesPerEU: 6
; NumVGPRsForWavesPerEU: 1
; AccumOffset: 4
; Occupancy: 8
; WaveLimiterHint : 0
; COMPUTE_PGM_RSRC2:SCRATCH_EN: 0
; COMPUTE_PGM_RSRC2:USER_SGPR: 2
; COMPUTE_PGM_RSRC2:TRAP_HANDLER: 0
; COMPUTE_PGM_RSRC2:TGID_X_EN: 1
; COMPUTE_PGM_RSRC2:TGID_Y_EN: 0
; COMPUTE_PGM_RSRC2:TGID_Z_EN: 0
; COMPUTE_PGM_RSRC2:TIDIG_COMP_CNT: 0
; COMPUTE_PGM_RSRC3_GFX90A:ACCUM_OFFSET: 0
; COMPUTE_PGM_RSRC3_GFX90A:TG_SPLIT: 0
	.section	.text._ZN7rocprim17ROCPRIM_400000_NS6detail17trampoline_kernelINS0_14default_configENS1_20scan_config_selectorIdEEZZNS1_9scan_implILNS1_25lookback_scan_determinismE0ELb0ELb0ES3_PKdPddZZZN2at6native31launch_logcumsumexp_cuda_kernelERKNSB_10TensorBaseESF_lENKUlvE_clEvENKUlvE_clEvEUlddE_dEEDaPvRmT3_T4_T5_mT6_P12ihipStream_tbENKUlT_T0_E_clISt17integral_constantIbLb1EESW_EEDaSR_SS_EUlSR_E_NS1_11comp_targetILNS1_3genE5ELNS1_11target_archE942ELNS1_3gpuE9ELNS1_3repE0EEENS1_30default_config_static_selectorELNS0_4arch9wavefront6targetE1EEEvT1_,"axG",@progbits,_ZN7rocprim17ROCPRIM_400000_NS6detail17trampoline_kernelINS0_14default_configENS1_20scan_config_selectorIdEEZZNS1_9scan_implILNS1_25lookback_scan_determinismE0ELb0ELb0ES3_PKdPddZZZN2at6native31launch_logcumsumexp_cuda_kernelERKNSB_10TensorBaseESF_lENKUlvE_clEvENKUlvE_clEvEUlddE_dEEDaPvRmT3_T4_T5_mT6_P12ihipStream_tbENKUlT_T0_E_clISt17integral_constantIbLb1EESW_EEDaSR_SS_EUlSR_E_NS1_11comp_targetILNS1_3genE5ELNS1_11target_archE942ELNS1_3gpuE9ELNS1_3repE0EEENS1_30default_config_static_selectorELNS0_4arch9wavefront6targetE1EEEvT1_,comdat
	.globl	_ZN7rocprim17ROCPRIM_400000_NS6detail17trampoline_kernelINS0_14default_configENS1_20scan_config_selectorIdEEZZNS1_9scan_implILNS1_25lookback_scan_determinismE0ELb0ELb0ES3_PKdPddZZZN2at6native31launch_logcumsumexp_cuda_kernelERKNSB_10TensorBaseESF_lENKUlvE_clEvENKUlvE_clEvEUlddE_dEEDaPvRmT3_T4_T5_mT6_P12ihipStream_tbENKUlT_T0_E_clISt17integral_constantIbLb1EESW_EEDaSR_SS_EUlSR_E_NS1_11comp_targetILNS1_3genE5ELNS1_11target_archE942ELNS1_3gpuE9ELNS1_3repE0EEENS1_30default_config_static_selectorELNS0_4arch9wavefront6targetE1EEEvT1_ ; -- Begin function _ZN7rocprim17ROCPRIM_400000_NS6detail17trampoline_kernelINS0_14default_configENS1_20scan_config_selectorIdEEZZNS1_9scan_implILNS1_25lookback_scan_determinismE0ELb0ELb0ES3_PKdPddZZZN2at6native31launch_logcumsumexp_cuda_kernelERKNSB_10TensorBaseESF_lENKUlvE_clEvENKUlvE_clEvEUlddE_dEEDaPvRmT3_T4_T5_mT6_P12ihipStream_tbENKUlT_T0_E_clISt17integral_constantIbLb1EESW_EEDaSR_SS_EUlSR_E_NS1_11comp_targetILNS1_3genE5ELNS1_11target_archE942ELNS1_3gpuE9ELNS1_3repE0EEENS1_30default_config_static_selectorELNS0_4arch9wavefront6targetE1EEEvT1_
	.p2align	8
	.type	_ZN7rocprim17ROCPRIM_400000_NS6detail17trampoline_kernelINS0_14default_configENS1_20scan_config_selectorIdEEZZNS1_9scan_implILNS1_25lookback_scan_determinismE0ELb0ELb0ES3_PKdPddZZZN2at6native31launch_logcumsumexp_cuda_kernelERKNSB_10TensorBaseESF_lENKUlvE_clEvENKUlvE_clEvEUlddE_dEEDaPvRmT3_T4_T5_mT6_P12ihipStream_tbENKUlT_T0_E_clISt17integral_constantIbLb1EESW_EEDaSR_SS_EUlSR_E_NS1_11comp_targetILNS1_3genE5ELNS1_11target_archE942ELNS1_3gpuE9ELNS1_3repE0EEENS1_30default_config_static_selectorELNS0_4arch9wavefront6targetE1EEEvT1_,@function
_ZN7rocprim17ROCPRIM_400000_NS6detail17trampoline_kernelINS0_14default_configENS1_20scan_config_selectorIdEEZZNS1_9scan_implILNS1_25lookback_scan_determinismE0ELb0ELb0ES3_PKdPddZZZN2at6native31launch_logcumsumexp_cuda_kernelERKNSB_10TensorBaseESF_lENKUlvE_clEvENKUlvE_clEvEUlddE_dEEDaPvRmT3_T4_T5_mT6_P12ihipStream_tbENKUlT_T0_E_clISt17integral_constantIbLb1EESW_EEDaSR_SS_EUlSR_E_NS1_11comp_targetILNS1_3genE5ELNS1_11target_archE942ELNS1_3gpuE9ELNS1_3repE0EEENS1_30default_config_static_selectorELNS0_4arch9wavefront6targetE1EEEvT1_: ; @_ZN7rocprim17ROCPRIM_400000_NS6detail17trampoline_kernelINS0_14default_configENS1_20scan_config_selectorIdEEZZNS1_9scan_implILNS1_25lookback_scan_determinismE0ELb0ELb0ES3_PKdPddZZZN2at6native31launch_logcumsumexp_cuda_kernelERKNSB_10TensorBaseESF_lENKUlvE_clEvENKUlvE_clEvEUlddE_dEEDaPvRmT3_T4_T5_mT6_P12ihipStream_tbENKUlT_T0_E_clISt17integral_constantIbLb1EESW_EEDaSR_SS_EUlSR_E_NS1_11comp_targetILNS1_3genE5ELNS1_11target_archE942ELNS1_3gpuE9ELNS1_3repE0EEENS1_30default_config_static_selectorELNS0_4arch9wavefront6targetE1EEEvT1_
; %bb.0:
	.section	.rodata,"a",@progbits
	.p2align	6, 0x0
	.amdhsa_kernel _ZN7rocprim17ROCPRIM_400000_NS6detail17trampoline_kernelINS0_14default_configENS1_20scan_config_selectorIdEEZZNS1_9scan_implILNS1_25lookback_scan_determinismE0ELb0ELb0ES3_PKdPddZZZN2at6native31launch_logcumsumexp_cuda_kernelERKNSB_10TensorBaseESF_lENKUlvE_clEvENKUlvE_clEvEUlddE_dEEDaPvRmT3_T4_T5_mT6_P12ihipStream_tbENKUlT_T0_E_clISt17integral_constantIbLb1EESW_EEDaSR_SS_EUlSR_E_NS1_11comp_targetILNS1_3genE5ELNS1_11target_archE942ELNS1_3gpuE9ELNS1_3repE0EEENS1_30default_config_static_selectorELNS0_4arch9wavefront6targetE1EEEvT1_
		.amdhsa_group_segment_fixed_size 0
		.amdhsa_private_segment_fixed_size 0
		.amdhsa_kernarg_size 104
		.amdhsa_user_sgpr_count 2
		.amdhsa_user_sgpr_dispatch_ptr 0
		.amdhsa_user_sgpr_queue_ptr 0
		.amdhsa_user_sgpr_kernarg_segment_ptr 1
		.amdhsa_user_sgpr_dispatch_id 0
		.amdhsa_user_sgpr_kernarg_preload_length 0
		.amdhsa_user_sgpr_kernarg_preload_offset 0
		.amdhsa_user_sgpr_private_segment_size 0
		.amdhsa_uses_dynamic_stack 0
		.amdhsa_enable_private_segment 0
		.amdhsa_system_sgpr_workgroup_id_x 1
		.amdhsa_system_sgpr_workgroup_id_y 0
		.amdhsa_system_sgpr_workgroup_id_z 0
		.amdhsa_system_sgpr_workgroup_info 0
		.amdhsa_system_vgpr_workitem_id 0
		.amdhsa_next_free_vgpr 1
		.amdhsa_next_free_sgpr 0
		.amdhsa_accum_offset 4
		.amdhsa_reserve_vcc 0
		.amdhsa_float_round_mode_32 0
		.amdhsa_float_round_mode_16_64 0
		.amdhsa_float_denorm_mode_32 3
		.amdhsa_float_denorm_mode_16_64 3
		.amdhsa_dx10_clamp 1
		.amdhsa_ieee_mode 1
		.amdhsa_fp16_overflow 0
		.amdhsa_tg_split 0
		.amdhsa_exception_fp_ieee_invalid_op 0
		.amdhsa_exception_fp_denorm_src 0
		.amdhsa_exception_fp_ieee_div_zero 0
		.amdhsa_exception_fp_ieee_overflow 0
		.amdhsa_exception_fp_ieee_underflow 0
		.amdhsa_exception_fp_ieee_inexact 0
		.amdhsa_exception_int_div_zero 0
	.end_amdhsa_kernel
	.section	.text._ZN7rocprim17ROCPRIM_400000_NS6detail17trampoline_kernelINS0_14default_configENS1_20scan_config_selectorIdEEZZNS1_9scan_implILNS1_25lookback_scan_determinismE0ELb0ELb0ES3_PKdPddZZZN2at6native31launch_logcumsumexp_cuda_kernelERKNSB_10TensorBaseESF_lENKUlvE_clEvENKUlvE_clEvEUlddE_dEEDaPvRmT3_T4_T5_mT6_P12ihipStream_tbENKUlT_T0_E_clISt17integral_constantIbLb1EESW_EEDaSR_SS_EUlSR_E_NS1_11comp_targetILNS1_3genE5ELNS1_11target_archE942ELNS1_3gpuE9ELNS1_3repE0EEENS1_30default_config_static_selectorELNS0_4arch9wavefront6targetE1EEEvT1_,"axG",@progbits,_ZN7rocprim17ROCPRIM_400000_NS6detail17trampoline_kernelINS0_14default_configENS1_20scan_config_selectorIdEEZZNS1_9scan_implILNS1_25lookback_scan_determinismE0ELb0ELb0ES3_PKdPddZZZN2at6native31launch_logcumsumexp_cuda_kernelERKNSB_10TensorBaseESF_lENKUlvE_clEvENKUlvE_clEvEUlddE_dEEDaPvRmT3_T4_T5_mT6_P12ihipStream_tbENKUlT_T0_E_clISt17integral_constantIbLb1EESW_EEDaSR_SS_EUlSR_E_NS1_11comp_targetILNS1_3genE5ELNS1_11target_archE942ELNS1_3gpuE9ELNS1_3repE0EEENS1_30default_config_static_selectorELNS0_4arch9wavefront6targetE1EEEvT1_,comdat
.Lfunc_end29:
	.size	_ZN7rocprim17ROCPRIM_400000_NS6detail17trampoline_kernelINS0_14default_configENS1_20scan_config_selectorIdEEZZNS1_9scan_implILNS1_25lookback_scan_determinismE0ELb0ELb0ES3_PKdPddZZZN2at6native31launch_logcumsumexp_cuda_kernelERKNSB_10TensorBaseESF_lENKUlvE_clEvENKUlvE_clEvEUlddE_dEEDaPvRmT3_T4_T5_mT6_P12ihipStream_tbENKUlT_T0_E_clISt17integral_constantIbLb1EESW_EEDaSR_SS_EUlSR_E_NS1_11comp_targetILNS1_3genE5ELNS1_11target_archE942ELNS1_3gpuE9ELNS1_3repE0EEENS1_30default_config_static_selectorELNS0_4arch9wavefront6targetE1EEEvT1_, .Lfunc_end29-_ZN7rocprim17ROCPRIM_400000_NS6detail17trampoline_kernelINS0_14default_configENS1_20scan_config_selectorIdEEZZNS1_9scan_implILNS1_25lookback_scan_determinismE0ELb0ELb0ES3_PKdPddZZZN2at6native31launch_logcumsumexp_cuda_kernelERKNSB_10TensorBaseESF_lENKUlvE_clEvENKUlvE_clEvEUlddE_dEEDaPvRmT3_T4_T5_mT6_P12ihipStream_tbENKUlT_T0_E_clISt17integral_constantIbLb1EESW_EEDaSR_SS_EUlSR_E_NS1_11comp_targetILNS1_3genE5ELNS1_11target_archE942ELNS1_3gpuE9ELNS1_3repE0EEENS1_30default_config_static_selectorELNS0_4arch9wavefront6targetE1EEEvT1_
                                        ; -- End function
	.set _ZN7rocprim17ROCPRIM_400000_NS6detail17trampoline_kernelINS0_14default_configENS1_20scan_config_selectorIdEEZZNS1_9scan_implILNS1_25lookback_scan_determinismE0ELb0ELb0ES3_PKdPddZZZN2at6native31launch_logcumsumexp_cuda_kernelERKNSB_10TensorBaseESF_lENKUlvE_clEvENKUlvE_clEvEUlddE_dEEDaPvRmT3_T4_T5_mT6_P12ihipStream_tbENKUlT_T0_E_clISt17integral_constantIbLb1EESW_EEDaSR_SS_EUlSR_E_NS1_11comp_targetILNS1_3genE5ELNS1_11target_archE942ELNS1_3gpuE9ELNS1_3repE0EEENS1_30default_config_static_selectorELNS0_4arch9wavefront6targetE1EEEvT1_.num_vgpr, 0
	.set _ZN7rocprim17ROCPRIM_400000_NS6detail17trampoline_kernelINS0_14default_configENS1_20scan_config_selectorIdEEZZNS1_9scan_implILNS1_25lookback_scan_determinismE0ELb0ELb0ES3_PKdPddZZZN2at6native31launch_logcumsumexp_cuda_kernelERKNSB_10TensorBaseESF_lENKUlvE_clEvENKUlvE_clEvEUlddE_dEEDaPvRmT3_T4_T5_mT6_P12ihipStream_tbENKUlT_T0_E_clISt17integral_constantIbLb1EESW_EEDaSR_SS_EUlSR_E_NS1_11comp_targetILNS1_3genE5ELNS1_11target_archE942ELNS1_3gpuE9ELNS1_3repE0EEENS1_30default_config_static_selectorELNS0_4arch9wavefront6targetE1EEEvT1_.num_agpr, 0
	.set _ZN7rocprim17ROCPRIM_400000_NS6detail17trampoline_kernelINS0_14default_configENS1_20scan_config_selectorIdEEZZNS1_9scan_implILNS1_25lookback_scan_determinismE0ELb0ELb0ES3_PKdPddZZZN2at6native31launch_logcumsumexp_cuda_kernelERKNSB_10TensorBaseESF_lENKUlvE_clEvENKUlvE_clEvEUlddE_dEEDaPvRmT3_T4_T5_mT6_P12ihipStream_tbENKUlT_T0_E_clISt17integral_constantIbLb1EESW_EEDaSR_SS_EUlSR_E_NS1_11comp_targetILNS1_3genE5ELNS1_11target_archE942ELNS1_3gpuE9ELNS1_3repE0EEENS1_30default_config_static_selectorELNS0_4arch9wavefront6targetE1EEEvT1_.numbered_sgpr, 0
	.set _ZN7rocprim17ROCPRIM_400000_NS6detail17trampoline_kernelINS0_14default_configENS1_20scan_config_selectorIdEEZZNS1_9scan_implILNS1_25lookback_scan_determinismE0ELb0ELb0ES3_PKdPddZZZN2at6native31launch_logcumsumexp_cuda_kernelERKNSB_10TensorBaseESF_lENKUlvE_clEvENKUlvE_clEvEUlddE_dEEDaPvRmT3_T4_T5_mT6_P12ihipStream_tbENKUlT_T0_E_clISt17integral_constantIbLb1EESW_EEDaSR_SS_EUlSR_E_NS1_11comp_targetILNS1_3genE5ELNS1_11target_archE942ELNS1_3gpuE9ELNS1_3repE0EEENS1_30default_config_static_selectorELNS0_4arch9wavefront6targetE1EEEvT1_.num_named_barrier, 0
	.set _ZN7rocprim17ROCPRIM_400000_NS6detail17trampoline_kernelINS0_14default_configENS1_20scan_config_selectorIdEEZZNS1_9scan_implILNS1_25lookback_scan_determinismE0ELb0ELb0ES3_PKdPddZZZN2at6native31launch_logcumsumexp_cuda_kernelERKNSB_10TensorBaseESF_lENKUlvE_clEvENKUlvE_clEvEUlddE_dEEDaPvRmT3_T4_T5_mT6_P12ihipStream_tbENKUlT_T0_E_clISt17integral_constantIbLb1EESW_EEDaSR_SS_EUlSR_E_NS1_11comp_targetILNS1_3genE5ELNS1_11target_archE942ELNS1_3gpuE9ELNS1_3repE0EEENS1_30default_config_static_selectorELNS0_4arch9wavefront6targetE1EEEvT1_.private_seg_size, 0
	.set _ZN7rocprim17ROCPRIM_400000_NS6detail17trampoline_kernelINS0_14default_configENS1_20scan_config_selectorIdEEZZNS1_9scan_implILNS1_25lookback_scan_determinismE0ELb0ELb0ES3_PKdPddZZZN2at6native31launch_logcumsumexp_cuda_kernelERKNSB_10TensorBaseESF_lENKUlvE_clEvENKUlvE_clEvEUlddE_dEEDaPvRmT3_T4_T5_mT6_P12ihipStream_tbENKUlT_T0_E_clISt17integral_constantIbLb1EESW_EEDaSR_SS_EUlSR_E_NS1_11comp_targetILNS1_3genE5ELNS1_11target_archE942ELNS1_3gpuE9ELNS1_3repE0EEENS1_30default_config_static_selectorELNS0_4arch9wavefront6targetE1EEEvT1_.uses_vcc, 0
	.set _ZN7rocprim17ROCPRIM_400000_NS6detail17trampoline_kernelINS0_14default_configENS1_20scan_config_selectorIdEEZZNS1_9scan_implILNS1_25lookback_scan_determinismE0ELb0ELb0ES3_PKdPddZZZN2at6native31launch_logcumsumexp_cuda_kernelERKNSB_10TensorBaseESF_lENKUlvE_clEvENKUlvE_clEvEUlddE_dEEDaPvRmT3_T4_T5_mT6_P12ihipStream_tbENKUlT_T0_E_clISt17integral_constantIbLb1EESW_EEDaSR_SS_EUlSR_E_NS1_11comp_targetILNS1_3genE5ELNS1_11target_archE942ELNS1_3gpuE9ELNS1_3repE0EEENS1_30default_config_static_selectorELNS0_4arch9wavefront6targetE1EEEvT1_.uses_flat_scratch, 0
	.set _ZN7rocprim17ROCPRIM_400000_NS6detail17trampoline_kernelINS0_14default_configENS1_20scan_config_selectorIdEEZZNS1_9scan_implILNS1_25lookback_scan_determinismE0ELb0ELb0ES3_PKdPddZZZN2at6native31launch_logcumsumexp_cuda_kernelERKNSB_10TensorBaseESF_lENKUlvE_clEvENKUlvE_clEvEUlddE_dEEDaPvRmT3_T4_T5_mT6_P12ihipStream_tbENKUlT_T0_E_clISt17integral_constantIbLb1EESW_EEDaSR_SS_EUlSR_E_NS1_11comp_targetILNS1_3genE5ELNS1_11target_archE942ELNS1_3gpuE9ELNS1_3repE0EEENS1_30default_config_static_selectorELNS0_4arch9wavefront6targetE1EEEvT1_.has_dyn_sized_stack, 0
	.set _ZN7rocprim17ROCPRIM_400000_NS6detail17trampoline_kernelINS0_14default_configENS1_20scan_config_selectorIdEEZZNS1_9scan_implILNS1_25lookback_scan_determinismE0ELb0ELb0ES3_PKdPddZZZN2at6native31launch_logcumsumexp_cuda_kernelERKNSB_10TensorBaseESF_lENKUlvE_clEvENKUlvE_clEvEUlddE_dEEDaPvRmT3_T4_T5_mT6_P12ihipStream_tbENKUlT_T0_E_clISt17integral_constantIbLb1EESW_EEDaSR_SS_EUlSR_E_NS1_11comp_targetILNS1_3genE5ELNS1_11target_archE942ELNS1_3gpuE9ELNS1_3repE0EEENS1_30default_config_static_selectorELNS0_4arch9wavefront6targetE1EEEvT1_.has_recursion, 0
	.set _ZN7rocprim17ROCPRIM_400000_NS6detail17trampoline_kernelINS0_14default_configENS1_20scan_config_selectorIdEEZZNS1_9scan_implILNS1_25lookback_scan_determinismE0ELb0ELb0ES3_PKdPddZZZN2at6native31launch_logcumsumexp_cuda_kernelERKNSB_10TensorBaseESF_lENKUlvE_clEvENKUlvE_clEvEUlddE_dEEDaPvRmT3_T4_T5_mT6_P12ihipStream_tbENKUlT_T0_E_clISt17integral_constantIbLb1EESW_EEDaSR_SS_EUlSR_E_NS1_11comp_targetILNS1_3genE5ELNS1_11target_archE942ELNS1_3gpuE9ELNS1_3repE0EEENS1_30default_config_static_selectorELNS0_4arch9wavefront6targetE1EEEvT1_.has_indirect_call, 0
	.section	.AMDGPU.csdata,"",@progbits
; Kernel info:
; codeLenInByte = 0
; TotalNumSgprs: 6
; NumVgprs: 0
; NumAgprs: 0
; TotalNumVgprs: 0
; ScratchSize: 0
; MemoryBound: 0
; FloatMode: 240
; IeeeMode: 1
; LDSByteSize: 0 bytes/workgroup (compile time only)
; SGPRBlocks: 0
; VGPRBlocks: 0
; NumSGPRsForWavesPerEU: 6
; NumVGPRsForWavesPerEU: 1
; AccumOffset: 4
; Occupancy: 8
; WaveLimiterHint : 0
; COMPUTE_PGM_RSRC2:SCRATCH_EN: 0
; COMPUTE_PGM_RSRC2:USER_SGPR: 2
; COMPUTE_PGM_RSRC2:TRAP_HANDLER: 0
; COMPUTE_PGM_RSRC2:TGID_X_EN: 1
; COMPUTE_PGM_RSRC2:TGID_Y_EN: 0
; COMPUTE_PGM_RSRC2:TGID_Z_EN: 0
; COMPUTE_PGM_RSRC2:TIDIG_COMP_CNT: 0
; COMPUTE_PGM_RSRC3_GFX90A:ACCUM_OFFSET: 0
; COMPUTE_PGM_RSRC3_GFX90A:TG_SPLIT: 0
	.section	.text._ZN7rocprim17ROCPRIM_400000_NS6detail17trampoline_kernelINS0_14default_configENS1_20scan_config_selectorIdEEZZNS1_9scan_implILNS1_25lookback_scan_determinismE0ELb0ELb0ES3_PKdPddZZZN2at6native31launch_logcumsumexp_cuda_kernelERKNSB_10TensorBaseESF_lENKUlvE_clEvENKUlvE_clEvEUlddE_dEEDaPvRmT3_T4_T5_mT6_P12ihipStream_tbENKUlT_T0_E_clISt17integral_constantIbLb1EESW_EEDaSR_SS_EUlSR_E_NS1_11comp_targetILNS1_3genE4ELNS1_11target_archE910ELNS1_3gpuE8ELNS1_3repE0EEENS1_30default_config_static_selectorELNS0_4arch9wavefront6targetE1EEEvT1_,"axG",@progbits,_ZN7rocprim17ROCPRIM_400000_NS6detail17trampoline_kernelINS0_14default_configENS1_20scan_config_selectorIdEEZZNS1_9scan_implILNS1_25lookback_scan_determinismE0ELb0ELb0ES3_PKdPddZZZN2at6native31launch_logcumsumexp_cuda_kernelERKNSB_10TensorBaseESF_lENKUlvE_clEvENKUlvE_clEvEUlddE_dEEDaPvRmT3_T4_T5_mT6_P12ihipStream_tbENKUlT_T0_E_clISt17integral_constantIbLb1EESW_EEDaSR_SS_EUlSR_E_NS1_11comp_targetILNS1_3genE4ELNS1_11target_archE910ELNS1_3gpuE8ELNS1_3repE0EEENS1_30default_config_static_selectorELNS0_4arch9wavefront6targetE1EEEvT1_,comdat
	.globl	_ZN7rocprim17ROCPRIM_400000_NS6detail17trampoline_kernelINS0_14default_configENS1_20scan_config_selectorIdEEZZNS1_9scan_implILNS1_25lookback_scan_determinismE0ELb0ELb0ES3_PKdPddZZZN2at6native31launch_logcumsumexp_cuda_kernelERKNSB_10TensorBaseESF_lENKUlvE_clEvENKUlvE_clEvEUlddE_dEEDaPvRmT3_T4_T5_mT6_P12ihipStream_tbENKUlT_T0_E_clISt17integral_constantIbLb1EESW_EEDaSR_SS_EUlSR_E_NS1_11comp_targetILNS1_3genE4ELNS1_11target_archE910ELNS1_3gpuE8ELNS1_3repE0EEENS1_30default_config_static_selectorELNS0_4arch9wavefront6targetE1EEEvT1_ ; -- Begin function _ZN7rocprim17ROCPRIM_400000_NS6detail17trampoline_kernelINS0_14default_configENS1_20scan_config_selectorIdEEZZNS1_9scan_implILNS1_25lookback_scan_determinismE0ELb0ELb0ES3_PKdPddZZZN2at6native31launch_logcumsumexp_cuda_kernelERKNSB_10TensorBaseESF_lENKUlvE_clEvENKUlvE_clEvEUlddE_dEEDaPvRmT3_T4_T5_mT6_P12ihipStream_tbENKUlT_T0_E_clISt17integral_constantIbLb1EESW_EEDaSR_SS_EUlSR_E_NS1_11comp_targetILNS1_3genE4ELNS1_11target_archE910ELNS1_3gpuE8ELNS1_3repE0EEENS1_30default_config_static_selectorELNS0_4arch9wavefront6targetE1EEEvT1_
	.p2align	8
	.type	_ZN7rocprim17ROCPRIM_400000_NS6detail17trampoline_kernelINS0_14default_configENS1_20scan_config_selectorIdEEZZNS1_9scan_implILNS1_25lookback_scan_determinismE0ELb0ELb0ES3_PKdPddZZZN2at6native31launch_logcumsumexp_cuda_kernelERKNSB_10TensorBaseESF_lENKUlvE_clEvENKUlvE_clEvEUlddE_dEEDaPvRmT3_T4_T5_mT6_P12ihipStream_tbENKUlT_T0_E_clISt17integral_constantIbLb1EESW_EEDaSR_SS_EUlSR_E_NS1_11comp_targetILNS1_3genE4ELNS1_11target_archE910ELNS1_3gpuE8ELNS1_3repE0EEENS1_30default_config_static_selectorELNS0_4arch9wavefront6targetE1EEEvT1_,@function
_ZN7rocprim17ROCPRIM_400000_NS6detail17trampoline_kernelINS0_14default_configENS1_20scan_config_selectorIdEEZZNS1_9scan_implILNS1_25lookback_scan_determinismE0ELb0ELb0ES3_PKdPddZZZN2at6native31launch_logcumsumexp_cuda_kernelERKNSB_10TensorBaseESF_lENKUlvE_clEvENKUlvE_clEvEUlddE_dEEDaPvRmT3_T4_T5_mT6_P12ihipStream_tbENKUlT_T0_E_clISt17integral_constantIbLb1EESW_EEDaSR_SS_EUlSR_E_NS1_11comp_targetILNS1_3genE4ELNS1_11target_archE910ELNS1_3gpuE8ELNS1_3repE0EEENS1_30default_config_static_selectorELNS0_4arch9wavefront6targetE1EEEvT1_: ; @_ZN7rocprim17ROCPRIM_400000_NS6detail17trampoline_kernelINS0_14default_configENS1_20scan_config_selectorIdEEZZNS1_9scan_implILNS1_25lookback_scan_determinismE0ELb0ELb0ES3_PKdPddZZZN2at6native31launch_logcumsumexp_cuda_kernelERKNSB_10TensorBaseESF_lENKUlvE_clEvENKUlvE_clEvEUlddE_dEEDaPvRmT3_T4_T5_mT6_P12ihipStream_tbENKUlT_T0_E_clISt17integral_constantIbLb1EESW_EEDaSR_SS_EUlSR_E_NS1_11comp_targetILNS1_3genE4ELNS1_11target_archE910ELNS1_3gpuE8ELNS1_3repE0EEENS1_30default_config_static_selectorELNS0_4arch9wavefront6targetE1EEEvT1_
; %bb.0:
	.section	.rodata,"a",@progbits
	.p2align	6, 0x0
	.amdhsa_kernel _ZN7rocprim17ROCPRIM_400000_NS6detail17trampoline_kernelINS0_14default_configENS1_20scan_config_selectorIdEEZZNS1_9scan_implILNS1_25lookback_scan_determinismE0ELb0ELb0ES3_PKdPddZZZN2at6native31launch_logcumsumexp_cuda_kernelERKNSB_10TensorBaseESF_lENKUlvE_clEvENKUlvE_clEvEUlddE_dEEDaPvRmT3_T4_T5_mT6_P12ihipStream_tbENKUlT_T0_E_clISt17integral_constantIbLb1EESW_EEDaSR_SS_EUlSR_E_NS1_11comp_targetILNS1_3genE4ELNS1_11target_archE910ELNS1_3gpuE8ELNS1_3repE0EEENS1_30default_config_static_selectorELNS0_4arch9wavefront6targetE1EEEvT1_
		.amdhsa_group_segment_fixed_size 0
		.amdhsa_private_segment_fixed_size 0
		.amdhsa_kernarg_size 104
		.amdhsa_user_sgpr_count 2
		.amdhsa_user_sgpr_dispatch_ptr 0
		.amdhsa_user_sgpr_queue_ptr 0
		.amdhsa_user_sgpr_kernarg_segment_ptr 1
		.amdhsa_user_sgpr_dispatch_id 0
		.amdhsa_user_sgpr_kernarg_preload_length 0
		.amdhsa_user_sgpr_kernarg_preload_offset 0
		.amdhsa_user_sgpr_private_segment_size 0
		.amdhsa_uses_dynamic_stack 0
		.amdhsa_enable_private_segment 0
		.amdhsa_system_sgpr_workgroup_id_x 1
		.amdhsa_system_sgpr_workgroup_id_y 0
		.amdhsa_system_sgpr_workgroup_id_z 0
		.amdhsa_system_sgpr_workgroup_info 0
		.amdhsa_system_vgpr_workitem_id 0
		.amdhsa_next_free_vgpr 1
		.amdhsa_next_free_sgpr 0
		.amdhsa_accum_offset 4
		.amdhsa_reserve_vcc 0
		.amdhsa_float_round_mode_32 0
		.amdhsa_float_round_mode_16_64 0
		.amdhsa_float_denorm_mode_32 3
		.amdhsa_float_denorm_mode_16_64 3
		.amdhsa_dx10_clamp 1
		.amdhsa_ieee_mode 1
		.amdhsa_fp16_overflow 0
		.amdhsa_tg_split 0
		.amdhsa_exception_fp_ieee_invalid_op 0
		.amdhsa_exception_fp_denorm_src 0
		.amdhsa_exception_fp_ieee_div_zero 0
		.amdhsa_exception_fp_ieee_overflow 0
		.amdhsa_exception_fp_ieee_underflow 0
		.amdhsa_exception_fp_ieee_inexact 0
		.amdhsa_exception_int_div_zero 0
	.end_amdhsa_kernel
	.section	.text._ZN7rocprim17ROCPRIM_400000_NS6detail17trampoline_kernelINS0_14default_configENS1_20scan_config_selectorIdEEZZNS1_9scan_implILNS1_25lookback_scan_determinismE0ELb0ELb0ES3_PKdPddZZZN2at6native31launch_logcumsumexp_cuda_kernelERKNSB_10TensorBaseESF_lENKUlvE_clEvENKUlvE_clEvEUlddE_dEEDaPvRmT3_T4_T5_mT6_P12ihipStream_tbENKUlT_T0_E_clISt17integral_constantIbLb1EESW_EEDaSR_SS_EUlSR_E_NS1_11comp_targetILNS1_3genE4ELNS1_11target_archE910ELNS1_3gpuE8ELNS1_3repE0EEENS1_30default_config_static_selectorELNS0_4arch9wavefront6targetE1EEEvT1_,"axG",@progbits,_ZN7rocprim17ROCPRIM_400000_NS6detail17trampoline_kernelINS0_14default_configENS1_20scan_config_selectorIdEEZZNS1_9scan_implILNS1_25lookback_scan_determinismE0ELb0ELb0ES3_PKdPddZZZN2at6native31launch_logcumsumexp_cuda_kernelERKNSB_10TensorBaseESF_lENKUlvE_clEvENKUlvE_clEvEUlddE_dEEDaPvRmT3_T4_T5_mT6_P12ihipStream_tbENKUlT_T0_E_clISt17integral_constantIbLb1EESW_EEDaSR_SS_EUlSR_E_NS1_11comp_targetILNS1_3genE4ELNS1_11target_archE910ELNS1_3gpuE8ELNS1_3repE0EEENS1_30default_config_static_selectorELNS0_4arch9wavefront6targetE1EEEvT1_,comdat
.Lfunc_end30:
	.size	_ZN7rocprim17ROCPRIM_400000_NS6detail17trampoline_kernelINS0_14default_configENS1_20scan_config_selectorIdEEZZNS1_9scan_implILNS1_25lookback_scan_determinismE0ELb0ELb0ES3_PKdPddZZZN2at6native31launch_logcumsumexp_cuda_kernelERKNSB_10TensorBaseESF_lENKUlvE_clEvENKUlvE_clEvEUlddE_dEEDaPvRmT3_T4_T5_mT6_P12ihipStream_tbENKUlT_T0_E_clISt17integral_constantIbLb1EESW_EEDaSR_SS_EUlSR_E_NS1_11comp_targetILNS1_3genE4ELNS1_11target_archE910ELNS1_3gpuE8ELNS1_3repE0EEENS1_30default_config_static_selectorELNS0_4arch9wavefront6targetE1EEEvT1_, .Lfunc_end30-_ZN7rocprim17ROCPRIM_400000_NS6detail17trampoline_kernelINS0_14default_configENS1_20scan_config_selectorIdEEZZNS1_9scan_implILNS1_25lookback_scan_determinismE0ELb0ELb0ES3_PKdPddZZZN2at6native31launch_logcumsumexp_cuda_kernelERKNSB_10TensorBaseESF_lENKUlvE_clEvENKUlvE_clEvEUlddE_dEEDaPvRmT3_T4_T5_mT6_P12ihipStream_tbENKUlT_T0_E_clISt17integral_constantIbLb1EESW_EEDaSR_SS_EUlSR_E_NS1_11comp_targetILNS1_3genE4ELNS1_11target_archE910ELNS1_3gpuE8ELNS1_3repE0EEENS1_30default_config_static_selectorELNS0_4arch9wavefront6targetE1EEEvT1_
                                        ; -- End function
	.set _ZN7rocprim17ROCPRIM_400000_NS6detail17trampoline_kernelINS0_14default_configENS1_20scan_config_selectorIdEEZZNS1_9scan_implILNS1_25lookback_scan_determinismE0ELb0ELb0ES3_PKdPddZZZN2at6native31launch_logcumsumexp_cuda_kernelERKNSB_10TensorBaseESF_lENKUlvE_clEvENKUlvE_clEvEUlddE_dEEDaPvRmT3_T4_T5_mT6_P12ihipStream_tbENKUlT_T0_E_clISt17integral_constantIbLb1EESW_EEDaSR_SS_EUlSR_E_NS1_11comp_targetILNS1_3genE4ELNS1_11target_archE910ELNS1_3gpuE8ELNS1_3repE0EEENS1_30default_config_static_selectorELNS0_4arch9wavefront6targetE1EEEvT1_.num_vgpr, 0
	.set _ZN7rocprim17ROCPRIM_400000_NS6detail17trampoline_kernelINS0_14default_configENS1_20scan_config_selectorIdEEZZNS1_9scan_implILNS1_25lookback_scan_determinismE0ELb0ELb0ES3_PKdPddZZZN2at6native31launch_logcumsumexp_cuda_kernelERKNSB_10TensorBaseESF_lENKUlvE_clEvENKUlvE_clEvEUlddE_dEEDaPvRmT3_T4_T5_mT6_P12ihipStream_tbENKUlT_T0_E_clISt17integral_constantIbLb1EESW_EEDaSR_SS_EUlSR_E_NS1_11comp_targetILNS1_3genE4ELNS1_11target_archE910ELNS1_3gpuE8ELNS1_3repE0EEENS1_30default_config_static_selectorELNS0_4arch9wavefront6targetE1EEEvT1_.num_agpr, 0
	.set _ZN7rocprim17ROCPRIM_400000_NS6detail17trampoline_kernelINS0_14default_configENS1_20scan_config_selectorIdEEZZNS1_9scan_implILNS1_25lookback_scan_determinismE0ELb0ELb0ES3_PKdPddZZZN2at6native31launch_logcumsumexp_cuda_kernelERKNSB_10TensorBaseESF_lENKUlvE_clEvENKUlvE_clEvEUlddE_dEEDaPvRmT3_T4_T5_mT6_P12ihipStream_tbENKUlT_T0_E_clISt17integral_constantIbLb1EESW_EEDaSR_SS_EUlSR_E_NS1_11comp_targetILNS1_3genE4ELNS1_11target_archE910ELNS1_3gpuE8ELNS1_3repE0EEENS1_30default_config_static_selectorELNS0_4arch9wavefront6targetE1EEEvT1_.numbered_sgpr, 0
	.set _ZN7rocprim17ROCPRIM_400000_NS6detail17trampoline_kernelINS0_14default_configENS1_20scan_config_selectorIdEEZZNS1_9scan_implILNS1_25lookback_scan_determinismE0ELb0ELb0ES3_PKdPddZZZN2at6native31launch_logcumsumexp_cuda_kernelERKNSB_10TensorBaseESF_lENKUlvE_clEvENKUlvE_clEvEUlddE_dEEDaPvRmT3_T4_T5_mT6_P12ihipStream_tbENKUlT_T0_E_clISt17integral_constantIbLb1EESW_EEDaSR_SS_EUlSR_E_NS1_11comp_targetILNS1_3genE4ELNS1_11target_archE910ELNS1_3gpuE8ELNS1_3repE0EEENS1_30default_config_static_selectorELNS0_4arch9wavefront6targetE1EEEvT1_.num_named_barrier, 0
	.set _ZN7rocprim17ROCPRIM_400000_NS6detail17trampoline_kernelINS0_14default_configENS1_20scan_config_selectorIdEEZZNS1_9scan_implILNS1_25lookback_scan_determinismE0ELb0ELb0ES3_PKdPddZZZN2at6native31launch_logcumsumexp_cuda_kernelERKNSB_10TensorBaseESF_lENKUlvE_clEvENKUlvE_clEvEUlddE_dEEDaPvRmT3_T4_T5_mT6_P12ihipStream_tbENKUlT_T0_E_clISt17integral_constantIbLb1EESW_EEDaSR_SS_EUlSR_E_NS1_11comp_targetILNS1_3genE4ELNS1_11target_archE910ELNS1_3gpuE8ELNS1_3repE0EEENS1_30default_config_static_selectorELNS0_4arch9wavefront6targetE1EEEvT1_.private_seg_size, 0
	.set _ZN7rocprim17ROCPRIM_400000_NS6detail17trampoline_kernelINS0_14default_configENS1_20scan_config_selectorIdEEZZNS1_9scan_implILNS1_25lookback_scan_determinismE0ELb0ELb0ES3_PKdPddZZZN2at6native31launch_logcumsumexp_cuda_kernelERKNSB_10TensorBaseESF_lENKUlvE_clEvENKUlvE_clEvEUlddE_dEEDaPvRmT3_T4_T5_mT6_P12ihipStream_tbENKUlT_T0_E_clISt17integral_constantIbLb1EESW_EEDaSR_SS_EUlSR_E_NS1_11comp_targetILNS1_3genE4ELNS1_11target_archE910ELNS1_3gpuE8ELNS1_3repE0EEENS1_30default_config_static_selectorELNS0_4arch9wavefront6targetE1EEEvT1_.uses_vcc, 0
	.set _ZN7rocprim17ROCPRIM_400000_NS6detail17trampoline_kernelINS0_14default_configENS1_20scan_config_selectorIdEEZZNS1_9scan_implILNS1_25lookback_scan_determinismE0ELb0ELb0ES3_PKdPddZZZN2at6native31launch_logcumsumexp_cuda_kernelERKNSB_10TensorBaseESF_lENKUlvE_clEvENKUlvE_clEvEUlddE_dEEDaPvRmT3_T4_T5_mT6_P12ihipStream_tbENKUlT_T0_E_clISt17integral_constantIbLb1EESW_EEDaSR_SS_EUlSR_E_NS1_11comp_targetILNS1_3genE4ELNS1_11target_archE910ELNS1_3gpuE8ELNS1_3repE0EEENS1_30default_config_static_selectorELNS0_4arch9wavefront6targetE1EEEvT1_.uses_flat_scratch, 0
	.set _ZN7rocprim17ROCPRIM_400000_NS6detail17trampoline_kernelINS0_14default_configENS1_20scan_config_selectorIdEEZZNS1_9scan_implILNS1_25lookback_scan_determinismE0ELb0ELb0ES3_PKdPddZZZN2at6native31launch_logcumsumexp_cuda_kernelERKNSB_10TensorBaseESF_lENKUlvE_clEvENKUlvE_clEvEUlddE_dEEDaPvRmT3_T4_T5_mT6_P12ihipStream_tbENKUlT_T0_E_clISt17integral_constantIbLb1EESW_EEDaSR_SS_EUlSR_E_NS1_11comp_targetILNS1_3genE4ELNS1_11target_archE910ELNS1_3gpuE8ELNS1_3repE0EEENS1_30default_config_static_selectorELNS0_4arch9wavefront6targetE1EEEvT1_.has_dyn_sized_stack, 0
	.set _ZN7rocprim17ROCPRIM_400000_NS6detail17trampoline_kernelINS0_14default_configENS1_20scan_config_selectorIdEEZZNS1_9scan_implILNS1_25lookback_scan_determinismE0ELb0ELb0ES3_PKdPddZZZN2at6native31launch_logcumsumexp_cuda_kernelERKNSB_10TensorBaseESF_lENKUlvE_clEvENKUlvE_clEvEUlddE_dEEDaPvRmT3_T4_T5_mT6_P12ihipStream_tbENKUlT_T0_E_clISt17integral_constantIbLb1EESW_EEDaSR_SS_EUlSR_E_NS1_11comp_targetILNS1_3genE4ELNS1_11target_archE910ELNS1_3gpuE8ELNS1_3repE0EEENS1_30default_config_static_selectorELNS0_4arch9wavefront6targetE1EEEvT1_.has_recursion, 0
	.set _ZN7rocprim17ROCPRIM_400000_NS6detail17trampoline_kernelINS0_14default_configENS1_20scan_config_selectorIdEEZZNS1_9scan_implILNS1_25lookback_scan_determinismE0ELb0ELb0ES3_PKdPddZZZN2at6native31launch_logcumsumexp_cuda_kernelERKNSB_10TensorBaseESF_lENKUlvE_clEvENKUlvE_clEvEUlddE_dEEDaPvRmT3_T4_T5_mT6_P12ihipStream_tbENKUlT_T0_E_clISt17integral_constantIbLb1EESW_EEDaSR_SS_EUlSR_E_NS1_11comp_targetILNS1_3genE4ELNS1_11target_archE910ELNS1_3gpuE8ELNS1_3repE0EEENS1_30default_config_static_selectorELNS0_4arch9wavefront6targetE1EEEvT1_.has_indirect_call, 0
	.section	.AMDGPU.csdata,"",@progbits
; Kernel info:
; codeLenInByte = 0
; TotalNumSgprs: 6
; NumVgprs: 0
; NumAgprs: 0
; TotalNumVgprs: 0
; ScratchSize: 0
; MemoryBound: 0
; FloatMode: 240
; IeeeMode: 1
; LDSByteSize: 0 bytes/workgroup (compile time only)
; SGPRBlocks: 0
; VGPRBlocks: 0
; NumSGPRsForWavesPerEU: 6
; NumVGPRsForWavesPerEU: 1
; AccumOffset: 4
; Occupancy: 8
; WaveLimiterHint : 0
; COMPUTE_PGM_RSRC2:SCRATCH_EN: 0
; COMPUTE_PGM_RSRC2:USER_SGPR: 2
; COMPUTE_PGM_RSRC2:TRAP_HANDLER: 0
; COMPUTE_PGM_RSRC2:TGID_X_EN: 1
; COMPUTE_PGM_RSRC2:TGID_Y_EN: 0
; COMPUTE_PGM_RSRC2:TGID_Z_EN: 0
; COMPUTE_PGM_RSRC2:TIDIG_COMP_CNT: 0
; COMPUTE_PGM_RSRC3_GFX90A:ACCUM_OFFSET: 0
; COMPUTE_PGM_RSRC3_GFX90A:TG_SPLIT: 0
	.section	.text._ZN7rocprim17ROCPRIM_400000_NS6detail17trampoline_kernelINS0_14default_configENS1_20scan_config_selectorIdEEZZNS1_9scan_implILNS1_25lookback_scan_determinismE0ELb0ELb0ES3_PKdPddZZZN2at6native31launch_logcumsumexp_cuda_kernelERKNSB_10TensorBaseESF_lENKUlvE_clEvENKUlvE_clEvEUlddE_dEEDaPvRmT3_T4_T5_mT6_P12ihipStream_tbENKUlT_T0_E_clISt17integral_constantIbLb1EESW_EEDaSR_SS_EUlSR_E_NS1_11comp_targetILNS1_3genE3ELNS1_11target_archE908ELNS1_3gpuE7ELNS1_3repE0EEENS1_30default_config_static_selectorELNS0_4arch9wavefront6targetE1EEEvT1_,"axG",@progbits,_ZN7rocprim17ROCPRIM_400000_NS6detail17trampoline_kernelINS0_14default_configENS1_20scan_config_selectorIdEEZZNS1_9scan_implILNS1_25lookback_scan_determinismE0ELb0ELb0ES3_PKdPddZZZN2at6native31launch_logcumsumexp_cuda_kernelERKNSB_10TensorBaseESF_lENKUlvE_clEvENKUlvE_clEvEUlddE_dEEDaPvRmT3_T4_T5_mT6_P12ihipStream_tbENKUlT_T0_E_clISt17integral_constantIbLb1EESW_EEDaSR_SS_EUlSR_E_NS1_11comp_targetILNS1_3genE3ELNS1_11target_archE908ELNS1_3gpuE7ELNS1_3repE0EEENS1_30default_config_static_selectorELNS0_4arch9wavefront6targetE1EEEvT1_,comdat
	.globl	_ZN7rocprim17ROCPRIM_400000_NS6detail17trampoline_kernelINS0_14default_configENS1_20scan_config_selectorIdEEZZNS1_9scan_implILNS1_25lookback_scan_determinismE0ELb0ELb0ES3_PKdPddZZZN2at6native31launch_logcumsumexp_cuda_kernelERKNSB_10TensorBaseESF_lENKUlvE_clEvENKUlvE_clEvEUlddE_dEEDaPvRmT3_T4_T5_mT6_P12ihipStream_tbENKUlT_T0_E_clISt17integral_constantIbLb1EESW_EEDaSR_SS_EUlSR_E_NS1_11comp_targetILNS1_3genE3ELNS1_11target_archE908ELNS1_3gpuE7ELNS1_3repE0EEENS1_30default_config_static_selectorELNS0_4arch9wavefront6targetE1EEEvT1_ ; -- Begin function _ZN7rocprim17ROCPRIM_400000_NS6detail17trampoline_kernelINS0_14default_configENS1_20scan_config_selectorIdEEZZNS1_9scan_implILNS1_25lookback_scan_determinismE0ELb0ELb0ES3_PKdPddZZZN2at6native31launch_logcumsumexp_cuda_kernelERKNSB_10TensorBaseESF_lENKUlvE_clEvENKUlvE_clEvEUlddE_dEEDaPvRmT3_T4_T5_mT6_P12ihipStream_tbENKUlT_T0_E_clISt17integral_constantIbLb1EESW_EEDaSR_SS_EUlSR_E_NS1_11comp_targetILNS1_3genE3ELNS1_11target_archE908ELNS1_3gpuE7ELNS1_3repE0EEENS1_30default_config_static_selectorELNS0_4arch9wavefront6targetE1EEEvT1_
	.p2align	8
	.type	_ZN7rocprim17ROCPRIM_400000_NS6detail17trampoline_kernelINS0_14default_configENS1_20scan_config_selectorIdEEZZNS1_9scan_implILNS1_25lookback_scan_determinismE0ELb0ELb0ES3_PKdPddZZZN2at6native31launch_logcumsumexp_cuda_kernelERKNSB_10TensorBaseESF_lENKUlvE_clEvENKUlvE_clEvEUlddE_dEEDaPvRmT3_T4_T5_mT6_P12ihipStream_tbENKUlT_T0_E_clISt17integral_constantIbLb1EESW_EEDaSR_SS_EUlSR_E_NS1_11comp_targetILNS1_3genE3ELNS1_11target_archE908ELNS1_3gpuE7ELNS1_3repE0EEENS1_30default_config_static_selectorELNS0_4arch9wavefront6targetE1EEEvT1_,@function
_ZN7rocprim17ROCPRIM_400000_NS6detail17trampoline_kernelINS0_14default_configENS1_20scan_config_selectorIdEEZZNS1_9scan_implILNS1_25lookback_scan_determinismE0ELb0ELb0ES3_PKdPddZZZN2at6native31launch_logcumsumexp_cuda_kernelERKNSB_10TensorBaseESF_lENKUlvE_clEvENKUlvE_clEvEUlddE_dEEDaPvRmT3_T4_T5_mT6_P12ihipStream_tbENKUlT_T0_E_clISt17integral_constantIbLb1EESW_EEDaSR_SS_EUlSR_E_NS1_11comp_targetILNS1_3genE3ELNS1_11target_archE908ELNS1_3gpuE7ELNS1_3repE0EEENS1_30default_config_static_selectorELNS0_4arch9wavefront6targetE1EEEvT1_: ; @_ZN7rocprim17ROCPRIM_400000_NS6detail17trampoline_kernelINS0_14default_configENS1_20scan_config_selectorIdEEZZNS1_9scan_implILNS1_25lookback_scan_determinismE0ELb0ELb0ES3_PKdPddZZZN2at6native31launch_logcumsumexp_cuda_kernelERKNSB_10TensorBaseESF_lENKUlvE_clEvENKUlvE_clEvEUlddE_dEEDaPvRmT3_T4_T5_mT6_P12ihipStream_tbENKUlT_T0_E_clISt17integral_constantIbLb1EESW_EEDaSR_SS_EUlSR_E_NS1_11comp_targetILNS1_3genE3ELNS1_11target_archE908ELNS1_3gpuE7ELNS1_3repE0EEENS1_30default_config_static_selectorELNS0_4arch9wavefront6targetE1EEEvT1_
; %bb.0:
	.section	.rodata,"a",@progbits
	.p2align	6, 0x0
	.amdhsa_kernel _ZN7rocprim17ROCPRIM_400000_NS6detail17trampoline_kernelINS0_14default_configENS1_20scan_config_selectorIdEEZZNS1_9scan_implILNS1_25lookback_scan_determinismE0ELb0ELb0ES3_PKdPddZZZN2at6native31launch_logcumsumexp_cuda_kernelERKNSB_10TensorBaseESF_lENKUlvE_clEvENKUlvE_clEvEUlddE_dEEDaPvRmT3_T4_T5_mT6_P12ihipStream_tbENKUlT_T0_E_clISt17integral_constantIbLb1EESW_EEDaSR_SS_EUlSR_E_NS1_11comp_targetILNS1_3genE3ELNS1_11target_archE908ELNS1_3gpuE7ELNS1_3repE0EEENS1_30default_config_static_selectorELNS0_4arch9wavefront6targetE1EEEvT1_
		.amdhsa_group_segment_fixed_size 0
		.amdhsa_private_segment_fixed_size 0
		.amdhsa_kernarg_size 104
		.amdhsa_user_sgpr_count 2
		.amdhsa_user_sgpr_dispatch_ptr 0
		.amdhsa_user_sgpr_queue_ptr 0
		.amdhsa_user_sgpr_kernarg_segment_ptr 1
		.amdhsa_user_sgpr_dispatch_id 0
		.amdhsa_user_sgpr_kernarg_preload_length 0
		.amdhsa_user_sgpr_kernarg_preload_offset 0
		.amdhsa_user_sgpr_private_segment_size 0
		.amdhsa_uses_dynamic_stack 0
		.amdhsa_enable_private_segment 0
		.amdhsa_system_sgpr_workgroup_id_x 1
		.amdhsa_system_sgpr_workgroup_id_y 0
		.amdhsa_system_sgpr_workgroup_id_z 0
		.amdhsa_system_sgpr_workgroup_info 0
		.amdhsa_system_vgpr_workitem_id 0
		.amdhsa_next_free_vgpr 1
		.amdhsa_next_free_sgpr 0
		.amdhsa_accum_offset 4
		.amdhsa_reserve_vcc 0
		.amdhsa_float_round_mode_32 0
		.amdhsa_float_round_mode_16_64 0
		.amdhsa_float_denorm_mode_32 3
		.amdhsa_float_denorm_mode_16_64 3
		.amdhsa_dx10_clamp 1
		.amdhsa_ieee_mode 1
		.amdhsa_fp16_overflow 0
		.amdhsa_tg_split 0
		.amdhsa_exception_fp_ieee_invalid_op 0
		.amdhsa_exception_fp_denorm_src 0
		.amdhsa_exception_fp_ieee_div_zero 0
		.amdhsa_exception_fp_ieee_overflow 0
		.amdhsa_exception_fp_ieee_underflow 0
		.amdhsa_exception_fp_ieee_inexact 0
		.amdhsa_exception_int_div_zero 0
	.end_amdhsa_kernel
	.section	.text._ZN7rocprim17ROCPRIM_400000_NS6detail17trampoline_kernelINS0_14default_configENS1_20scan_config_selectorIdEEZZNS1_9scan_implILNS1_25lookback_scan_determinismE0ELb0ELb0ES3_PKdPddZZZN2at6native31launch_logcumsumexp_cuda_kernelERKNSB_10TensorBaseESF_lENKUlvE_clEvENKUlvE_clEvEUlddE_dEEDaPvRmT3_T4_T5_mT6_P12ihipStream_tbENKUlT_T0_E_clISt17integral_constantIbLb1EESW_EEDaSR_SS_EUlSR_E_NS1_11comp_targetILNS1_3genE3ELNS1_11target_archE908ELNS1_3gpuE7ELNS1_3repE0EEENS1_30default_config_static_selectorELNS0_4arch9wavefront6targetE1EEEvT1_,"axG",@progbits,_ZN7rocprim17ROCPRIM_400000_NS6detail17trampoline_kernelINS0_14default_configENS1_20scan_config_selectorIdEEZZNS1_9scan_implILNS1_25lookback_scan_determinismE0ELb0ELb0ES3_PKdPddZZZN2at6native31launch_logcumsumexp_cuda_kernelERKNSB_10TensorBaseESF_lENKUlvE_clEvENKUlvE_clEvEUlddE_dEEDaPvRmT3_T4_T5_mT6_P12ihipStream_tbENKUlT_T0_E_clISt17integral_constantIbLb1EESW_EEDaSR_SS_EUlSR_E_NS1_11comp_targetILNS1_3genE3ELNS1_11target_archE908ELNS1_3gpuE7ELNS1_3repE0EEENS1_30default_config_static_selectorELNS0_4arch9wavefront6targetE1EEEvT1_,comdat
.Lfunc_end31:
	.size	_ZN7rocprim17ROCPRIM_400000_NS6detail17trampoline_kernelINS0_14default_configENS1_20scan_config_selectorIdEEZZNS1_9scan_implILNS1_25lookback_scan_determinismE0ELb0ELb0ES3_PKdPddZZZN2at6native31launch_logcumsumexp_cuda_kernelERKNSB_10TensorBaseESF_lENKUlvE_clEvENKUlvE_clEvEUlddE_dEEDaPvRmT3_T4_T5_mT6_P12ihipStream_tbENKUlT_T0_E_clISt17integral_constantIbLb1EESW_EEDaSR_SS_EUlSR_E_NS1_11comp_targetILNS1_3genE3ELNS1_11target_archE908ELNS1_3gpuE7ELNS1_3repE0EEENS1_30default_config_static_selectorELNS0_4arch9wavefront6targetE1EEEvT1_, .Lfunc_end31-_ZN7rocprim17ROCPRIM_400000_NS6detail17trampoline_kernelINS0_14default_configENS1_20scan_config_selectorIdEEZZNS1_9scan_implILNS1_25lookback_scan_determinismE0ELb0ELb0ES3_PKdPddZZZN2at6native31launch_logcumsumexp_cuda_kernelERKNSB_10TensorBaseESF_lENKUlvE_clEvENKUlvE_clEvEUlddE_dEEDaPvRmT3_T4_T5_mT6_P12ihipStream_tbENKUlT_T0_E_clISt17integral_constantIbLb1EESW_EEDaSR_SS_EUlSR_E_NS1_11comp_targetILNS1_3genE3ELNS1_11target_archE908ELNS1_3gpuE7ELNS1_3repE0EEENS1_30default_config_static_selectorELNS0_4arch9wavefront6targetE1EEEvT1_
                                        ; -- End function
	.set _ZN7rocprim17ROCPRIM_400000_NS6detail17trampoline_kernelINS0_14default_configENS1_20scan_config_selectorIdEEZZNS1_9scan_implILNS1_25lookback_scan_determinismE0ELb0ELb0ES3_PKdPddZZZN2at6native31launch_logcumsumexp_cuda_kernelERKNSB_10TensorBaseESF_lENKUlvE_clEvENKUlvE_clEvEUlddE_dEEDaPvRmT3_T4_T5_mT6_P12ihipStream_tbENKUlT_T0_E_clISt17integral_constantIbLb1EESW_EEDaSR_SS_EUlSR_E_NS1_11comp_targetILNS1_3genE3ELNS1_11target_archE908ELNS1_3gpuE7ELNS1_3repE0EEENS1_30default_config_static_selectorELNS0_4arch9wavefront6targetE1EEEvT1_.num_vgpr, 0
	.set _ZN7rocprim17ROCPRIM_400000_NS6detail17trampoline_kernelINS0_14default_configENS1_20scan_config_selectorIdEEZZNS1_9scan_implILNS1_25lookback_scan_determinismE0ELb0ELb0ES3_PKdPddZZZN2at6native31launch_logcumsumexp_cuda_kernelERKNSB_10TensorBaseESF_lENKUlvE_clEvENKUlvE_clEvEUlddE_dEEDaPvRmT3_T4_T5_mT6_P12ihipStream_tbENKUlT_T0_E_clISt17integral_constantIbLb1EESW_EEDaSR_SS_EUlSR_E_NS1_11comp_targetILNS1_3genE3ELNS1_11target_archE908ELNS1_3gpuE7ELNS1_3repE0EEENS1_30default_config_static_selectorELNS0_4arch9wavefront6targetE1EEEvT1_.num_agpr, 0
	.set _ZN7rocprim17ROCPRIM_400000_NS6detail17trampoline_kernelINS0_14default_configENS1_20scan_config_selectorIdEEZZNS1_9scan_implILNS1_25lookback_scan_determinismE0ELb0ELb0ES3_PKdPddZZZN2at6native31launch_logcumsumexp_cuda_kernelERKNSB_10TensorBaseESF_lENKUlvE_clEvENKUlvE_clEvEUlddE_dEEDaPvRmT3_T4_T5_mT6_P12ihipStream_tbENKUlT_T0_E_clISt17integral_constantIbLb1EESW_EEDaSR_SS_EUlSR_E_NS1_11comp_targetILNS1_3genE3ELNS1_11target_archE908ELNS1_3gpuE7ELNS1_3repE0EEENS1_30default_config_static_selectorELNS0_4arch9wavefront6targetE1EEEvT1_.numbered_sgpr, 0
	.set _ZN7rocprim17ROCPRIM_400000_NS6detail17trampoline_kernelINS0_14default_configENS1_20scan_config_selectorIdEEZZNS1_9scan_implILNS1_25lookback_scan_determinismE0ELb0ELb0ES3_PKdPddZZZN2at6native31launch_logcumsumexp_cuda_kernelERKNSB_10TensorBaseESF_lENKUlvE_clEvENKUlvE_clEvEUlddE_dEEDaPvRmT3_T4_T5_mT6_P12ihipStream_tbENKUlT_T0_E_clISt17integral_constantIbLb1EESW_EEDaSR_SS_EUlSR_E_NS1_11comp_targetILNS1_3genE3ELNS1_11target_archE908ELNS1_3gpuE7ELNS1_3repE0EEENS1_30default_config_static_selectorELNS0_4arch9wavefront6targetE1EEEvT1_.num_named_barrier, 0
	.set _ZN7rocprim17ROCPRIM_400000_NS6detail17trampoline_kernelINS0_14default_configENS1_20scan_config_selectorIdEEZZNS1_9scan_implILNS1_25lookback_scan_determinismE0ELb0ELb0ES3_PKdPddZZZN2at6native31launch_logcumsumexp_cuda_kernelERKNSB_10TensorBaseESF_lENKUlvE_clEvENKUlvE_clEvEUlddE_dEEDaPvRmT3_T4_T5_mT6_P12ihipStream_tbENKUlT_T0_E_clISt17integral_constantIbLb1EESW_EEDaSR_SS_EUlSR_E_NS1_11comp_targetILNS1_3genE3ELNS1_11target_archE908ELNS1_3gpuE7ELNS1_3repE0EEENS1_30default_config_static_selectorELNS0_4arch9wavefront6targetE1EEEvT1_.private_seg_size, 0
	.set _ZN7rocprim17ROCPRIM_400000_NS6detail17trampoline_kernelINS0_14default_configENS1_20scan_config_selectorIdEEZZNS1_9scan_implILNS1_25lookback_scan_determinismE0ELb0ELb0ES3_PKdPddZZZN2at6native31launch_logcumsumexp_cuda_kernelERKNSB_10TensorBaseESF_lENKUlvE_clEvENKUlvE_clEvEUlddE_dEEDaPvRmT3_T4_T5_mT6_P12ihipStream_tbENKUlT_T0_E_clISt17integral_constantIbLb1EESW_EEDaSR_SS_EUlSR_E_NS1_11comp_targetILNS1_3genE3ELNS1_11target_archE908ELNS1_3gpuE7ELNS1_3repE0EEENS1_30default_config_static_selectorELNS0_4arch9wavefront6targetE1EEEvT1_.uses_vcc, 0
	.set _ZN7rocprim17ROCPRIM_400000_NS6detail17trampoline_kernelINS0_14default_configENS1_20scan_config_selectorIdEEZZNS1_9scan_implILNS1_25lookback_scan_determinismE0ELb0ELb0ES3_PKdPddZZZN2at6native31launch_logcumsumexp_cuda_kernelERKNSB_10TensorBaseESF_lENKUlvE_clEvENKUlvE_clEvEUlddE_dEEDaPvRmT3_T4_T5_mT6_P12ihipStream_tbENKUlT_T0_E_clISt17integral_constantIbLb1EESW_EEDaSR_SS_EUlSR_E_NS1_11comp_targetILNS1_3genE3ELNS1_11target_archE908ELNS1_3gpuE7ELNS1_3repE0EEENS1_30default_config_static_selectorELNS0_4arch9wavefront6targetE1EEEvT1_.uses_flat_scratch, 0
	.set _ZN7rocprim17ROCPRIM_400000_NS6detail17trampoline_kernelINS0_14default_configENS1_20scan_config_selectorIdEEZZNS1_9scan_implILNS1_25lookback_scan_determinismE0ELb0ELb0ES3_PKdPddZZZN2at6native31launch_logcumsumexp_cuda_kernelERKNSB_10TensorBaseESF_lENKUlvE_clEvENKUlvE_clEvEUlddE_dEEDaPvRmT3_T4_T5_mT6_P12ihipStream_tbENKUlT_T0_E_clISt17integral_constantIbLb1EESW_EEDaSR_SS_EUlSR_E_NS1_11comp_targetILNS1_3genE3ELNS1_11target_archE908ELNS1_3gpuE7ELNS1_3repE0EEENS1_30default_config_static_selectorELNS0_4arch9wavefront6targetE1EEEvT1_.has_dyn_sized_stack, 0
	.set _ZN7rocprim17ROCPRIM_400000_NS6detail17trampoline_kernelINS0_14default_configENS1_20scan_config_selectorIdEEZZNS1_9scan_implILNS1_25lookback_scan_determinismE0ELb0ELb0ES3_PKdPddZZZN2at6native31launch_logcumsumexp_cuda_kernelERKNSB_10TensorBaseESF_lENKUlvE_clEvENKUlvE_clEvEUlddE_dEEDaPvRmT3_T4_T5_mT6_P12ihipStream_tbENKUlT_T0_E_clISt17integral_constantIbLb1EESW_EEDaSR_SS_EUlSR_E_NS1_11comp_targetILNS1_3genE3ELNS1_11target_archE908ELNS1_3gpuE7ELNS1_3repE0EEENS1_30default_config_static_selectorELNS0_4arch9wavefront6targetE1EEEvT1_.has_recursion, 0
	.set _ZN7rocprim17ROCPRIM_400000_NS6detail17trampoline_kernelINS0_14default_configENS1_20scan_config_selectorIdEEZZNS1_9scan_implILNS1_25lookback_scan_determinismE0ELb0ELb0ES3_PKdPddZZZN2at6native31launch_logcumsumexp_cuda_kernelERKNSB_10TensorBaseESF_lENKUlvE_clEvENKUlvE_clEvEUlddE_dEEDaPvRmT3_T4_T5_mT6_P12ihipStream_tbENKUlT_T0_E_clISt17integral_constantIbLb1EESW_EEDaSR_SS_EUlSR_E_NS1_11comp_targetILNS1_3genE3ELNS1_11target_archE908ELNS1_3gpuE7ELNS1_3repE0EEENS1_30default_config_static_selectorELNS0_4arch9wavefront6targetE1EEEvT1_.has_indirect_call, 0
	.section	.AMDGPU.csdata,"",@progbits
; Kernel info:
; codeLenInByte = 0
; TotalNumSgprs: 6
; NumVgprs: 0
; NumAgprs: 0
; TotalNumVgprs: 0
; ScratchSize: 0
; MemoryBound: 0
; FloatMode: 240
; IeeeMode: 1
; LDSByteSize: 0 bytes/workgroup (compile time only)
; SGPRBlocks: 0
; VGPRBlocks: 0
; NumSGPRsForWavesPerEU: 6
; NumVGPRsForWavesPerEU: 1
; AccumOffset: 4
; Occupancy: 8
; WaveLimiterHint : 0
; COMPUTE_PGM_RSRC2:SCRATCH_EN: 0
; COMPUTE_PGM_RSRC2:USER_SGPR: 2
; COMPUTE_PGM_RSRC2:TRAP_HANDLER: 0
; COMPUTE_PGM_RSRC2:TGID_X_EN: 1
; COMPUTE_PGM_RSRC2:TGID_Y_EN: 0
; COMPUTE_PGM_RSRC2:TGID_Z_EN: 0
; COMPUTE_PGM_RSRC2:TIDIG_COMP_CNT: 0
; COMPUTE_PGM_RSRC3_GFX90A:ACCUM_OFFSET: 0
; COMPUTE_PGM_RSRC3_GFX90A:TG_SPLIT: 0
	.section	.text._ZN7rocprim17ROCPRIM_400000_NS6detail17trampoline_kernelINS0_14default_configENS1_20scan_config_selectorIdEEZZNS1_9scan_implILNS1_25lookback_scan_determinismE0ELb0ELb0ES3_PKdPddZZZN2at6native31launch_logcumsumexp_cuda_kernelERKNSB_10TensorBaseESF_lENKUlvE_clEvENKUlvE_clEvEUlddE_dEEDaPvRmT3_T4_T5_mT6_P12ihipStream_tbENKUlT_T0_E_clISt17integral_constantIbLb1EESW_EEDaSR_SS_EUlSR_E_NS1_11comp_targetILNS1_3genE2ELNS1_11target_archE906ELNS1_3gpuE6ELNS1_3repE0EEENS1_30default_config_static_selectorELNS0_4arch9wavefront6targetE1EEEvT1_,"axG",@progbits,_ZN7rocprim17ROCPRIM_400000_NS6detail17trampoline_kernelINS0_14default_configENS1_20scan_config_selectorIdEEZZNS1_9scan_implILNS1_25lookback_scan_determinismE0ELb0ELb0ES3_PKdPddZZZN2at6native31launch_logcumsumexp_cuda_kernelERKNSB_10TensorBaseESF_lENKUlvE_clEvENKUlvE_clEvEUlddE_dEEDaPvRmT3_T4_T5_mT6_P12ihipStream_tbENKUlT_T0_E_clISt17integral_constantIbLb1EESW_EEDaSR_SS_EUlSR_E_NS1_11comp_targetILNS1_3genE2ELNS1_11target_archE906ELNS1_3gpuE6ELNS1_3repE0EEENS1_30default_config_static_selectorELNS0_4arch9wavefront6targetE1EEEvT1_,comdat
	.globl	_ZN7rocprim17ROCPRIM_400000_NS6detail17trampoline_kernelINS0_14default_configENS1_20scan_config_selectorIdEEZZNS1_9scan_implILNS1_25lookback_scan_determinismE0ELb0ELb0ES3_PKdPddZZZN2at6native31launch_logcumsumexp_cuda_kernelERKNSB_10TensorBaseESF_lENKUlvE_clEvENKUlvE_clEvEUlddE_dEEDaPvRmT3_T4_T5_mT6_P12ihipStream_tbENKUlT_T0_E_clISt17integral_constantIbLb1EESW_EEDaSR_SS_EUlSR_E_NS1_11comp_targetILNS1_3genE2ELNS1_11target_archE906ELNS1_3gpuE6ELNS1_3repE0EEENS1_30default_config_static_selectorELNS0_4arch9wavefront6targetE1EEEvT1_ ; -- Begin function _ZN7rocprim17ROCPRIM_400000_NS6detail17trampoline_kernelINS0_14default_configENS1_20scan_config_selectorIdEEZZNS1_9scan_implILNS1_25lookback_scan_determinismE0ELb0ELb0ES3_PKdPddZZZN2at6native31launch_logcumsumexp_cuda_kernelERKNSB_10TensorBaseESF_lENKUlvE_clEvENKUlvE_clEvEUlddE_dEEDaPvRmT3_T4_T5_mT6_P12ihipStream_tbENKUlT_T0_E_clISt17integral_constantIbLb1EESW_EEDaSR_SS_EUlSR_E_NS1_11comp_targetILNS1_3genE2ELNS1_11target_archE906ELNS1_3gpuE6ELNS1_3repE0EEENS1_30default_config_static_selectorELNS0_4arch9wavefront6targetE1EEEvT1_
	.p2align	8
	.type	_ZN7rocprim17ROCPRIM_400000_NS6detail17trampoline_kernelINS0_14default_configENS1_20scan_config_selectorIdEEZZNS1_9scan_implILNS1_25lookback_scan_determinismE0ELb0ELb0ES3_PKdPddZZZN2at6native31launch_logcumsumexp_cuda_kernelERKNSB_10TensorBaseESF_lENKUlvE_clEvENKUlvE_clEvEUlddE_dEEDaPvRmT3_T4_T5_mT6_P12ihipStream_tbENKUlT_T0_E_clISt17integral_constantIbLb1EESW_EEDaSR_SS_EUlSR_E_NS1_11comp_targetILNS1_3genE2ELNS1_11target_archE906ELNS1_3gpuE6ELNS1_3repE0EEENS1_30default_config_static_selectorELNS0_4arch9wavefront6targetE1EEEvT1_,@function
_ZN7rocprim17ROCPRIM_400000_NS6detail17trampoline_kernelINS0_14default_configENS1_20scan_config_selectorIdEEZZNS1_9scan_implILNS1_25lookback_scan_determinismE0ELb0ELb0ES3_PKdPddZZZN2at6native31launch_logcumsumexp_cuda_kernelERKNSB_10TensorBaseESF_lENKUlvE_clEvENKUlvE_clEvEUlddE_dEEDaPvRmT3_T4_T5_mT6_P12ihipStream_tbENKUlT_T0_E_clISt17integral_constantIbLb1EESW_EEDaSR_SS_EUlSR_E_NS1_11comp_targetILNS1_3genE2ELNS1_11target_archE906ELNS1_3gpuE6ELNS1_3repE0EEENS1_30default_config_static_selectorELNS0_4arch9wavefront6targetE1EEEvT1_: ; @_ZN7rocprim17ROCPRIM_400000_NS6detail17trampoline_kernelINS0_14default_configENS1_20scan_config_selectorIdEEZZNS1_9scan_implILNS1_25lookback_scan_determinismE0ELb0ELb0ES3_PKdPddZZZN2at6native31launch_logcumsumexp_cuda_kernelERKNSB_10TensorBaseESF_lENKUlvE_clEvENKUlvE_clEvEUlddE_dEEDaPvRmT3_T4_T5_mT6_P12ihipStream_tbENKUlT_T0_E_clISt17integral_constantIbLb1EESW_EEDaSR_SS_EUlSR_E_NS1_11comp_targetILNS1_3genE2ELNS1_11target_archE906ELNS1_3gpuE6ELNS1_3repE0EEENS1_30default_config_static_selectorELNS0_4arch9wavefront6targetE1EEEvT1_
; %bb.0:
	.section	.rodata,"a",@progbits
	.p2align	6, 0x0
	.amdhsa_kernel _ZN7rocprim17ROCPRIM_400000_NS6detail17trampoline_kernelINS0_14default_configENS1_20scan_config_selectorIdEEZZNS1_9scan_implILNS1_25lookback_scan_determinismE0ELb0ELb0ES3_PKdPddZZZN2at6native31launch_logcumsumexp_cuda_kernelERKNSB_10TensorBaseESF_lENKUlvE_clEvENKUlvE_clEvEUlddE_dEEDaPvRmT3_T4_T5_mT6_P12ihipStream_tbENKUlT_T0_E_clISt17integral_constantIbLb1EESW_EEDaSR_SS_EUlSR_E_NS1_11comp_targetILNS1_3genE2ELNS1_11target_archE906ELNS1_3gpuE6ELNS1_3repE0EEENS1_30default_config_static_selectorELNS0_4arch9wavefront6targetE1EEEvT1_
		.amdhsa_group_segment_fixed_size 0
		.amdhsa_private_segment_fixed_size 0
		.amdhsa_kernarg_size 104
		.amdhsa_user_sgpr_count 2
		.amdhsa_user_sgpr_dispatch_ptr 0
		.amdhsa_user_sgpr_queue_ptr 0
		.amdhsa_user_sgpr_kernarg_segment_ptr 1
		.amdhsa_user_sgpr_dispatch_id 0
		.amdhsa_user_sgpr_kernarg_preload_length 0
		.amdhsa_user_sgpr_kernarg_preload_offset 0
		.amdhsa_user_sgpr_private_segment_size 0
		.amdhsa_uses_dynamic_stack 0
		.amdhsa_enable_private_segment 0
		.amdhsa_system_sgpr_workgroup_id_x 1
		.amdhsa_system_sgpr_workgroup_id_y 0
		.amdhsa_system_sgpr_workgroup_id_z 0
		.amdhsa_system_sgpr_workgroup_info 0
		.amdhsa_system_vgpr_workitem_id 0
		.amdhsa_next_free_vgpr 1
		.amdhsa_next_free_sgpr 0
		.amdhsa_accum_offset 4
		.amdhsa_reserve_vcc 0
		.amdhsa_float_round_mode_32 0
		.amdhsa_float_round_mode_16_64 0
		.amdhsa_float_denorm_mode_32 3
		.amdhsa_float_denorm_mode_16_64 3
		.amdhsa_dx10_clamp 1
		.amdhsa_ieee_mode 1
		.amdhsa_fp16_overflow 0
		.amdhsa_tg_split 0
		.amdhsa_exception_fp_ieee_invalid_op 0
		.amdhsa_exception_fp_denorm_src 0
		.amdhsa_exception_fp_ieee_div_zero 0
		.amdhsa_exception_fp_ieee_overflow 0
		.amdhsa_exception_fp_ieee_underflow 0
		.amdhsa_exception_fp_ieee_inexact 0
		.amdhsa_exception_int_div_zero 0
	.end_amdhsa_kernel
	.section	.text._ZN7rocprim17ROCPRIM_400000_NS6detail17trampoline_kernelINS0_14default_configENS1_20scan_config_selectorIdEEZZNS1_9scan_implILNS1_25lookback_scan_determinismE0ELb0ELb0ES3_PKdPddZZZN2at6native31launch_logcumsumexp_cuda_kernelERKNSB_10TensorBaseESF_lENKUlvE_clEvENKUlvE_clEvEUlddE_dEEDaPvRmT3_T4_T5_mT6_P12ihipStream_tbENKUlT_T0_E_clISt17integral_constantIbLb1EESW_EEDaSR_SS_EUlSR_E_NS1_11comp_targetILNS1_3genE2ELNS1_11target_archE906ELNS1_3gpuE6ELNS1_3repE0EEENS1_30default_config_static_selectorELNS0_4arch9wavefront6targetE1EEEvT1_,"axG",@progbits,_ZN7rocprim17ROCPRIM_400000_NS6detail17trampoline_kernelINS0_14default_configENS1_20scan_config_selectorIdEEZZNS1_9scan_implILNS1_25lookback_scan_determinismE0ELb0ELb0ES3_PKdPddZZZN2at6native31launch_logcumsumexp_cuda_kernelERKNSB_10TensorBaseESF_lENKUlvE_clEvENKUlvE_clEvEUlddE_dEEDaPvRmT3_T4_T5_mT6_P12ihipStream_tbENKUlT_T0_E_clISt17integral_constantIbLb1EESW_EEDaSR_SS_EUlSR_E_NS1_11comp_targetILNS1_3genE2ELNS1_11target_archE906ELNS1_3gpuE6ELNS1_3repE0EEENS1_30default_config_static_selectorELNS0_4arch9wavefront6targetE1EEEvT1_,comdat
.Lfunc_end32:
	.size	_ZN7rocprim17ROCPRIM_400000_NS6detail17trampoline_kernelINS0_14default_configENS1_20scan_config_selectorIdEEZZNS1_9scan_implILNS1_25lookback_scan_determinismE0ELb0ELb0ES3_PKdPddZZZN2at6native31launch_logcumsumexp_cuda_kernelERKNSB_10TensorBaseESF_lENKUlvE_clEvENKUlvE_clEvEUlddE_dEEDaPvRmT3_T4_T5_mT6_P12ihipStream_tbENKUlT_T0_E_clISt17integral_constantIbLb1EESW_EEDaSR_SS_EUlSR_E_NS1_11comp_targetILNS1_3genE2ELNS1_11target_archE906ELNS1_3gpuE6ELNS1_3repE0EEENS1_30default_config_static_selectorELNS0_4arch9wavefront6targetE1EEEvT1_, .Lfunc_end32-_ZN7rocprim17ROCPRIM_400000_NS6detail17trampoline_kernelINS0_14default_configENS1_20scan_config_selectorIdEEZZNS1_9scan_implILNS1_25lookback_scan_determinismE0ELb0ELb0ES3_PKdPddZZZN2at6native31launch_logcumsumexp_cuda_kernelERKNSB_10TensorBaseESF_lENKUlvE_clEvENKUlvE_clEvEUlddE_dEEDaPvRmT3_T4_T5_mT6_P12ihipStream_tbENKUlT_T0_E_clISt17integral_constantIbLb1EESW_EEDaSR_SS_EUlSR_E_NS1_11comp_targetILNS1_3genE2ELNS1_11target_archE906ELNS1_3gpuE6ELNS1_3repE0EEENS1_30default_config_static_selectorELNS0_4arch9wavefront6targetE1EEEvT1_
                                        ; -- End function
	.set _ZN7rocprim17ROCPRIM_400000_NS6detail17trampoline_kernelINS0_14default_configENS1_20scan_config_selectorIdEEZZNS1_9scan_implILNS1_25lookback_scan_determinismE0ELb0ELb0ES3_PKdPddZZZN2at6native31launch_logcumsumexp_cuda_kernelERKNSB_10TensorBaseESF_lENKUlvE_clEvENKUlvE_clEvEUlddE_dEEDaPvRmT3_T4_T5_mT6_P12ihipStream_tbENKUlT_T0_E_clISt17integral_constantIbLb1EESW_EEDaSR_SS_EUlSR_E_NS1_11comp_targetILNS1_3genE2ELNS1_11target_archE906ELNS1_3gpuE6ELNS1_3repE0EEENS1_30default_config_static_selectorELNS0_4arch9wavefront6targetE1EEEvT1_.num_vgpr, 0
	.set _ZN7rocprim17ROCPRIM_400000_NS6detail17trampoline_kernelINS0_14default_configENS1_20scan_config_selectorIdEEZZNS1_9scan_implILNS1_25lookback_scan_determinismE0ELb0ELb0ES3_PKdPddZZZN2at6native31launch_logcumsumexp_cuda_kernelERKNSB_10TensorBaseESF_lENKUlvE_clEvENKUlvE_clEvEUlddE_dEEDaPvRmT3_T4_T5_mT6_P12ihipStream_tbENKUlT_T0_E_clISt17integral_constantIbLb1EESW_EEDaSR_SS_EUlSR_E_NS1_11comp_targetILNS1_3genE2ELNS1_11target_archE906ELNS1_3gpuE6ELNS1_3repE0EEENS1_30default_config_static_selectorELNS0_4arch9wavefront6targetE1EEEvT1_.num_agpr, 0
	.set _ZN7rocprim17ROCPRIM_400000_NS6detail17trampoline_kernelINS0_14default_configENS1_20scan_config_selectorIdEEZZNS1_9scan_implILNS1_25lookback_scan_determinismE0ELb0ELb0ES3_PKdPddZZZN2at6native31launch_logcumsumexp_cuda_kernelERKNSB_10TensorBaseESF_lENKUlvE_clEvENKUlvE_clEvEUlddE_dEEDaPvRmT3_T4_T5_mT6_P12ihipStream_tbENKUlT_T0_E_clISt17integral_constantIbLb1EESW_EEDaSR_SS_EUlSR_E_NS1_11comp_targetILNS1_3genE2ELNS1_11target_archE906ELNS1_3gpuE6ELNS1_3repE0EEENS1_30default_config_static_selectorELNS0_4arch9wavefront6targetE1EEEvT1_.numbered_sgpr, 0
	.set _ZN7rocprim17ROCPRIM_400000_NS6detail17trampoline_kernelINS0_14default_configENS1_20scan_config_selectorIdEEZZNS1_9scan_implILNS1_25lookback_scan_determinismE0ELb0ELb0ES3_PKdPddZZZN2at6native31launch_logcumsumexp_cuda_kernelERKNSB_10TensorBaseESF_lENKUlvE_clEvENKUlvE_clEvEUlddE_dEEDaPvRmT3_T4_T5_mT6_P12ihipStream_tbENKUlT_T0_E_clISt17integral_constantIbLb1EESW_EEDaSR_SS_EUlSR_E_NS1_11comp_targetILNS1_3genE2ELNS1_11target_archE906ELNS1_3gpuE6ELNS1_3repE0EEENS1_30default_config_static_selectorELNS0_4arch9wavefront6targetE1EEEvT1_.num_named_barrier, 0
	.set _ZN7rocprim17ROCPRIM_400000_NS6detail17trampoline_kernelINS0_14default_configENS1_20scan_config_selectorIdEEZZNS1_9scan_implILNS1_25lookback_scan_determinismE0ELb0ELb0ES3_PKdPddZZZN2at6native31launch_logcumsumexp_cuda_kernelERKNSB_10TensorBaseESF_lENKUlvE_clEvENKUlvE_clEvEUlddE_dEEDaPvRmT3_T4_T5_mT6_P12ihipStream_tbENKUlT_T0_E_clISt17integral_constantIbLb1EESW_EEDaSR_SS_EUlSR_E_NS1_11comp_targetILNS1_3genE2ELNS1_11target_archE906ELNS1_3gpuE6ELNS1_3repE0EEENS1_30default_config_static_selectorELNS0_4arch9wavefront6targetE1EEEvT1_.private_seg_size, 0
	.set _ZN7rocprim17ROCPRIM_400000_NS6detail17trampoline_kernelINS0_14default_configENS1_20scan_config_selectorIdEEZZNS1_9scan_implILNS1_25lookback_scan_determinismE0ELb0ELb0ES3_PKdPddZZZN2at6native31launch_logcumsumexp_cuda_kernelERKNSB_10TensorBaseESF_lENKUlvE_clEvENKUlvE_clEvEUlddE_dEEDaPvRmT3_T4_T5_mT6_P12ihipStream_tbENKUlT_T0_E_clISt17integral_constantIbLb1EESW_EEDaSR_SS_EUlSR_E_NS1_11comp_targetILNS1_3genE2ELNS1_11target_archE906ELNS1_3gpuE6ELNS1_3repE0EEENS1_30default_config_static_selectorELNS0_4arch9wavefront6targetE1EEEvT1_.uses_vcc, 0
	.set _ZN7rocprim17ROCPRIM_400000_NS6detail17trampoline_kernelINS0_14default_configENS1_20scan_config_selectorIdEEZZNS1_9scan_implILNS1_25lookback_scan_determinismE0ELb0ELb0ES3_PKdPddZZZN2at6native31launch_logcumsumexp_cuda_kernelERKNSB_10TensorBaseESF_lENKUlvE_clEvENKUlvE_clEvEUlddE_dEEDaPvRmT3_T4_T5_mT6_P12ihipStream_tbENKUlT_T0_E_clISt17integral_constantIbLb1EESW_EEDaSR_SS_EUlSR_E_NS1_11comp_targetILNS1_3genE2ELNS1_11target_archE906ELNS1_3gpuE6ELNS1_3repE0EEENS1_30default_config_static_selectorELNS0_4arch9wavefront6targetE1EEEvT1_.uses_flat_scratch, 0
	.set _ZN7rocprim17ROCPRIM_400000_NS6detail17trampoline_kernelINS0_14default_configENS1_20scan_config_selectorIdEEZZNS1_9scan_implILNS1_25lookback_scan_determinismE0ELb0ELb0ES3_PKdPddZZZN2at6native31launch_logcumsumexp_cuda_kernelERKNSB_10TensorBaseESF_lENKUlvE_clEvENKUlvE_clEvEUlddE_dEEDaPvRmT3_T4_T5_mT6_P12ihipStream_tbENKUlT_T0_E_clISt17integral_constantIbLb1EESW_EEDaSR_SS_EUlSR_E_NS1_11comp_targetILNS1_3genE2ELNS1_11target_archE906ELNS1_3gpuE6ELNS1_3repE0EEENS1_30default_config_static_selectorELNS0_4arch9wavefront6targetE1EEEvT1_.has_dyn_sized_stack, 0
	.set _ZN7rocprim17ROCPRIM_400000_NS6detail17trampoline_kernelINS0_14default_configENS1_20scan_config_selectorIdEEZZNS1_9scan_implILNS1_25lookback_scan_determinismE0ELb0ELb0ES3_PKdPddZZZN2at6native31launch_logcumsumexp_cuda_kernelERKNSB_10TensorBaseESF_lENKUlvE_clEvENKUlvE_clEvEUlddE_dEEDaPvRmT3_T4_T5_mT6_P12ihipStream_tbENKUlT_T0_E_clISt17integral_constantIbLb1EESW_EEDaSR_SS_EUlSR_E_NS1_11comp_targetILNS1_3genE2ELNS1_11target_archE906ELNS1_3gpuE6ELNS1_3repE0EEENS1_30default_config_static_selectorELNS0_4arch9wavefront6targetE1EEEvT1_.has_recursion, 0
	.set _ZN7rocprim17ROCPRIM_400000_NS6detail17trampoline_kernelINS0_14default_configENS1_20scan_config_selectorIdEEZZNS1_9scan_implILNS1_25lookback_scan_determinismE0ELb0ELb0ES3_PKdPddZZZN2at6native31launch_logcumsumexp_cuda_kernelERKNSB_10TensorBaseESF_lENKUlvE_clEvENKUlvE_clEvEUlddE_dEEDaPvRmT3_T4_T5_mT6_P12ihipStream_tbENKUlT_T0_E_clISt17integral_constantIbLb1EESW_EEDaSR_SS_EUlSR_E_NS1_11comp_targetILNS1_3genE2ELNS1_11target_archE906ELNS1_3gpuE6ELNS1_3repE0EEENS1_30default_config_static_selectorELNS0_4arch9wavefront6targetE1EEEvT1_.has_indirect_call, 0
	.section	.AMDGPU.csdata,"",@progbits
; Kernel info:
; codeLenInByte = 0
; TotalNumSgprs: 6
; NumVgprs: 0
; NumAgprs: 0
; TotalNumVgprs: 0
; ScratchSize: 0
; MemoryBound: 0
; FloatMode: 240
; IeeeMode: 1
; LDSByteSize: 0 bytes/workgroup (compile time only)
; SGPRBlocks: 0
; VGPRBlocks: 0
; NumSGPRsForWavesPerEU: 6
; NumVGPRsForWavesPerEU: 1
; AccumOffset: 4
; Occupancy: 8
; WaveLimiterHint : 0
; COMPUTE_PGM_RSRC2:SCRATCH_EN: 0
; COMPUTE_PGM_RSRC2:USER_SGPR: 2
; COMPUTE_PGM_RSRC2:TRAP_HANDLER: 0
; COMPUTE_PGM_RSRC2:TGID_X_EN: 1
; COMPUTE_PGM_RSRC2:TGID_Y_EN: 0
; COMPUTE_PGM_RSRC2:TGID_Z_EN: 0
; COMPUTE_PGM_RSRC2:TIDIG_COMP_CNT: 0
; COMPUTE_PGM_RSRC3_GFX90A:ACCUM_OFFSET: 0
; COMPUTE_PGM_RSRC3_GFX90A:TG_SPLIT: 0
	.section	.text._ZN7rocprim17ROCPRIM_400000_NS6detail17trampoline_kernelINS0_14default_configENS1_20scan_config_selectorIdEEZZNS1_9scan_implILNS1_25lookback_scan_determinismE0ELb0ELb0ES3_PKdPddZZZN2at6native31launch_logcumsumexp_cuda_kernelERKNSB_10TensorBaseESF_lENKUlvE_clEvENKUlvE_clEvEUlddE_dEEDaPvRmT3_T4_T5_mT6_P12ihipStream_tbENKUlT_T0_E_clISt17integral_constantIbLb1EESW_EEDaSR_SS_EUlSR_E_NS1_11comp_targetILNS1_3genE10ELNS1_11target_archE1201ELNS1_3gpuE5ELNS1_3repE0EEENS1_30default_config_static_selectorELNS0_4arch9wavefront6targetE1EEEvT1_,"axG",@progbits,_ZN7rocprim17ROCPRIM_400000_NS6detail17trampoline_kernelINS0_14default_configENS1_20scan_config_selectorIdEEZZNS1_9scan_implILNS1_25lookback_scan_determinismE0ELb0ELb0ES3_PKdPddZZZN2at6native31launch_logcumsumexp_cuda_kernelERKNSB_10TensorBaseESF_lENKUlvE_clEvENKUlvE_clEvEUlddE_dEEDaPvRmT3_T4_T5_mT6_P12ihipStream_tbENKUlT_T0_E_clISt17integral_constantIbLb1EESW_EEDaSR_SS_EUlSR_E_NS1_11comp_targetILNS1_3genE10ELNS1_11target_archE1201ELNS1_3gpuE5ELNS1_3repE0EEENS1_30default_config_static_selectorELNS0_4arch9wavefront6targetE1EEEvT1_,comdat
	.globl	_ZN7rocprim17ROCPRIM_400000_NS6detail17trampoline_kernelINS0_14default_configENS1_20scan_config_selectorIdEEZZNS1_9scan_implILNS1_25lookback_scan_determinismE0ELb0ELb0ES3_PKdPddZZZN2at6native31launch_logcumsumexp_cuda_kernelERKNSB_10TensorBaseESF_lENKUlvE_clEvENKUlvE_clEvEUlddE_dEEDaPvRmT3_T4_T5_mT6_P12ihipStream_tbENKUlT_T0_E_clISt17integral_constantIbLb1EESW_EEDaSR_SS_EUlSR_E_NS1_11comp_targetILNS1_3genE10ELNS1_11target_archE1201ELNS1_3gpuE5ELNS1_3repE0EEENS1_30default_config_static_selectorELNS0_4arch9wavefront6targetE1EEEvT1_ ; -- Begin function _ZN7rocprim17ROCPRIM_400000_NS6detail17trampoline_kernelINS0_14default_configENS1_20scan_config_selectorIdEEZZNS1_9scan_implILNS1_25lookback_scan_determinismE0ELb0ELb0ES3_PKdPddZZZN2at6native31launch_logcumsumexp_cuda_kernelERKNSB_10TensorBaseESF_lENKUlvE_clEvENKUlvE_clEvEUlddE_dEEDaPvRmT3_T4_T5_mT6_P12ihipStream_tbENKUlT_T0_E_clISt17integral_constantIbLb1EESW_EEDaSR_SS_EUlSR_E_NS1_11comp_targetILNS1_3genE10ELNS1_11target_archE1201ELNS1_3gpuE5ELNS1_3repE0EEENS1_30default_config_static_selectorELNS0_4arch9wavefront6targetE1EEEvT1_
	.p2align	8
	.type	_ZN7rocprim17ROCPRIM_400000_NS6detail17trampoline_kernelINS0_14default_configENS1_20scan_config_selectorIdEEZZNS1_9scan_implILNS1_25lookback_scan_determinismE0ELb0ELb0ES3_PKdPddZZZN2at6native31launch_logcumsumexp_cuda_kernelERKNSB_10TensorBaseESF_lENKUlvE_clEvENKUlvE_clEvEUlddE_dEEDaPvRmT3_T4_T5_mT6_P12ihipStream_tbENKUlT_T0_E_clISt17integral_constantIbLb1EESW_EEDaSR_SS_EUlSR_E_NS1_11comp_targetILNS1_3genE10ELNS1_11target_archE1201ELNS1_3gpuE5ELNS1_3repE0EEENS1_30default_config_static_selectorELNS0_4arch9wavefront6targetE1EEEvT1_,@function
_ZN7rocprim17ROCPRIM_400000_NS6detail17trampoline_kernelINS0_14default_configENS1_20scan_config_selectorIdEEZZNS1_9scan_implILNS1_25lookback_scan_determinismE0ELb0ELb0ES3_PKdPddZZZN2at6native31launch_logcumsumexp_cuda_kernelERKNSB_10TensorBaseESF_lENKUlvE_clEvENKUlvE_clEvEUlddE_dEEDaPvRmT3_T4_T5_mT6_P12ihipStream_tbENKUlT_T0_E_clISt17integral_constantIbLb1EESW_EEDaSR_SS_EUlSR_E_NS1_11comp_targetILNS1_3genE10ELNS1_11target_archE1201ELNS1_3gpuE5ELNS1_3repE0EEENS1_30default_config_static_selectorELNS0_4arch9wavefront6targetE1EEEvT1_: ; @_ZN7rocprim17ROCPRIM_400000_NS6detail17trampoline_kernelINS0_14default_configENS1_20scan_config_selectorIdEEZZNS1_9scan_implILNS1_25lookback_scan_determinismE0ELb0ELb0ES3_PKdPddZZZN2at6native31launch_logcumsumexp_cuda_kernelERKNSB_10TensorBaseESF_lENKUlvE_clEvENKUlvE_clEvEUlddE_dEEDaPvRmT3_T4_T5_mT6_P12ihipStream_tbENKUlT_T0_E_clISt17integral_constantIbLb1EESW_EEDaSR_SS_EUlSR_E_NS1_11comp_targetILNS1_3genE10ELNS1_11target_archE1201ELNS1_3gpuE5ELNS1_3repE0EEENS1_30default_config_static_selectorELNS0_4arch9wavefront6targetE1EEEvT1_
; %bb.0:
	.section	.rodata,"a",@progbits
	.p2align	6, 0x0
	.amdhsa_kernel _ZN7rocprim17ROCPRIM_400000_NS6detail17trampoline_kernelINS0_14default_configENS1_20scan_config_selectorIdEEZZNS1_9scan_implILNS1_25lookback_scan_determinismE0ELb0ELb0ES3_PKdPddZZZN2at6native31launch_logcumsumexp_cuda_kernelERKNSB_10TensorBaseESF_lENKUlvE_clEvENKUlvE_clEvEUlddE_dEEDaPvRmT3_T4_T5_mT6_P12ihipStream_tbENKUlT_T0_E_clISt17integral_constantIbLb1EESW_EEDaSR_SS_EUlSR_E_NS1_11comp_targetILNS1_3genE10ELNS1_11target_archE1201ELNS1_3gpuE5ELNS1_3repE0EEENS1_30default_config_static_selectorELNS0_4arch9wavefront6targetE1EEEvT1_
		.amdhsa_group_segment_fixed_size 0
		.amdhsa_private_segment_fixed_size 0
		.amdhsa_kernarg_size 104
		.amdhsa_user_sgpr_count 2
		.amdhsa_user_sgpr_dispatch_ptr 0
		.amdhsa_user_sgpr_queue_ptr 0
		.amdhsa_user_sgpr_kernarg_segment_ptr 1
		.amdhsa_user_sgpr_dispatch_id 0
		.amdhsa_user_sgpr_kernarg_preload_length 0
		.amdhsa_user_sgpr_kernarg_preload_offset 0
		.amdhsa_user_sgpr_private_segment_size 0
		.amdhsa_uses_dynamic_stack 0
		.amdhsa_enable_private_segment 0
		.amdhsa_system_sgpr_workgroup_id_x 1
		.amdhsa_system_sgpr_workgroup_id_y 0
		.amdhsa_system_sgpr_workgroup_id_z 0
		.amdhsa_system_sgpr_workgroup_info 0
		.amdhsa_system_vgpr_workitem_id 0
		.amdhsa_next_free_vgpr 1
		.amdhsa_next_free_sgpr 0
		.amdhsa_accum_offset 4
		.amdhsa_reserve_vcc 0
		.amdhsa_float_round_mode_32 0
		.amdhsa_float_round_mode_16_64 0
		.amdhsa_float_denorm_mode_32 3
		.amdhsa_float_denorm_mode_16_64 3
		.amdhsa_dx10_clamp 1
		.amdhsa_ieee_mode 1
		.amdhsa_fp16_overflow 0
		.amdhsa_tg_split 0
		.amdhsa_exception_fp_ieee_invalid_op 0
		.amdhsa_exception_fp_denorm_src 0
		.amdhsa_exception_fp_ieee_div_zero 0
		.amdhsa_exception_fp_ieee_overflow 0
		.amdhsa_exception_fp_ieee_underflow 0
		.amdhsa_exception_fp_ieee_inexact 0
		.amdhsa_exception_int_div_zero 0
	.end_amdhsa_kernel
	.section	.text._ZN7rocprim17ROCPRIM_400000_NS6detail17trampoline_kernelINS0_14default_configENS1_20scan_config_selectorIdEEZZNS1_9scan_implILNS1_25lookback_scan_determinismE0ELb0ELb0ES3_PKdPddZZZN2at6native31launch_logcumsumexp_cuda_kernelERKNSB_10TensorBaseESF_lENKUlvE_clEvENKUlvE_clEvEUlddE_dEEDaPvRmT3_T4_T5_mT6_P12ihipStream_tbENKUlT_T0_E_clISt17integral_constantIbLb1EESW_EEDaSR_SS_EUlSR_E_NS1_11comp_targetILNS1_3genE10ELNS1_11target_archE1201ELNS1_3gpuE5ELNS1_3repE0EEENS1_30default_config_static_selectorELNS0_4arch9wavefront6targetE1EEEvT1_,"axG",@progbits,_ZN7rocprim17ROCPRIM_400000_NS6detail17trampoline_kernelINS0_14default_configENS1_20scan_config_selectorIdEEZZNS1_9scan_implILNS1_25lookback_scan_determinismE0ELb0ELb0ES3_PKdPddZZZN2at6native31launch_logcumsumexp_cuda_kernelERKNSB_10TensorBaseESF_lENKUlvE_clEvENKUlvE_clEvEUlddE_dEEDaPvRmT3_T4_T5_mT6_P12ihipStream_tbENKUlT_T0_E_clISt17integral_constantIbLb1EESW_EEDaSR_SS_EUlSR_E_NS1_11comp_targetILNS1_3genE10ELNS1_11target_archE1201ELNS1_3gpuE5ELNS1_3repE0EEENS1_30default_config_static_selectorELNS0_4arch9wavefront6targetE1EEEvT1_,comdat
.Lfunc_end33:
	.size	_ZN7rocprim17ROCPRIM_400000_NS6detail17trampoline_kernelINS0_14default_configENS1_20scan_config_selectorIdEEZZNS1_9scan_implILNS1_25lookback_scan_determinismE0ELb0ELb0ES3_PKdPddZZZN2at6native31launch_logcumsumexp_cuda_kernelERKNSB_10TensorBaseESF_lENKUlvE_clEvENKUlvE_clEvEUlddE_dEEDaPvRmT3_T4_T5_mT6_P12ihipStream_tbENKUlT_T0_E_clISt17integral_constantIbLb1EESW_EEDaSR_SS_EUlSR_E_NS1_11comp_targetILNS1_3genE10ELNS1_11target_archE1201ELNS1_3gpuE5ELNS1_3repE0EEENS1_30default_config_static_selectorELNS0_4arch9wavefront6targetE1EEEvT1_, .Lfunc_end33-_ZN7rocprim17ROCPRIM_400000_NS6detail17trampoline_kernelINS0_14default_configENS1_20scan_config_selectorIdEEZZNS1_9scan_implILNS1_25lookback_scan_determinismE0ELb0ELb0ES3_PKdPddZZZN2at6native31launch_logcumsumexp_cuda_kernelERKNSB_10TensorBaseESF_lENKUlvE_clEvENKUlvE_clEvEUlddE_dEEDaPvRmT3_T4_T5_mT6_P12ihipStream_tbENKUlT_T0_E_clISt17integral_constantIbLb1EESW_EEDaSR_SS_EUlSR_E_NS1_11comp_targetILNS1_3genE10ELNS1_11target_archE1201ELNS1_3gpuE5ELNS1_3repE0EEENS1_30default_config_static_selectorELNS0_4arch9wavefront6targetE1EEEvT1_
                                        ; -- End function
	.set _ZN7rocprim17ROCPRIM_400000_NS6detail17trampoline_kernelINS0_14default_configENS1_20scan_config_selectorIdEEZZNS1_9scan_implILNS1_25lookback_scan_determinismE0ELb0ELb0ES3_PKdPddZZZN2at6native31launch_logcumsumexp_cuda_kernelERKNSB_10TensorBaseESF_lENKUlvE_clEvENKUlvE_clEvEUlddE_dEEDaPvRmT3_T4_T5_mT6_P12ihipStream_tbENKUlT_T0_E_clISt17integral_constantIbLb1EESW_EEDaSR_SS_EUlSR_E_NS1_11comp_targetILNS1_3genE10ELNS1_11target_archE1201ELNS1_3gpuE5ELNS1_3repE0EEENS1_30default_config_static_selectorELNS0_4arch9wavefront6targetE1EEEvT1_.num_vgpr, 0
	.set _ZN7rocprim17ROCPRIM_400000_NS6detail17trampoline_kernelINS0_14default_configENS1_20scan_config_selectorIdEEZZNS1_9scan_implILNS1_25lookback_scan_determinismE0ELb0ELb0ES3_PKdPddZZZN2at6native31launch_logcumsumexp_cuda_kernelERKNSB_10TensorBaseESF_lENKUlvE_clEvENKUlvE_clEvEUlddE_dEEDaPvRmT3_T4_T5_mT6_P12ihipStream_tbENKUlT_T0_E_clISt17integral_constantIbLb1EESW_EEDaSR_SS_EUlSR_E_NS1_11comp_targetILNS1_3genE10ELNS1_11target_archE1201ELNS1_3gpuE5ELNS1_3repE0EEENS1_30default_config_static_selectorELNS0_4arch9wavefront6targetE1EEEvT1_.num_agpr, 0
	.set _ZN7rocprim17ROCPRIM_400000_NS6detail17trampoline_kernelINS0_14default_configENS1_20scan_config_selectorIdEEZZNS1_9scan_implILNS1_25lookback_scan_determinismE0ELb0ELb0ES3_PKdPddZZZN2at6native31launch_logcumsumexp_cuda_kernelERKNSB_10TensorBaseESF_lENKUlvE_clEvENKUlvE_clEvEUlddE_dEEDaPvRmT3_T4_T5_mT6_P12ihipStream_tbENKUlT_T0_E_clISt17integral_constantIbLb1EESW_EEDaSR_SS_EUlSR_E_NS1_11comp_targetILNS1_3genE10ELNS1_11target_archE1201ELNS1_3gpuE5ELNS1_3repE0EEENS1_30default_config_static_selectorELNS0_4arch9wavefront6targetE1EEEvT1_.numbered_sgpr, 0
	.set _ZN7rocprim17ROCPRIM_400000_NS6detail17trampoline_kernelINS0_14default_configENS1_20scan_config_selectorIdEEZZNS1_9scan_implILNS1_25lookback_scan_determinismE0ELb0ELb0ES3_PKdPddZZZN2at6native31launch_logcumsumexp_cuda_kernelERKNSB_10TensorBaseESF_lENKUlvE_clEvENKUlvE_clEvEUlddE_dEEDaPvRmT3_T4_T5_mT6_P12ihipStream_tbENKUlT_T0_E_clISt17integral_constantIbLb1EESW_EEDaSR_SS_EUlSR_E_NS1_11comp_targetILNS1_3genE10ELNS1_11target_archE1201ELNS1_3gpuE5ELNS1_3repE0EEENS1_30default_config_static_selectorELNS0_4arch9wavefront6targetE1EEEvT1_.num_named_barrier, 0
	.set _ZN7rocprim17ROCPRIM_400000_NS6detail17trampoline_kernelINS0_14default_configENS1_20scan_config_selectorIdEEZZNS1_9scan_implILNS1_25lookback_scan_determinismE0ELb0ELb0ES3_PKdPddZZZN2at6native31launch_logcumsumexp_cuda_kernelERKNSB_10TensorBaseESF_lENKUlvE_clEvENKUlvE_clEvEUlddE_dEEDaPvRmT3_T4_T5_mT6_P12ihipStream_tbENKUlT_T0_E_clISt17integral_constantIbLb1EESW_EEDaSR_SS_EUlSR_E_NS1_11comp_targetILNS1_3genE10ELNS1_11target_archE1201ELNS1_3gpuE5ELNS1_3repE0EEENS1_30default_config_static_selectorELNS0_4arch9wavefront6targetE1EEEvT1_.private_seg_size, 0
	.set _ZN7rocprim17ROCPRIM_400000_NS6detail17trampoline_kernelINS0_14default_configENS1_20scan_config_selectorIdEEZZNS1_9scan_implILNS1_25lookback_scan_determinismE0ELb0ELb0ES3_PKdPddZZZN2at6native31launch_logcumsumexp_cuda_kernelERKNSB_10TensorBaseESF_lENKUlvE_clEvENKUlvE_clEvEUlddE_dEEDaPvRmT3_T4_T5_mT6_P12ihipStream_tbENKUlT_T0_E_clISt17integral_constantIbLb1EESW_EEDaSR_SS_EUlSR_E_NS1_11comp_targetILNS1_3genE10ELNS1_11target_archE1201ELNS1_3gpuE5ELNS1_3repE0EEENS1_30default_config_static_selectorELNS0_4arch9wavefront6targetE1EEEvT1_.uses_vcc, 0
	.set _ZN7rocprim17ROCPRIM_400000_NS6detail17trampoline_kernelINS0_14default_configENS1_20scan_config_selectorIdEEZZNS1_9scan_implILNS1_25lookback_scan_determinismE0ELb0ELb0ES3_PKdPddZZZN2at6native31launch_logcumsumexp_cuda_kernelERKNSB_10TensorBaseESF_lENKUlvE_clEvENKUlvE_clEvEUlddE_dEEDaPvRmT3_T4_T5_mT6_P12ihipStream_tbENKUlT_T0_E_clISt17integral_constantIbLb1EESW_EEDaSR_SS_EUlSR_E_NS1_11comp_targetILNS1_3genE10ELNS1_11target_archE1201ELNS1_3gpuE5ELNS1_3repE0EEENS1_30default_config_static_selectorELNS0_4arch9wavefront6targetE1EEEvT1_.uses_flat_scratch, 0
	.set _ZN7rocprim17ROCPRIM_400000_NS6detail17trampoline_kernelINS0_14default_configENS1_20scan_config_selectorIdEEZZNS1_9scan_implILNS1_25lookback_scan_determinismE0ELb0ELb0ES3_PKdPddZZZN2at6native31launch_logcumsumexp_cuda_kernelERKNSB_10TensorBaseESF_lENKUlvE_clEvENKUlvE_clEvEUlddE_dEEDaPvRmT3_T4_T5_mT6_P12ihipStream_tbENKUlT_T0_E_clISt17integral_constantIbLb1EESW_EEDaSR_SS_EUlSR_E_NS1_11comp_targetILNS1_3genE10ELNS1_11target_archE1201ELNS1_3gpuE5ELNS1_3repE0EEENS1_30default_config_static_selectorELNS0_4arch9wavefront6targetE1EEEvT1_.has_dyn_sized_stack, 0
	.set _ZN7rocprim17ROCPRIM_400000_NS6detail17trampoline_kernelINS0_14default_configENS1_20scan_config_selectorIdEEZZNS1_9scan_implILNS1_25lookback_scan_determinismE0ELb0ELb0ES3_PKdPddZZZN2at6native31launch_logcumsumexp_cuda_kernelERKNSB_10TensorBaseESF_lENKUlvE_clEvENKUlvE_clEvEUlddE_dEEDaPvRmT3_T4_T5_mT6_P12ihipStream_tbENKUlT_T0_E_clISt17integral_constantIbLb1EESW_EEDaSR_SS_EUlSR_E_NS1_11comp_targetILNS1_3genE10ELNS1_11target_archE1201ELNS1_3gpuE5ELNS1_3repE0EEENS1_30default_config_static_selectorELNS0_4arch9wavefront6targetE1EEEvT1_.has_recursion, 0
	.set _ZN7rocprim17ROCPRIM_400000_NS6detail17trampoline_kernelINS0_14default_configENS1_20scan_config_selectorIdEEZZNS1_9scan_implILNS1_25lookback_scan_determinismE0ELb0ELb0ES3_PKdPddZZZN2at6native31launch_logcumsumexp_cuda_kernelERKNSB_10TensorBaseESF_lENKUlvE_clEvENKUlvE_clEvEUlddE_dEEDaPvRmT3_T4_T5_mT6_P12ihipStream_tbENKUlT_T0_E_clISt17integral_constantIbLb1EESW_EEDaSR_SS_EUlSR_E_NS1_11comp_targetILNS1_3genE10ELNS1_11target_archE1201ELNS1_3gpuE5ELNS1_3repE0EEENS1_30default_config_static_selectorELNS0_4arch9wavefront6targetE1EEEvT1_.has_indirect_call, 0
	.section	.AMDGPU.csdata,"",@progbits
; Kernel info:
; codeLenInByte = 0
; TotalNumSgprs: 6
; NumVgprs: 0
; NumAgprs: 0
; TotalNumVgprs: 0
; ScratchSize: 0
; MemoryBound: 0
; FloatMode: 240
; IeeeMode: 1
; LDSByteSize: 0 bytes/workgroup (compile time only)
; SGPRBlocks: 0
; VGPRBlocks: 0
; NumSGPRsForWavesPerEU: 6
; NumVGPRsForWavesPerEU: 1
; AccumOffset: 4
; Occupancy: 8
; WaveLimiterHint : 0
; COMPUTE_PGM_RSRC2:SCRATCH_EN: 0
; COMPUTE_PGM_RSRC2:USER_SGPR: 2
; COMPUTE_PGM_RSRC2:TRAP_HANDLER: 0
; COMPUTE_PGM_RSRC2:TGID_X_EN: 1
; COMPUTE_PGM_RSRC2:TGID_Y_EN: 0
; COMPUTE_PGM_RSRC2:TGID_Z_EN: 0
; COMPUTE_PGM_RSRC2:TIDIG_COMP_CNT: 0
; COMPUTE_PGM_RSRC3_GFX90A:ACCUM_OFFSET: 0
; COMPUTE_PGM_RSRC3_GFX90A:TG_SPLIT: 0
	.section	.text._ZN7rocprim17ROCPRIM_400000_NS6detail17trampoline_kernelINS0_14default_configENS1_20scan_config_selectorIdEEZZNS1_9scan_implILNS1_25lookback_scan_determinismE0ELb0ELb0ES3_PKdPddZZZN2at6native31launch_logcumsumexp_cuda_kernelERKNSB_10TensorBaseESF_lENKUlvE_clEvENKUlvE_clEvEUlddE_dEEDaPvRmT3_T4_T5_mT6_P12ihipStream_tbENKUlT_T0_E_clISt17integral_constantIbLb1EESW_EEDaSR_SS_EUlSR_E_NS1_11comp_targetILNS1_3genE10ELNS1_11target_archE1200ELNS1_3gpuE4ELNS1_3repE0EEENS1_30default_config_static_selectorELNS0_4arch9wavefront6targetE1EEEvT1_,"axG",@progbits,_ZN7rocprim17ROCPRIM_400000_NS6detail17trampoline_kernelINS0_14default_configENS1_20scan_config_selectorIdEEZZNS1_9scan_implILNS1_25lookback_scan_determinismE0ELb0ELb0ES3_PKdPddZZZN2at6native31launch_logcumsumexp_cuda_kernelERKNSB_10TensorBaseESF_lENKUlvE_clEvENKUlvE_clEvEUlddE_dEEDaPvRmT3_T4_T5_mT6_P12ihipStream_tbENKUlT_T0_E_clISt17integral_constantIbLb1EESW_EEDaSR_SS_EUlSR_E_NS1_11comp_targetILNS1_3genE10ELNS1_11target_archE1200ELNS1_3gpuE4ELNS1_3repE0EEENS1_30default_config_static_selectorELNS0_4arch9wavefront6targetE1EEEvT1_,comdat
	.globl	_ZN7rocprim17ROCPRIM_400000_NS6detail17trampoline_kernelINS0_14default_configENS1_20scan_config_selectorIdEEZZNS1_9scan_implILNS1_25lookback_scan_determinismE0ELb0ELb0ES3_PKdPddZZZN2at6native31launch_logcumsumexp_cuda_kernelERKNSB_10TensorBaseESF_lENKUlvE_clEvENKUlvE_clEvEUlddE_dEEDaPvRmT3_T4_T5_mT6_P12ihipStream_tbENKUlT_T0_E_clISt17integral_constantIbLb1EESW_EEDaSR_SS_EUlSR_E_NS1_11comp_targetILNS1_3genE10ELNS1_11target_archE1200ELNS1_3gpuE4ELNS1_3repE0EEENS1_30default_config_static_selectorELNS0_4arch9wavefront6targetE1EEEvT1_ ; -- Begin function _ZN7rocprim17ROCPRIM_400000_NS6detail17trampoline_kernelINS0_14default_configENS1_20scan_config_selectorIdEEZZNS1_9scan_implILNS1_25lookback_scan_determinismE0ELb0ELb0ES3_PKdPddZZZN2at6native31launch_logcumsumexp_cuda_kernelERKNSB_10TensorBaseESF_lENKUlvE_clEvENKUlvE_clEvEUlddE_dEEDaPvRmT3_T4_T5_mT6_P12ihipStream_tbENKUlT_T0_E_clISt17integral_constantIbLb1EESW_EEDaSR_SS_EUlSR_E_NS1_11comp_targetILNS1_3genE10ELNS1_11target_archE1200ELNS1_3gpuE4ELNS1_3repE0EEENS1_30default_config_static_selectorELNS0_4arch9wavefront6targetE1EEEvT1_
	.p2align	8
	.type	_ZN7rocprim17ROCPRIM_400000_NS6detail17trampoline_kernelINS0_14default_configENS1_20scan_config_selectorIdEEZZNS1_9scan_implILNS1_25lookback_scan_determinismE0ELb0ELb0ES3_PKdPddZZZN2at6native31launch_logcumsumexp_cuda_kernelERKNSB_10TensorBaseESF_lENKUlvE_clEvENKUlvE_clEvEUlddE_dEEDaPvRmT3_T4_T5_mT6_P12ihipStream_tbENKUlT_T0_E_clISt17integral_constantIbLb1EESW_EEDaSR_SS_EUlSR_E_NS1_11comp_targetILNS1_3genE10ELNS1_11target_archE1200ELNS1_3gpuE4ELNS1_3repE0EEENS1_30default_config_static_selectorELNS0_4arch9wavefront6targetE1EEEvT1_,@function
_ZN7rocprim17ROCPRIM_400000_NS6detail17trampoline_kernelINS0_14default_configENS1_20scan_config_selectorIdEEZZNS1_9scan_implILNS1_25lookback_scan_determinismE0ELb0ELb0ES3_PKdPddZZZN2at6native31launch_logcumsumexp_cuda_kernelERKNSB_10TensorBaseESF_lENKUlvE_clEvENKUlvE_clEvEUlddE_dEEDaPvRmT3_T4_T5_mT6_P12ihipStream_tbENKUlT_T0_E_clISt17integral_constantIbLb1EESW_EEDaSR_SS_EUlSR_E_NS1_11comp_targetILNS1_3genE10ELNS1_11target_archE1200ELNS1_3gpuE4ELNS1_3repE0EEENS1_30default_config_static_selectorELNS0_4arch9wavefront6targetE1EEEvT1_: ; @_ZN7rocprim17ROCPRIM_400000_NS6detail17trampoline_kernelINS0_14default_configENS1_20scan_config_selectorIdEEZZNS1_9scan_implILNS1_25lookback_scan_determinismE0ELb0ELb0ES3_PKdPddZZZN2at6native31launch_logcumsumexp_cuda_kernelERKNSB_10TensorBaseESF_lENKUlvE_clEvENKUlvE_clEvEUlddE_dEEDaPvRmT3_T4_T5_mT6_P12ihipStream_tbENKUlT_T0_E_clISt17integral_constantIbLb1EESW_EEDaSR_SS_EUlSR_E_NS1_11comp_targetILNS1_3genE10ELNS1_11target_archE1200ELNS1_3gpuE4ELNS1_3repE0EEENS1_30default_config_static_selectorELNS0_4arch9wavefront6targetE1EEEvT1_
; %bb.0:
	.section	.rodata,"a",@progbits
	.p2align	6, 0x0
	.amdhsa_kernel _ZN7rocprim17ROCPRIM_400000_NS6detail17trampoline_kernelINS0_14default_configENS1_20scan_config_selectorIdEEZZNS1_9scan_implILNS1_25lookback_scan_determinismE0ELb0ELb0ES3_PKdPddZZZN2at6native31launch_logcumsumexp_cuda_kernelERKNSB_10TensorBaseESF_lENKUlvE_clEvENKUlvE_clEvEUlddE_dEEDaPvRmT3_T4_T5_mT6_P12ihipStream_tbENKUlT_T0_E_clISt17integral_constantIbLb1EESW_EEDaSR_SS_EUlSR_E_NS1_11comp_targetILNS1_3genE10ELNS1_11target_archE1200ELNS1_3gpuE4ELNS1_3repE0EEENS1_30default_config_static_selectorELNS0_4arch9wavefront6targetE1EEEvT1_
		.amdhsa_group_segment_fixed_size 0
		.amdhsa_private_segment_fixed_size 0
		.amdhsa_kernarg_size 104
		.amdhsa_user_sgpr_count 2
		.amdhsa_user_sgpr_dispatch_ptr 0
		.amdhsa_user_sgpr_queue_ptr 0
		.amdhsa_user_sgpr_kernarg_segment_ptr 1
		.amdhsa_user_sgpr_dispatch_id 0
		.amdhsa_user_sgpr_kernarg_preload_length 0
		.amdhsa_user_sgpr_kernarg_preload_offset 0
		.amdhsa_user_sgpr_private_segment_size 0
		.amdhsa_uses_dynamic_stack 0
		.amdhsa_enable_private_segment 0
		.amdhsa_system_sgpr_workgroup_id_x 1
		.amdhsa_system_sgpr_workgroup_id_y 0
		.amdhsa_system_sgpr_workgroup_id_z 0
		.amdhsa_system_sgpr_workgroup_info 0
		.amdhsa_system_vgpr_workitem_id 0
		.amdhsa_next_free_vgpr 1
		.amdhsa_next_free_sgpr 0
		.amdhsa_accum_offset 4
		.amdhsa_reserve_vcc 0
		.amdhsa_float_round_mode_32 0
		.amdhsa_float_round_mode_16_64 0
		.amdhsa_float_denorm_mode_32 3
		.amdhsa_float_denorm_mode_16_64 3
		.amdhsa_dx10_clamp 1
		.amdhsa_ieee_mode 1
		.amdhsa_fp16_overflow 0
		.amdhsa_tg_split 0
		.amdhsa_exception_fp_ieee_invalid_op 0
		.amdhsa_exception_fp_denorm_src 0
		.amdhsa_exception_fp_ieee_div_zero 0
		.amdhsa_exception_fp_ieee_overflow 0
		.amdhsa_exception_fp_ieee_underflow 0
		.amdhsa_exception_fp_ieee_inexact 0
		.amdhsa_exception_int_div_zero 0
	.end_amdhsa_kernel
	.section	.text._ZN7rocprim17ROCPRIM_400000_NS6detail17trampoline_kernelINS0_14default_configENS1_20scan_config_selectorIdEEZZNS1_9scan_implILNS1_25lookback_scan_determinismE0ELb0ELb0ES3_PKdPddZZZN2at6native31launch_logcumsumexp_cuda_kernelERKNSB_10TensorBaseESF_lENKUlvE_clEvENKUlvE_clEvEUlddE_dEEDaPvRmT3_T4_T5_mT6_P12ihipStream_tbENKUlT_T0_E_clISt17integral_constantIbLb1EESW_EEDaSR_SS_EUlSR_E_NS1_11comp_targetILNS1_3genE10ELNS1_11target_archE1200ELNS1_3gpuE4ELNS1_3repE0EEENS1_30default_config_static_selectorELNS0_4arch9wavefront6targetE1EEEvT1_,"axG",@progbits,_ZN7rocprim17ROCPRIM_400000_NS6detail17trampoline_kernelINS0_14default_configENS1_20scan_config_selectorIdEEZZNS1_9scan_implILNS1_25lookback_scan_determinismE0ELb0ELb0ES3_PKdPddZZZN2at6native31launch_logcumsumexp_cuda_kernelERKNSB_10TensorBaseESF_lENKUlvE_clEvENKUlvE_clEvEUlddE_dEEDaPvRmT3_T4_T5_mT6_P12ihipStream_tbENKUlT_T0_E_clISt17integral_constantIbLb1EESW_EEDaSR_SS_EUlSR_E_NS1_11comp_targetILNS1_3genE10ELNS1_11target_archE1200ELNS1_3gpuE4ELNS1_3repE0EEENS1_30default_config_static_selectorELNS0_4arch9wavefront6targetE1EEEvT1_,comdat
.Lfunc_end34:
	.size	_ZN7rocprim17ROCPRIM_400000_NS6detail17trampoline_kernelINS0_14default_configENS1_20scan_config_selectorIdEEZZNS1_9scan_implILNS1_25lookback_scan_determinismE0ELb0ELb0ES3_PKdPddZZZN2at6native31launch_logcumsumexp_cuda_kernelERKNSB_10TensorBaseESF_lENKUlvE_clEvENKUlvE_clEvEUlddE_dEEDaPvRmT3_T4_T5_mT6_P12ihipStream_tbENKUlT_T0_E_clISt17integral_constantIbLb1EESW_EEDaSR_SS_EUlSR_E_NS1_11comp_targetILNS1_3genE10ELNS1_11target_archE1200ELNS1_3gpuE4ELNS1_3repE0EEENS1_30default_config_static_selectorELNS0_4arch9wavefront6targetE1EEEvT1_, .Lfunc_end34-_ZN7rocprim17ROCPRIM_400000_NS6detail17trampoline_kernelINS0_14default_configENS1_20scan_config_selectorIdEEZZNS1_9scan_implILNS1_25lookback_scan_determinismE0ELb0ELb0ES3_PKdPddZZZN2at6native31launch_logcumsumexp_cuda_kernelERKNSB_10TensorBaseESF_lENKUlvE_clEvENKUlvE_clEvEUlddE_dEEDaPvRmT3_T4_T5_mT6_P12ihipStream_tbENKUlT_T0_E_clISt17integral_constantIbLb1EESW_EEDaSR_SS_EUlSR_E_NS1_11comp_targetILNS1_3genE10ELNS1_11target_archE1200ELNS1_3gpuE4ELNS1_3repE0EEENS1_30default_config_static_selectorELNS0_4arch9wavefront6targetE1EEEvT1_
                                        ; -- End function
	.set _ZN7rocprim17ROCPRIM_400000_NS6detail17trampoline_kernelINS0_14default_configENS1_20scan_config_selectorIdEEZZNS1_9scan_implILNS1_25lookback_scan_determinismE0ELb0ELb0ES3_PKdPddZZZN2at6native31launch_logcumsumexp_cuda_kernelERKNSB_10TensorBaseESF_lENKUlvE_clEvENKUlvE_clEvEUlddE_dEEDaPvRmT3_T4_T5_mT6_P12ihipStream_tbENKUlT_T0_E_clISt17integral_constantIbLb1EESW_EEDaSR_SS_EUlSR_E_NS1_11comp_targetILNS1_3genE10ELNS1_11target_archE1200ELNS1_3gpuE4ELNS1_3repE0EEENS1_30default_config_static_selectorELNS0_4arch9wavefront6targetE1EEEvT1_.num_vgpr, 0
	.set _ZN7rocprim17ROCPRIM_400000_NS6detail17trampoline_kernelINS0_14default_configENS1_20scan_config_selectorIdEEZZNS1_9scan_implILNS1_25lookback_scan_determinismE0ELb0ELb0ES3_PKdPddZZZN2at6native31launch_logcumsumexp_cuda_kernelERKNSB_10TensorBaseESF_lENKUlvE_clEvENKUlvE_clEvEUlddE_dEEDaPvRmT3_T4_T5_mT6_P12ihipStream_tbENKUlT_T0_E_clISt17integral_constantIbLb1EESW_EEDaSR_SS_EUlSR_E_NS1_11comp_targetILNS1_3genE10ELNS1_11target_archE1200ELNS1_3gpuE4ELNS1_3repE0EEENS1_30default_config_static_selectorELNS0_4arch9wavefront6targetE1EEEvT1_.num_agpr, 0
	.set _ZN7rocprim17ROCPRIM_400000_NS6detail17trampoline_kernelINS0_14default_configENS1_20scan_config_selectorIdEEZZNS1_9scan_implILNS1_25lookback_scan_determinismE0ELb0ELb0ES3_PKdPddZZZN2at6native31launch_logcumsumexp_cuda_kernelERKNSB_10TensorBaseESF_lENKUlvE_clEvENKUlvE_clEvEUlddE_dEEDaPvRmT3_T4_T5_mT6_P12ihipStream_tbENKUlT_T0_E_clISt17integral_constantIbLb1EESW_EEDaSR_SS_EUlSR_E_NS1_11comp_targetILNS1_3genE10ELNS1_11target_archE1200ELNS1_3gpuE4ELNS1_3repE0EEENS1_30default_config_static_selectorELNS0_4arch9wavefront6targetE1EEEvT1_.numbered_sgpr, 0
	.set _ZN7rocprim17ROCPRIM_400000_NS6detail17trampoline_kernelINS0_14default_configENS1_20scan_config_selectorIdEEZZNS1_9scan_implILNS1_25lookback_scan_determinismE0ELb0ELb0ES3_PKdPddZZZN2at6native31launch_logcumsumexp_cuda_kernelERKNSB_10TensorBaseESF_lENKUlvE_clEvENKUlvE_clEvEUlddE_dEEDaPvRmT3_T4_T5_mT6_P12ihipStream_tbENKUlT_T0_E_clISt17integral_constantIbLb1EESW_EEDaSR_SS_EUlSR_E_NS1_11comp_targetILNS1_3genE10ELNS1_11target_archE1200ELNS1_3gpuE4ELNS1_3repE0EEENS1_30default_config_static_selectorELNS0_4arch9wavefront6targetE1EEEvT1_.num_named_barrier, 0
	.set _ZN7rocprim17ROCPRIM_400000_NS6detail17trampoline_kernelINS0_14default_configENS1_20scan_config_selectorIdEEZZNS1_9scan_implILNS1_25lookback_scan_determinismE0ELb0ELb0ES3_PKdPddZZZN2at6native31launch_logcumsumexp_cuda_kernelERKNSB_10TensorBaseESF_lENKUlvE_clEvENKUlvE_clEvEUlddE_dEEDaPvRmT3_T4_T5_mT6_P12ihipStream_tbENKUlT_T0_E_clISt17integral_constantIbLb1EESW_EEDaSR_SS_EUlSR_E_NS1_11comp_targetILNS1_3genE10ELNS1_11target_archE1200ELNS1_3gpuE4ELNS1_3repE0EEENS1_30default_config_static_selectorELNS0_4arch9wavefront6targetE1EEEvT1_.private_seg_size, 0
	.set _ZN7rocprim17ROCPRIM_400000_NS6detail17trampoline_kernelINS0_14default_configENS1_20scan_config_selectorIdEEZZNS1_9scan_implILNS1_25lookback_scan_determinismE0ELb0ELb0ES3_PKdPddZZZN2at6native31launch_logcumsumexp_cuda_kernelERKNSB_10TensorBaseESF_lENKUlvE_clEvENKUlvE_clEvEUlddE_dEEDaPvRmT3_T4_T5_mT6_P12ihipStream_tbENKUlT_T0_E_clISt17integral_constantIbLb1EESW_EEDaSR_SS_EUlSR_E_NS1_11comp_targetILNS1_3genE10ELNS1_11target_archE1200ELNS1_3gpuE4ELNS1_3repE0EEENS1_30default_config_static_selectorELNS0_4arch9wavefront6targetE1EEEvT1_.uses_vcc, 0
	.set _ZN7rocprim17ROCPRIM_400000_NS6detail17trampoline_kernelINS0_14default_configENS1_20scan_config_selectorIdEEZZNS1_9scan_implILNS1_25lookback_scan_determinismE0ELb0ELb0ES3_PKdPddZZZN2at6native31launch_logcumsumexp_cuda_kernelERKNSB_10TensorBaseESF_lENKUlvE_clEvENKUlvE_clEvEUlddE_dEEDaPvRmT3_T4_T5_mT6_P12ihipStream_tbENKUlT_T0_E_clISt17integral_constantIbLb1EESW_EEDaSR_SS_EUlSR_E_NS1_11comp_targetILNS1_3genE10ELNS1_11target_archE1200ELNS1_3gpuE4ELNS1_3repE0EEENS1_30default_config_static_selectorELNS0_4arch9wavefront6targetE1EEEvT1_.uses_flat_scratch, 0
	.set _ZN7rocprim17ROCPRIM_400000_NS6detail17trampoline_kernelINS0_14default_configENS1_20scan_config_selectorIdEEZZNS1_9scan_implILNS1_25lookback_scan_determinismE0ELb0ELb0ES3_PKdPddZZZN2at6native31launch_logcumsumexp_cuda_kernelERKNSB_10TensorBaseESF_lENKUlvE_clEvENKUlvE_clEvEUlddE_dEEDaPvRmT3_T4_T5_mT6_P12ihipStream_tbENKUlT_T0_E_clISt17integral_constantIbLb1EESW_EEDaSR_SS_EUlSR_E_NS1_11comp_targetILNS1_3genE10ELNS1_11target_archE1200ELNS1_3gpuE4ELNS1_3repE0EEENS1_30default_config_static_selectorELNS0_4arch9wavefront6targetE1EEEvT1_.has_dyn_sized_stack, 0
	.set _ZN7rocprim17ROCPRIM_400000_NS6detail17trampoline_kernelINS0_14default_configENS1_20scan_config_selectorIdEEZZNS1_9scan_implILNS1_25lookback_scan_determinismE0ELb0ELb0ES3_PKdPddZZZN2at6native31launch_logcumsumexp_cuda_kernelERKNSB_10TensorBaseESF_lENKUlvE_clEvENKUlvE_clEvEUlddE_dEEDaPvRmT3_T4_T5_mT6_P12ihipStream_tbENKUlT_T0_E_clISt17integral_constantIbLb1EESW_EEDaSR_SS_EUlSR_E_NS1_11comp_targetILNS1_3genE10ELNS1_11target_archE1200ELNS1_3gpuE4ELNS1_3repE0EEENS1_30default_config_static_selectorELNS0_4arch9wavefront6targetE1EEEvT1_.has_recursion, 0
	.set _ZN7rocprim17ROCPRIM_400000_NS6detail17trampoline_kernelINS0_14default_configENS1_20scan_config_selectorIdEEZZNS1_9scan_implILNS1_25lookback_scan_determinismE0ELb0ELb0ES3_PKdPddZZZN2at6native31launch_logcumsumexp_cuda_kernelERKNSB_10TensorBaseESF_lENKUlvE_clEvENKUlvE_clEvEUlddE_dEEDaPvRmT3_T4_T5_mT6_P12ihipStream_tbENKUlT_T0_E_clISt17integral_constantIbLb1EESW_EEDaSR_SS_EUlSR_E_NS1_11comp_targetILNS1_3genE10ELNS1_11target_archE1200ELNS1_3gpuE4ELNS1_3repE0EEENS1_30default_config_static_selectorELNS0_4arch9wavefront6targetE1EEEvT1_.has_indirect_call, 0
	.section	.AMDGPU.csdata,"",@progbits
; Kernel info:
; codeLenInByte = 0
; TotalNumSgprs: 6
; NumVgprs: 0
; NumAgprs: 0
; TotalNumVgprs: 0
; ScratchSize: 0
; MemoryBound: 0
; FloatMode: 240
; IeeeMode: 1
; LDSByteSize: 0 bytes/workgroup (compile time only)
; SGPRBlocks: 0
; VGPRBlocks: 0
; NumSGPRsForWavesPerEU: 6
; NumVGPRsForWavesPerEU: 1
; AccumOffset: 4
; Occupancy: 8
; WaveLimiterHint : 0
; COMPUTE_PGM_RSRC2:SCRATCH_EN: 0
; COMPUTE_PGM_RSRC2:USER_SGPR: 2
; COMPUTE_PGM_RSRC2:TRAP_HANDLER: 0
; COMPUTE_PGM_RSRC2:TGID_X_EN: 1
; COMPUTE_PGM_RSRC2:TGID_Y_EN: 0
; COMPUTE_PGM_RSRC2:TGID_Z_EN: 0
; COMPUTE_PGM_RSRC2:TIDIG_COMP_CNT: 0
; COMPUTE_PGM_RSRC3_GFX90A:ACCUM_OFFSET: 0
; COMPUTE_PGM_RSRC3_GFX90A:TG_SPLIT: 0
	.section	.text._ZN7rocprim17ROCPRIM_400000_NS6detail17trampoline_kernelINS0_14default_configENS1_20scan_config_selectorIdEEZZNS1_9scan_implILNS1_25lookback_scan_determinismE0ELb0ELb0ES3_PKdPddZZZN2at6native31launch_logcumsumexp_cuda_kernelERKNSB_10TensorBaseESF_lENKUlvE_clEvENKUlvE_clEvEUlddE_dEEDaPvRmT3_T4_T5_mT6_P12ihipStream_tbENKUlT_T0_E_clISt17integral_constantIbLb1EESW_EEDaSR_SS_EUlSR_E_NS1_11comp_targetILNS1_3genE9ELNS1_11target_archE1100ELNS1_3gpuE3ELNS1_3repE0EEENS1_30default_config_static_selectorELNS0_4arch9wavefront6targetE1EEEvT1_,"axG",@progbits,_ZN7rocprim17ROCPRIM_400000_NS6detail17trampoline_kernelINS0_14default_configENS1_20scan_config_selectorIdEEZZNS1_9scan_implILNS1_25lookback_scan_determinismE0ELb0ELb0ES3_PKdPddZZZN2at6native31launch_logcumsumexp_cuda_kernelERKNSB_10TensorBaseESF_lENKUlvE_clEvENKUlvE_clEvEUlddE_dEEDaPvRmT3_T4_T5_mT6_P12ihipStream_tbENKUlT_T0_E_clISt17integral_constantIbLb1EESW_EEDaSR_SS_EUlSR_E_NS1_11comp_targetILNS1_3genE9ELNS1_11target_archE1100ELNS1_3gpuE3ELNS1_3repE0EEENS1_30default_config_static_selectorELNS0_4arch9wavefront6targetE1EEEvT1_,comdat
	.globl	_ZN7rocprim17ROCPRIM_400000_NS6detail17trampoline_kernelINS0_14default_configENS1_20scan_config_selectorIdEEZZNS1_9scan_implILNS1_25lookback_scan_determinismE0ELb0ELb0ES3_PKdPddZZZN2at6native31launch_logcumsumexp_cuda_kernelERKNSB_10TensorBaseESF_lENKUlvE_clEvENKUlvE_clEvEUlddE_dEEDaPvRmT3_T4_T5_mT6_P12ihipStream_tbENKUlT_T0_E_clISt17integral_constantIbLb1EESW_EEDaSR_SS_EUlSR_E_NS1_11comp_targetILNS1_3genE9ELNS1_11target_archE1100ELNS1_3gpuE3ELNS1_3repE0EEENS1_30default_config_static_selectorELNS0_4arch9wavefront6targetE1EEEvT1_ ; -- Begin function _ZN7rocprim17ROCPRIM_400000_NS6detail17trampoline_kernelINS0_14default_configENS1_20scan_config_selectorIdEEZZNS1_9scan_implILNS1_25lookback_scan_determinismE0ELb0ELb0ES3_PKdPddZZZN2at6native31launch_logcumsumexp_cuda_kernelERKNSB_10TensorBaseESF_lENKUlvE_clEvENKUlvE_clEvEUlddE_dEEDaPvRmT3_T4_T5_mT6_P12ihipStream_tbENKUlT_T0_E_clISt17integral_constantIbLb1EESW_EEDaSR_SS_EUlSR_E_NS1_11comp_targetILNS1_3genE9ELNS1_11target_archE1100ELNS1_3gpuE3ELNS1_3repE0EEENS1_30default_config_static_selectorELNS0_4arch9wavefront6targetE1EEEvT1_
	.p2align	8
	.type	_ZN7rocprim17ROCPRIM_400000_NS6detail17trampoline_kernelINS0_14default_configENS1_20scan_config_selectorIdEEZZNS1_9scan_implILNS1_25lookback_scan_determinismE0ELb0ELb0ES3_PKdPddZZZN2at6native31launch_logcumsumexp_cuda_kernelERKNSB_10TensorBaseESF_lENKUlvE_clEvENKUlvE_clEvEUlddE_dEEDaPvRmT3_T4_T5_mT6_P12ihipStream_tbENKUlT_T0_E_clISt17integral_constantIbLb1EESW_EEDaSR_SS_EUlSR_E_NS1_11comp_targetILNS1_3genE9ELNS1_11target_archE1100ELNS1_3gpuE3ELNS1_3repE0EEENS1_30default_config_static_selectorELNS0_4arch9wavefront6targetE1EEEvT1_,@function
_ZN7rocprim17ROCPRIM_400000_NS6detail17trampoline_kernelINS0_14default_configENS1_20scan_config_selectorIdEEZZNS1_9scan_implILNS1_25lookback_scan_determinismE0ELb0ELb0ES3_PKdPddZZZN2at6native31launch_logcumsumexp_cuda_kernelERKNSB_10TensorBaseESF_lENKUlvE_clEvENKUlvE_clEvEUlddE_dEEDaPvRmT3_T4_T5_mT6_P12ihipStream_tbENKUlT_T0_E_clISt17integral_constantIbLb1EESW_EEDaSR_SS_EUlSR_E_NS1_11comp_targetILNS1_3genE9ELNS1_11target_archE1100ELNS1_3gpuE3ELNS1_3repE0EEENS1_30default_config_static_selectorELNS0_4arch9wavefront6targetE1EEEvT1_: ; @_ZN7rocprim17ROCPRIM_400000_NS6detail17trampoline_kernelINS0_14default_configENS1_20scan_config_selectorIdEEZZNS1_9scan_implILNS1_25lookback_scan_determinismE0ELb0ELb0ES3_PKdPddZZZN2at6native31launch_logcumsumexp_cuda_kernelERKNSB_10TensorBaseESF_lENKUlvE_clEvENKUlvE_clEvEUlddE_dEEDaPvRmT3_T4_T5_mT6_P12ihipStream_tbENKUlT_T0_E_clISt17integral_constantIbLb1EESW_EEDaSR_SS_EUlSR_E_NS1_11comp_targetILNS1_3genE9ELNS1_11target_archE1100ELNS1_3gpuE3ELNS1_3repE0EEENS1_30default_config_static_selectorELNS0_4arch9wavefront6targetE1EEEvT1_
; %bb.0:
	.section	.rodata,"a",@progbits
	.p2align	6, 0x0
	.amdhsa_kernel _ZN7rocprim17ROCPRIM_400000_NS6detail17trampoline_kernelINS0_14default_configENS1_20scan_config_selectorIdEEZZNS1_9scan_implILNS1_25lookback_scan_determinismE0ELb0ELb0ES3_PKdPddZZZN2at6native31launch_logcumsumexp_cuda_kernelERKNSB_10TensorBaseESF_lENKUlvE_clEvENKUlvE_clEvEUlddE_dEEDaPvRmT3_T4_T5_mT6_P12ihipStream_tbENKUlT_T0_E_clISt17integral_constantIbLb1EESW_EEDaSR_SS_EUlSR_E_NS1_11comp_targetILNS1_3genE9ELNS1_11target_archE1100ELNS1_3gpuE3ELNS1_3repE0EEENS1_30default_config_static_selectorELNS0_4arch9wavefront6targetE1EEEvT1_
		.amdhsa_group_segment_fixed_size 0
		.amdhsa_private_segment_fixed_size 0
		.amdhsa_kernarg_size 104
		.amdhsa_user_sgpr_count 2
		.amdhsa_user_sgpr_dispatch_ptr 0
		.amdhsa_user_sgpr_queue_ptr 0
		.amdhsa_user_sgpr_kernarg_segment_ptr 1
		.amdhsa_user_sgpr_dispatch_id 0
		.amdhsa_user_sgpr_kernarg_preload_length 0
		.amdhsa_user_sgpr_kernarg_preload_offset 0
		.amdhsa_user_sgpr_private_segment_size 0
		.amdhsa_uses_dynamic_stack 0
		.amdhsa_enable_private_segment 0
		.amdhsa_system_sgpr_workgroup_id_x 1
		.amdhsa_system_sgpr_workgroup_id_y 0
		.amdhsa_system_sgpr_workgroup_id_z 0
		.amdhsa_system_sgpr_workgroup_info 0
		.amdhsa_system_vgpr_workitem_id 0
		.amdhsa_next_free_vgpr 1
		.amdhsa_next_free_sgpr 0
		.amdhsa_accum_offset 4
		.amdhsa_reserve_vcc 0
		.amdhsa_float_round_mode_32 0
		.amdhsa_float_round_mode_16_64 0
		.amdhsa_float_denorm_mode_32 3
		.amdhsa_float_denorm_mode_16_64 3
		.amdhsa_dx10_clamp 1
		.amdhsa_ieee_mode 1
		.amdhsa_fp16_overflow 0
		.amdhsa_tg_split 0
		.amdhsa_exception_fp_ieee_invalid_op 0
		.amdhsa_exception_fp_denorm_src 0
		.amdhsa_exception_fp_ieee_div_zero 0
		.amdhsa_exception_fp_ieee_overflow 0
		.amdhsa_exception_fp_ieee_underflow 0
		.amdhsa_exception_fp_ieee_inexact 0
		.amdhsa_exception_int_div_zero 0
	.end_amdhsa_kernel
	.section	.text._ZN7rocprim17ROCPRIM_400000_NS6detail17trampoline_kernelINS0_14default_configENS1_20scan_config_selectorIdEEZZNS1_9scan_implILNS1_25lookback_scan_determinismE0ELb0ELb0ES3_PKdPddZZZN2at6native31launch_logcumsumexp_cuda_kernelERKNSB_10TensorBaseESF_lENKUlvE_clEvENKUlvE_clEvEUlddE_dEEDaPvRmT3_T4_T5_mT6_P12ihipStream_tbENKUlT_T0_E_clISt17integral_constantIbLb1EESW_EEDaSR_SS_EUlSR_E_NS1_11comp_targetILNS1_3genE9ELNS1_11target_archE1100ELNS1_3gpuE3ELNS1_3repE0EEENS1_30default_config_static_selectorELNS0_4arch9wavefront6targetE1EEEvT1_,"axG",@progbits,_ZN7rocprim17ROCPRIM_400000_NS6detail17trampoline_kernelINS0_14default_configENS1_20scan_config_selectorIdEEZZNS1_9scan_implILNS1_25lookback_scan_determinismE0ELb0ELb0ES3_PKdPddZZZN2at6native31launch_logcumsumexp_cuda_kernelERKNSB_10TensorBaseESF_lENKUlvE_clEvENKUlvE_clEvEUlddE_dEEDaPvRmT3_T4_T5_mT6_P12ihipStream_tbENKUlT_T0_E_clISt17integral_constantIbLb1EESW_EEDaSR_SS_EUlSR_E_NS1_11comp_targetILNS1_3genE9ELNS1_11target_archE1100ELNS1_3gpuE3ELNS1_3repE0EEENS1_30default_config_static_selectorELNS0_4arch9wavefront6targetE1EEEvT1_,comdat
.Lfunc_end35:
	.size	_ZN7rocprim17ROCPRIM_400000_NS6detail17trampoline_kernelINS0_14default_configENS1_20scan_config_selectorIdEEZZNS1_9scan_implILNS1_25lookback_scan_determinismE0ELb0ELb0ES3_PKdPddZZZN2at6native31launch_logcumsumexp_cuda_kernelERKNSB_10TensorBaseESF_lENKUlvE_clEvENKUlvE_clEvEUlddE_dEEDaPvRmT3_T4_T5_mT6_P12ihipStream_tbENKUlT_T0_E_clISt17integral_constantIbLb1EESW_EEDaSR_SS_EUlSR_E_NS1_11comp_targetILNS1_3genE9ELNS1_11target_archE1100ELNS1_3gpuE3ELNS1_3repE0EEENS1_30default_config_static_selectorELNS0_4arch9wavefront6targetE1EEEvT1_, .Lfunc_end35-_ZN7rocprim17ROCPRIM_400000_NS6detail17trampoline_kernelINS0_14default_configENS1_20scan_config_selectorIdEEZZNS1_9scan_implILNS1_25lookback_scan_determinismE0ELb0ELb0ES3_PKdPddZZZN2at6native31launch_logcumsumexp_cuda_kernelERKNSB_10TensorBaseESF_lENKUlvE_clEvENKUlvE_clEvEUlddE_dEEDaPvRmT3_T4_T5_mT6_P12ihipStream_tbENKUlT_T0_E_clISt17integral_constantIbLb1EESW_EEDaSR_SS_EUlSR_E_NS1_11comp_targetILNS1_3genE9ELNS1_11target_archE1100ELNS1_3gpuE3ELNS1_3repE0EEENS1_30default_config_static_selectorELNS0_4arch9wavefront6targetE1EEEvT1_
                                        ; -- End function
	.set _ZN7rocprim17ROCPRIM_400000_NS6detail17trampoline_kernelINS0_14default_configENS1_20scan_config_selectorIdEEZZNS1_9scan_implILNS1_25lookback_scan_determinismE0ELb0ELb0ES3_PKdPddZZZN2at6native31launch_logcumsumexp_cuda_kernelERKNSB_10TensorBaseESF_lENKUlvE_clEvENKUlvE_clEvEUlddE_dEEDaPvRmT3_T4_T5_mT6_P12ihipStream_tbENKUlT_T0_E_clISt17integral_constantIbLb1EESW_EEDaSR_SS_EUlSR_E_NS1_11comp_targetILNS1_3genE9ELNS1_11target_archE1100ELNS1_3gpuE3ELNS1_3repE0EEENS1_30default_config_static_selectorELNS0_4arch9wavefront6targetE1EEEvT1_.num_vgpr, 0
	.set _ZN7rocprim17ROCPRIM_400000_NS6detail17trampoline_kernelINS0_14default_configENS1_20scan_config_selectorIdEEZZNS1_9scan_implILNS1_25lookback_scan_determinismE0ELb0ELb0ES3_PKdPddZZZN2at6native31launch_logcumsumexp_cuda_kernelERKNSB_10TensorBaseESF_lENKUlvE_clEvENKUlvE_clEvEUlddE_dEEDaPvRmT3_T4_T5_mT6_P12ihipStream_tbENKUlT_T0_E_clISt17integral_constantIbLb1EESW_EEDaSR_SS_EUlSR_E_NS1_11comp_targetILNS1_3genE9ELNS1_11target_archE1100ELNS1_3gpuE3ELNS1_3repE0EEENS1_30default_config_static_selectorELNS0_4arch9wavefront6targetE1EEEvT1_.num_agpr, 0
	.set _ZN7rocprim17ROCPRIM_400000_NS6detail17trampoline_kernelINS0_14default_configENS1_20scan_config_selectorIdEEZZNS1_9scan_implILNS1_25lookback_scan_determinismE0ELb0ELb0ES3_PKdPddZZZN2at6native31launch_logcumsumexp_cuda_kernelERKNSB_10TensorBaseESF_lENKUlvE_clEvENKUlvE_clEvEUlddE_dEEDaPvRmT3_T4_T5_mT6_P12ihipStream_tbENKUlT_T0_E_clISt17integral_constantIbLb1EESW_EEDaSR_SS_EUlSR_E_NS1_11comp_targetILNS1_3genE9ELNS1_11target_archE1100ELNS1_3gpuE3ELNS1_3repE0EEENS1_30default_config_static_selectorELNS0_4arch9wavefront6targetE1EEEvT1_.numbered_sgpr, 0
	.set _ZN7rocprim17ROCPRIM_400000_NS6detail17trampoline_kernelINS0_14default_configENS1_20scan_config_selectorIdEEZZNS1_9scan_implILNS1_25lookback_scan_determinismE0ELb0ELb0ES3_PKdPddZZZN2at6native31launch_logcumsumexp_cuda_kernelERKNSB_10TensorBaseESF_lENKUlvE_clEvENKUlvE_clEvEUlddE_dEEDaPvRmT3_T4_T5_mT6_P12ihipStream_tbENKUlT_T0_E_clISt17integral_constantIbLb1EESW_EEDaSR_SS_EUlSR_E_NS1_11comp_targetILNS1_3genE9ELNS1_11target_archE1100ELNS1_3gpuE3ELNS1_3repE0EEENS1_30default_config_static_selectorELNS0_4arch9wavefront6targetE1EEEvT1_.num_named_barrier, 0
	.set _ZN7rocprim17ROCPRIM_400000_NS6detail17trampoline_kernelINS0_14default_configENS1_20scan_config_selectorIdEEZZNS1_9scan_implILNS1_25lookback_scan_determinismE0ELb0ELb0ES3_PKdPddZZZN2at6native31launch_logcumsumexp_cuda_kernelERKNSB_10TensorBaseESF_lENKUlvE_clEvENKUlvE_clEvEUlddE_dEEDaPvRmT3_T4_T5_mT6_P12ihipStream_tbENKUlT_T0_E_clISt17integral_constantIbLb1EESW_EEDaSR_SS_EUlSR_E_NS1_11comp_targetILNS1_3genE9ELNS1_11target_archE1100ELNS1_3gpuE3ELNS1_3repE0EEENS1_30default_config_static_selectorELNS0_4arch9wavefront6targetE1EEEvT1_.private_seg_size, 0
	.set _ZN7rocprim17ROCPRIM_400000_NS6detail17trampoline_kernelINS0_14default_configENS1_20scan_config_selectorIdEEZZNS1_9scan_implILNS1_25lookback_scan_determinismE0ELb0ELb0ES3_PKdPddZZZN2at6native31launch_logcumsumexp_cuda_kernelERKNSB_10TensorBaseESF_lENKUlvE_clEvENKUlvE_clEvEUlddE_dEEDaPvRmT3_T4_T5_mT6_P12ihipStream_tbENKUlT_T0_E_clISt17integral_constantIbLb1EESW_EEDaSR_SS_EUlSR_E_NS1_11comp_targetILNS1_3genE9ELNS1_11target_archE1100ELNS1_3gpuE3ELNS1_3repE0EEENS1_30default_config_static_selectorELNS0_4arch9wavefront6targetE1EEEvT1_.uses_vcc, 0
	.set _ZN7rocprim17ROCPRIM_400000_NS6detail17trampoline_kernelINS0_14default_configENS1_20scan_config_selectorIdEEZZNS1_9scan_implILNS1_25lookback_scan_determinismE0ELb0ELb0ES3_PKdPddZZZN2at6native31launch_logcumsumexp_cuda_kernelERKNSB_10TensorBaseESF_lENKUlvE_clEvENKUlvE_clEvEUlddE_dEEDaPvRmT3_T4_T5_mT6_P12ihipStream_tbENKUlT_T0_E_clISt17integral_constantIbLb1EESW_EEDaSR_SS_EUlSR_E_NS1_11comp_targetILNS1_3genE9ELNS1_11target_archE1100ELNS1_3gpuE3ELNS1_3repE0EEENS1_30default_config_static_selectorELNS0_4arch9wavefront6targetE1EEEvT1_.uses_flat_scratch, 0
	.set _ZN7rocprim17ROCPRIM_400000_NS6detail17trampoline_kernelINS0_14default_configENS1_20scan_config_selectorIdEEZZNS1_9scan_implILNS1_25lookback_scan_determinismE0ELb0ELb0ES3_PKdPddZZZN2at6native31launch_logcumsumexp_cuda_kernelERKNSB_10TensorBaseESF_lENKUlvE_clEvENKUlvE_clEvEUlddE_dEEDaPvRmT3_T4_T5_mT6_P12ihipStream_tbENKUlT_T0_E_clISt17integral_constantIbLb1EESW_EEDaSR_SS_EUlSR_E_NS1_11comp_targetILNS1_3genE9ELNS1_11target_archE1100ELNS1_3gpuE3ELNS1_3repE0EEENS1_30default_config_static_selectorELNS0_4arch9wavefront6targetE1EEEvT1_.has_dyn_sized_stack, 0
	.set _ZN7rocprim17ROCPRIM_400000_NS6detail17trampoline_kernelINS0_14default_configENS1_20scan_config_selectorIdEEZZNS1_9scan_implILNS1_25lookback_scan_determinismE0ELb0ELb0ES3_PKdPddZZZN2at6native31launch_logcumsumexp_cuda_kernelERKNSB_10TensorBaseESF_lENKUlvE_clEvENKUlvE_clEvEUlddE_dEEDaPvRmT3_T4_T5_mT6_P12ihipStream_tbENKUlT_T0_E_clISt17integral_constantIbLb1EESW_EEDaSR_SS_EUlSR_E_NS1_11comp_targetILNS1_3genE9ELNS1_11target_archE1100ELNS1_3gpuE3ELNS1_3repE0EEENS1_30default_config_static_selectorELNS0_4arch9wavefront6targetE1EEEvT1_.has_recursion, 0
	.set _ZN7rocprim17ROCPRIM_400000_NS6detail17trampoline_kernelINS0_14default_configENS1_20scan_config_selectorIdEEZZNS1_9scan_implILNS1_25lookback_scan_determinismE0ELb0ELb0ES3_PKdPddZZZN2at6native31launch_logcumsumexp_cuda_kernelERKNSB_10TensorBaseESF_lENKUlvE_clEvENKUlvE_clEvEUlddE_dEEDaPvRmT3_T4_T5_mT6_P12ihipStream_tbENKUlT_T0_E_clISt17integral_constantIbLb1EESW_EEDaSR_SS_EUlSR_E_NS1_11comp_targetILNS1_3genE9ELNS1_11target_archE1100ELNS1_3gpuE3ELNS1_3repE0EEENS1_30default_config_static_selectorELNS0_4arch9wavefront6targetE1EEEvT1_.has_indirect_call, 0
	.section	.AMDGPU.csdata,"",@progbits
; Kernel info:
; codeLenInByte = 0
; TotalNumSgprs: 6
; NumVgprs: 0
; NumAgprs: 0
; TotalNumVgprs: 0
; ScratchSize: 0
; MemoryBound: 0
; FloatMode: 240
; IeeeMode: 1
; LDSByteSize: 0 bytes/workgroup (compile time only)
; SGPRBlocks: 0
; VGPRBlocks: 0
; NumSGPRsForWavesPerEU: 6
; NumVGPRsForWavesPerEU: 1
; AccumOffset: 4
; Occupancy: 8
; WaveLimiterHint : 0
; COMPUTE_PGM_RSRC2:SCRATCH_EN: 0
; COMPUTE_PGM_RSRC2:USER_SGPR: 2
; COMPUTE_PGM_RSRC2:TRAP_HANDLER: 0
; COMPUTE_PGM_RSRC2:TGID_X_EN: 1
; COMPUTE_PGM_RSRC2:TGID_Y_EN: 0
; COMPUTE_PGM_RSRC2:TGID_Z_EN: 0
; COMPUTE_PGM_RSRC2:TIDIG_COMP_CNT: 0
; COMPUTE_PGM_RSRC3_GFX90A:ACCUM_OFFSET: 0
; COMPUTE_PGM_RSRC3_GFX90A:TG_SPLIT: 0
	.section	.text._ZN7rocprim17ROCPRIM_400000_NS6detail17trampoline_kernelINS0_14default_configENS1_20scan_config_selectorIdEEZZNS1_9scan_implILNS1_25lookback_scan_determinismE0ELb0ELb0ES3_PKdPddZZZN2at6native31launch_logcumsumexp_cuda_kernelERKNSB_10TensorBaseESF_lENKUlvE_clEvENKUlvE_clEvEUlddE_dEEDaPvRmT3_T4_T5_mT6_P12ihipStream_tbENKUlT_T0_E_clISt17integral_constantIbLb1EESW_EEDaSR_SS_EUlSR_E_NS1_11comp_targetILNS1_3genE8ELNS1_11target_archE1030ELNS1_3gpuE2ELNS1_3repE0EEENS1_30default_config_static_selectorELNS0_4arch9wavefront6targetE1EEEvT1_,"axG",@progbits,_ZN7rocprim17ROCPRIM_400000_NS6detail17trampoline_kernelINS0_14default_configENS1_20scan_config_selectorIdEEZZNS1_9scan_implILNS1_25lookback_scan_determinismE0ELb0ELb0ES3_PKdPddZZZN2at6native31launch_logcumsumexp_cuda_kernelERKNSB_10TensorBaseESF_lENKUlvE_clEvENKUlvE_clEvEUlddE_dEEDaPvRmT3_T4_T5_mT6_P12ihipStream_tbENKUlT_T0_E_clISt17integral_constantIbLb1EESW_EEDaSR_SS_EUlSR_E_NS1_11comp_targetILNS1_3genE8ELNS1_11target_archE1030ELNS1_3gpuE2ELNS1_3repE0EEENS1_30default_config_static_selectorELNS0_4arch9wavefront6targetE1EEEvT1_,comdat
	.globl	_ZN7rocprim17ROCPRIM_400000_NS6detail17trampoline_kernelINS0_14default_configENS1_20scan_config_selectorIdEEZZNS1_9scan_implILNS1_25lookback_scan_determinismE0ELb0ELb0ES3_PKdPddZZZN2at6native31launch_logcumsumexp_cuda_kernelERKNSB_10TensorBaseESF_lENKUlvE_clEvENKUlvE_clEvEUlddE_dEEDaPvRmT3_T4_T5_mT6_P12ihipStream_tbENKUlT_T0_E_clISt17integral_constantIbLb1EESW_EEDaSR_SS_EUlSR_E_NS1_11comp_targetILNS1_3genE8ELNS1_11target_archE1030ELNS1_3gpuE2ELNS1_3repE0EEENS1_30default_config_static_selectorELNS0_4arch9wavefront6targetE1EEEvT1_ ; -- Begin function _ZN7rocprim17ROCPRIM_400000_NS6detail17trampoline_kernelINS0_14default_configENS1_20scan_config_selectorIdEEZZNS1_9scan_implILNS1_25lookback_scan_determinismE0ELb0ELb0ES3_PKdPddZZZN2at6native31launch_logcumsumexp_cuda_kernelERKNSB_10TensorBaseESF_lENKUlvE_clEvENKUlvE_clEvEUlddE_dEEDaPvRmT3_T4_T5_mT6_P12ihipStream_tbENKUlT_T0_E_clISt17integral_constantIbLb1EESW_EEDaSR_SS_EUlSR_E_NS1_11comp_targetILNS1_3genE8ELNS1_11target_archE1030ELNS1_3gpuE2ELNS1_3repE0EEENS1_30default_config_static_selectorELNS0_4arch9wavefront6targetE1EEEvT1_
	.p2align	8
	.type	_ZN7rocprim17ROCPRIM_400000_NS6detail17trampoline_kernelINS0_14default_configENS1_20scan_config_selectorIdEEZZNS1_9scan_implILNS1_25lookback_scan_determinismE0ELb0ELb0ES3_PKdPddZZZN2at6native31launch_logcumsumexp_cuda_kernelERKNSB_10TensorBaseESF_lENKUlvE_clEvENKUlvE_clEvEUlddE_dEEDaPvRmT3_T4_T5_mT6_P12ihipStream_tbENKUlT_T0_E_clISt17integral_constantIbLb1EESW_EEDaSR_SS_EUlSR_E_NS1_11comp_targetILNS1_3genE8ELNS1_11target_archE1030ELNS1_3gpuE2ELNS1_3repE0EEENS1_30default_config_static_selectorELNS0_4arch9wavefront6targetE1EEEvT1_,@function
_ZN7rocprim17ROCPRIM_400000_NS6detail17trampoline_kernelINS0_14default_configENS1_20scan_config_selectorIdEEZZNS1_9scan_implILNS1_25lookback_scan_determinismE0ELb0ELb0ES3_PKdPddZZZN2at6native31launch_logcumsumexp_cuda_kernelERKNSB_10TensorBaseESF_lENKUlvE_clEvENKUlvE_clEvEUlddE_dEEDaPvRmT3_T4_T5_mT6_P12ihipStream_tbENKUlT_T0_E_clISt17integral_constantIbLb1EESW_EEDaSR_SS_EUlSR_E_NS1_11comp_targetILNS1_3genE8ELNS1_11target_archE1030ELNS1_3gpuE2ELNS1_3repE0EEENS1_30default_config_static_selectorELNS0_4arch9wavefront6targetE1EEEvT1_: ; @_ZN7rocprim17ROCPRIM_400000_NS6detail17trampoline_kernelINS0_14default_configENS1_20scan_config_selectorIdEEZZNS1_9scan_implILNS1_25lookback_scan_determinismE0ELb0ELb0ES3_PKdPddZZZN2at6native31launch_logcumsumexp_cuda_kernelERKNSB_10TensorBaseESF_lENKUlvE_clEvENKUlvE_clEvEUlddE_dEEDaPvRmT3_T4_T5_mT6_P12ihipStream_tbENKUlT_T0_E_clISt17integral_constantIbLb1EESW_EEDaSR_SS_EUlSR_E_NS1_11comp_targetILNS1_3genE8ELNS1_11target_archE1030ELNS1_3gpuE2ELNS1_3repE0EEENS1_30default_config_static_selectorELNS0_4arch9wavefront6targetE1EEEvT1_
; %bb.0:
	.section	.rodata,"a",@progbits
	.p2align	6, 0x0
	.amdhsa_kernel _ZN7rocprim17ROCPRIM_400000_NS6detail17trampoline_kernelINS0_14default_configENS1_20scan_config_selectorIdEEZZNS1_9scan_implILNS1_25lookback_scan_determinismE0ELb0ELb0ES3_PKdPddZZZN2at6native31launch_logcumsumexp_cuda_kernelERKNSB_10TensorBaseESF_lENKUlvE_clEvENKUlvE_clEvEUlddE_dEEDaPvRmT3_T4_T5_mT6_P12ihipStream_tbENKUlT_T0_E_clISt17integral_constantIbLb1EESW_EEDaSR_SS_EUlSR_E_NS1_11comp_targetILNS1_3genE8ELNS1_11target_archE1030ELNS1_3gpuE2ELNS1_3repE0EEENS1_30default_config_static_selectorELNS0_4arch9wavefront6targetE1EEEvT1_
		.amdhsa_group_segment_fixed_size 0
		.amdhsa_private_segment_fixed_size 0
		.amdhsa_kernarg_size 104
		.amdhsa_user_sgpr_count 2
		.amdhsa_user_sgpr_dispatch_ptr 0
		.amdhsa_user_sgpr_queue_ptr 0
		.amdhsa_user_sgpr_kernarg_segment_ptr 1
		.amdhsa_user_sgpr_dispatch_id 0
		.amdhsa_user_sgpr_kernarg_preload_length 0
		.amdhsa_user_sgpr_kernarg_preload_offset 0
		.amdhsa_user_sgpr_private_segment_size 0
		.amdhsa_uses_dynamic_stack 0
		.amdhsa_enable_private_segment 0
		.amdhsa_system_sgpr_workgroup_id_x 1
		.amdhsa_system_sgpr_workgroup_id_y 0
		.amdhsa_system_sgpr_workgroup_id_z 0
		.amdhsa_system_sgpr_workgroup_info 0
		.amdhsa_system_vgpr_workitem_id 0
		.amdhsa_next_free_vgpr 1
		.amdhsa_next_free_sgpr 0
		.amdhsa_accum_offset 4
		.amdhsa_reserve_vcc 0
		.amdhsa_float_round_mode_32 0
		.amdhsa_float_round_mode_16_64 0
		.amdhsa_float_denorm_mode_32 3
		.amdhsa_float_denorm_mode_16_64 3
		.amdhsa_dx10_clamp 1
		.amdhsa_ieee_mode 1
		.amdhsa_fp16_overflow 0
		.amdhsa_tg_split 0
		.amdhsa_exception_fp_ieee_invalid_op 0
		.amdhsa_exception_fp_denorm_src 0
		.amdhsa_exception_fp_ieee_div_zero 0
		.amdhsa_exception_fp_ieee_overflow 0
		.amdhsa_exception_fp_ieee_underflow 0
		.amdhsa_exception_fp_ieee_inexact 0
		.amdhsa_exception_int_div_zero 0
	.end_amdhsa_kernel
	.section	.text._ZN7rocprim17ROCPRIM_400000_NS6detail17trampoline_kernelINS0_14default_configENS1_20scan_config_selectorIdEEZZNS1_9scan_implILNS1_25lookback_scan_determinismE0ELb0ELb0ES3_PKdPddZZZN2at6native31launch_logcumsumexp_cuda_kernelERKNSB_10TensorBaseESF_lENKUlvE_clEvENKUlvE_clEvEUlddE_dEEDaPvRmT3_T4_T5_mT6_P12ihipStream_tbENKUlT_T0_E_clISt17integral_constantIbLb1EESW_EEDaSR_SS_EUlSR_E_NS1_11comp_targetILNS1_3genE8ELNS1_11target_archE1030ELNS1_3gpuE2ELNS1_3repE0EEENS1_30default_config_static_selectorELNS0_4arch9wavefront6targetE1EEEvT1_,"axG",@progbits,_ZN7rocprim17ROCPRIM_400000_NS6detail17trampoline_kernelINS0_14default_configENS1_20scan_config_selectorIdEEZZNS1_9scan_implILNS1_25lookback_scan_determinismE0ELb0ELb0ES3_PKdPddZZZN2at6native31launch_logcumsumexp_cuda_kernelERKNSB_10TensorBaseESF_lENKUlvE_clEvENKUlvE_clEvEUlddE_dEEDaPvRmT3_T4_T5_mT6_P12ihipStream_tbENKUlT_T0_E_clISt17integral_constantIbLb1EESW_EEDaSR_SS_EUlSR_E_NS1_11comp_targetILNS1_3genE8ELNS1_11target_archE1030ELNS1_3gpuE2ELNS1_3repE0EEENS1_30default_config_static_selectorELNS0_4arch9wavefront6targetE1EEEvT1_,comdat
.Lfunc_end36:
	.size	_ZN7rocprim17ROCPRIM_400000_NS6detail17trampoline_kernelINS0_14default_configENS1_20scan_config_selectorIdEEZZNS1_9scan_implILNS1_25lookback_scan_determinismE0ELb0ELb0ES3_PKdPddZZZN2at6native31launch_logcumsumexp_cuda_kernelERKNSB_10TensorBaseESF_lENKUlvE_clEvENKUlvE_clEvEUlddE_dEEDaPvRmT3_T4_T5_mT6_P12ihipStream_tbENKUlT_T0_E_clISt17integral_constantIbLb1EESW_EEDaSR_SS_EUlSR_E_NS1_11comp_targetILNS1_3genE8ELNS1_11target_archE1030ELNS1_3gpuE2ELNS1_3repE0EEENS1_30default_config_static_selectorELNS0_4arch9wavefront6targetE1EEEvT1_, .Lfunc_end36-_ZN7rocprim17ROCPRIM_400000_NS6detail17trampoline_kernelINS0_14default_configENS1_20scan_config_selectorIdEEZZNS1_9scan_implILNS1_25lookback_scan_determinismE0ELb0ELb0ES3_PKdPddZZZN2at6native31launch_logcumsumexp_cuda_kernelERKNSB_10TensorBaseESF_lENKUlvE_clEvENKUlvE_clEvEUlddE_dEEDaPvRmT3_T4_T5_mT6_P12ihipStream_tbENKUlT_T0_E_clISt17integral_constantIbLb1EESW_EEDaSR_SS_EUlSR_E_NS1_11comp_targetILNS1_3genE8ELNS1_11target_archE1030ELNS1_3gpuE2ELNS1_3repE0EEENS1_30default_config_static_selectorELNS0_4arch9wavefront6targetE1EEEvT1_
                                        ; -- End function
	.set _ZN7rocprim17ROCPRIM_400000_NS6detail17trampoline_kernelINS0_14default_configENS1_20scan_config_selectorIdEEZZNS1_9scan_implILNS1_25lookback_scan_determinismE0ELb0ELb0ES3_PKdPddZZZN2at6native31launch_logcumsumexp_cuda_kernelERKNSB_10TensorBaseESF_lENKUlvE_clEvENKUlvE_clEvEUlddE_dEEDaPvRmT3_T4_T5_mT6_P12ihipStream_tbENKUlT_T0_E_clISt17integral_constantIbLb1EESW_EEDaSR_SS_EUlSR_E_NS1_11comp_targetILNS1_3genE8ELNS1_11target_archE1030ELNS1_3gpuE2ELNS1_3repE0EEENS1_30default_config_static_selectorELNS0_4arch9wavefront6targetE1EEEvT1_.num_vgpr, 0
	.set _ZN7rocprim17ROCPRIM_400000_NS6detail17trampoline_kernelINS0_14default_configENS1_20scan_config_selectorIdEEZZNS1_9scan_implILNS1_25lookback_scan_determinismE0ELb0ELb0ES3_PKdPddZZZN2at6native31launch_logcumsumexp_cuda_kernelERKNSB_10TensorBaseESF_lENKUlvE_clEvENKUlvE_clEvEUlddE_dEEDaPvRmT3_T4_T5_mT6_P12ihipStream_tbENKUlT_T0_E_clISt17integral_constantIbLb1EESW_EEDaSR_SS_EUlSR_E_NS1_11comp_targetILNS1_3genE8ELNS1_11target_archE1030ELNS1_3gpuE2ELNS1_3repE0EEENS1_30default_config_static_selectorELNS0_4arch9wavefront6targetE1EEEvT1_.num_agpr, 0
	.set _ZN7rocprim17ROCPRIM_400000_NS6detail17trampoline_kernelINS0_14default_configENS1_20scan_config_selectorIdEEZZNS1_9scan_implILNS1_25lookback_scan_determinismE0ELb0ELb0ES3_PKdPddZZZN2at6native31launch_logcumsumexp_cuda_kernelERKNSB_10TensorBaseESF_lENKUlvE_clEvENKUlvE_clEvEUlddE_dEEDaPvRmT3_T4_T5_mT6_P12ihipStream_tbENKUlT_T0_E_clISt17integral_constantIbLb1EESW_EEDaSR_SS_EUlSR_E_NS1_11comp_targetILNS1_3genE8ELNS1_11target_archE1030ELNS1_3gpuE2ELNS1_3repE0EEENS1_30default_config_static_selectorELNS0_4arch9wavefront6targetE1EEEvT1_.numbered_sgpr, 0
	.set _ZN7rocprim17ROCPRIM_400000_NS6detail17trampoline_kernelINS0_14default_configENS1_20scan_config_selectorIdEEZZNS1_9scan_implILNS1_25lookback_scan_determinismE0ELb0ELb0ES3_PKdPddZZZN2at6native31launch_logcumsumexp_cuda_kernelERKNSB_10TensorBaseESF_lENKUlvE_clEvENKUlvE_clEvEUlddE_dEEDaPvRmT3_T4_T5_mT6_P12ihipStream_tbENKUlT_T0_E_clISt17integral_constantIbLb1EESW_EEDaSR_SS_EUlSR_E_NS1_11comp_targetILNS1_3genE8ELNS1_11target_archE1030ELNS1_3gpuE2ELNS1_3repE0EEENS1_30default_config_static_selectorELNS0_4arch9wavefront6targetE1EEEvT1_.num_named_barrier, 0
	.set _ZN7rocprim17ROCPRIM_400000_NS6detail17trampoline_kernelINS0_14default_configENS1_20scan_config_selectorIdEEZZNS1_9scan_implILNS1_25lookback_scan_determinismE0ELb0ELb0ES3_PKdPddZZZN2at6native31launch_logcumsumexp_cuda_kernelERKNSB_10TensorBaseESF_lENKUlvE_clEvENKUlvE_clEvEUlddE_dEEDaPvRmT3_T4_T5_mT6_P12ihipStream_tbENKUlT_T0_E_clISt17integral_constantIbLb1EESW_EEDaSR_SS_EUlSR_E_NS1_11comp_targetILNS1_3genE8ELNS1_11target_archE1030ELNS1_3gpuE2ELNS1_3repE0EEENS1_30default_config_static_selectorELNS0_4arch9wavefront6targetE1EEEvT1_.private_seg_size, 0
	.set _ZN7rocprim17ROCPRIM_400000_NS6detail17trampoline_kernelINS0_14default_configENS1_20scan_config_selectorIdEEZZNS1_9scan_implILNS1_25lookback_scan_determinismE0ELb0ELb0ES3_PKdPddZZZN2at6native31launch_logcumsumexp_cuda_kernelERKNSB_10TensorBaseESF_lENKUlvE_clEvENKUlvE_clEvEUlddE_dEEDaPvRmT3_T4_T5_mT6_P12ihipStream_tbENKUlT_T0_E_clISt17integral_constantIbLb1EESW_EEDaSR_SS_EUlSR_E_NS1_11comp_targetILNS1_3genE8ELNS1_11target_archE1030ELNS1_3gpuE2ELNS1_3repE0EEENS1_30default_config_static_selectorELNS0_4arch9wavefront6targetE1EEEvT1_.uses_vcc, 0
	.set _ZN7rocprim17ROCPRIM_400000_NS6detail17trampoline_kernelINS0_14default_configENS1_20scan_config_selectorIdEEZZNS1_9scan_implILNS1_25lookback_scan_determinismE0ELb0ELb0ES3_PKdPddZZZN2at6native31launch_logcumsumexp_cuda_kernelERKNSB_10TensorBaseESF_lENKUlvE_clEvENKUlvE_clEvEUlddE_dEEDaPvRmT3_T4_T5_mT6_P12ihipStream_tbENKUlT_T0_E_clISt17integral_constantIbLb1EESW_EEDaSR_SS_EUlSR_E_NS1_11comp_targetILNS1_3genE8ELNS1_11target_archE1030ELNS1_3gpuE2ELNS1_3repE0EEENS1_30default_config_static_selectorELNS0_4arch9wavefront6targetE1EEEvT1_.uses_flat_scratch, 0
	.set _ZN7rocprim17ROCPRIM_400000_NS6detail17trampoline_kernelINS0_14default_configENS1_20scan_config_selectorIdEEZZNS1_9scan_implILNS1_25lookback_scan_determinismE0ELb0ELb0ES3_PKdPddZZZN2at6native31launch_logcumsumexp_cuda_kernelERKNSB_10TensorBaseESF_lENKUlvE_clEvENKUlvE_clEvEUlddE_dEEDaPvRmT3_T4_T5_mT6_P12ihipStream_tbENKUlT_T0_E_clISt17integral_constantIbLb1EESW_EEDaSR_SS_EUlSR_E_NS1_11comp_targetILNS1_3genE8ELNS1_11target_archE1030ELNS1_3gpuE2ELNS1_3repE0EEENS1_30default_config_static_selectorELNS0_4arch9wavefront6targetE1EEEvT1_.has_dyn_sized_stack, 0
	.set _ZN7rocprim17ROCPRIM_400000_NS6detail17trampoline_kernelINS0_14default_configENS1_20scan_config_selectorIdEEZZNS1_9scan_implILNS1_25lookback_scan_determinismE0ELb0ELb0ES3_PKdPddZZZN2at6native31launch_logcumsumexp_cuda_kernelERKNSB_10TensorBaseESF_lENKUlvE_clEvENKUlvE_clEvEUlddE_dEEDaPvRmT3_T4_T5_mT6_P12ihipStream_tbENKUlT_T0_E_clISt17integral_constantIbLb1EESW_EEDaSR_SS_EUlSR_E_NS1_11comp_targetILNS1_3genE8ELNS1_11target_archE1030ELNS1_3gpuE2ELNS1_3repE0EEENS1_30default_config_static_selectorELNS0_4arch9wavefront6targetE1EEEvT1_.has_recursion, 0
	.set _ZN7rocprim17ROCPRIM_400000_NS6detail17trampoline_kernelINS0_14default_configENS1_20scan_config_selectorIdEEZZNS1_9scan_implILNS1_25lookback_scan_determinismE0ELb0ELb0ES3_PKdPddZZZN2at6native31launch_logcumsumexp_cuda_kernelERKNSB_10TensorBaseESF_lENKUlvE_clEvENKUlvE_clEvEUlddE_dEEDaPvRmT3_T4_T5_mT6_P12ihipStream_tbENKUlT_T0_E_clISt17integral_constantIbLb1EESW_EEDaSR_SS_EUlSR_E_NS1_11comp_targetILNS1_3genE8ELNS1_11target_archE1030ELNS1_3gpuE2ELNS1_3repE0EEENS1_30default_config_static_selectorELNS0_4arch9wavefront6targetE1EEEvT1_.has_indirect_call, 0
	.section	.AMDGPU.csdata,"",@progbits
; Kernel info:
; codeLenInByte = 0
; TotalNumSgprs: 6
; NumVgprs: 0
; NumAgprs: 0
; TotalNumVgprs: 0
; ScratchSize: 0
; MemoryBound: 0
; FloatMode: 240
; IeeeMode: 1
; LDSByteSize: 0 bytes/workgroup (compile time only)
; SGPRBlocks: 0
; VGPRBlocks: 0
; NumSGPRsForWavesPerEU: 6
; NumVGPRsForWavesPerEU: 1
; AccumOffset: 4
; Occupancy: 8
; WaveLimiterHint : 0
; COMPUTE_PGM_RSRC2:SCRATCH_EN: 0
; COMPUTE_PGM_RSRC2:USER_SGPR: 2
; COMPUTE_PGM_RSRC2:TRAP_HANDLER: 0
; COMPUTE_PGM_RSRC2:TGID_X_EN: 1
; COMPUTE_PGM_RSRC2:TGID_Y_EN: 0
; COMPUTE_PGM_RSRC2:TGID_Z_EN: 0
; COMPUTE_PGM_RSRC2:TIDIG_COMP_CNT: 0
; COMPUTE_PGM_RSRC3_GFX90A:ACCUM_OFFSET: 0
; COMPUTE_PGM_RSRC3_GFX90A:TG_SPLIT: 0
	.section	.text._ZN7rocprim17ROCPRIM_400000_NS6detail17trampoline_kernelINS0_14default_configENS1_20scan_config_selectorIdEEZZNS1_9scan_implILNS1_25lookback_scan_determinismE0ELb0ELb0ES3_PKdPddZZZN2at6native31launch_logcumsumexp_cuda_kernelERKNSB_10TensorBaseESF_lENKUlvE_clEvENKUlvE_clEvEUlddE_dEEDaPvRmT3_T4_T5_mT6_P12ihipStream_tbENKUlT_T0_E_clISt17integral_constantIbLb1EESW_EEDaSR_SS_EUlSR_E0_NS1_11comp_targetILNS1_3genE0ELNS1_11target_archE4294967295ELNS1_3gpuE0ELNS1_3repE0EEENS1_30default_config_static_selectorELNS0_4arch9wavefront6targetE1EEEvT1_,"axG",@progbits,_ZN7rocprim17ROCPRIM_400000_NS6detail17trampoline_kernelINS0_14default_configENS1_20scan_config_selectorIdEEZZNS1_9scan_implILNS1_25lookback_scan_determinismE0ELb0ELb0ES3_PKdPddZZZN2at6native31launch_logcumsumexp_cuda_kernelERKNSB_10TensorBaseESF_lENKUlvE_clEvENKUlvE_clEvEUlddE_dEEDaPvRmT3_T4_T5_mT6_P12ihipStream_tbENKUlT_T0_E_clISt17integral_constantIbLb1EESW_EEDaSR_SS_EUlSR_E0_NS1_11comp_targetILNS1_3genE0ELNS1_11target_archE4294967295ELNS1_3gpuE0ELNS1_3repE0EEENS1_30default_config_static_selectorELNS0_4arch9wavefront6targetE1EEEvT1_,comdat
	.globl	_ZN7rocprim17ROCPRIM_400000_NS6detail17trampoline_kernelINS0_14default_configENS1_20scan_config_selectorIdEEZZNS1_9scan_implILNS1_25lookback_scan_determinismE0ELb0ELb0ES3_PKdPddZZZN2at6native31launch_logcumsumexp_cuda_kernelERKNSB_10TensorBaseESF_lENKUlvE_clEvENKUlvE_clEvEUlddE_dEEDaPvRmT3_T4_T5_mT6_P12ihipStream_tbENKUlT_T0_E_clISt17integral_constantIbLb1EESW_EEDaSR_SS_EUlSR_E0_NS1_11comp_targetILNS1_3genE0ELNS1_11target_archE4294967295ELNS1_3gpuE0ELNS1_3repE0EEENS1_30default_config_static_selectorELNS0_4arch9wavefront6targetE1EEEvT1_ ; -- Begin function _ZN7rocprim17ROCPRIM_400000_NS6detail17trampoline_kernelINS0_14default_configENS1_20scan_config_selectorIdEEZZNS1_9scan_implILNS1_25lookback_scan_determinismE0ELb0ELb0ES3_PKdPddZZZN2at6native31launch_logcumsumexp_cuda_kernelERKNSB_10TensorBaseESF_lENKUlvE_clEvENKUlvE_clEvEUlddE_dEEDaPvRmT3_T4_T5_mT6_P12ihipStream_tbENKUlT_T0_E_clISt17integral_constantIbLb1EESW_EEDaSR_SS_EUlSR_E0_NS1_11comp_targetILNS1_3genE0ELNS1_11target_archE4294967295ELNS1_3gpuE0ELNS1_3repE0EEENS1_30default_config_static_selectorELNS0_4arch9wavefront6targetE1EEEvT1_
	.p2align	8
	.type	_ZN7rocprim17ROCPRIM_400000_NS6detail17trampoline_kernelINS0_14default_configENS1_20scan_config_selectorIdEEZZNS1_9scan_implILNS1_25lookback_scan_determinismE0ELb0ELb0ES3_PKdPddZZZN2at6native31launch_logcumsumexp_cuda_kernelERKNSB_10TensorBaseESF_lENKUlvE_clEvENKUlvE_clEvEUlddE_dEEDaPvRmT3_T4_T5_mT6_P12ihipStream_tbENKUlT_T0_E_clISt17integral_constantIbLb1EESW_EEDaSR_SS_EUlSR_E0_NS1_11comp_targetILNS1_3genE0ELNS1_11target_archE4294967295ELNS1_3gpuE0ELNS1_3repE0EEENS1_30default_config_static_selectorELNS0_4arch9wavefront6targetE1EEEvT1_,@function
_ZN7rocprim17ROCPRIM_400000_NS6detail17trampoline_kernelINS0_14default_configENS1_20scan_config_selectorIdEEZZNS1_9scan_implILNS1_25lookback_scan_determinismE0ELb0ELb0ES3_PKdPddZZZN2at6native31launch_logcumsumexp_cuda_kernelERKNSB_10TensorBaseESF_lENKUlvE_clEvENKUlvE_clEvEUlddE_dEEDaPvRmT3_T4_T5_mT6_P12ihipStream_tbENKUlT_T0_E_clISt17integral_constantIbLb1EESW_EEDaSR_SS_EUlSR_E0_NS1_11comp_targetILNS1_3genE0ELNS1_11target_archE4294967295ELNS1_3gpuE0ELNS1_3repE0EEENS1_30default_config_static_selectorELNS0_4arch9wavefront6targetE1EEEvT1_: ; @_ZN7rocprim17ROCPRIM_400000_NS6detail17trampoline_kernelINS0_14default_configENS1_20scan_config_selectorIdEEZZNS1_9scan_implILNS1_25lookback_scan_determinismE0ELb0ELb0ES3_PKdPddZZZN2at6native31launch_logcumsumexp_cuda_kernelERKNSB_10TensorBaseESF_lENKUlvE_clEvENKUlvE_clEvEUlddE_dEEDaPvRmT3_T4_T5_mT6_P12ihipStream_tbENKUlT_T0_E_clISt17integral_constantIbLb1EESW_EEDaSR_SS_EUlSR_E0_NS1_11comp_targetILNS1_3genE0ELNS1_11target_archE4294967295ELNS1_3gpuE0ELNS1_3repE0EEENS1_30default_config_static_selectorELNS0_4arch9wavefront6targetE1EEEvT1_
; %bb.0:
	s_load_dwordx4 s[12:15], s[0:1], 0x0
	v_lshlrev_b32_e32 v18, 3, v0
	s_waitcnt lgkmcnt(0)
	s_load_dwordx2 s[10:11], s[12:13], 0x0
	v_cmp_gt_u32_e32 vcc, s14, v0
	s_waitcnt lgkmcnt(0)
	v_mov_b64_e32 v[2:3], s[10:11]
	s_and_saveexec_b64 s[2:3], vcc
	s_cbranch_execz .LBB37_2
; %bb.1:
	global_load_dwordx2 v[2:3], v18, s[12:13]
.LBB37_2:
	s_or_b64 exec, exec, s[2:3]
	v_or_b32_e32 v1, 0x100, v0
	v_cmp_gt_u32_e64 s[20:21], s14, v1
	v_mov_b64_e32 v[4:5], s[10:11]
	s_and_saveexec_b64 s[2:3], s[20:21]
	s_cbranch_execz .LBB37_4
; %bb.3:
	global_load_dwordx2 v[4:5], v18, s[12:13] offset:2048
.LBB37_4:
	s_or_b64 exec, exec, s[2:3]
	v_or_b32_e32 v1, 0x200, v0
	v_cmp_gt_u32_e64 s[2:3], s14, v1
	v_mov_b64_e32 v[6:7], s[10:11]
	s_and_saveexec_b64 s[4:5], s[2:3]
	s_cbranch_execz .LBB37_6
; %bb.5:
	v_lshlrev_b32_e32 v1, 3, v1
	global_load_dwordx2 v[6:7], v1, s[12:13]
.LBB37_6:
	s_or_b64 exec, exec, s[4:5]
	v_or_b32_e32 v1, 0x300, v0
	v_cmp_gt_u32_e64 s[4:5], s14, v1
	v_mov_b64_e32 v[8:9], s[10:11]
	s_and_saveexec_b64 s[6:7], s[4:5]
	s_cbranch_execz .LBB37_8
; %bb.7:
	v_lshlrev_b32_e32 v1, 3, v1
	global_load_dwordx2 v[8:9], v1, s[12:13]
.LBB37_8:
	;; [unrolled: 10-line block ×4, first 2 shown]
	s_or_b64 exec, exec, s[10:11]
	v_mad_u32_u24 v1, v0, 40, v18
	s_waitcnt vmcnt(0)
	ds_write2st64_b64 v18, v[2:3], v[4:5] offset1:4
	ds_write2st64_b64 v18, v[6:7], v[8:9] offset0:8 offset1:12
	ds_write2st64_b64 v18, v[10:11], v[12:13] offset0:16 offset1:20
	s_waitcnt lgkmcnt(0)
	s_barrier
	ds_read_b128 v[2:5], v1
	ds_read_b128 v[10:13], v1 offset:16
	ds_read_b128 v[6:9], v1 offset:32
	s_movk_i32 s26, 0x1f8
	s_waitcnt lgkmcnt(0)
	v_max_f64 v[28:29], v[4:5], v[4:5]
	v_max_f64 v[30:31], v[2:3], v[2:3]
	v_min_f64 v[32:33], v[30:31], v[28:29]
	v_cmp_u_f64_e64 s[22:23], v[2:3], v[2:3]
	v_cmp_u_f64_e64 s[10:11], v[4:5], v[4:5]
	v_max_f64 v[34:35], v[30:31], v[28:29]
	v_cndmask_b32_e64 v1, v32, v2, s[22:23]
	v_cndmask_b32_e64 v14, v33, v3, s[22:23]
	;; [unrolled: 1-line block ×8, first 2 shown]
	v_cmp_neq_f64_e64 s[12:13], v[16:17], v[14:15]
	v_cmp_class_f64_e64 s[14:15], v[16:17], s26
	s_or_b64 s[12:13], s[12:13], s[14:15]
	v_mov_b64_e32 v[36:37], v[2:3]
	s_barrier
	s_and_saveexec_b64 s[16:17], s[12:13]
	s_cbranch_execz .LBB37_14
; %bb.13:
	s_mov_b32 s12, 0x652b82fe
	v_add_f64 v[16:17], v[16:17], -v[14:15]
	s_mov_b32 s13, 0x3ff71547
	v_mul_f64 v[20:21], v[16:17], s[12:13]
	v_rndne_f64_e32 v[20:21], v[20:21]
	s_mov_b32 s19, 0xbfe62e42
	s_mov_b32 s18, 0xfefa39ef
	v_fma_f64 v[22:23], s[18:19], v[20:21], v[16:17]
	s_mov_b32 s25, 0xbc7abc9e
	s_mov_b32 s24, 0x3b39803f
	;; [unrolled: 1-line block ×3, first 2 shown]
	v_fmac_f64_e32 v[22:23], s[24:25], v[20:21]
	v_mov_b32_e32 v24, 0xfca7ab0c
	v_mov_b32_e32 v25, 0x3e928af3
	s_mov_b32 s13, 0x3e5ade15
	v_fmac_f64_e32 v[24:25], s[12:13], v[22:23]
	v_mov_b32_e32 v26, 0x623fde64
	v_mov_b32_e32 v27, 0x3ec71dee
	v_fmac_f64_e32 v[26:27], v[22:23], v[24:25]
	v_mov_b32_e32 v24, 0x7c89e6b0
	v_mov_b32_e32 v25, 0x3efa0199
	;; [unrolled: 3-line block ×8, first 2 shown]
	v_fmac_f64_e32 v[24:25], v[22:23], v[26:27]
	v_fma_f64 v[24:25], v[22:23], v[24:25], 1.0
	s_mov_b32 s12, 0
	s_mov_b32 s14, 0
	v_fma_f64 v[22:23], v[22:23], v[24:25], 1.0
	v_cvt_i32_f64_e32 v1, v[20:21]
	s_mov_b32 s13, 0x40900000
	s_mov_b32 s15, 0xc090cc00
	v_ldexp_f64 v[20:21], v[22:23], v1
	v_mov_b32_e32 v1, 0x7ff00000
	v_cmp_nlt_f64_e64 s[12:13], s[12:13], v[16:17]
	v_cmp_ngt_f64_e64 s[14:15], s[14:15], v[16:17]
	s_mov_b32 s19, 0x3fe62e42
	v_cndmask_b32_e64 v19, v1, v21, s[12:13]
	s_and_b64 s[12:13], s[14:15], s[12:13]
	v_cndmask_b32_e64 v17, 0, v19, s[14:15]
	v_cndmask_b32_e64 v16, 0, v20, s[12:13]
	v_add_f64 v[20:21], v[16:17], 1.0
	v_add_f64 v[22:23], v[20:21], -1.0
	v_add_f64 v[24:25], v[22:23], -v[20:21]
	v_add_f64 v[24:25], v[24:25], 1.0
	v_add_f64 v[22:23], v[16:17], -v[22:23]
	s_mov_b32 s12, 0x55555555
	v_add_f64 v[22:23], v[22:23], v[24:25]
	v_frexp_mant_f64_e32 v[24:25], v[20:21]
	s_mov_b32 s13, 0x3fe55555
	v_frexp_exp_i32_f64_e32 v19, v[20:21]
	v_cmp_gt_f64_e64 s[12:13], s[12:13], v[24:25]
	s_mov_b32 s25, 0x3c7abc9e
	v_cmp_ngt_f64_e64 s[14:15], -1.0, v[16:17]
	v_subbrev_co_u32_e64 v19, s[12:13], 0, v19, s[12:13]
	v_sub_u32_e32 v24, 0, v19
	v_ldexp_f64 v[20:21], v[20:21], v24
	v_ldexp_f64 v[22:23], v[22:23], v24
	v_add_f64 v[24:25], v[20:21], -1.0
	v_add_f64 v[38:39], v[20:21], 1.0
	v_add_f64 v[26:27], v[24:25], 1.0
	v_add_f64 v[40:41], v[38:39], -1.0
	v_add_f64 v[26:27], v[20:21], -v[26:27]
	v_add_f64 v[20:21], v[20:21], -v[40:41]
	v_add_f64 v[20:21], v[22:23], v[20:21]
	v_add_f64 v[26:27], v[22:23], v[26:27]
	;; [unrolled: 1-line block ×3, first 2 shown]
	v_rcp_f64_e32 v[40:41], v[22:23]
	v_add_f64 v[36:37], v[24:25], v[26:27]
	v_add_f64 v[24:25], v[36:37], -v[24:25]
	v_add_f64 v[24:25], v[26:27], -v[24:25]
	;; [unrolled: 1-line block ×4, first 2 shown]
	v_fma_f64 v[26:27], -v[22:23], v[40:41], 1.0
	v_fmac_f64_e32 v[40:41], v[26:27], v[40:41]
	v_fma_f64 v[26:27], -v[22:23], v[40:41], 1.0
	v_fmac_f64_e32 v[40:41], v[26:27], v[40:41]
	v_mul_f64 v[26:27], v[36:37], v[40:41]
	v_mul_f64 v[38:39], v[22:23], v[26:27]
	v_fma_f64 v[42:43], v[26:27], v[22:23], -v[38:39]
	v_fmac_f64_e32 v[42:43], v[26:27], v[20:21]
	v_add_f64 v[44:45], v[38:39], v[42:43]
	v_add_f64 v[46:47], v[36:37], -v[44:45]
	v_add_f64 v[36:37], v[36:37], -v[46:47]
	;; [unrolled: 1-line block ×4, first 2 shown]
	v_add_f64 v[24:25], v[24:25], v[36:37]
	v_add_f64 v[36:37], v[38:39], -v[42:43]
	v_add_f64 v[24:25], v[36:37], v[24:25]
	v_add_f64 v[36:37], v[46:47], v[24:25]
	v_add_f64 v[38:39], v[46:47], -v[36:37]
	v_add_f64 v[24:25], v[24:25], v[38:39]
	v_mul_f64 v[38:39], v[40:41], v[36:37]
	v_mul_f64 v[42:43], v[22:23], v[38:39]
	v_fma_f64 v[22:23], v[38:39], v[22:23], -v[42:43]
	v_fmac_f64_e32 v[22:23], v[38:39], v[20:21]
	v_add_f64 v[20:21], v[42:43], v[22:23]
	v_add_f64 v[44:45], v[36:37], -v[20:21]
	v_add_f64 v[36:37], v[36:37], -v[44:45]
	v_add_f64 v[42:43], v[20:21], -v[42:43]
	v_add_f64 v[20:21], v[36:37], -v[20:21]
	v_add_f64 v[20:21], v[24:25], v[20:21]
	v_add_f64 v[22:23], v[42:43], -v[22:23]
	v_add_f64 v[20:21], v[22:23], v[20:21]
	v_add_f64 v[22:23], v[26:27], v[38:39]
	;; [unrolled: 1-line block ×3, first 2 shown]
	v_add_f64 v[24:25], v[22:23], -v[26:27]
	v_mul_f64 v[20:21], v[40:41], v[20:21]
	v_add_f64 v[24:25], v[38:39], -v[24:25]
	v_add_f64 v[20:21], v[24:25], v[20:21]
	v_add_f64 v[24:25], v[22:23], v[20:21]
	v_add_f64 v[22:23], v[24:25], -v[22:23]
	s_mov_b32 s12, 0xbf559e2b
	v_add_f64 v[20:21], v[20:21], -v[22:23]
	v_mul_f64 v[22:23], v[24:25], v[24:25]
	v_mov_b32_e32 v26, 0x6b47b09a
	v_mov_b32_e32 v27, 0x3fc38538
	s_mov_b32 s13, 0x3fc3ab76
	v_fmac_f64_e32 v[26:27], s[12:13], v[22:23]
	v_mov_b32_e32 v36, 0xd7f4df2e
	v_mov_b32_e32 v37, 0x3fc7474d
	v_fmac_f64_e32 v[36:37], v[22:23], v[26:27]
	v_mov_b32_e32 v26, 0x16291751
	v_mov_b32_e32 v27, 0x3fcc71c0
	;; [unrolled: 3-line block ×5, first 2 shown]
	v_fmac_f64_e32 v[36:37], v[22:23], v[26:27]
	v_cvt_f64_i32_e32 v[26:27], v19
	v_mul_f64 v[38:39], v[26:27], s[18:19]
	v_fma_f64 v[40:41], v[26:27], s[18:19], -v[38:39]
	v_fmac_f64_e32 v[40:41], s[24:25], v[26:27]
	v_add_f64 v[26:27], v[38:39], v[40:41]
	v_add_f64 v[38:39], v[26:27], -v[38:39]
	v_mul_f64 v[22:23], v[24:25], v[22:23]
	v_add_f64 v[38:39], v[40:41], -v[38:39]
	v_ldexp_f64 v[40:41], v[24:25], 1
	v_mul_f64 v[22:23], v[22:23], v[36:37]
	v_add_f64 v[24:25], v[40:41], v[22:23]
	v_add_f64 v[36:37], v[24:25], -v[40:41]
	v_ldexp_f64 v[20:21], v[20:21], 1
	v_add_f64 v[22:23], v[22:23], -v[36:37]
	v_add_f64 v[20:21], v[20:21], v[22:23]
	v_add_f64 v[22:23], v[24:25], v[20:21]
	v_add_f64 v[24:25], v[22:23], -v[24:25]
	v_add_f64 v[20:21], v[20:21], -v[24:25]
	v_add_f64 v[24:25], v[26:27], v[22:23]
	v_add_f64 v[36:37], v[24:25], -v[26:27]
	v_add_f64 v[40:41], v[24:25], -v[36:37]
	;; [unrolled: 1-line block ×4, first 2 shown]
	v_add_f64 v[22:23], v[22:23], v[26:27]
	v_add_f64 v[26:27], v[38:39], v[20:21]
	v_add_f64 v[36:37], v[26:27], -v[38:39]
	v_add_f64 v[22:23], v[26:27], v[22:23]
	v_add_f64 v[40:41], v[26:27], -v[36:37]
	;; [unrolled: 2-line block ×3, first 2 shown]
	v_add_f64 v[20:21], v[20:21], -v[36:37]
	v_add_f64 v[24:25], v[26:27], -v[24:25]
	v_add_f64 v[20:21], v[20:21], v[38:39]
	v_add_f64 v[22:23], v[22:23], -v[24:25]
	s_mov_b32 s12, 0
	v_add_f64 v[20:21], v[20:21], v[22:23]
	s_mov_b32 s13, 0x7ff00000
	v_add_f64 v[20:21], v[26:27], v[20:21]
	v_cmp_neq_f64_e64 s[12:13], s[12:13], v[16:17]
	v_mov_b32_e32 v19, 0x7ff80000
	s_nop 0
	v_cndmask_b32_e64 v1, v1, v21, s[12:13]
	v_cndmask_b32_e64 v1, v19, v1, s[14:15]
	v_cmp_nge_f64_e64 s[14:15], -1.0, v[16:17]
	s_and_b64 s[12:13], s[14:15], s[12:13]
	v_cndmask_b32_e64 v20, 0, v20, s[12:13]
	v_mov_b32_e32 v19, 0xfff00000
	v_cmp_neq_f64_e64 s[12:13], -1.0, v[16:17]
	s_nop 1
	v_cndmask_b32_e64 v21, v19, v1, s[12:13]
	v_add_f64 v[36:37], v[14:15], v[20:21]
.LBB37_14:
	s_or_b64 exec, exec, s[16:17]
	v_max_f64 v[20:21], v[10:11], v[10:11]
	v_max_f64 v[14:15], v[36:37], v[36:37]
	v_min_f64 v[16:17], v[14:15], v[20:21]
	v_cmp_u_f64_e64 s[14:15], v[36:37], v[36:37]
	v_cmp_u_f64_e64 s[12:13], v[10:11], v[10:11]
	v_max_f64 v[14:15], v[14:15], v[20:21]
	v_cndmask_b32_e64 v1, v16, v36, s[14:15]
	v_cndmask_b32_e64 v16, v17, v37, s[14:15]
	;; [unrolled: 1-line block ×8, first 2 shown]
	v_cmp_neq_f64_e64 s[14:15], v[16:17], v[14:15]
	v_cmp_class_f64_e64 s[16:17], v[16:17], s26
	s_or_b64 s[14:15], s[14:15], s[16:17]
	s_and_saveexec_b64 s[18:19], s[14:15]
	s_cbranch_execz .LBB37_16
; %bb.15:
	s_mov_b32 s14, 0x652b82fe
	v_add_f64 v[16:17], v[16:17], -v[14:15]
	s_mov_b32 s15, 0x3ff71547
	v_mul_f64 v[22:23], v[16:17], s[14:15]
	v_rndne_f64_e32 v[22:23], v[22:23]
	s_mov_b32 s25, 0xbfe62e42
	s_mov_b32 s24, 0xfefa39ef
	v_fma_f64 v[24:25], s[24:25], v[22:23], v[16:17]
	s_mov_b32 s27, 0xbc7abc9e
	s_mov_b32 s26, 0x3b39803f
	;; [unrolled: 1-line block ×3, first 2 shown]
	v_fmac_f64_e32 v[24:25], s[26:27], v[22:23]
	v_mov_b32_e32 v26, 0xfca7ab0c
	v_mov_b32_e32 v27, 0x3e928af3
	s_mov_b32 s15, 0x3e5ade15
	v_fmac_f64_e32 v[26:27], s[14:15], v[24:25]
	v_mov_b32_e32 v36, 0x623fde64
	v_mov_b32_e32 v37, 0x3ec71dee
	v_fmac_f64_e32 v[36:37], v[24:25], v[26:27]
	v_mov_b32_e32 v26, 0x7c89e6b0
	v_mov_b32_e32 v27, 0x3efa0199
	;; [unrolled: 3-line block ×8, first 2 shown]
	v_fmac_f64_e32 v[26:27], v[24:25], v[36:37]
	v_fma_f64 v[26:27], v[24:25], v[26:27], 1.0
	s_mov_b32 s14, 0
	s_mov_b32 s16, 0
	v_fma_f64 v[24:25], v[24:25], v[26:27], 1.0
	v_cvt_i32_f64_e32 v1, v[22:23]
	s_mov_b32 s15, 0x40900000
	s_mov_b32 s17, 0xc090cc00
	v_ldexp_f64 v[22:23], v[24:25], v1
	v_mov_b32_e32 v1, 0x7ff00000
	v_cmp_nlt_f64_e64 s[14:15], s[14:15], v[16:17]
	v_cmp_ngt_f64_e64 s[16:17], s[16:17], v[16:17]
	s_mov_b32 s25, 0x3fe62e42
	v_cndmask_b32_e64 v19, v1, v23, s[14:15]
	s_and_b64 s[14:15], s[16:17], s[14:15]
	v_cndmask_b32_e64 v17, 0, v19, s[16:17]
	v_cndmask_b32_e64 v16, 0, v22, s[14:15]
	v_add_f64 v[22:23], v[16:17], 1.0
	v_add_f64 v[24:25], v[22:23], -1.0
	v_add_f64 v[26:27], v[24:25], -v[22:23]
	v_add_f64 v[26:27], v[26:27], 1.0
	v_add_f64 v[24:25], v[16:17], -v[24:25]
	s_mov_b32 s14, 0x55555555
	v_add_f64 v[24:25], v[24:25], v[26:27]
	v_frexp_mant_f64_e32 v[26:27], v[22:23]
	s_mov_b32 s15, 0x3fe55555
	v_frexp_exp_i32_f64_e32 v19, v[22:23]
	v_cmp_gt_f64_e64 s[14:15], s[14:15], v[26:27]
	s_mov_b32 s27, 0x3c7abc9e
	v_cmp_ngt_f64_e64 s[16:17], -1.0, v[16:17]
	v_subbrev_co_u32_e64 v19, s[14:15], 0, v19, s[14:15]
	v_sub_u32_e32 v26, 0, v19
	v_ldexp_f64 v[22:23], v[22:23], v26
	v_ldexp_f64 v[24:25], v[24:25], v26
	v_add_f64 v[26:27], v[22:23], -1.0
	v_add_f64 v[40:41], v[22:23], 1.0
	v_add_f64 v[36:37], v[26:27], 1.0
	v_add_f64 v[42:43], v[40:41], -1.0
	v_add_f64 v[36:37], v[22:23], -v[36:37]
	v_add_f64 v[22:23], v[22:23], -v[42:43]
	v_add_f64 v[22:23], v[24:25], v[22:23]
	v_add_f64 v[36:37], v[24:25], v[36:37]
	;; [unrolled: 1-line block ×3, first 2 shown]
	v_rcp_f64_e32 v[42:43], v[24:25]
	v_add_f64 v[38:39], v[26:27], v[36:37]
	v_add_f64 v[26:27], v[38:39], -v[26:27]
	v_add_f64 v[26:27], v[36:37], -v[26:27]
	;; [unrolled: 1-line block ×4, first 2 shown]
	v_fma_f64 v[36:37], -v[24:25], v[42:43], 1.0
	v_fmac_f64_e32 v[42:43], v[36:37], v[42:43]
	v_fma_f64 v[36:37], -v[24:25], v[42:43], 1.0
	v_fmac_f64_e32 v[42:43], v[36:37], v[42:43]
	v_mul_f64 v[36:37], v[38:39], v[42:43]
	v_mul_f64 v[40:41], v[24:25], v[36:37]
	v_fma_f64 v[44:45], v[36:37], v[24:25], -v[40:41]
	v_fmac_f64_e32 v[44:45], v[36:37], v[22:23]
	v_add_f64 v[46:47], v[40:41], v[44:45]
	v_add_f64 v[48:49], v[38:39], -v[46:47]
	v_add_f64 v[38:39], v[38:39], -v[48:49]
	;; [unrolled: 1-line block ×4, first 2 shown]
	v_add_f64 v[26:27], v[26:27], v[38:39]
	v_add_f64 v[38:39], v[40:41], -v[44:45]
	v_add_f64 v[26:27], v[38:39], v[26:27]
	v_add_f64 v[38:39], v[48:49], v[26:27]
	v_add_f64 v[40:41], v[48:49], -v[38:39]
	v_add_f64 v[26:27], v[26:27], v[40:41]
	v_mul_f64 v[40:41], v[42:43], v[38:39]
	v_mul_f64 v[44:45], v[24:25], v[40:41]
	v_fma_f64 v[24:25], v[40:41], v[24:25], -v[44:45]
	v_fmac_f64_e32 v[24:25], v[40:41], v[22:23]
	v_add_f64 v[22:23], v[44:45], v[24:25]
	v_add_f64 v[46:47], v[38:39], -v[22:23]
	v_add_f64 v[38:39], v[38:39], -v[46:47]
	v_add_f64 v[44:45], v[22:23], -v[44:45]
	v_add_f64 v[22:23], v[38:39], -v[22:23]
	v_add_f64 v[22:23], v[26:27], v[22:23]
	v_add_f64 v[24:25], v[44:45], -v[24:25]
	v_add_f64 v[22:23], v[24:25], v[22:23]
	v_add_f64 v[24:25], v[36:37], v[40:41]
	;; [unrolled: 1-line block ×3, first 2 shown]
	v_add_f64 v[26:27], v[24:25], -v[36:37]
	v_mul_f64 v[22:23], v[42:43], v[22:23]
	v_add_f64 v[26:27], v[40:41], -v[26:27]
	v_add_f64 v[22:23], v[26:27], v[22:23]
	v_add_f64 v[26:27], v[24:25], v[22:23]
	v_add_f64 v[24:25], v[26:27], -v[24:25]
	s_mov_b32 s14, 0xbf559e2b
	v_add_f64 v[22:23], v[22:23], -v[24:25]
	v_mul_f64 v[24:25], v[26:27], v[26:27]
	v_mov_b32_e32 v36, 0x6b47b09a
	v_mov_b32_e32 v37, 0x3fc38538
	s_mov_b32 s15, 0x3fc3ab76
	v_fmac_f64_e32 v[36:37], s[14:15], v[24:25]
	v_mov_b32_e32 v38, 0xd7f4df2e
	v_mov_b32_e32 v39, 0x3fc7474d
	v_fmac_f64_e32 v[38:39], v[24:25], v[36:37]
	v_mov_b32_e32 v36, 0x16291751
	v_mov_b32_e32 v37, 0x3fcc71c0
	;; [unrolled: 3-line block ×5, first 2 shown]
	v_fmac_f64_e32 v[38:39], v[24:25], v[36:37]
	v_cvt_f64_i32_e32 v[36:37], v19
	v_mul_f64 v[40:41], v[36:37], s[24:25]
	v_fma_f64 v[42:43], v[36:37], s[24:25], -v[40:41]
	v_fmac_f64_e32 v[42:43], s[26:27], v[36:37]
	v_add_f64 v[36:37], v[40:41], v[42:43]
	v_add_f64 v[40:41], v[36:37], -v[40:41]
	v_mul_f64 v[24:25], v[26:27], v[24:25]
	v_add_f64 v[40:41], v[42:43], -v[40:41]
	v_ldexp_f64 v[42:43], v[26:27], 1
	v_mul_f64 v[24:25], v[24:25], v[38:39]
	v_add_f64 v[26:27], v[42:43], v[24:25]
	v_add_f64 v[38:39], v[26:27], -v[42:43]
	v_ldexp_f64 v[22:23], v[22:23], 1
	v_add_f64 v[24:25], v[24:25], -v[38:39]
	v_add_f64 v[22:23], v[22:23], v[24:25]
	v_add_f64 v[24:25], v[26:27], v[22:23]
	v_add_f64 v[26:27], v[24:25], -v[26:27]
	v_add_f64 v[22:23], v[22:23], -v[26:27]
	v_add_f64 v[26:27], v[36:37], v[24:25]
	v_add_f64 v[38:39], v[26:27], -v[36:37]
	v_add_f64 v[42:43], v[26:27], -v[38:39]
	;; [unrolled: 1-line block ×4, first 2 shown]
	v_add_f64 v[24:25], v[24:25], v[36:37]
	v_add_f64 v[36:37], v[40:41], v[22:23]
	v_add_f64 v[38:39], v[36:37], -v[40:41]
	v_add_f64 v[24:25], v[36:37], v[24:25]
	v_add_f64 v[42:43], v[36:37], -v[38:39]
	;; [unrolled: 2-line block ×3, first 2 shown]
	v_add_f64 v[22:23], v[22:23], -v[38:39]
	v_add_f64 v[26:27], v[36:37], -v[26:27]
	v_add_f64 v[22:23], v[22:23], v[40:41]
	v_add_f64 v[24:25], v[24:25], -v[26:27]
	s_mov_b32 s14, 0
	v_add_f64 v[22:23], v[22:23], v[24:25]
	s_mov_b32 s15, 0x7ff00000
	v_add_f64 v[22:23], v[36:37], v[22:23]
	v_cmp_neq_f64_e64 s[14:15], s[14:15], v[16:17]
	v_mov_b32_e32 v19, 0x7ff80000
	s_nop 0
	v_cndmask_b32_e64 v1, v1, v23, s[14:15]
	v_cndmask_b32_e64 v1, v19, v1, s[16:17]
	v_cmp_nge_f64_e64 s[16:17], -1.0, v[16:17]
	s_and_b64 s[14:15], s[16:17], s[14:15]
	v_cndmask_b32_e64 v22, 0, v22, s[14:15]
	v_mov_b32_e32 v19, 0xfff00000
	v_cmp_neq_f64_e64 s[14:15], -1.0, v[16:17]
	s_nop 1
	v_cndmask_b32_e64 v23, v19, v1, s[14:15]
	v_add_f64 v[36:37], v[14:15], v[22:23]
.LBB37_16:
	s_or_b64 exec, exec, s[18:19]
	v_max_f64 v[22:23], v[12:13], v[12:13]
	v_max_f64 v[14:15], v[36:37], v[36:37]
	v_min_f64 v[16:17], v[14:15], v[22:23]
	v_cmp_u_f64_e64 s[16:17], v[36:37], v[36:37]
	v_cmp_u_f64_e64 s[14:15], v[12:13], v[12:13]
	v_max_f64 v[14:15], v[14:15], v[22:23]
	v_cndmask_b32_e64 v1, v16, v36, s[16:17]
	v_cndmask_b32_e64 v16, v17, v37, s[16:17]
	;; [unrolled: 1-line block ×8, first 2 shown]
	s_movk_i32 s30, 0x1f8
	v_cmp_neq_f64_e64 s[16:17], v[16:17], v[14:15]
	v_cmp_class_f64_e64 s[18:19], v[16:17], s30
	s_or_b64 s[16:17], s[16:17], s[18:19]
	s_and_saveexec_b64 s[24:25], s[16:17]
	s_cbranch_execz .LBB37_18
; %bb.17:
	s_mov_b32 s16, 0x652b82fe
	v_add_f64 v[16:17], v[16:17], -v[14:15]
	s_mov_b32 s17, 0x3ff71547
	v_mul_f64 v[24:25], v[16:17], s[16:17]
	v_rndne_f64_e32 v[24:25], v[24:25]
	s_mov_b32 s27, 0xbfe62e42
	s_mov_b32 s26, 0xfefa39ef
	v_fma_f64 v[26:27], s[26:27], v[24:25], v[16:17]
	s_mov_b32 s29, 0xbc7abc9e
	s_mov_b32 s28, 0x3b39803f
	;; [unrolled: 1-line block ×3, first 2 shown]
	v_fmac_f64_e32 v[26:27], s[28:29], v[24:25]
	v_mov_b32_e32 v36, 0xfca7ab0c
	v_mov_b32_e32 v37, 0x3e928af3
	s_mov_b32 s17, 0x3e5ade15
	v_fmac_f64_e32 v[36:37], s[16:17], v[26:27]
	v_mov_b32_e32 v38, 0x623fde64
	v_mov_b32_e32 v39, 0x3ec71dee
	v_fmac_f64_e32 v[38:39], v[26:27], v[36:37]
	v_mov_b32_e32 v36, 0x7c89e6b0
	v_mov_b32_e32 v37, 0x3efa0199
	;; [unrolled: 3-line block ×8, first 2 shown]
	v_fmac_f64_e32 v[36:37], v[26:27], v[38:39]
	v_fma_f64 v[36:37], v[26:27], v[36:37], 1.0
	s_mov_b32 s16, 0
	s_mov_b32 s18, 0
	v_fma_f64 v[26:27], v[26:27], v[36:37], 1.0
	v_cvt_i32_f64_e32 v1, v[24:25]
	s_mov_b32 s17, 0x40900000
	s_mov_b32 s19, 0xc090cc00
	v_ldexp_f64 v[24:25], v[26:27], v1
	v_mov_b32_e32 v1, 0x7ff00000
	v_cmp_nlt_f64_e64 s[16:17], s[16:17], v[16:17]
	v_cmp_ngt_f64_e64 s[18:19], s[18:19], v[16:17]
	s_mov_b32 s27, 0x3fe62e42
	v_cndmask_b32_e64 v19, v1, v25, s[16:17]
	s_and_b64 s[16:17], s[18:19], s[16:17]
	v_cndmask_b32_e64 v17, 0, v19, s[18:19]
	v_cndmask_b32_e64 v16, 0, v24, s[16:17]
	v_add_f64 v[24:25], v[16:17], 1.0
	v_add_f64 v[26:27], v[24:25], -1.0
	v_add_f64 v[36:37], v[26:27], -v[24:25]
	v_add_f64 v[36:37], v[36:37], 1.0
	v_add_f64 v[26:27], v[16:17], -v[26:27]
	s_mov_b32 s16, 0x55555555
	v_add_f64 v[26:27], v[26:27], v[36:37]
	v_frexp_mant_f64_e32 v[36:37], v[24:25]
	s_mov_b32 s17, 0x3fe55555
	v_frexp_exp_i32_f64_e32 v19, v[24:25]
	v_cmp_gt_f64_e64 s[16:17], s[16:17], v[36:37]
	s_mov_b32 s29, 0x3c7abc9e
	v_cmp_ngt_f64_e64 s[18:19], -1.0, v[16:17]
	v_subbrev_co_u32_e64 v19, s[16:17], 0, v19, s[16:17]
	v_sub_u32_e32 v36, 0, v19
	v_ldexp_f64 v[24:25], v[24:25], v36
	v_ldexp_f64 v[26:27], v[26:27], v36
	v_add_f64 v[36:37], v[24:25], -1.0
	v_add_f64 v[42:43], v[24:25], 1.0
	v_add_f64 v[38:39], v[36:37], 1.0
	v_add_f64 v[44:45], v[42:43], -1.0
	v_add_f64 v[38:39], v[24:25], -v[38:39]
	v_add_f64 v[24:25], v[24:25], -v[44:45]
	v_add_f64 v[24:25], v[26:27], v[24:25]
	v_add_f64 v[38:39], v[26:27], v[38:39]
	v_add_f64 v[26:27], v[42:43], v[24:25]
	v_rcp_f64_e32 v[44:45], v[26:27]
	v_add_f64 v[40:41], v[36:37], v[38:39]
	v_add_f64 v[36:37], v[40:41], -v[36:37]
	v_add_f64 v[36:37], v[38:39], -v[36:37]
	;; [unrolled: 1-line block ×4, first 2 shown]
	v_fma_f64 v[38:39], -v[26:27], v[44:45], 1.0
	v_fmac_f64_e32 v[44:45], v[38:39], v[44:45]
	v_fma_f64 v[38:39], -v[26:27], v[44:45], 1.0
	v_fmac_f64_e32 v[44:45], v[38:39], v[44:45]
	v_mul_f64 v[38:39], v[40:41], v[44:45]
	v_mul_f64 v[42:43], v[26:27], v[38:39]
	v_fma_f64 v[46:47], v[38:39], v[26:27], -v[42:43]
	v_fmac_f64_e32 v[46:47], v[38:39], v[24:25]
	v_add_f64 v[48:49], v[42:43], v[46:47]
	v_add_f64 v[50:51], v[40:41], -v[48:49]
	v_add_f64 v[40:41], v[40:41], -v[50:51]
	;; [unrolled: 1-line block ×4, first 2 shown]
	v_add_f64 v[36:37], v[36:37], v[40:41]
	v_add_f64 v[40:41], v[42:43], -v[46:47]
	v_add_f64 v[36:37], v[40:41], v[36:37]
	v_add_f64 v[40:41], v[50:51], v[36:37]
	v_add_f64 v[42:43], v[50:51], -v[40:41]
	v_add_f64 v[36:37], v[36:37], v[42:43]
	v_mul_f64 v[42:43], v[44:45], v[40:41]
	v_mul_f64 v[46:47], v[26:27], v[42:43]
	v_fma_f64 v[26:27], v[42:43], v[26:27], -v[46:47]
	v_fmac_f64_e32 v[26:27], v[42:43], v[24:25]
	v_add_f64 v[24:25], v[46:47], v[26:27]
	v_add_f64 v[48:49], v[40:41], -v[24:25]
	v_add_f64 v[40:41], v[40:41], -v[48:49]
	;; [unrolled: 1-line block ×4, first 2 shown]
	v_add_f64 v[24:25], v[36:37], v[24:25]
	v_add_f64 v[26:27], v[46:47], -v[26:27]
	v_add_f64 v[24:25], v[26:27], v[24:25]
	v_add_f64 v[26:27], v[38:39], v[42:43]
	;; [unrolled: 1-line block ×3, first 2 shown]
	v_add_f64 v[36:37], v[26:27], -v[38:39]
	v_mul_f64 v[24:25], v[44:45], v[24:25]
	v_add_f64 v[36:37], v[42:43], -v[36:37]
	v_add_f64 v[24:25], v[36:37], v[24:25]
	v_add_f64 v[36:37], v[26:27], v[24:25]
	v_add_f64 v[26:27], v[36:37], -v[26:27]
	s_mov_b32 s16, 0xbf559e2b
	v_add_f64 v[24:25], v[24:25], -v[26:27]
	v_mul_f64 v[26:27], v[36:37], v[36:37]
	v_mov_b32_e32 v38, 0x6b47b09a
	v_mov_b32_e32 v39, 0x3fc38538
	s_mov_b32 s17, 0x3fc3ab76
	v_fmac_f64_e32 v[38:39], s[16:17], v[26:27]
	v_mov_b32_e32 v40, 0xd7f4df2e
	v_mov_b32_e32 v41, 0x3fc7474d
	v_fmac_f64_e32 v[40:41], v[26:27], v[38:39]
	v_mov_b32_e32 v38, 0x16291751
	v_mov_b32_e32 v39, 0x3fcc71c0
	;; [unrolled: 3-line block ×5, first 2 shown]
	v_fmac_f64_e32 v[40:41], v[26:27], v[38:39]
	v_cvt_f64_i32_e32 v[38:39], v19
	v_mul_f64 v[42:43], v[38:39], s[26:27]
	v_fma_f64 v[44:45], v[38:39], s[26:27], -v[42:43]
	v_fmac_f64_e32 v[44:45], s[28:29], v[38:39]
	v_add_f64 v[38:39], v[42:43], v[44:45]
	v_add_f64 v[42:43], v[38:39], -v[42:43]
	v_mul_f64 v[26:27], v[36:37], v[26:27]
	v_add_f64 v[42:43], v[44:45], -v[42:43]
	v_ldexp_f64 v[44:45], v[36:37], 1
	v_mul_f64 v[26:27], v[26:27], v[40:41]
	v_add_f64 v[36:37], v[44:45], v[26:27]
	v_add_f64 v[40:41], v[36:37], -v[44:45]
	v_ldexp_f64 v[24:25], v[24:25], 1
	v_add_f64 v[26:27], v[26:27], -v[40:41]
	v_add_f64 v[24:25], v[24:25], v[26:27]
	v_add_f64 v[26:27], v[36:37], v[24:25]
	v_add_f64 v[36:37], v[26:27], -v[36:37]
	v_add_f64 v[24:25], v[24:25], -v[36:37]
	v_add_f64 v[36:37], v[38:39], v[26:27]
	v_add_f64 v[40:41], v[36:37], -v[38:39]
	v_add_f64 v[44:45], v[36:37], -v[40:41]
	;; [unrolled: 1-line block ×4, first 2 shown]
	v_add_f64 v[26:27], v[26:27], v[38:39]
	v_add_f64 v[38:39], v[42:43], v[24:25]
	v_add_f64 v[40:41], v[38:39], -v[42:43]
	v_add_f64 v[26:27], v[38:39], v[26:27]
	v_add_f64 v[44:45], v[38:39], -v[40:41]
	;; [unrolled: 2-line block ×3, first 2 shown]
	v_add_f64 v[24:25], v[24:25], -v[40:41]
	v_add_f64 v[36:37], v[38:39], -v[36:37]
	v_add_f64 v[24:25], v[24:25], v[42:43]
	v_add_f64 v[26:27], v[26:27], -v[36:37]
	s_mov_b32 s16, 0
	v_add_f64 v[24:25], v[24:25], v[26:27]
	s_mov_b32 s17, 0x7ff00000
	v_add_f64 v[24:25], v[38:39], v[24:25]
	v_cmp_neq_f64_e64 s[16:17], s[16:17], v[16:17]
	v_mov_b32_e32 v19, 0x7ff80000
	s_nop 0
	v_cndmask_b32_e64 v1, v1, v25, s[16:17]
	v_cndmask_b32_e64 v1, v19, v1, s[18:19]
	v_cmp_nge_f64_e64 s[18:19], -1.0, v[16:17]
	s_and_b64 s[16:17], s[18:19], s[16:17]
	v_cndmask_b32_e64 v24, 0, v24, s[16:17]
	v_mov_b32_e32 v19, 0xfff00000
	v_cmp_neq_f64_e64 s[16:17], -1.0, v[16:17]
	s_nop 1
	v_cndmask_b32_e64 v25, v19, v1, s[16:17]
	v_add_f64 v[36:37], v[14:15], v[24:25]
.LBB37_18:
	s_or_b64 exec, exec, s[24:25]
	v_max_f64 v[24:25], v[6:7], v[6:7]
	v_max_f64 v[14:15], v[36:37], v[36:37]
	v_min_f64 v[16:17], v[14:15], v[24:25]
	v_cmp_u_f64_e64 s[18:19], v[36:37], v[36:37]
	v_cmp_u_f64_e64 s[16:17], v[6:7], v[6:7]
	v_max_f64 v[14:15], v[14:15], v[24:25]
	v_cndmask_b32_e64 v1, v16, v36, s[18:19]
	v_cndmask_b32_e64 v16, v17, v37, s[18:19]
	;; [unrolled: 1-line block ×8, first 2 shown]
	v_cmp_neq_f64_e64 s[18:19], v[16:17], v[14:15]
	v_cmp_class_f64_e64 s[24:25], v[16:17], s30
	s_or_b64 s[18:19], s[18:19], s[24:25]
	s_and_saveexec_b64 s[26:27], s[18:19]
	s_cbranch_execz .LBB37_20
; %bb.19:
	s_mov_b32 s18, 0x652b82fe
	v_add_f64 v[16:17], v[16:17], -v[14:15]
	s_mov_b32 s19, 0x3ff71547
	v_mul_f64 v[26:27], v[16:17], s[18:19]
	v_rndne_f64_e32 v[26:27], v[26:27]
	s_mov_b32 s29, 0xbfe62e42
	s_mov_b32 s28, 0xfefa39ef
	v_fma_f64 v[36:37], s[28:29], v[26:27], v[16:17]
	s_mov_b32 s31, 0xbc7abc9e
	s_mov_b32 s30, 0x3b39803f
	;; [unrolled: 1-line block ×3, first 2 shown]
	v_fmac_f64_e32 v[36:37], s[30:31], v[26:27]
	v_mov_b32_e32 v38, 0xfca7ab0c
	v_mov_b32_e32 v39, 0x3e928af3
	s_mov_b32 s19, 0x3e5ade15
	v_fmac_f64_e32 v[38:39], s[18:19], v[36:37]
	v_mov_b32_e32 v40, 0x623fde64
	v_mov_b32_e32 v41, 0x3ec71dee
	v_fmac_f64_e32 v[40:41], v[36:37], v[38:39]
	v_mov_b32_e32 v38, 0x7c89e6b0
	v_mov_b32_e32 v39, 0x3efa0199
	;; [unrolled: 3-line block ×8, first 2 shown]
	v_fmac_f64_e32 v[38:39], v[36:37], v[40:41]
	v_fma_f64 v[38:39], v[36:37], v[38:39], 1.0
	s_mov_b32 s18, 0
	s_mov_b32 s24, 0
	v_fma_f64 v[36:37], v[36:37], v[38:39], 1.0
	v_cvt_i32_f64_e32 v1, v[26:27]
	s_mov_b32 s19, 0x40900000
	s_mov_b32 s25, 0xc090cc00
	v_ldexp_f64 v[26:27], v[36:37], v1
	v_mov_b32_e32 v1, 0x7ff00000
	v_cmp_nlt_f64_e64 s[18:19], s[18:19], v[16:17]
	v_cmp_ngt_f64_e64 s[24:25], s[24:25], v[16:17]
	s_mov_b32 s29, 0x3fe62e42
	v_cndmask_b32_e64 v19, v1, v27, s[18:19]
	s_and_b64 s[18:19], s[24:25], s[18:19]
	v_cndmask_b32_e64 v17, 0, v19, s[24:25]
	v_cndmask_b32_e64 v16, 0, v26, s[18:19]
	v_add_f64 v[26:27], v[16:17], 1.0
	v_add_f64 v[36:37], v[26:27], -1.0
	v_add_f64 v[38:39], v[36:37], -v[26:27]
	v_add_f64 v[38:39], v[38:39], 1.0
	v_add_f64 v[36:37], v[16:17], -v[36:37]
	s_mov_b32 s18, 0x55555555
	v_add_f64 v[36:37], v[36:37], v[38:39]
	v_frexp_mant_f64_e32 v[38:39], v[26:27]
	s_mov_b32 s19, 0x3fe55555
	v_frexp_exp_i32_f64_e32 v19, v[26:27]
	v_cmp_gt_f64_e64 s[18:19], s[18:19], v[38:39]
	s_mov_b32 s31, 0x3c7abc9e
	v_cmp_ngt_f64_e64 s[24:25], -1.0, v[16:17]
	v_subbrev_co_u32_e64 v19, s[18:19], 0, v19, s[18:19]
	v_sub_u32_e32 v38, 0, v19
	v_ldexp_f64 v[26:27], v[26:27], v38
	v_ldexp_f64 v[36:37], v[36:37], v38
	v_add_f64 v[38:39], v[26:27], -1.0
	v_add_f64 v[44:45], v[26:27], 1.0
	v_add_f64 v[40:41], v[38:39], 1.0
	v_add_f64 v[46:47], v[44:45], -1.0
	v_add_f64 v[40:41], v[26:27], -v[40:41]
	v_add_f64 v[26:27], v[26:27], -v[46:47]
	v_add_f64 v[26:27], v[36:37], v[26:27]
	v_add_f64 v[40:41], v[36:37], v[40:41]
	;; [unrolled: 1-line block ×3, first 2 shown]
	v_rcp_f64_e32 v[46:47], v[36:37]
	v_add_f64 v[42:43], v[38:39], v[40:41]
	v_add_f64 v[38:39], v[42:43], -v[38:39]
	v_add_f64 v[38:39], v[40:41], -v[38:39]
	v_add_f64 v[40:41], v[36:37], -v[44:45]
	v_add_f64 v[26:27], v[26:27], -v[40:41]
	v_fma_f64 v[40:41], -v[36:37], v[46:47], 1.0
	v_fmac_f64_e32 v[46:47], v[40:41], v[46:47]
	v_fma_f64 v[40:41], -v[36:37], v[46:47], 1.0
	v_fmac_f64_e32 v[46:47], v[40:41], v[46:47]
	v_mul_f64 v[40:41], v[42:43], v[46:47]
	v_mul_f64 v[44:45], v[36:37], v[40:41]
	v_fma_f64 v[48:49], v[40:41], v[36:37], -v[44:45]
	v_fmac_f64_e32 v[48:49], v[40:41], v[26:27]
	v_add_f64 v[50:51], v[44:45], v[48:49]
	v_add_f64 v[52:53], v[42:43], -v[50:51]
	v_add_f64 v[42:43], v[42:43], -v[52:53]
	;; [unrolled: 1-line block ×4, first 2 shown]
	v_add_f64 v[38:39], v[38:39], v[42:43]
	v_add_f64 v[42:43], v[44:45], -v[48:49]
	v_add_f64 v[38:39], v[42:43], v[38:39]
	v_add_f64 v[42:43], v[52:53], v[38:39]
	v_add_f64 v[44:45], v[52:53], -v[42:43]
	v_add_f64 v[38:39], v[38:39], v[44:45]
	v_mul_f64 v[44:45], v[46:47], v[42:43]
	v_mul_f64 v[48:49], v[36:37], v[44:45]
	v_fma_f64 v[36:37], v[44:45], v[36:37], -v[48:49]
	v_fmac_f64_e32 v[36:37], v[44:45], v[26:27]
	v_add_f64 v[26:27], v[48:49], v[36:37]
	v_add_f64 v[50:51], v[42:43], -v[26:27]
	v_add_f64 v[42:43], v[42:43], -v[50:51]
	;; [unrolled: 1-line block ×4, first 2 shown]
	v_add_f64 v[26:27], v[38:39], v[26:27]
	v_add_f64 v[36:37], v[48:49], -v[36:37]
	v_add_f64 v[26:27], v[36:37], v[26:27]
	v_add_f64 v[36:37], v[40:41], v[44:45]
	;; [unrolled: 1-line block ×3, first 2 shown]
	v_add_f64 v[38:39], v[36:37], -v[40:41]
	v_mul_f64 v[26:27], v[46:47], v[26:27]
	v_add_f64 v[38:39], v[44:45], -v[38:39]
	v_add_f64 v[26:27], v[38:39], v[26:27]
	v_add_f64 v[38:39], v[36:37], v[26:27]
	v_add_f64 v[36:37], v[38:39], -v[36:37]
	s_mov_b32 s18, 0xbf559e2b
	v_add_f64 v[26:27], v[26:27], -v[36:37]
	v_mul_f64 v[36:37], v[38:39], v[38:39]
	v_mov_b32_e32 v40, 0x6b47b09a
	v_mov_b32_e32 v41, 0x3fc38538
	s_mov_b32 s19, 0x3fc3ab76
	v_fmac_f64_e32 v[40:41], s[18:19], v[36:37]
	v_mov_b32_e32 v42, 0xd7f4df2e
	v_mov_b32_e32 v43, 0x3fc7474d
	v_fmac_f64_e32 v[42:43], v[36:37], v[40:41]
	v_mov_b32_e32 v40, 0x16291751
	v_mov_b32_e32 v41, 0x3fcc71c0
	;; [unrolled: 3-line block ×5, first 2 shown]
	v_fmac_f64_e32 v[42:43], v[36:37], v[40:41]
	v_cvt_f64_i32_e32 v[40:41], v19
	v_mul_f64 v[44:45], v[40:41], s[28:29]
	v_fma_f64 v[46:47], v[40:41], s[28:29], -v[44:45]
	v_fmac_f64_e32 v[46:47], s[30:31], v[40:41]
	v_add_f64 v[40:41], v[44:45], v[46:47]
	v_add_f64 v[44:45], v[40:41], -v[44:45]
	v_mul_f64 v[36:37], v[38:39], v[36:37]
	v_add_f64 v[44:45], v[46:47], -v[44:45]
	v_ldexp_f64 v[46:47], v[38:39], 1
	v_mul_f64 v[36:37], v[36:37], v[42:43]
	v_add_f64 v[38:39], v[46:47], v[36:37]
	v_add_f64 v[42:43], v[38:39], -v[46:47]
	v_ldexp_f64 v[26:27], v[26:27], 1
	v_add_f64 v[36:37], v[36:37], -v[42:43]
	v_add_f64 v[26:27], v[26:27], v[36:37]
	v_add_f64 v[36:37], v[38:39], v[26:27]
	v_add_f64 v[38:39], v[36:37], -v[38:39]
	v_add_f64 v[26:27], v[26:27], -v[38:39]
	v_add_f64 v[38:39], v[40:41], v[36:37]
	v_add_f64 v[42:43], v[38:39], -v[40:41]
	v_add_f64 v[46:47], v[38:39], -v[42:43]
	;; [unrolled: 1-line block ×4, first 2 shown]
	v_add_f64 v[36:37], v[36:37], v[40:41]
	v_add_f64 v[40:41], v[44:45], v[26:27]
	v_add_f64 v[42:43], v[40:41], -v[44:45]
	v_add_f64 v[36:37], v[40:41], v[36:37]
	v_add_f64 v[46:47], v[40:41], -v[42:43]
	;; [unrolled: 2-line block ×3, first 2 shown]
	v_add_f64 v[26:27], v[26:27], -v[42:43]
	v_add_f64 v[38:39], v[40:41], -v[38:39]
	v_add_f64 v[26:27], v[26:27], v[44:45]
	v_add_f64 v[36:37], v[36:37], -v[38:39]
	s_mov_b32 s18, 0
	v_add_f64 v[26:27], v[26:27], v[36:37]
	s_mov_b32 s19, 0x7ff00000
	v_add_f64 v[26:27], v[40:41], v[26:27]
	v_cmp_neq_f64_e64 s[18:19], s[18:19], v[16:17]
	v_mov_b32_e32 v19, 0x7ff80000
	s_nop 0
	v_cndmask_b32_e64 v1, v1, v27, s[18:19]
	v_cndmask_b32_e64 v1, v19, v1, s[24:25]
	v_cmp_nge_f64_e64 s[24:25], -1.0, v[16:17]
	s_and_b64 s[18:19], s[24:25], s[18:19]
	v_cndmask_b32_e64 v26, 0, v26, s[18:19]
	v_mov_b32_e32 v19, 0xfff00000
	v_cmp_neq_f64_e64 s[18:19], -1.0, v[16:17]
	s_nop 1
	v_cndmask_b32_e64 v27, v19, v1, s[18:19]
	v_add_f64 v[36:37], v[14:15], v[26:27]
.LBB37_20:
	s_or_b64 exec, exec, s[26:27]
	v_max_f64 v[26:27], v[8:9], v[8:9]
	v_max_f64 v[14:15], v[36:37], v[36:37]
	v_min_f64 v[16:17], v[14:15], v[26:27]
	v_cmp_u_f64_e64 s[24:25], v[36:37], v[36:37]
	v_cmp_u_f64_e64 s[18:19], v[8:9], v[8:9]
	v_max_f64 v[14:15], v[14:15], v[26:27]
	v_cndmask_b32_e64 v1, v16, v36, s[24:25]
	v_cndmask_b32_e64 v16, v17, v37, s[24:25]
	;; [unrolled: 1-line block ×8, first 2 shown]
	s_movk_i32 s26, 0x1f8
	v_cmp_neq_f64_e64 s[24:25], v[16:17], v[14:15]
	v_cmp_class_f64_e64 s[26:27], v[16:17], s26
	s_or_b64 s[24:25], s[24:25], s[26:27]
	s_and_saveexec_b64 s[28:29], s[24:25]
	s_cbranch_execz .LBB37_22
; %bb.21:
	s_mov_b32 s24, 0x652b82fe
	v_add_f64 v[16:17], v[16:17], -v[14:15]
	s_mov_b32 s25, 0x3ff71547
	v_mul_f64 v[36:37], v[16:17], s[24:25]
	v_rndne_f64_e32 v[36:37], v[36:37]
	s_mov_b32 s31, 0xbfe62e42
	s_mov_b32 s30, 0xfefa39ef
	v_fma_f64 v[38:39], s[30:31], v[36:37], v[16:17]
	s_mov_b32 s35, 0xbc7abc9e
	s_mov_b32 s34, 0x3b39803f
	;; [unrolled: 1-line block ×3, first 2 shown]
	v_fmac_f64_e32 v[38:39], s[34:35], v[36:37]
	v_mov_b32_e32 v40, 0xfca7ab0c
	v_mov_b32_e32 v41, 0x3e928af3
	s_mov_b32 s25, 0x3e5ade15
	v_fmac_f64_e32 v[40:41], s[24:25], v[38:39]
	v_mov_b32_e32 v42, 0x623fde64
	v_mov_b32_e32 v43, 0x3ec71dee
	v_fmac_f64_e32 v[42:43], v[38:39], v[40:41]
	v_mov_b32_e32 v40, 0x7c89e6b0
	v_mov_b32_e32 v41, 0x3efa0199
	v_fmac_f64_e32 v[40:41], v[38:39], v[42:43]
	v_mov_b32_e32 v42, 0x14761f6e
	v_mov_b32_e32 v43, 0x3f2a01a0
	v_fmac_f64_e32 v[42:43], v[38:39], v[40:41]
	v_mov_b32_e32 v40, 0x1852b7b0
	v_mov_b32_e32 v41, 0x3f56c16c
	v_fmac_f64_e32 v[40:41], v[38:39], v[42:43]
	v_mov_b32_e32 v42, 0x11122322
	v_mov_b32_e32 v43, 0x3f811111
	v_fmac_f64_e32 v[42:43], v[38:39], v[40:41]
	v_mov_b32_e32 v40, 0x555502a1
	v_mov_b32_e32 v41, 0x3fa55555
	v_fmac_f64_e32 v[40:41], v[38:39], v[42:43]
	v_mov_b32_e32 v42, 0x55555511
	v_mov_b32_e32 v43, 0x3fc55555
	v_fmac_f64_e32 v[42:43], v[38:39], v[40:41]
	v_mov_b32_e32 v40, 11
	v_mov_b32_e32 v41, 0x3fe00000
	v_fmac_f64_e32 v[40:41], v[38:39], v[42:43]
	v_fma_f64 v[40:41], v[38:39], v[40:41], 1.0
	s_mov_b32 s24, 0
	s_mov_b32 s26, 0
	v_fma_f64 v[38:39], v[38:39], v[40:41], 1.0
	v_cvt_i32_f64_e32 v1, v[36:37]
	s_mov_b32 s25, 0x40900000
	s_mov_b32 s27, 0xc090cc00
	v_ldexp_f64 v[36:37], v[38:39], v1
	v_mov_b32_e32 v1, 0x7ff00000
	v_cmp_nlt_f64_e64 s[24:25], s[24:25], v[16:17]
	v_cmp_ngt_f64_e64 s[26:27], s[26:27], v[16:17]
	s_mov_b32 s31, 0x3fe62e42
	v_cndmask_b32_e64 v19, v1, v37, s[24:25]
	s_and_b64 s[24:25], s[26:27], s[24:25]
	v_cndmask_b32_e64 v17, 0, v19, s[26:27]
	v_cndmask_b32_e64 v16, 0, v36, s[24:25]
	v_add_f64 v[36:37], v[16:17], 1.0
	v_add_f64 v[38:39], v[36:37], -1.0
	v_add_f64 v[40:41], v[38:39], -v[36:37]
	v_add_f64 v[40:41], v[40:41], 1.0
	v_add_f64 v[38:39], v[16:17], -v[38:39]
	s_mov_b32 s24, 0x55555555
	v_add_f64 v[38:39], v[38:39], v[40:41]
	v_frexp_mant_f64_e32 v[40:41], v[36:37]
	s_mov_b32 s25, 0x3fe55555
	v_frexp_exp_i32_f64_e32 v19, v[36:37]
	v_cmp_gt_f64_e64 s[24:25], s[24:25], v[40:41]
	s_mov_b32 s35, 0x3c7abc9e
	v_cmp_ngt_f64_e64 s[26:27], -1.0, v[16:17]
	v_subbrev_co_u32_e64 v19, s[24:25], 0, v19, s[24:25]
	v_sub_u32_e32 v40, 0, v19
	v_ldexp_f64 v[36:37], v[36:37], v40
	v_ldexp_f64 v[38:39], v[38:39], v40
	v_add_f64 v[40:41], v[36:37], -1.0
	v_add_f64 v[46:47], v[36:37], 1.0
	v_add_f64 v[42:43], v[40:41], 1.0
	v_add_f64 v[48:49], v[46:47], -1.0
	v_add_f64 v[42:43], v[36:37], -v[42:43]
	v_add_f64 v[36:37], v[36:37], -v[48:49]
	v_add_f64 v[36:37], v[38:39], v[36:37]
	v_add_f64 v[42:43], v[38:39], v[42:43]
	v_add_f64 v[38:39], v[46:47], v[36:37]
	v_rcp_f64_e32 v[48:49], v[38:39]
	v_add_f64 v[44:45], v[40:41], v[42:43]
	v_add_f64 v[40:41], v[44:45], -v[40:41]
	v_add_f64 v[40:41], v[42:43], -v[40:41]
	;; [unrolled: 1-line block ×4, first 2 shown]
	v_fma_f64 v[42:43], -v[38:39], v[48:49], 1.0
	v_fmac_f64_e32 v[48:49], v[42:43], v[48:49]
	v_fma_f64 v[42:43], -v[38:39], v[48:49], 1.0
	v_fmac_f64_e32 v[48:49], v[42:43], v[48:49]
	v_mul_f64 v[42:43], v[44:45], v[48:49]
	v_mul_f64 v[46:47], v[38:39], v[42:43]
	v_fma_f64 v[50:51], v[42:43], v[38:39], -v[46:47]
	v_fmac_f64_e32 v[50:51], v[42:43], v[36:37]
	v_add_f64 v[52:53], v[46:47], v[50:51]
	v_add_f64 v[54:55], v[44:45], -v[52:53]
	v_add_f64 v[44:45], v[44:45], -v[54:55]
	;; [unrolled: 1-line block ×4, first 2 shown]
	v_add_f64 v[40:41], v[40:41], v[44:45]
	v_add_f64 v[44:45], v[46:47], -v[50:51]
	v_add_f64 v[40:41], v[44:45], v[40:41]
	v_add_f64 v[44:45], v[54:55], v[40:41]
	v_add_f64 v[46:47], v[54:55], -v[44:45]
	v_add_f64 v[40:41], v[40:41], v[46:47]
	v_mul_f64 v[46:47], v[48:49], v[44:45]
	v_mul_f64 v[50:51], v[38:39], v[46:47]
	v_fma_f64 v[38:39], v[46:47], v[38:39], -v[50:51]
	v_fmac_f64_e32 v[38:39], v[46:47], v[36:37]
	v_add_f64 v[36:37], v[50:51], v[38:39]
	v_add_f64 v[52:53], v[44:45], -v[36:37]
	v_add_f64 v[44:45], v[44:45], -v[52:53]
	;; [unrolled: 1-line block ×4, first 2 shown]
	v_add_f64 v[36:37], v[40:41], v[36:37]
	v_add_f64 v[38:39], v[50:51], -v[38:39]
	v_add_f64 v[36:37], v[38:39], v[36:37]
	v_add_f64 v[38:39], v[42:43], v[46:47]
	;; [unrolled: 1-line block ×3, first 2 shown]
	v_add_f64 v[40:41], v[38:39], -v[42:43]
	v_mul_f64 v[36:37], v[48:49], v[36:37]
	v_add_f64 v[40:41], v[46:47], -v[40:41]
	v_add_f64 v[36:37], v[40:41], v[36:37]
	v_add_f64 v[40:41], v[38:39], v[36:37]
	v_add_f64 v[38:39], v[40:41], -v[38:39]
	s_mov_b32 s24, 0xbf559e2b
	v_add_f64 v[36:37], v[36:37], -v[38:39]
	v_mul_f64 v[38:39], v[40:41], v[40:41]
	v_mov_b32_e32 v42, 0x6b47b09a
	v_mov_b32_e32 v43, 0x3fc38538
	s_mov_b32 s25, 0x3fc3ab76
	v_fmac_f64_e32 v[42:43], s[24:25], v[38:39]
	v_mov_b32_e32 v44, 0xd7f4df2e
	v_mov_b32_e32 v45, 0x3fc7474d
	v_fmac_f64_e32 v[44:45], v[38:39], v[42:43]
	v_mov_b32_e32 v42, 0x16291751
	v_mov_b32_e32 v43, 0x3fcc71c0
	;; [unrolled: 3-line block ×5, first 2 shown]
	v_fmac_f64_e32 v[44:45], v[38:39], v[42:43]
	v_cvt_f64_i32_e32 v[42:43], v19
	v_mul_f64 v[46:47], v[42:43], s[30:31]
	v_fma_f64 v[48:49], v[42:43], s[30:31], -v[46:47]
	v_fmac_f64_e32 v[48:49], s[34:35], v[42:43]
	v_add_f64 v[42:43], v[46:47], v[48:49]
	v_add_f64 v[46:47], v[42:43], -v[46:47]
	v_mul_f64 v[38:39], v[40:41], v[38:39]
	v_add_f64 v[46:47], v[48:49], -v[46:47]
	v_ldexp_f64 v[48:49], v[40:41], 1
	v_mul_f64 v[38:39], v[38:39], v[44:45]
	v_add_f64 v[40:41], v[48:49], v[38:39]
	v_add_f64 v[44:45], v[40:41], -v[48:49]
	v_ldexp_f64 v[36:37], v[36:37], 1
	v_add_f64 v[38:39], v[38:39], -v[44:45]
	v_add_f64 v[36:37], v[36:37], v[38:39]
	v_add_f64 v[38:39], v[40:41], v[36:37]
	v_add_f64 v[40:41], v[38:39], -v[40:41]
	v_add_f64 v[36:37], v[36:37], -v[40:41]
	v_add_f64 v[40:41], v[42:43], v[38:39]
	v_add_f64 v[44:45], v[40:41], -v[42:43]
	v_add_f64 v[48:49], v[40:41], -v[44:45]
	;; [unrolled: 1-line block ×4, first 2 shown]
	v_add_f64 v[38:39], v[38:39], v[42:43]
	v_add_f64 v[42:43], v[46:47], v[36:37]
	v_add_f64 v[44:45], v[42:43], -v[46:47]
	v_add_f64 v[38:39], v[42:43], v[38:39]
	v_add_f64 v[48:49], v[42:43], -v[44:45]
	;; [unrolled: 2-line block ×3, first 2 shown]
	v_add_f64 v[36:37], v[36:37], -v[44:45]
	v_add_f64 v[40:41], v[42:43], -v[40:41]
	v_add_f64 v[36:37], v[36:37], v[46:47]
	v_add_f64 v[38:39], v[38:39], -v[40:41]
	s_mov_b32 s24, 0
	v_add_f64 v[36:37], v[36:37], v[38:39]
	s_mov_b32 s25, 0x7ff00000
	v_add_f64 v[36:37], v[42:43], v[36:37]
	v_cmp_neq_f64_e64 s[24:25], s[24:25], v[16:17]
	v_mov_b32_e32 v19, 0x7ff80000
	s_nop 0
	v_cndmask_b32_e64 v1, v1, v37, s[24:25]
	v_cndmask_b32_e64 v1, v19, v1, s[26:27]
	v_cmp_nge_f64_e64 s[26:27], -1.0, v[16:17]
	s_and_b64 s[24:25], s[26:27], s[24:25]
	v_cndmask_b32_e64 v36, 0, v36, s[24:25]
	v_mov_b32_e32 v19, 0xfff00000
	v_cmp_neq_f64_e64 s[24:25], -1.0, v[16:17]
	s_nop 1
	v_cndmask_b32_e64 v37, v19, v1, s[24:25]
	v_add_f64 v[36:37], v[14:15], v[36:37]
.LBB37_22:
	s_or_b64 exec, exec, s[28:29]
	v_lshrrev_b32_e32 v1, 2, v0
	v_and_b32_e32 v1, 56, v1
	v_lshl_add_u32 v1, v0, 3, v1
	v_cmp_gt_u32_e64 s[24:25], 64, v0
	ds_write_b64 v1, v[36:37]
	s_waitcnt lgkmcnt(0)
	s_barrier
	s_and_saveexec_b64 s[30:31], s[24:25]
	s_cbranch_execz .LBB37_62
; %bb.23:
	v_and_b32_e32 v1, 0xf8, v0
	v_lshlrev_b32_e32 v14, 5, v0
	v_add_u32_e32 v1, v1, v14
	ds_read2_b64 v[14:17], v1 offset1:1
	s_movk_i32 s33, 0x1f8
	s_waitcnt lgkmcnt(0)
	v_max_f64 v[40:41], v[16:17], v[16:17]
	v_max_f64 v[38:39], v[14:15], v[14:15]
	v_min_f64 v[42:43], v[38:39], v[40:41]
	v_cmp_u_f64_e64 s[24:25], v[14:15], v[14:15]
	v_cmp_u_f64_e64 s[26:27], v[16:17], v[16:17]
	v_max_f64 v[40:41], v[38:39], v[40:41]
	v_cndmask_b32_e64 v19, v42, v14, s[24:25]
	v_cndmask_b32_e64 v42, v43, v15, s[24:25]
	;; [unrolled: 1-line block ×8, first 2 shown]
	v_cmp_neq_f64_e64 s[26:27], v[42:43], v[40:41]
	v_cmp_class_f64_e64 s[28:29], v[42:43], s33
	s_or_b64 s[26:27], s[26:27], s[28:29]
	v_mov_b64_e32 v[16:17], v[14:15]
	s_and_saveexec_b64 s[34:35], s[26:27]
	s_cbranch_execz .LBB37_25
; %bb.24:
	s_mov_b32 s26, 0x652b82fe
	v_add_f64 v[16:17], v[42:43], -v[40:41]
	s_mov_b32 s27, 0x3ff71547
	v_mul_f64 v[42:43], v[16:17], s[26:27]
	v_rndne_f64_e32 v[42:43], v[42:43]
	s_mov_b32 s37, 0xbfe62e42
	s_mov_b32 s36, 0xfefa39ef
	v_fma_f64 v[44:45], s[36:37], v[42:43], v[16:17]
	s_mov_b32 s39, 0xbc7abc9e
	s_mov_b32 s38, 0x3b39803f
	s_mov_b32 s26, 0x6a5dcb37
	v_fmac_f64_e32 v[44:45], s[38:39], v[42:43]
	v_mov_b32_e32 v46, 0xfca7ab0c
	v_mov_b32_e32 v47, 0x3e928af3
	s_mov_b32 s27, 0x3e5ade15
	v_fmac_f64_e32 v[46:47], s[26:27], v[44:45]
	v_mov_b32_e32 v48, 0x623fde64
	v_mov_b32_e32 v49, 0x3ec71dee
	v_fmac_f64_e32 v[48:49], v[44:45], v[46:47]
	v_mov_b32_e32 v46, 0x7c89e6b0
	v_mov_b32_e32 v47, 0x3efa0199
	;; [unrolled: 3-line block ×8, first 2 shown]
	v_fmac_f64_e32 v[46:47], v[44:45], v[48:49]
	v_fma_f64 v[46:47], v[44:45], v[46:47], 1.0
	s_mov_b32 s26, 0
	s_mov_b32 s28, 0
	v_fma_f64 v[44:45], v[44:45], v[46:47], 1.0
	v_cvt_i32_f64_e32 v19, v[42:43]
	s_mov_b32 s27, 0x40900000
	s_mov_b32 s29, 0xc090cc00
	v_ldexp_f64 v[42:43], v[44:45], v19
	v_mov_b32_e32 v19, 0x7ff00000
	v_cmp_nlt_f64_e64 s[26:27], s[26:27], v[16:17]
	v_cmp_ngt_f64_e64 s[28:29], s[28:29], v[16:17]
	s_mov_b32 s37, 0x3fe62e42
	v_cndmask_b32_e64 v43, v19, v43, s[26:27]
	s_and_b64 s[26:27], s[28:29], s[26:27]
	v_cndmask_b32_e64 v17, 0, v43, s[28:29]
	v_cndmask_b32_e64 v16, 0, v42, s[26:27]
	v_add_f64 v[42:43], v[16:17], 1.0
	v_add_f64 v[44:45], v[42:43], -1.0
	v_add_f64 v[46:47], v[44:45], -v[42:43]
	v_add_f64 v[46:47], v[46:47], 1.0
	v_add_f64 v[44:45], v[16:17], -v[44:45]
	s_mov_b32 s26, 0x55555555
	v_add_f64 v[44:45], v[44:45], v[46:47]
	v_frexp_mant_f64_e32 v[46:47], v[42:43]
	s_mov_b32 s27, 0x3fe55555
	v_frexp_exp_i32_f64_e32 v48, v[42:43]
	v_cmp_gt_f64_e64 s[26:27], s[26:27], v[46:47]
	s_mov_b32 s39, 0x3c7abc9e
	v_cmp_ngt_f64_e64 s[28:29], -1.0, v[16:17]
	v_subbrev_co_u32_e64 v62, s[26:27], 0, v48, s[26:27]
	v_sub_u32_e32 v46, 0, v62
	v_ldexp_f64 v[42:43], v[42:43], v46
	v_ldexp_f64 v[44:45], v[44:45], v46
	v_add_f64 v[46:47], v[42:43], -1.0
	v_add_f64 v[52:53], v[42:43], 1.0
	v_add_f64 v[48:49], v[46:47], 1.0
	v_add_f64 v[54:55], v[52:53], -1.0
	v_add_f64 v[48:49], v[42:43], -v[48:49]
	v_add_f64 v[42:43], v[42:43], -v[54:55]
	v_add_f64 v[42:43], v[44:45], v[42:43]
	v_add_f64 v[48:49], v[44:45], v[48:49]
	;; [unrolled: 1-line block ×3, first 2 shown]
	v_rcp_f64_e32 v[54:55], v[44:45]
	v_add_f64 v[50:51], v[46:47], v[48:49]
	v_add_f64 v[46:47], v[50:51], -v[46:47]
	v_add_f64 v[46:47], v[48:49], -v[46:47]
	;; [unrolled: 1-line block ×4, first 2 shown]
	v_fma_f64 v[48:49], -v[44:45], v[54:55], 1.0
	v_fmac_f64_e32 v[54:55], v[48:49], v[54:55]
	v_fma_f64 v[48:49], -v[44:45], v[54:55], 1.0
	v_fmac_f64_e32 v[54:55], v[48:49], v[54:55]
	v_mul_f64 v[48:49], v[50:51], v[54:55]
	v_mul_f64 v[52:53], v[44:45], v[48:49]
	v_fma_f64 v[56:57], v[48:49], v[44:45], -v[52:53]
	v_fmac_f64_e32 v[56:57], v[48:49], v[42:43]
	v_add_f64 v[58:59], v[52:53], v[56:57]
	v_add_f64 v[60:61], v[50:51], -v[58:59]
	v_add_f64 v[50:51], v[50:51], -v[60:61]
	;; [unrolled: 1-line block ×4, first 2 shown]
	v_add_f64 v[46:47], v[46:47], v[50:51]
	v_add_f64 v[50:51], v[52:53], -v[56:57]
	v_add_f64 v[46:47], v[50:51], v[46:47]
	v_add_f64 v[50:51], v[60:61], v[46:47]
	v_add_f64 v[52:53], v[60:61], -v[50:51]
	v_add_f64 v[46:47], v[46:47], v[52:53]
	v_mul_f64 v[52:53], v[54:55], v[50:51]
	v_mul_f64 v[56:57], v[44:45], v[52:53]
	v_fma_f64 v[44:45], v[52:53], v[44:45], -v[56:57]
	v_fmac_f64_e32 v[44:45], v[52:53], v[42:43]
	v_add_f64 v[42:43], v[56:57], v[44:45]
	v_add_f64 v[58:59], v[50:51], -v[42:43]
	v_add_f64 v[50:51], v[50:51], -v[58:59]
	;; [unrolled: 1-line block ×4, first 2 shown]
	v_add_f64 v[42:43], v[46:47], v[42:43]
	v_add_f64 v[44:45], v[56:57], -v[44:45]
	v_add_f64 v[42:43], v[44:45], v[42:43]
	v_add_f64 v[44:45], v[48:49], v[52:53]
	;; [unrolled: 1-line block ×3, first 2 shown]
	v_add_f64 v[46:47], v[44:45], -v[48:49]
	v_mul_f64 v[42:43], v[54:55], v[42:43]
	v_add_f64 v[46:47], v[52:53], -v[46:47]
	v_add_f64 v[42:43], v[46:47], v[42:43]
	v_add_f64 v[46:47], v[44:45], v[42:43]
	v_add_f64 v[44:45], v[46:47], -v[44:45]
	s_mov_b32 s26, 0xbf559e2b
	v_add_f64 v[42:43], v[42:43], -v[44:45]
	v_mul_f64 v[44:45], v[46:47], v[46:47]
	v_mov_b32_e32 v48, 0x6b47b09a
	v_mov_b32_e32 v49, 0x3fc38538
	s_mov_b32 s27, 0x3fc3ab76
	v_fmac_f64_e32 v[48:49], s[26:27], v[44:45]
	v_mov_b32_e32 v50, 0xd7f4df2e
	v_mov_b32_e32 v51, 0x3fc7474d
	v_fmac_f64_e32 v[50:51], v[44:45], v[48:49]
	v_mov_b32_e32 v48, 0x16291751
	v_mov_b32_e32 v49, 0x3fcc71c0
	;; [unrolled: 3-line block ×5, first 2 shown]
	v_fmac_f64_e32 v[50:51], v[44:45], v[48:49]
	v_cvt_f64_i32_e32 v[48:49], v62
	v_mul_f64 v[52:53], v[48:49], s[36:37]
	v_fma_f64 v[54:55], v[48:49], s[36:37], -v[52:53]
	v_fmac_f64_e32 v[54:55], s[38:39], v[48:49]
	v_add_f64 v[48:49], v[52:53], v[54:55]
	v_add_f64 v[52:53], v[48:49], -v[52:53]
	v_mul_f64 v[44:45], v[46:47], v[44:45]
	v_add_f64 v[52:53], v[54:55], -v[52:53]
	v_ldexp_f64 v[54:55], v[46:47], 1
	v_mul_f64 v[44:45], v[44:45], v[50:51]
	v_add_f64 v[46:47], v[54:55], v[44:45]
	v_add_f64 v[50:51], v[46:47], -v[54:55]
	v_ldexp_f64 v[42:43], v[42:43], 1
	v_add_f64 v[44:45], v[44:45], -v[50:51]
	v_add_f64 v[42:43], v[42:43], v[44:45]
	v_add_f64 v[44:45], v[46:47], v[42:43]
	v_add_f64 v[46:47], v[44:45], -v[46:47]
	v_add_f64 v[42:43], v[42:43], -v[46:47]
	v_add_f64 v[46:47], v[48:49], v[44:45]
	v_add_f64 v[50:51], v[46:47], -v[48:49]
	v_add_f64 v[54:55], v[46:47], -v[50:51]
	;; [unrolled: 1-line block ×4, first 2 shown]
	v_add_f64 v[44:45], v[44:45], v[48:49]
	v_add_f64 v[48:49], v[52:53], v[42:43]
	v_add_f64 v[50:51], v[48:49], -v[52:53]
	v_add_f64 v[44:45], v[48:49], v[44:45]
	v_add_f64 v[54:55], v[48:49], -v[50:51]
	;; [unrolled: 2-line block ×3, first 2 shown]
	v_add_f64 v[42:43], v[42:43], -v[50:51]
	v_add_f64 v[46:47], v[48:49], -v[46:47]
	v_add_f64 v[42:43], v[42:43], v[52:53]
	v_add_f64 v[44:45], v[44:45], -v[46:47]
	s_mov_b32 s26, 0
	v_add_f64 v[42:43], v[42:43], v[44:45]
	s_mov_b32 s27, 0x7ff00000
	v_add_f64 v[42:43], v[48:49], v[42:43]
	v_cmp_neq_f64_e64 s[26:27], s[26:27], v[16:17]
	s_nop 1
	v_cndmask_b32_e64 v19, v19, v43, s[26:27]
	v_mov_b32_e32 v43, 0x7ff80000
	v_cndmask_b32_e64 v19, v43, v19, s[28:29]
	v_cmp_nge_f64_e64 s[28:29], -1.0, v[16:17]
	s_and_b64 s[26:27], s[28:29], s[26:27]
	v_cndmask_b32_e64 v42, 0, v42, s[26:27]
	v_mov_b32_e32 v43, 0xfff00000
	v_cmp_neq_f64_e64 s[26:27], -1.0, v[16:17]
	s_nop 1
	v_cndmask_b32_e64 v43, v43, v19, s[26:27]
	v_add_f64 v[16:17], v[40:41], v[42:43]
.LBB37_25:
	s_or_b64 exec, exec, s[34:35]
	ds_read_b64 v[40:41], v1 offset:16
	v_max_f64 v[44:45], v[16:17], v[16:17]
	v_cmp_u_f64_e64 s[26:27], v[16:17], v[16:17]
	s_waitcnt lgkmcnt(0)
	v_max_f64 v[46:47], v[40:41], v[40:41]
	v_min_f64 v[42:43], v[44:45], v[46:47]
	v_cndmask_b32_e64 v19, v42, v16, s[26:27]
	v_cndmask_b32_e64 v42, v43, v17, s[26:27]
	v_cmp_u_f64_e64 s[28:29], v[40:41], v[40:41]
	v_max_f64 v[44:45], v[44:45], v[46:47]
	s_nop 0
	v_cndmask_b32_e64 v43, v42, v41, s[28:29]
	v_cndmask_b32_e64 v42, v19, v40, s[28:29]
	v_cndmask_b32_e64 v19, v44, v16, s[26:27]
	v_cndmask_b32_e64 v44, v45, v17, s[26:27]
	v_cndmask_b32_e64 v41, v44, v41, s[28:29]
	v_cndmask_b32_e64 v40, v19, v40, s[28:29]
	v_cmp_neq_f64_e64 s[26:27], v[42:43], v[40:41]
	v_cmp_class_f64_e64 s[28:29], v[42:43], s33
	s_or_b64 s[26:27], s[26:27], s[28:29]
	s_and_saveexec_b64 s[34:35], s[26:27]
	s_cbranch_execz .LBB37_27
; %bb.26:
	s_mov_b32 s26, 0x652b82fe
	v_add_f64 v[16:17], v[42:43], -v[40:41]
	s_mov_b32 s27, 0x3ff71547
	v_mul_f64 v[42:43], v[16:17], s[26:27]
	v_rndne_f64_e32 v[42:43], v[42:43]
	s_mov_b32 s37, 0xbfe62e42
	s_mov_b32 s36, 0xfefa39ef
	v_fma_f64 v[44:45], s[36:37], v[42:43], v[16:17]
	s_mov_b32 s39, 0xbc7abc9e
	s_mov_b32 s38, 0x3b39803f
	;; [unrolled: 1-line block ×3, first 2 shown]
	v_fmac_f64_e32 v[44:45], s[38:39], v[42:43]
	v_mov_b32_e32 v46, 0xfca7ab0c
	v_mov_b32_e32 v47, 0x3e928af3
	s_mov_b32 s27, 0x3e5ade15
	v_fmac_f64_e32 v[46:47], s[26:27], v[44:45]
	v_mov_b32_e32 v48, 0x623fde64
	v_mov_b32_e32 v49, 0x3ec71dee
	v_fmac_f64_e32 v[48:49], v[44:45], v[46:47]
	v_mov_b32_e32 v46, 0x7c89e6b0
	v_mov_b32_e32 v47, 0x3efa0199
	;; [unrolled: 3-line block ×8, first 2 shown]
	v_fmac_f64_e32 v[46:47], v[44:45], v[48:49]
	v_fma_f64 v[46:47], v[44:45], v[46:47], 1.0
	s_mov_b32 s26, 0
	s_mov_b32 s28, 0
	v_fma_f64 v[44:45], v[44:45], v[46:47], 1.0
	v_cvt_i32_f64_e32 v19, v[42:43]
	s_mov_b32 s27, 0x40900000
	s_mov_b32 s29, 0xc090cc00
	v_ldexp_f64 v[42:43], v[44:45], v19
	v_mov_b32_e32 v19, 0x7ff00000
	v_cmp_nlt_f64_e64 s[26:27], s[26:27], v[16:17]
	v_cmp_ngt_f64_e64 s[28:29], s[28:29], v[16:17]
	s_mov_b32 s37, 0x3fe62e42
	v_cndmask_b32_e64 v43, v19, v43, s[26:27]
	s_and_b64 s[26:27], s[28:29], s[26:27]
	v_cndmask_b32_e64 v17, 0, v43, s[28:29]
	v_cndmask_b32_e64 v16, 0, v42, s[26:27]
	v_add_f64 v[42:43], v[16:17], 1.0
	v_add_f64 v[44:45], v[42:43], -1.0
	v_add_f64 v[46:47], v[44:45], -v[42:43]
	v_add_f64 v[46:47], v[46:47], 1.0
	v_add_f64 v[44:45], v[16:17], -v[44:45]
	s_mov_b32 s26, 0x55555555
	v_add_f64 v[44:45], v[44:45], v[46:47]
	v_frexp_mant_f64_e32 v[46:47], v[42:43]
	s_mov_b32 s27, 0x3fe55555
	v_frexp_exp_i32_f64_e32 v48, v[42:43]
	v_cmp_gt_f64_e64 s[26:27], s[26:27], v[46:47]
	s_mov_b32 s39, 0x3c7abc9e
	v_cmp_ngt_f64_e64 s[28:29], -1.0, v[16:17]
	v_subbrev_co_u32_e64 v62, s[26:27], 0, v48, s[26:27]
	v_sub_u32_e32 v46, 0, v62
	v_ldexp_f64 v[42:43], v[42:43], v46
	v_ldexp_f64 v[44:45], v[44:45], v46
	v_add_f64 v[46:47], v[42:43], -1.0
	v_add_f64 v[52:53], v[42:43], 1.0
	v_add_f64 v[48:49], v[46:47], 1.0
	v_add_f64 v[54:55], v[52:53], -1.0
	v_add_f64 v[48:49], v[42:43], -v[48:49]
	v_add_f64 v[42:43], v[42:43], -v[54:55]
	v_add_f64 v[42:43], v[44:45], v[42:43]
	v_add_f64 v[48:49], v[44:45], v[48:49]
	;; [unrolled: 1-line block ×3, first 2 shown]
	v_rcp_f64_e32 v[54:55], v[44:45]
	v_add_f64 v[50:51], v[46:47], v[48:49]
	v_add_f64 v[46:47], v[50:51], -v[46:47]
	v_add_f64 v[46:47], v[48:49], -v[46:47]
	;; [unrolled: 1-line block ×4, first 2 shown]
	v_fma_f64 v[48:49], -v[44:45], v[54:55], 1.0
	v_fmac_f64_e32 v[54:55], v[48:49], v[54:55]
	v_fma_f64 v[48:49], -v[44:45], v[54:55], 1.0
	v_fmac_f64_e32 v[54:55], v[48:49], v[54:55]
	v_mul_f64 v[48:49], v[50:51], v[54:55]
	v_mul_f64 v[52:53], v[44:45], v[48:49]
	v_fma_f64 v[56:57], v[48:49], v[44:45], -v[52:53]
	v_fmac_f64_e32 v[56:57], v[48:49], v[42:43]
	v_add_f64 v[58:59], v[52:53], v[56:57]
	v_add_f64 v[60:61], v[50:51], -v[58:59]
	v_add_f64 v[50:51], v[50:51], -v[60:61]
	;; [unrolled: 1-line block ×4, first 2 shown]
	v_add_f64 v[46:47], v[46:47], v[50:51]
	v_add_f64 v[50:51], v[52:53], -v[56:57]
	v_add_f64 v[46:47], v[50:51], v[46:47]
	v_add_f64 v[50:51], v[60:61], v[46:47]
	v_add_f64 v[52:53], v[60:61], -v[50:51]
	v_add_f64 v[46:47], v[46:47], v[52:53]
	v_mul_f64 v[52:53], v[54:55], v[50:51]
	v_mul_f64 v[56:57], v[44:45], v[52:53]
	v_fma_f64 v[44:45], v[52:53], v[44:45], -v[56:57]
	v_fmac_f64_e32 v[44:45], v[52:53], v[42:43]
	v_add_f64 v[42:43], v[56:57], v[44:45]
	v_add_f64 v[58:59], v[50:51], -v[42:43]
	v_add_f64 v[50:51], v[50:51], -v[58:59]
	;; [unrolled: 1-line block ×4, first 2 shown]
	v_add_f64 v[42:43], v[46:47], v[42:43]
	v_add_f64 v[44:45], v[56:57], -v[44:45]
	v_add_f64 v[42:43], v[44:45], v[42:43]
	v_add_f64 v[44:45], v[48:49], v[52:53]
	;; [unrolled: 1-line block ×3, first 2 shown]
	v_add_f64 v[46:47], v[44:45], -v[48:49]
	v_mul_f64 v[42:43], v[54:55], v[42:43]
	v_add_f64 v[46:47], v[52:53], -v[46:47]
	v_add_f64 v[42:43], v[46:47], v[42:43]
	v_add_f64 v[46:47], v[44:45], v[42:43]
	v_add_f64 v[44:45], v[46:47], -v[44:45]
	s_mov_b32 s26, 0xbf559e2b
	v_add_f64 v[42:43], v[42:43], -v[44:45]
	v_mul_f64 v[44:45], v[46:47], v[46:47]
	v_mov_b32_e32 v48, 0x6b47b09a
	v_mov_b32_e32 v49, 0x3fc38538
	s_mov_b32 s27, 0x3fc3ab76
	v_fmac_f64_e32 v[48:49], s[26:27], v[44:45]
	v_mov_b32_e32 v50, 0xd7f4df2e
	v_mov_b32_e32 v51, 0x3fc7474d
	v_fmac_f64_e32 v[50:51], v[44:45], v[48:49]
	v_mov_b32_e32 v48, 0x16291751
	v_mov_b32_e32 v49, 0x3fcc71c0
	;; [unrolled: 3-line block ×5, first 2 shown]
	v_fmac_f64_e32 v[50:51], v[44:45], v[48:49]
	v_cvt_f64_i32_e32 v[48:49], v62
	v_mul_f64 v[52:53], v[48:49], s[36:37]
	v_fma_f64 v[54:55], v[48:49], s[36:37], -v[52:53]
	v_fmac_f64_e32 v[54:55], s[38:39], v[48:49]
	v_add_f64 v[48:49], v[52:53], v[54:55]
	v_add_f64 v[52:53], v[48:49], -v[52:53]
	v_mul_f64 v[44:45], v[46:47], v[44:45]
	v_add_f64 v[52:53], v[54:55], -v[52:53]
	v_ldexp_f64 v[54:55], v[46:47], 1
	v_mul_f64 v[44:45], v[44:45], v[50:51]
	v_add_f64 v[46:47], v[54:55], v[44:45]
	v_add_f64 v[50:51], v[46:47], -v[54:55]
	v_ldexp_f64 v[42:43], v[42:43], 1
	v_add_f64 v[44:45], v[44:45], -v[50:51]
	v_add_f64 v[42:43], v[42:43], v[44:45]
	v_add_f64 v[44:45], v[46:47], v[42:43]
	v_add_f64 v[46:47], v[44:45], -v[46:47]
	v_add_f64 v[42:43], v[42:43], -v[46:47]
	v_add_f64 v[46:47], v[48:49], v[44:45]
	v_add_f64 v[50:51], v[46:47], -v[48:49]
	v_add_f64 v[54:55], v[46:47], -v[50:51]
	;; [unrolled: 1-line block ×4, first 2 shown]
	v_add_f64 v[44:45], v[44:45], v[48:49]
	v_add_f64 v[48:49], v[52:53], v[42:43]
	v_add_f64 v[50:51], v[48:49], -v[52:53]
	v_add_f64 v[44:45], v[48:49], v[44:45]
	v_add_f64 v[54:55], v[48:49], -v[50:51]
	;; [unrolled: 2-line block ×3, first 2 shown]
	v_add_f64 v[42:43], v[42:43], -v[50:51]
	v_add_f64 v[46:47], v[48:49], -v[46:47]
	v_add_f64 v[42:43], v[42:43], v[52:53]
	v_add_f64 v[44:45], v[44:45], -v[46:47]
	s_mov_b32 s26, 0
	v_add_f64 v[42:43], v[42:43], v[44:45]
	s_mov_b32 s27, 0x7ff00000
	v_add_f64 v[42:43], v[48:49], v[42:43]
	v_cmp_neq_f64_e64 s[26:27], s[26:27], v[16:17]
	s_nop 1
	v_cndmask_b32_e64 v19, v19, v43, s[26:27]
	v_mov_b32_e32 v43, 0x7ff80000
	v_cndmask_b32_e64 v19, v43, v19, s[28:29]
	v_cmp_nge_f64_e64 s[28:29], -1.0, v[16:17]
	s_and_b64 s[26:27], s[28:29], s[26:27]
	v_cndmask_b32_e64 v42, 0, v42, s[26:27]
	v_mov_b32_e32 v43, 0xfff00000
	v_cmp_neq_f64_e64 s[26:27], -1.0, v[16:17]
	s_nop 1
	v_cndmask_b32_e64 v43, v43, v19, s[26:27]
	v_add_f64 v[16:17], v[40:41], v[42:43]
.LBB37_27:
	s_or_b64 exec, exec, s[34:35]
	ds_read_b64 v[40:41], v1 offset:24
	v_max_f64 v[44:45], v[16:17], v[16:17]
	v_cmp_u_f64_e64 s[26:27], v[16:17], v[16:17]
	s_waitcnt lgkmcnt(0)
	v_max_f64 v[46:47], v[40:41], v[40:41]
	v_min_f64 v[42:43], v[44:45], v[46:47]
	v_cndmask_b32_e64 v19, v42, v16, s[26:27]
	v_cndmask_b32_e64 v42, v43, v17, s[26:27]
	v_cmp_u_f64_e64 s[28:29], v[40:41], v[40:41]
	v_max_f64 v[44:45], v[44:45], v[46:47]
	s_nop 0
	v_cndmask_b32_e64 v43, v42, v41, s[28:29]
	v_cndmask_b32_e64 v42, v19, v40, s[28:29]
	;; [unrolled: 1-line block ×6, first 2 shown]
	s_movk_i32 s28, 0x1f8
	v_cmp_neq_f64_e64 s[26:27], v[42:43], v[40:41]
	v_cmp_class_f64_e64 s[28:29], v[42:43], s28
	s_or_b64 s[26:27], s[26:27], s[28:29]
	s_and_saveexec_b64 s[34:35], s[26:27]
	s_cbranch_execz .LBB37_29
; %bb.28:
	s_mov_b32 s26, 0x652b82fe
	v_add_f64 v[16:17], v[42:43], -v[40:41]
	s_mov_b32 s27, 0x3ff71547
	v_mul_f64 v[42:43], v[16:17], s[26:27]
	v_rndne_f64_e32 v[42:43], v[42:43]
	s_mov_b32 s37, 0xbfe62e42
	s_mov_b32 s36, 0xfefa39ef
	v_fma_f64 v[44:45], s[36:37], v[42:43], v[16:17]
	s_mov_b32 s39, 0xbc7abc9e
	s_mov_b32 s38, 0x3b39803f
	;; [unrolled: 1-line block ×3, first 2 shown]
	v_fmac_f64_e32 v[44:45], s[38:39], v[42:43]
	v_mov_b32_e32 v46, 0xfca7ab0c
	v_mov_b32_e32 v47, 0x3e928af3
	s_mov_b32 s27, 0x3e5ade15
	v_fmac_f64_e32 v[46:47], s[26:27], v[44:45]
	v_mov_b32_e32 v48, 0x623fde64
	v_mov_b32_e32 v49, 0x3ec71dee
	v_fmac_f64_e32 v[48:49], v[44:45], v[46:47]
	v_mov_b32_e32 v46, 0x7c89e6b0
	v_mov_b32_e32 v47, 0x3efa0199
	;; [unrolled: 3-line block ×8, first 2 shown]
	v_fmac_f64_e32 v[46:47], v[44:45], v[48:49]
	v_fma_f64 v[46:47], v[44:45], v[46:47], 1.0
	s_mov_b32 s26, 0
	s_mov_b32 s28, 0
	v_fma_f64 v[44:45], v[44:45], v[46:47], 1.0
	v_cvt_i32_f64_e32 v19, v[42:43]
	s_mov_b32 s27, 0x40900000
	s_mov_b32 s29, 0xc090cc00
	v_ldexp_f64 v[42:43], v[44:45], v19
	v_mov_b32_e32 v19, 0x7ff00000
	v_cmp_nlt_f64_e64 s[26:27], s[26:27], v[16:17]
	v_cmp_ngt_f64_e64 s[28:29], s[28:29], v[16:17]
	s_mov_b32 s37, 0x3fe62e42
	v_cndmask_b32_e64 v43, v19, v43, s[26:27]
	s_and_b64 s[26:27], s[28:29], s[26:27]
	v_cndmask_b32_e64 v17, 0, v43, s[28:29]
	v_cndmask_b32_e64 v16, 0, v42, s[26:27]
	v_add_f64 v[42:43], v[16:17], 1.0
	v_add_f64 v[44:45], v[42:43], -1.0
	v_add_f64 v[46:47], v[44:45], -v[42:43]
	v_add_f64 v[46:47], v[46:47], 1.0
	v_add_f64 v[44:45], v[16:17], -v[44:45]
	s_mov_b32 s26, 0x55555555
	v_add_f64 v[44:45], v[44:45], v[46:47]
	v_frexp_mant_f64_e32 v[46:47], v[42:43]
	s_mov_b32 s27, 0x3fe55555
	v_frexp_exp_i32_f64_e32 v48, v[42:43]
	v_cmp_gt_f64_e64 s[26:27], s[26:27], v[46:47]
	s_mov_b32 s39, 0x3c7abc9e
	v_cmp_ngt_f64_e64 s[28:29], -1.0, v[16:17]
	v_subbrev_co_u32_e64 v62, s[26:27], 0, v48, s[26:27]
	v_sub_u32_e32 v46, 0, v62
	v_ldexp_f64 v[42:43], v[42:43], v46
	v_ldexp_f64 v[44:45], v[44:45], v46
	v_add_f64 v[46:47], v[42:43], -1.0
	v_add_f64 v[52:53], v[42:43], 1.0
	v_add_f64 v[48:49], v[46:47], 1.0
	v_add_f64 v[54:55], v[52:53], -1.0
	v_add_f64 v[48:49], v[42:43], -v[48:49]
	v_add_f64 v[42:43], v[42:43], -v[54:55]
	v_add_f64 v[42:43], v[44:45], v[42:43]
	v_add_f64 v[48:49], v[44:45], v[48:49]
	;; [unrolled: 1-line block ×3, first 2 shown]
	v_rcp_f64_e32 v[54:55], v[44:45]
	v_add_f64 v[50:51], v[46:47], v[48:49]
	v_add_f64 v[46:47], v[50:51], -v[46:47]
	v_add_f64 v[46:47], v[48:49], -v[46:47]
	;; [unrolled: 1-line block ×4, first 2 shown]
	v_fma_f64 v[48:49], -v[44:45], v[54:55], 1.0
	v_fmac_f64_e32 v[54:55], v[48:49], v[54:55]
	v_fma_f64 v[48:49], -v[44:45], v[54:55], 1.0
	v_fmac_f64_e32 v[54:55], v[48:49], v[54:55]
	v_mul_f64 v[48:49], v[50:51], v[54:55]
	v_mul_f64 v[52:53], v[44:45], v[48:49]
	v_fma_f64 v[56:57], v[48:49], v[44:45], -v[52:53]
	v_fmac_f64_e32 v[56:57], v[48:49], v[42:43]
	v_add_f64 v[58:59], v[52:53], v[56:57]
	v_add_f64 v[60:61], v[50:51], -v[58:59]
	v_add_f64 v[50:51], v[50:51], -v[60:61]
	;; [unrolled: 1-line block ×4, first 2 shown]
	v_add_f64 v[46:47], v[46:47], v[50:51]
	v_add_f64 v[50:51], v[52:53], -v[56:57]
	v_add_f64 v[46:47], v[50:51], v[46:47]
	v_add_f64 v[50:51], v[60:61], v[46:47]
	v_add_f64 v[52:53], v[60:61], -v[50:51]
	v_add_f64 v[46:47], v[46:47], v[52:53]
	v_mul_f64 v[52:53], v[54:55], v[50:51]
	v_mul_f64 v[56:57], v[44:45], v[52:53]
	v_fma_f64 v[44:45], v[52:53], v[44:45], -v[56:57]
	v_fmac_f64_e32 v[44:45], v[52:53], v[42:43]
	v_add_f64 v[42:43], v[56:57], v[44:45]
	v_add_f64 v[58:59], v[50:51], -v[42:43]
	v_add_f64 v[50:51], v[50:51], -v[58:59]
	;; [unrolled: 1-line block ×4, first 2 shown]
	v_add_f64 v[42:43], v[46:47], v[42:43]
	v_add_f64 v[44:45], v[56:57], -v[44:45]
	v_add_f64 v[42:43], v[44:45], v[42:43]
	v_add_f64 v[44:45], v[48:49], v[52:53]
	;; [unrolled: 1-line block ×3, first 2 shown]
	v_add_f64 v[46:47], v[44:45], -v[48:49]
	v_mul_f64 v[42:43], v[54:55], v[42:43]
	v_add_f64 v[46:47], v[52:53], -v[46:47]
	v_add_f64 v[42:43], v[46:47], v[42:43]
	v_add_f64 v[46:47], v[44:45], v[42:43]
	v_add_f64 v[44:45], v[46:47], -v[44:45]
	s_mov_b32 s26, 0xbf559e2b
	v_add_f64 v[42:43], v[42:43], -v[44:45]
	v_mul_f64 v[44:45], v[46:47], v[46:47]
	v_mov_b32_e32 v48, 0x6b47b09a
	v_mov_b32_e32 v49, 0x3fc38538
	s_mov_b32 s27, 0x3fc3ab76
	v_fmac_f64_e32 v[48:49], s[26:27], v[44:45]
	v_mov_b32_e32 v50, 0xd7f4df2e
	v_mov_b32_e32 v51, 0x3fc7474d
	v_fmac_f64_e32 v[50:51], v[44:45], v[48:49]
	v_mov_b32_e32 v48, 0x16291751
	v_mov_b32_e32 v49, 0x3fcc71c0
	;; [unrolled: 3-line block ×5, first 2 shown]
	v_fmac_f64_e32 v[50:51], v[44:45], v[48:49]
	v_cvt_f64_i32_e32 v[48:49], v62
	v_mul_f64 v[52:53], v[48:49], s[36:37]
	v_fma_f64 v[54:55], v[48:49], s[36:37], -v[52:53]
	v_fmac_f64_e32 v[54:55], s[38:39], v[48:49]
	v_add_f64 v[48:49], v[52:53], v[54:55]
	v_add_f64 v[52:53], v[48:49], -v[52:53]
	v_mul_f64 v[44:45], v[46:47], v[44:45]
	v_add_f64 v[52:53], v[54:55], -v[52:53]
	v_ldexp_f64 v[54:55], v[46:47], 1
	v_mul_f64 v[44:45], v[44:45], v[50:51]
	v_add_f64 v[46:47], v[54:55], v[44:45]
	v_add_f64 v[50:51], v[46:47], -v[54:55]
	v_ldexp_f64 v[42:43], v[42:43], 1
	v_add_f64 v[44:45], v[44:45], -v[50:51]
	v_add_f64 v[42:43], v[42:43], v[44:45]
	v_add_f64 v[44:45], v[46:47], v[42:43]
	v_add_f64 v[46:47], v[44:45], -v[46:47]
	v_add_f64 v[42:43], v[42:43], -v[46:47]
	v_add_f64 v[46:47], v[48:49], v[44:45]
	v_add_f64 v[50:51], v[46:47], -v[48:49]
	v_add_f64 v[54:55], v[46:47], -v[50:51]
	;; [unrolled: 1-line block ×4, first 2 shown]
	v_add_f64 v[44:45], v[44:45], v[48:49]
	v_add_f64 v[48:49], v[52:53], v[42:43]
	v_add_f64 v[50:51], v[48:49], -v[52:53]
	v_add_f64 v[44:45], v[48:49], v[44:45]
	v_add_f64 v[54:55], v[48:49], -v[50:51]
	;; [unrolled: 2-line block ×3, first 2 shown]
	v_add_f64 v[42:43], v[42:43], -v[50:51]
	v_add_f64 v[46:47], v[48:49], -v[46:47]
	v_add_f64 v[42:43], v[42:43], v[52:53]
	v_add_f64 v[44:45], v[44:45], -v[46:47]
	s_mov_b32 s26, 0
	v_add_f64 v[42:43], v[42:43], v[44:45]
	s_mov_b32 s27, 0x7ff00000
	v_add_f64 v[42:43], v[48:49], v[42:43]
	v_cmp_neq_f64_e64 s[26:27], s[26:27], v[16:17]
	s_nop 1
	v_cndmask_b32_e64 v19, v19, v43, s[26:27]
	v_mov_b32_e32 v43, 0x7ff80000
	v_cndmask_b32_e64 v19, v43, v19, s[28:29]
	v_cmp_nge_f64_e64 s[28:29], -1.0, v[16:17]
	s_and_b64 s[26:27], s[28:29], s[26:27]
	v_cndmask_b32_e64 v42, 0, v42, s[26:27]
	v_mov_b32_e32 v43, 0xfff00000
	v_cmp_neq_f64_e64 s[26:27], -1.0, v[16:17]
	s_nop 1
	v_cndmask_b32_e64 v43, v43, v19, s[26:27]
	v_add_f64 v[16:17], v[40:41], v[42:43]
.LBB37_29:
	s_or_b64 exec, exec, s[34:35]
	v_mbcnt_lo_u32_b32 v19, -1, 0
	v_mbcnt_hi_u32_b32 v19, -1, v19
	v_and_b32_e32 v44, 15, v19
	v_mov_b32_dpp v40, v16 row_shr:1 row_mask:0xf bank_mask:0xf
	v_mov_b32_dpp v41, v17 row_shr:1 row_mask:0xf bank_mask:0xf
	v_cmp_ne_u32_e64 s[26:27], 0, v44
	v_mov_b32_e32 v42, v16
	v_mov_b32_e32 v43, v17
	s_and_saveexec_b64 s[28:29], s[26:27]
	s_xor_b64 s[34:35], exec, s[28:29]
	s_cbranch_execz .LBB37_33
; %bb.30:
	v_max_f64 v[46:47], v[40:41], v[40:41]
	v_max_f64 v[48:49], v[16:17], v[16:17]
	v_min_f64 v[42:43], v[46:47], v[48:49]
	v_cmp_u_f64_e64 s[26:27], v[40:41], v[40:41]
	v_max_f64 v[46:47], v[46:47], v[48:49]
	v_cmp_u_f64_e64 s[28:29], v[16:17], v[16:17]
	v_cndmask_b32_e64 v43, v43, v41, s[26:27]
	v_cndmask_b32_e64 v42, v42, v40, s[26:27]
	v_cndmask_b32_e64 v45, v47, v41, s[26:27]
	v_cndmask_b32_e64 v46, v46, v40, s[26:27]
	v_cndmask_b32_e64 v43, v43, v17, s[28:29]
	v_cndmask_b32_e64 v42, v42, v16, s[28:29]
	v_cndmask_b32_e64 v17, v45, v17, s[28:29]
	v_cndmask_b32_e64 v16, v46, v16, s[28:29]
	s_movk_i32 s28, 0x1f8
	v_cmp_neq_f64_e64 s[26:27], v[42:43], v[16:17]
	v_cmp_class_f64_e64 s[28:29], v[42:43], s28
	s_or_b64 s[26:27], s[26:27], s[28:29]
	s_and_saveexec_b64 s[36:37], s[26:27]
	s_cbranch_execz .LBB37_32
; %bb.31:
	s_mov_b32 s26, 0x652b82fe
	v_add_f64 v[40:41], v[42:43], -v[16:17]
	s_mov_b32 s27, 0x3ff71547
	v_mul_f64 v[42:43], v[40:41], s[26:27]
	v_rndne_f64_e32 v[42:43], v[42:43]
	s_mov_b32 s39, 0xbfe62e42
	s_mov_b32 s38, 0xfefa39ef
	v_fma_f64 v[46:47], s[38:39], v[42:43], v[40:41]
	s_mov_b32 s41, 0xbc7abc9e
	s_mov_b32 s40, 0x3b39803f
	;; [unrolled: 1-line block ×3, first 2 shown]
	v_fmac_f64_e32 v[46:47], s[40:41], v[42:43]
	v_mov_b32_e32 v48, 0xfca7ab0c
	v_mov_b32_e32 v49, 0x3e928af3
	s_mov_b32 s27, 0x3e5ade15
	v_fmac_f64_e32 v[48:49], s[26:27], v[46:47]
	v_mov_b32_e32 v50, 0x623fde64
	v_mov_b32_e32 v51, 0x3ec71dee
	v_fmac_f64_e32 v[50:51], v[46:47], v[48:49]
	v_mov_b32_e32 v48, 0x7c89e6b0
	v_mov_b32_e32 v49, 0x3efa0199
	;; [unrolled: 3-line block ×8, first 2 shown]
	v_fmac_f64_e32 v[48:49], v[46:47], v[50:51]
	v_fma_f64 v[48:49], v[46:47], v[48:49], 1.0
	s_mov_b32 s26, 0
	s_mov_b32 s28, 0
	v_fma_f64 v[46:47], v[46:47], v[48:49], 1.0
	v_cvt_i32_f64_e32 v42, v[42:43]
	s_mov_b32 s27, 0x40900000
	s_mov_b32 s29, 0xc090cc00
	v_ldexp_f64 v[42:43], v[46:47], v42
	v_mov_b32_e32 v45, 0x7ff00000
	v_cmp_nlt_f64_e64 s[26:27], s[26:27], v[40:41]
	v_cmp_ngt_f64_e64 s[28:29], s[28:29], v[40:41]
	s_mov_b32 s39, 0x3fe62e42
	v_cndmask_b32_e64 v43, v45, v43, s[26:27]
	s_and_b64 s[26:27], s[28:29], s[26:27]
	v_cndmask_b32_e64 v41, 0, v43, s[28:29]
	v_cndmask_b32_e64 v40, 0, v42, s[26:27]
	v_add_f64 v[42:43], v[40:41], 1.0
	v_add_f64 v[46:47], v[42:43], -1.0
	v_add_f64 v[48:49], v[46:47], -v[42:43]
	v_add_f64 v[48:49], v[48:49], 1.0
	v_add_f64 v[46:47], v[40:41], -v[46:47]
	s_mov_b32 s26, 0x55555555
	v_add_f64 v[46:47], v[46:47], v[48:49]
	v_frexp_mant_f64_e32 v[48:49], v[42:43]
	s_mov_b32 s27, 0x3fe55555
	v_frexp_exp_i32_f64_e32 v50, v[42:43]
	v_cmp_gt_f64_e64 s[26:27], s[26:27], v[48:49]
	s_mov_b32 s41, 0x3c7abc9e
	v_cmp_ngt_f64_e64 s[28:29], -1.0, v[40:41]
	v_subbrev_co_u32_e64 v64, s[26:27], 0, v50, s[26:27]
	v_sub_u32_e32 v48, 0, v64
	v_ldexp_f64 v[42:43], v[42:43], v48
	v_ldexp_f64 v[46:47], v[46:47], v48
	v_add_f64 v[48:49], v[42:43], -1.0
	v_add_f64 v[54:55], v[42:43], 1.0
	v_add_f64 v[50:51], v[48:49], 1.0
	v_add_f64 v[56:57], v[54:55], -1.0
	v_add_f64 v[50:51], v[42:43], -v[50:51]
	v_add_f64 v[42:43], v[42:43], -v[56:57]
	v_add_f64 v[42:43], v[46:47], v[42:43]
	v_add_f64 v[50:51], v[46:47], v[50:51]
	;; [unrolled: 1-line block ×3, first 2 shown]
	v_rcp_f64_e32 v[56:57], v[46:47]
	v_add_f64 v[52:53], v[48:49], v[50:51]
	v_add_f64 v[48:49], v[52:53], -v[48:49]
	v_add_f64 v[48:49], v[50:51], -v[48:49]
	;; [unrolled: 1-line block ×4, first 2 shown]
	v_fma_f64 v[50:51], -v[46:47], v[56:57], 1.0
	v_fmac_f64_e32 v[56:57], v[50:51], v[56:57]
	v_fma_f64 v[50:51], -v[46:47], v[56:57], 1.0
	v_fmac_f64_e32 v[56:57], v[50:51], v[56:57]
	v_mul_f64 v[50:51], v[52:53], v[56:57]
	v_mul_f64 v[54:55], v[46:47], v[50:51]
	v_fma_f64 v[58:59], v[50:51], v[46:47], -v[54:55]
	v_fmac_f64_e32 v[58:59], v[50:51], v[42:43]
	v_add_f64 v[60:61], v[54:55], v[58:59]
	v_add_f64 v[62:63], v[52:53], -v[60:61]
	v_add_f64 v[52:53], v[52:53], -v[62:63]
	;; [unrolled: 1-line block ×4, first 2 shown]
	v_add_f64 v[48:49], v[48:49], v[52:53]
	v_add_f64 v[52:53], v[54:55], -v[58:59]
	v_add_f64 v[48:49], v[52:53], v[48:49]
	v_add_f64 v[52:53], v[62:63], v[48:49]
	v_add_f64 v[54:55], v[62:63], -v[52:53]
	v_add_f64 v[48:49], v[48:49], v[54:55]
	v_mul_f64 v[54:55], v[56:57], v[52:53]
	v_mul_f64 v[58:59], v[46:47], v[54:55]
	v_fma_f64 v[46:47], v[54:55], v[46:47], -v[58:59]
	v_fmac_f64_e32 v[46:47], v[54:55], v[42:43]
	v_add_f64 v[42:43], v[58:59], v[46:47]
	v_add_f64 v[60:61], v[52:53], -v[42:43]
	v_add_f64 v[52:53], v[52:53], -v[60:61]
	;; [unrolled: 1-line block ×4, first 2 shown]
	v_add_f64 v[42:43], v[48:49], v[42:43]
	v_add_f64 v[46:47], v[58:59], -v[46:47]
	v_add_f64 v[42:43], v[46:47], v[42:43]
	v_add_f64 v[46:47], v[50:51], v[54:55]
	;; [unrolled: 1-line block ×3, first 2 shown]
	v_add_f64 v[48:49], v[46:47], -v[50:51]
	v_mul_f64 v[42:43], v[56:57], v[42:43]
	v_add_f64 v[48:49], v[54:55], -v[48:49]
	v_add_f64 v[42:43], v[48:49], v[42:43]
	v_add_f64 v[48:49], v[46:47], v[42:43]
	v_add_f64 v[46:47], v[48:49], -v[46:47]
	s_mov_b32 s26, 0xbf559e2b
	v_add_f64 v[42:43], v[42:43], -v[46:47]
	v_mul_f64 v[46:47], v[48:49], v[48:49]
	v_mov_b32_e32 v50, 0x6b47b09a
	v_mov_b32_e32 v51, 0x3fc38538
	s_mov_b32 s27, 0x3fc3ab76
	v_fmac_f64_e32 v[50:51], s[26:27], v[46:47]
	v_mov_b32_e32 v52, 0xd7f4df2e
	v_mov_b32_e32 v53, 0x3fc7474d
	v_fmac_f64_e32 v[52:53], v[46:47], v[50:51]
	v_mov_b32_e32 v50, 0x16291751
	v_mov_b32_e32 v51, 0x3fcc71c0
	;; [unrolled: 3-line block ×5, first 2 shown]
	v_fmac_f64_e32 v[52:53], v[46:47], v[50:51]
	v_cvt_f64_i32_e32 v[50:51], v64
	v_mul_f64 v[54:55], v[50:51], s[38:39]
	v_fma_f64 v[56:57], v[50:51], s[38:39], -v[54:55]
	v_fmac_f64_e32 v[56:57], s[40:41], v[50:51]
	v_add_f64 v[50:51], v[54:55], v[56:57]
	v_add_f64 v[54:55], v[50:51], -v[54:55]
	v_mul_f64 v[46:47], v[48:49], v[46:47]
	v_add_f64 v[54:55], v[56:57], -v[54:55]
	v_ldexp_f64 v[56:57], v[48:49], 1
	v_mul_f64 v[46:47], v[46:47], v[52:53]
	v_add_f64 v[48:49], v[56:57], v[46:47]
	v_add_f64 v[52:53], v[48:49], -v[56:57]
	v_ldexp_f64 v[42:43], v[42:43], 1
	v_add_f64 v[46:47], v[46:47], -v[52:53]
	v_add_f64 v[42:43], v[42:43], v[46:47]
	v_add_f64 v[46:47], v[48:49], v[42:43]
	v_add_f64 v[48:49], v[46:47], -v[48:49]
	v_add_f64 v[42:43], v[42:43], -v[48:49]
	v_add_f64 v[48:49], v[50:51], v[46:47]
	v_add_f64 v[52:53], v[48:49], -v[50:51]
	v_add_f64 v[56:57], v[48:49], -v[52:53]
	;; [unrolled: 1-line block ×4, first 2 shown]
	v_add_f64 v[46:47], v[46:47], v[50:51]
	v_add_f64 v[50:51], v[54:55], v[42:43]
	v_add_f64 v[52:53], v[50:51], -v[54:55]
	v_add_f64 v[46:47], v[50:51], v[46:47]
	v_add_f64 v[56:57], v[50:51], -v[52:53]
	;; [unrolled: 2-line block ×3, first 2 shown]
	v_add_f64 v[42:43], v[42:43], -v[52:53]
	v_add_f64 v[48:49], v[50:51], -v[48:49]
	v_add_f64 v[42:43], v[42:43], v[54:55]
	v_add_f64 v[46:47], v[46:47], -v[48:49]
	s_mov_b32 s26, 0
	v_add_f64 v[42:43], v[42:43], v[46:47]
	s_mov_b32 s27, 0x7ff00000
	v_add_f64 v[42:43], v[50:51], v[42:43]
	v_cmp_neq_f64_e64 s[26:27], s[26:27], v[40:41]
	s_nop 1
	v_cndmask_b32_e64 v43, v45, v43, s[26:27]
	v_mov_b32_e32 v45, 0x7ff80000
	v_cndmask_b32_e64 v43, v45, v43, s[28:29]
	v_cmp_nge_f64_e64 s[28:29], -1.0, v[40:41]
	s_and_b64 s[26:27], s[28:29], s[26:27]
	v_cndmask_b32_e64 v42, 0, v42, s[26:27]
	v_mov_b32_e32 v45, 0xfff00000
	v_cmp_neq_f64_e64 s[26:27], -1.0, v[40:41]
	s_nop 1
	v_cndmask_b32_e64 v43, v45, v43, s[26:27]
	v_add_f64 v[40:41], v[16:17], v[42:43]
.LBB37_32:
	s_or_b64 exec, exec, s[36:37]
	v_mov_b32_e32 v42, v40
	v_mov_b32_e32 v43, v41
	v_mov_b64_e32 v[16:17], v[40:41]
.LBB37_33:
	s_or_b64 exec, exec, s[34:35]
	v_mov_b32_dpp v40, v42 row_shr:2 row_mask:0xf bank_mask:0xf
	v_mov_b32_dpp v41, v43 row_shr:2 row_mask:0xf bank_mask:0xf
	v_cmp_lt_u32_e64 s[26:27], 1, v44
	s_and_saveexec_b64 s[34:35], s[26:27]
	s_cbranch_execz .LBB37_37
; %bb.34:
	v_max_f64 v[46:47], v[40:41], v[40:41]
	v_max_f64 v[48:49], v[16:17], v[16:17]
	v_min_f64 v[42:43], v[46:47], v[48:49]
	v_cmp_u_f64_e64 s[26:27], v[40:41], v[40:41]
	v_max_f64 v[46:47], v[46:47], v[48:49]
	v_cmp_u_f64_e64 s[28:29], v[16:17], v[16:17]
	v_cndmask_b32_e64 v43, v43, v41, s[26:27]
	v_cndmask_b32_e64 v42, v42, v40, s[26:27]
	;; [unrolled: 1-line block ×8, first 2 shown]
	s_movk_i32 s28, 0x1f8
	v_cmp_neq_f64_e64 s[26:27], v[42:43], v[16:17]
	v_cmp_class_f64_e64 s[28:29], v[42:43], s28
	s_or_b64 s[26:27], s[26:27], s[28:29]
	s_and_saveexec_b64 s[36:37], s[26:27]
	s_cbranch_execz .LBB37_36
; %bb.35:
	s_mov_b32 s26, 0x652b82fe
	v_add_f64 v[40:41], v[42:43], -v[16:17]
	s_mov_b32 s27, 0x3ff71547
	v_mul_f64 v[42:43], v[40:41], s[26:27]
	v_rndne_f64_e32 v[42:43], v[42:43]
	s_mov_b32 s39, 0xbfe62e42
	s_mov_b32 s38, 0xfefa39ef
	v_fma_f64 v[46:47], s[38:39], v[42:43], v[40:41]
	s_mov_b32 s41, 0xbc7abc9e
	s_mov_b32 s40, 0x3b39803f
	;; [unrolled: 1-line block ×3, first 2 shown]
	v_fmac_f64_e32 v[46:47], s[40:41], v[42:43]
	v_mov_b32_e32 v48, 0xfca7ab0c
	v_mov_b32_e32 v49, 0x3e928af3
	s_mov_b32 s27, 0x3e5ade15
	v_fmac_f64_e32 v[48:49], s[26:27], v[46:47]
	v_mov_b32_e32 v50, 0x623fde64
	v_mov_b32_e32 v51, 0x3ec71dee
	v_fmac_f64_e32 v[50:51], v[46:47], v[48:49]
	v_mov_b32_e32 v48, 0x7c89e6b0
	v_mov_b32_e32 v49, 0x3efa0199
	v_fmac_f64_e32 v[48:49], v[46:47], v[50:51]
	v_mov_b32_e32 v50, 0x14761f6e
	v_mov_b32_e32 v51, 0x3f2a01a0
	v_fmac_f64_e32 v[50:51], v[46:47], v[48:49]
	v_mov_b32_e32 v48, 0x1852b7b0
	v_mov_b32_e32 v49, 0x3f56c16c
	v_fmac_f64_e32 v[48:49], v[46:47], v[50:51]
	v_mov_b32_e32 v50, 0x11122322
	v_mov_b32_e32 v51, 0x3f811111
	v_fmac_f64_e32 v[50:51], v[46:47], v[48:49]
	v_mov_b32_e32 v48, 0x555502a1
	v_mov_b32_e32 v49, 0x3fa55555
	v_fmac_f64_e32 v[48:49], v[46:47], v[50:51]
	v_mov_b32_e32 v50, 0x55555511
	v_mov_b32_e32 v51, 0x3fc55555
	v_fmac_f64_e32 v[50:51], v[46:47], v[48:49]
	v_mov_b32_e32 v48, 11
	v_mov_b32_e32 v49, 0x3fe00000
	v_fmac_f64_e32 v[48:49], v[46:47], v[50:51]
	v_fma_f64 v[48:49], v[46:47], v[48:49], 1.0
	s_mov_b32 s26, 0
	s_mov_b32 s28, 0
	v_fma_f64 v[46:47], v[46:47], v[48:49], 1.0
	v_cvt_i32_f64_e32 v42, v[42:43]
	s_mov_b32 s27, 0x40900000
	s_mov_b32 s29, 0xc090cc00
	v_ldexp_f64 v[42:43], v[46:47], v42
	v_mov_b32_e32 v45, 0x7ff00000
	v_cmp_nlt_f64_e64 s[26:27], s[26:27], v[40:41]
	v_cmp_ngt_f64_e64 s[28:29], s[28:29], v[40:41]
	s_mov_b32 s39, 0x3fe62e42
	v_cndmask_b32_e64 v43, v45, v43, s[26:27]
	s_and_b64 s[26:27], s[28:29], s[26:27]
	v_cndmask_b32_e64 v41, 0, v43, s[28:29]
	v_cndmask_b32_e64 v40, 0, v42, s[26:27]
	v_add_f64 v[42:43], v[40:41], 1.0
	v_add_f64 v[46:47], v[42:43], -1.0
	v_add_f64 v[48:49], v[46:47], -v[42:43]
	v_add_f64 v[48:49], v[48:49], 1.0
	v_add_f64 v[46:47], v[40:41], -v[46:47]
	s_mov_b32 s26, 0x55555555
	v_add_f64 v[46:47], v[46:47], v[48:49]
	v_frexp_mant_f64_e32 v[48:49], v[42:43]
	s_mov_b32 s27, 0x3fe55555
	v_frexp_exp_i32_f64_e32 v50, v[42:43]
	v_cmp_gt_f64_e64 s[26:27], s[26:27], v[48:49]
	s_mov_b32 s41, 0x3c7abc9e
	v_cmp_ngt_f64_e64 s[28:29], -1.0, v[40:41]
	v_subbrev_co_u32_e64 v64, s[26:27], 0, v50, s[26:27]
	v_sub_u32_e32 v48, 0, v64
	v_ldexp_f64 v[42:43], v[42:43], v48
	v_ldexp_f64 v[46:47], v[46:47], v48
	v_add_f64 v[48:49], v[42:43], -1.0
	v_add_f64 v[54:55], v[42:43], 1.0
	v_add_f64 v[50:51], v[48:49], 1.0
	v_add_f64 v[56:57], v[54:55], -1.0
	v_add_f64 v[50:51], v[42:43], -v[50:51]
	v_add_f64 v[42:43], v[42:43], -v[56:57]
	v_add_f64 v[42:43], v[46:47], v[42:43]
	v_add_f64 v[50:51], v[46:47], v[50:51]
	;; [unrolled: 1-line block ×3, first 2 shown]
	v_rcp_f64_e32 v[56:57], v[46:47]
	v_add_f64 v[52:53], v[48:49], v[50:51]
	v_add_f64 v[48:49], v[52:53], -v[48:49]
	v_add_f64 v[48:49], v[50:51], -v[48:49]
	;; [unrolled: 1-line block ×4, first 2 shown]
	v_fma_f64 v[50:51], -v[46:47], v[56:57], 1.0
	v_fmac_f64_e32 v[56:57], v[50:51], v[56:57]
	v_fma_f64 v[50:51], -v[46:47], v[56:57], 1.0
	v_fmac_f64_e32 v[56:57], v[50:51], v[56:57]
	v_mul_f64 v[50:51], v[52:53], v[56:57]
	v_mul_f64 v[54:55], v[46:47], v[50:51]
	v_fma_f64 v[58:59], v[50:51], v[46:47], -v[54:55]
	v_fmac_f64_e32 v[58:59], v[50:51], v[42:43]
	v_add_f64 v[60:61], v[54:55], v[58:59]
	v_add_f64 v[62:63], v[52:53], -v[60:61]
	v_add_f64 v[52:53], v[52:53], -v[62:63]
	;; [unrolled: 1-line block ×4, first 2 shown]
	v_add_f64 v[48:49], v[48:49], v[52:53]
	v_add_f64 v[52:53], v[54:55], -v[58:59]
	v_add_f64 v[48:49], v[52:53], v[48:49]
	v_add_f64 v[52:53], v[62:63], v[48:49]
	v_add_f64 v[54:55], v[62:63], -v[52:53]
	v_add_f64 v[48:49], v[48:49], v[54:55]
	v_mul_f64 v[54:55], v[56:57], v[52:53]
	v_mul_f64 v[58:59], v[46:47], v[54:55]
	v_fma_f64 v[46:47], v[54:55], v[46:47], -v[58:59]
	v_fmac_f64_e32 v[46:47], v[54:55], v[42:43]
	v_add_f64 v[42:43], v[58:59], v[46:47]
	v_add_f64 v[60:61], v[52:53], -v[42:43]
	v_add_f64 v[52:53], v[52:53], -v[60:61]
	;; [unrolled: 1-line block ×4, first 2 shown]
	v_add_f64 v[42:43], v[48:49], v[42:43]
	v_add_f64 v[46:47], v[58:59], -v[46:47]
	v_add_f64 v[42:43], v[46:47], v[42:43]
	v_add_f64 v[46:47], v[50:51], v[54:55]
	;; [unrolled: 1-line block ×3, first 2 shown]
	v_add_f64 v[48:49], v[46:47], -v[50:51]
	v_mul_f64 v[42:43], v[56:57], v[42:43]
	v_add_f64 v[48:49], v[54:55], -v[48:49]
	v_add_f64 v[42:43], v[48:49], v[42:43]
	v_add_f64 v[48:49], v[46:47], v[42:43]
	v_add_f64 v[46:47], v[48:49], -v[46:47]
	s_mov_b32 s26, 0xbf559e2b
	v_add_f64 v[42:43], v[42:43], -v[46:47]
	v_mul_f64 v[46:47], v[48:49], v[48:49]
	v_mov_b32_e32 v50, 0x6b47b09a
	v_mov_b32_e32 v51, 0x3fc38538
	s_mov_b32 s27, 0x3fc3ab76
	v_fmac_f64_e32 v[50:51], s[26:27], v[46:47]
	v_mov_b32_e32 v52, 0xd7f4df2e
	v_mov_b32_e32 v53, 0x3fc7474d
	v_fmac_f64_e32 v[52:53], v[46:47], v[50:51]
	v_mov_b32_e32 v50, 0x16291751
	v_mov_b32_e32 v51, 0x3fcc71c0
	;; [unrolled: 3-line block ×5, first 2 shown]
	v_fmac_f64_e32 v[52:53], v[46:47], v[50:51]
	v_cvt_f64_i32_e32 v[50:51], v64
	v_mul_f64 v[54:55], v[50:51], s[38:39]
	v_fma_f64 v[56:57], v[50:51], s[38:39], -v[54:55]
	v_fmac_f64_e32 v[56:57], s[40:41], v[50:51]
	v_add_f64 v[50:51], v[54:55], v[56:57]
	v_add_f64 v[54:55], v[50:51], -v[54:55]
	v_mul_f64 v[46:47], v[48:49], v[46:47]
	v_add_f64 v[54:55], v[56:57], -v[54:55]
	v_ldexp_f64 v[56:57], v[48:49], 1
	v_mul_f64 v[46:47], v[46:47], v[52:53]
	v_add_f64 v[48:49], v[56:57], v[46:47]
	v_add_f64 v[52:53], v[48:49], -v[56:57]
	v_ldexp_f64 v[42:43], v[42:43], 1
	v_add_f64 v[46:47], v[46:47], -v[52:53]
	v_add_f64 v[42:43], v[42:43], v[46:47]
	v_add_f64 v[46:47], v[48:49], v[42:43]
	v_add_f64 v[48:49], v[46:47], -v[48:49]
	v_add_f64 v[42:43], v[42:43], -v[48:49]
	v_add_f64 v[48:49], v[50:51], v[46:47]
	v_add_f64 v[52:53], v[48:49], -v[50:51]
	v_add_f64 v[56:57], v[48:49], -v[52:53]
	v_add_f64 v[50:51], v[50:51], -v[56:57]
	v_add_f64 v[46:47], v[46:47], -v[52:53]
	v_add_f64 v[46:47], v[46:47], v[50:51]
	v_add_f64 v[50:51], v[54:55], v[42:43]
	v_add_f64 v[52:53], v[50:51], -v[54:55]
	v_add_f64 v[46:47], v[50:51], v[46:47]
	v_add_f64 v[56:57], v[50:51], -v[52:53]
	;; [unrolled: 2-line block ×3, first 2 shown]
	v_add_f64 v[42:43], v[42:43], -v[52:53]
	v_add_f64 v[48:49], v[50:51], -v[48:49]
	v_add_f64 v[42:43], v[42:43], v[54:55]
	v_add_f64 v[46:47], v[46:47], -v[48:49]
	s_mov_b32 s26, 0
	v_add_f64 v[42:43], v[42:43], v[46:47]
	s_mov_b32 s27, 0x7ff00000
	v_add_f64 v[42:43], v[50:51], v[42:43]
	v_cmp_neq_f64_e64 s[26:27], s[26:27], v[40:41]
	s_nop 1
	v_cndmask_b32_e64 v43, v45, v43, s[26:27]
	v_mov_b32_e32 v45, 0x7ff80000
	v_cndmask_b32_e64 v43, v45, v43, s[28:29]
	v_cmp_nge_f64_e64 s[28:29], -1.0, v[40:41]
	s_and_b64 s[26:27], s[28:29], s[26:27]
	v_cndmask_b32_e64 v42, 0, v42, s[26:27]
	v_mov_b32_e32 v45, 0xfff00000
	v_cmp_neq_f64_e64 s[26:27], -1.0, v[40:41]
	s_nop 1
	v_cndmask_b32_e64 v43, v45, v43, s[26:27]
	v_add_f64 v[40:41], v[16:17], v[42:43]
.LBB37_36:
	s_or_b64 exec, exec, s[36:37]
	v_mov_b64_e32 v[16:17], v[40:41]
	v_mov_b32_e32 v42, v40
	v_mov_b32_e32 v43, v41
.LBB37_37:
	s_or_b64 exec, exec, s[34:35]
	v_mov_b32_dpp v40, v42 row_shr:4 row_mask:0xf bank_mask:0xf
	v_mov_b32_dpp v41, v43 row_shr:4 row_mask:0xf bank_mask:0xf
	v_cmp_lt_u32_e64 s[26:27], 3, v44
	s_and_saveexec_b64 s[34:35], s[26:27]
	s_cbranch_execz .LBB37_41
; %bb.38:
	v_max_f64 v[46:47], v[40:41], v[40:41]
	v_max_f64 v[48:49], v[16:17], v[16:17]
	v_min_f64 v[42:43], v[46:47], v[48:49]
	v_cmp_u_f64_e64 s[26:27], v[40:41], v[40:41]
	v_max_f64 v[46:47], v[46:47], v[48:49]
	v_cmp_u_f64_e64 s[28:29], v[16:17], v[16:17]
	v_cndmask_b32_e64 v43, v43, v41, s[26:27]
	v_cndmask_b32_e64 v42, v42, v40, s[26:27]
	;; [unrolled: 1-line block ×8, first 2 shown]
	s_movk_i32 s28, 0x1f8
	v_cmp_neq_f64_e64 s[26:27], v[42:43], v[16:17]
	v_cmp_class_f64_e64 s[28:29], v[42:43], s28
	s_or_b64 s[26:27], s[26:27], s[28:29]
	s_and_saveexec_b64 s[36:37], s[26:27]
	s_cbranch_execz .LBB37_40
; %bb.39:
	s_mov_b32 s26, 0x652b82fe
	v_add_f64 v[40:41], v[42:43], -v[16:17]
	s_mov_b32 s27, 0x3ff71547
	v_mul_f64 v[42:43], v[40:41], s[26:27]
	v_rndne_f64_e32 v[42:43], v[42:43]
	s_mov_b32 s39, 0xbfe62e42
	s_mov_b32 s38, 0xfefa39ef
	v_fma_f64 v[46:47], s[38:39], v[42:43], v[40:41]
	s_mov_b32 s41, 0xbc7abc9e
	s_mov_b32 s40, 0x3b39803f
	;; [unrolled: 1-line block ×3, first 2 shown]
	v_fmac_f64_e32 v[46:47], s[40:41], v[42:43]
	v_mov_b32_e32 v48, 0xfca7ab0c
	v_mov_b32_e32 v49, 0x3e928af3
	s_mov_b32 s27, 0x3e5ade15
	v_fmac_f64_e32 v[48:49], s[26:27], v[46:47]
	v_mov_b32_e32 v50, 0x623fde64
	v_mov_b32_e32 v51, 0x3ec71dee
	v_fmac_f64_e32 v[50:51], v[46:47], v[48:49]
	v_mov_b32_e32 v48, 0x7c89e6b0
	v_mov_b32_e32 v49, 0x3efa0199
	;; [unrolled: 3-line block ×8, first 2 shown]
	v_fmac_f64_e32 v[48:49], v[46:47], v[50:51]
	v_fma_f64 v[48:49], v[46:47], v[48:49], 1.0
	s_mov_b32 s26, 0
	s_mov_b32 s28, 0
	v_fma_f64 v[46:47], v[46:47], v[48:49], 1.0
	v_cvt_i32_f64_e32 v42, v[42:43]
	s_mov_b32 s27, 0x40900000
	s_mov_b32 s29, 0xc090cc00
	v_ldexp_f64 v[42:43], v[46:47], v42
	v_mov_b32_e32 v45, 0x7ff00000
	v_cmp_nlt_f64_e64 s[26:27], s[26:27], v[40:41]
	v_cmp_ngt_f64_e64 s[28:29], s[28:29], v[40:41]
	s_mov_b32 s39, 0x3fe62e42
	v_cndmask_b32_e64 v43, v45, v43, s[26:27]
	s_and_b64 s[26:27], s[28:29], s[26:27]
	v_cndmask_b32_e64 v41, 0, v43, s[28:29]
	v_cndmask_b32_e64 v40, 0, v42, s[26:27]
	v_add_f64 v[42:43], v[40:41], 1.0
	v_add_f64 v[46:47], v[42:43], -1.0
	v_add_f64 v[48:49], v[46:47], -v[42:43]
	v_add_f64 v[48:49], v[48:49], 1.0
	v_add_f64 v[46:47], v[40:41], -v[46:47]
	s_mov_b32 s26, 0x55555555
	v_add_f64 v[46:47], v[46:47], v[48:49]
	v_frexp_mant_f64_e32 v[48:49], v[42:43]
	s_mov_b32 s27, 0x3fe55555
	v_frexp_exp_i32_f64_e32 v50, v[42:43]
	v_cmp_gt_f64_e64 s[26:27], s[26:27], v[48:49]
	s_mov_b32 s41, 0x3c7abc9e
	v_cmp_ngt_f64_e64 s[28:29], -1.0, v[40:41]
	v_subbrev_co_u32_e64 v64, s[26:27], 0, v50, s[26:27]
	v_sub_u32_e32 v48, 0, v64
	v_ldexp_f64 v[42:43], v[42:43], v48
	v_ldexp_f64 v[46:47], v[46:47], v48
	v_add_f64 v[48:49], v[42:43], -1.0
	v_add_f64 v[54:55], v[42:43], 1.0
	v_add_f64 v[50:51], v[48:49], 1.0
	v_add_f64 v[56:57], v[54:55], -1.0
	v_add_f64 v[50:51], v[42:43], -v[50:51]
	v_add_f64 v[42:43], v[42:43], -v[56:57]
	v_add_f64 v[42:43], v[46:47], v[42:43]
	v_add_f64 v[50:51], v[46:47], v[50:51]
	;; [unrolled: 1-line block ×3, first 2 shown]
	v_rcp_f64_e32 v[56:57], v[46:47]
	v_add_f64 v[52:53], v[48:49], v[50:51]
	v_add_f64 v[48:49], v[52:53], -v[48:49]
	v_add_f64 v[48:49], v[50:51], -v[48:49]
	;; [unrolled: 1-line block ×4, first 2 shown]
	v_fma_f64 v[50:51], -v[46:47], v[56:57], 1.0
	v_fmac_f64_e32 v[56:57], v[50:51], v[56:57]
	v_fma_f64 v[50:51], -v[46:47], v[56:57], 1.0
	v_fmac_f64_e32 v[56:57], v[50:51], v[56:57]
	v_mul_f64 v[50:51], v[52:53], v[56:57]
	v_mul_f64 v[54:55], v[46:47], v[50:51]
	v_fma_f64 v[58:59], v[50:51], v[46:47], -v[54:55]
	v_fmac_f64_e32 v[58:59], v[50:51], v[42:43]
	v_add_f64 v[60:61], v[54:55], v[58:59]
	v_add_f64 v[62:63], v[52:53], -v[60:61]
	v_add_f64 v[52:53], v[52:53], -v[62:63]
	;; [unrolled: 1-line block ×4, first 2 shown]
	v_add_f64 v[48:49], v[48:49], v[52:53]
	v_add_f64 v[52:53], v[54:55], -v[58:59]
	v_add_f64 v[48:49], v[52:53], v[48:49]
	v_add_f64 v[52:53], v[62:63], v[48:49]
	v_add_f64 v[54:55], v[62:63], -v[52:53]
	v_add_f64 v[48:49], v[48:49], v[54:55]
	v_mul_f64 v[54:55], v[56:57], v[52:53]
	v_mul_f64 v[58:59], v[46:47], v[54:55]
	v_fma_f64 v[46:47], v[54:55], v[46:47], -v[58:59]
	v_fmac_f64_e32 v[46:47], v[54:55], v[42:43]
	v_add_f64 v[42:43], v[58:59], v[46:47]
	v_add_f64 v[60:61], v[52:53], -v[42:43]
	v_add_f64 v[52:53], v[52:53], -v[60:61]
	;; [unrolled: 1-line block ×4, first 2 shown]
	v_add_f64 v[42:43], v[48:49], v[42:43]
	v_add_f64 v[46:47], v[58:59], -v[46:47]
	v_add_f64 v[42:43], v[46:47], v[42:43]
	v_add_f64 v[46:47], v[50:51], v[54:55]
	;; [unrolled: 1-line block ×3, first 2 shown]
	v_add_f64 v[48:49], v[46:47], -v[50:51]
	v_mul_f64 v[42:43], v[56:57], v[42:43]
	v_add_f64 v[48:49], v[54:55], -v[48:49]
	v_add_f64 v[42:43], v[48:49], v[42:43]
	v_add_f64 v[48:49], v[46:47], v[42:43]
	v_add_f64 v[46:47], v[48:49], -v[46:47]
	s_mov_b32 s26, 0xbf559e2b
	v_add_f64 v[42:43], v[42:43], -v[46:47]
	v_mul_f64 v[46:47], v[48:49], v[48:49]
	v_mov_b32_e32 v50, 0x6b47b09a
	v_mov_b32_e32 v51, 0x3fc38538
	s_mov_b32 s27, 0x3fc3ab76
	v_fmac_f64_e32 v[50:51], s[26:27], v[46:47]
	v_mov_b32_e32 v52, 0xd7f4df2e
	v_mov_b32_e32 v53, 0x3fc7474d
	v_fmac_f64_e32 v[52:53], v[46:47], v[50:51]
	v_mov_b32_e32 v50, 0x16291751
	v_mov_b32_e32 v51, 0x3fcc71c0
	v_fmac_f64_e32 v[50:51], v[46:47], v[52:53]
	v_mov_b32_e32 v52, 0x9b27acf1
	v_mov_b32_e32 v53, 0x3fd24924
	v_fmac_f64_e32 v[52:53], v[46:47], v[50:51]
	v_mov_b32_e32 v50, 0x998ef7b6
	v_mov_b32_e32 v51, 0x3fd99999
	v_fmac_f64_e32 v[50:51], v[46:47], v[52:53]
	v_mov_b32_e32 v52, 0x55555780
	v_mov_b32_e32 v53, 0x3fe55555
	v_fmac_f64_e32 v[52:53], v[46:47], v[50:51]
	v_cvt_f64_i32_e32 v[50:51], v64
	v_mul_f64 v[54:55], v[50:51], s[38:39]
	v_fma_f64 v[56:57], v[50:51], s[38:39], -v[54:55]
	v_fmac_f64_e32 v[56:57], s[40:41], v[50:51]
	v_add_f64 v[50:51], v[54:55], v[56:57]
	v_add_f64 v[54:55], v[50:51], -v[54:55]
	v_mul_f64 v[46:47], v[48:49], v[46:47]
	v_add_f64 v[54:55], v[56:57], -v[54:55]
	v_ldexp_f64 v[56:57], v[48:49], 1
	v_mul_f64 v[46:47], v[46:47], v[52:53]
	v_add_f64 v[48:49], v[56:57], v[46:47]
	v_add_f64 v[52:53], v[48:49], -v[56:57]
	v_ldexp_f64 v[42:43], v[42:43], 1
	v_add_f64 v[46:47], v[46:47], -v[52:53]
	v_add_f64 v[42:43], v[42:43], v[46:47]
	v_add_f64 v[46:47], v[48:49], v[42:43]
	v_add_f64 v[48:49], v[46:47], -v[48:49]
	v_add_f64 v[42:43], v[42:43], -v[48:49]
	v_add_f64 v[48:49], v[50:51], v[46:47]
	v_add_f64 v[52:53], v[48:49], -v[50:51]
	v_add_f64 v[56:57], v[48:49], -v[52:53]
	;; [unrolled: 1-line block ×4, first 2 shown]
	v_add_f64 v[46:47], v[46:47], v[50:51]
	v_add_f64 v[50:51], v[54:55], v[42:43]
	v_add_f64 v[52:53], v[50:51], -v[54:55]
	v_add_f64 v[46:47], v[50:51], v[46:47]
	v_add_f64 v[56:57], v[50:51], -v[52:53]
	;; [unrolled: 2-line block ×3, first 2 shown]
	v_add_f64 v[42:43], v[42:43], -v[52:53]
	v_add_f64 v[48:49], v[50:51], -v[48:49]
	v_add_f64 v[42:43], v[42:43], v[54:55]
	v_add_f64 v[46:47], v[46:47], -v[48:49]
	s_mov_b32 s26, 0
	v_add_f64 v[42:43], v[42:43], v[46:47]
	s_mov_b32 s27, 0x7ff00000
	v_add_f64 v[42:43], v[50:51], v[42:43]
	v_cmp_neq_f64_e64 s[26:27], s[26:27], v[40:41]
	s_nop 1
	v_cndmask_b32_e64 v43, v45, v43, s[26:27]
	v_mov_b32_e32 v45, 0x7ff80000
	v_cndmask_b32_e64 v43, v45, v43, s[28:29]
	v_cmp_nge_f64_e64 s[28:29], -1.0, v[40:41]
	s_and_b64 s[26:27], s[28:29], s[26:27]
	v_cndmask_b32_e64 v42, 0, v42, s[26:27]
	v_mov_b32_e32 v45, 0xfff00000
	v_cmp_neq_f64_e64 s[26:27], -1.0, v[40:41]
	s_nop 1
	v_cndmask_b32_e64 v43, v45, v43, s[26:27]
	v_add_f64 v[40:41], v[16:17], v[42:43]
.LBB37_40:
	s_or_b64 exec, exec, s[36:37]
	v_mov_b64_e32 v[16:17], v[40:41]
	v_mov_b32_e32 v42, v40
	v_mov_b32_e32 v43, v41
.LBB37_41:
	s_or_b64 exec, exec, s[34:35]
	v_mov_b32_dpp v40, v42 row_shr:8 row_mask:0xf bank_mask:0xf
	v_mov_b32_dpp v41, v43 row_shr:8 row_mask:0xf bank_mask:0xf
	v_cmp_lt_u32_e64 s[26:27], 7, v44
	s_and_saveexec_b64 s[34:35], s[26:27]
	s_cbranch_execz .LBB37_45
; %bb.42:
	v_max_f64 v[44:45], v[40:41], v[40:41]
	v_max_f64 v[46:47], v[16:17], v[16:17]
	v_min_f64 v[42:43], v[44:45], v[46:47]
	v_cmp_u_f64_e64 s[26:27], v[40:41], v[40:41]
	v_max_f64 v[44:45], v[44:45], v[46:47]
	v_cmp_u_f64_e64 s[28:29], v[16:17], v[16:17]
	v_cndmask_b32_e64 v43, v43, v41, s[26:27]
	v_cndmask_b32_e64 v42, v42, v40, s[26:27]
	v_cndmask_b32_e64 v45, v45, v41, s[26:27]
	v_cndmask_b32_e64 v44, v44, v40, s[26:27]
	v_cndmask_b32_e64 v43, v43, v17, s[28:29]
	v_cndmask_b32_e64 v42, v42, v16, s[28:29]
	v_cndmask_b32_e64 v17, v45, v17, s[28:29]
	v_cndmask_b32_e64 v16, v44, v16, s[28:29]
	s_movk_i32 s28, 0x1f8
	v_cmp_neq_f64_e64 s[26:27], v[42:43], v[16:17]
	v_cmp_class_f64_e64 s[28:29], v[42:43], s28
	s_or_b64 s[26:27], s[26:27], s[28:29]
	s_and_saveexec_b64 s[36:37], s[26:27]
	s_cbranch_execz .LBB37_44
; %bb.43:
	s_mov_b32 s26, 0x652b82fe
	v_add_f64 v[40:41], v[42:43], -v[16:17]
	s_mov_b32 s27, 0x3ff71547
	v_mul_f64 v[42:43], v[40:41], s[26:27]
	v_rndne_f64_e32 v[42:43], v[42:43]
	s_mov_b32 s39, 0xbfe62e42
	s_mov_b32 s38, 0xfefa39ef
	v_fma_f64 v[44:45], s[38:39], v[42:43], v[40:41]
	s_mov_b32 s41, 0xbc7abc9e
	s_mov_b32 s40, 0x3b39803f
	;; [unrolled: 1-line block ×3, first 2 shown]
	v_fmac_f64_e32 v[44:45], s[40:41], v[42:43]
	v_mov_b32_e32 v46, 0xfca7ab0c
	v_mov_b32_e32 v47, 0x3e928af3
	s_mov_b32 s27, 0x3e5ade15
	v_fmac_f64_e32 v[46:47], s[26:27], v[44:45]
	v_mov_b32_e32 v48, 0x623fde64
	v_mov_b32_e32 v49, 0x3ec71dee
	v_fmac_f64_e32 v[48:49], v[44:45], v[46:47]
	v_mov_b32_e32 v46, 0x7c89e6b0
	v_mov_b32_e32 v47, 0x3efa0199
	;; [unrolled: 3-line block ×8, first 2 shown]
	v_fmac_f64_e32 v[46:47], v[44:45], v[48:49]
	v_fma_f64 v[46:47], v[44:45], v[46:47], 1.0
	s_mov_b32 s26, 0
	s_mov_b32 s28, 0
	v_fma_f64 v[44:45], v[44:45], v[46:47], 1.0
	v_cvt_i32_f64_e32 v42, v[42:43]
	s_mov_b32 s27, 0x40900000
	s_mov_b32 s29, 0xc090cc00
	v_ldexp_f64 v[42:43], v[44:45], v42
	v_mov_b32_e32 v62, 0x7ff00000
	v_cmp_nlt_f64_e64 s[26:27], s[26:27], v[40:41]
	v_cmp_ngt_f64_e64 s[28:29], s[28:29], v[40:41]
	s_mov_b32 s39, 0x3fe62e42
	v_cndmask_b32_e64 v43, v62, v43, s[26:27]
	s_and_b64 s[26:27], s[28:29], s[26:27]
	v_cndmask_b32_e64 v41, 0, v43, s[28:29]
	v_cndmask_b32_e64 v40, 0, v42, s[26:27]
	v_add_f64 v[42:43], v[40:41], 1.0
	v_add_f64 v[44:45], v[42:43], -1.0
	v_add_f64 v[46:47], v[44:45], -v[42:43]
	v_add_f64 v[46:47], v[46:47], 1.0
	v_add_f64 v[44:45], v[40:41], -v[44:45]
	s_mov_b32 s26, 0x55555555
	v_add_f64 v[44:45], v[44:45], v[46:47]
	v_frexp_mant_f64_e32 v[46:47], v[42:43]
	s_mov_b32 s27, 0x3fe55555
	v_frexp_exp_i32_f64_e32 v48, v[42:43]
	v_cmp_gt_f64_e64 s[26:27], s[26:27], v[46:47]
	s_mov_b32 s41, 0x3c7abc9e
	v_cmp_ngt_f64_e64 s[28:29], -1.0, v[40:41]
	v_subbrev_co_u32_e64 v63, s[26:27], 0, v48, s[26:27]
	v_sub_u32_e32 v46, 0, v63
	v_ldexp_f64 v[42:43], v[42:43], v46
	v_ldexp_f64 v[44:45], v[44:45], v46
	v_add_f64 v[46:47], v[42:43], -1.0
	v_add_f64 v[52:53], v[42:43], 1.0
	v_add_f64 v[48:49], v[46:47], 1.0
	v_add_f64 v[54:55], v[52:53], -1.0
	v_add_f64 v[48:49], v[42:43], -v[48:49]
	v_add_f64 v[42:43], v[42:43], -v[54:55]
	v_add_f64 v[42:43], v[44:45], v[42:43]
	v_add_f64 v[48:49], v[44:45], v[48:49]
	;; [unrolled: 1-line block ×3, first 2 shown]
	v_rcp_f64_e32 v[54:55], v[44:45]
	v_add_f64 v[50:51], v[46:47], v[48:49]
	v_add_f64 v[46:47], v[50:51], -v[46:47]
	v_add_f64 v[46:47], v[48:49], -v[46:47]
	;; [unrolled: 1-line block ×4, first 2 shown]
	v_fma_f64 v[48:49], -v[44:45], v[54:55], 1.0
	v_fmac_f64_e32 v[54:55], v[48:49], v[54:55]
	v_fma_f64 v[48:49], -v[44:45], v[54:55], 1.0
	v_fmac_f64_e32 v[54:55], v[48:49], v[54:55]
	v_mul_f64 v[48:49], v[50:51], v[54:55]
	v_mul_f64 v[52:53], v[44:45], v[48:49]
	v_fma_f64 v[56:57], v[48:49], v[44:45], -v[52:53]
	v_fmac_f64_e32 v[56:57], v[48:49], v[42:43]
	v_add_f64 v[58:59], v[52:53], v[56:57]
	v_add_f64 v[60:61], v[50:51], -v[58:59]
	v_add_f64 v[50:51], v[50:51], -v[60:61]
	;; [unrolled: 1-line block ×4, first 2 shown]
	v_add_f64 v[46:47], v[46:47], v[50:51]
	v_add_f64 v[50:51], v[52:53], -v[56:57]
	v_add_f64 v[46:47], v[50:51], v[46:47]
	v_add_f64 v[50:51], v[60:61], v[46:47]
	v_add_f64 v[52:53], v[60:61], -v[50:51]
	v_add_f64 v[46:47], v[46:47], v[52:53]
	v_mul_f64 v[52:53], v[54:55], v[50:51]
	v_mul_f64 v[56:57], v[44:45], v[52:53]
	v_fma_f64 v[44:45], v[52:53], v[44:45], -v[56:57]
	v_fmac_f64_e32 v[44:45], v[52:53], v[42:43]
	v_add_f64 v[42:43], v[56:57], v[44:45]
	v_add_f64 v[58:59], v[50:51], -v[42:43]
	v_add_f64 v[50:51], v[50:51], -v[58:59]
	;; [unrolled: 1-line block ×4, first 2 shown]
	v_add_f64 v[42:43], v[46:47], v[42:43]
	v_add_f64 v[44:45], v[56:57], -v[44:45]
	v_add_f64 v[42:43], v[44:45], v[42:43]
	v_add_f64 v[44:45], v[48:49], v[52:53]
	v_add_f64 v[42:43], v[58:59], v[42:43]
	v_add_f64 v[46:47], v[44:45], -v[48:49]
	v_mul_f64 v[42:43], v[54:55], v[42:43]
	v_add_f64 v[46:47], v[52:53], -v[46:47]
	v_add_f64 v[42:43], v[46:47], v[42:43]
	v_add_f64 v[46:47], v[44:45], v[42:43]
	v_add_f64 v[44:45], v[46:47], -v[44:45]
	s_mov_b32 s26, 0xbf559e2b
	v_add_f64 v[42:43], v[42:43], -v[44:45]
	v_mul_f64 v[44:45], v[46:47], v[46:47]
	v_mov_b32_e32 v48, 0x6b47b09a
	v_mov_b32_e32 v49, 0x3fc38538
	s_mov_b32 s27, 0x3fc3ab76
	v_fmac_f64_e32 v[48:49], s[26:27], v[44:45]
	v_mov_b32_e32 v50, 0xd7f4df2e
	v_mov_b32_e32 v51, 0x3fc7474d
	v_fmac_f64_e32 v[50:51], v[44:45], v[48:49]
	v_mov_b32_e32 v48, 0x16291751
	v_mov_b32_e32 v49, 0x3fcc71c0
	;; [unrolled: 3-line block ×5, first 2 shown]
	v_fmac_f64_e32 v[50:51], v[44:45], v[48:49]
	v_cvt_f64_i32_e32 v[48:49], v63
	v_mul_f64 v[52:53], v[48:49], s[38:39]
	v_fma_f64 v[54:55], v[48:49], s[38:39], -v[52:53]
	v_fmac_f64_e32 v[54:55], s[40:41], v[48:49]
	v_add_f64 v[48:49], v[52:53], v[54:55]
	v_add_f64 v[52:53], v[48:49], -v[52:53]
	v_mul_f64 v[44:45], v[46:47], v[44:45]
	v_add_f64 v[52:53], v[54:55], -v[52:53]
	v_ldexp_f64 v[54:55], v[46:47], 1
	v_mul_f64 v[44:45], v[44:45], v[50:51]
	v_add_f64 v[46:47], v[54:55], v[44:45]
	v_add_f64 v[50:51], v[46:47], -v[54:55]
	v_ldexp_f64 v[42:43], v[42:43], 1
	v_add_f64 v[44:45], v[44:45], -v[50:51]
	v_add_f64 v[42:43], v[42:43], v[44:45]
	v_add_f64 v[44:45], v[46:47], v[42:43]
	v_add_f64 v[46:47], v[44:45], -v[46:47]
	v_add_f64 v[42:43], v[42:43], -v[46:47]
	v_add_f64 v[46:47], v[48:49], v[44:45]
	v_add_f64 v[50:51], v[46:47], -v[48:49]
	v_add_f64 v[54:55], v[46:47], -v[50:51]
	;; [unrolled: 1-line block ×4, first 2 shown]
	v_add_f64 v[44:45], v[44:45], v[48:49]
	v_add_f64 v[48:49], v[52:53], v[42:43]
	v_add_f64 v[50:51], v[48:49], -v[52:53]
	v_add_f64 v[44:45], v[48:49], v[44:45]
	v_add_f64 v[54:55], v[48:49], -v[50:51]
	v_add_f64 v[48:49], v[46:47], v[44:45]
	v_add_f64 v[52:53], v[52:53], -v[54:55]
	v_add_f64 v[42:43], v[42:43], -v[50:51]
	v_add_f64 v[46:47], v[48:49], -v[46:47]
	v_add_f64 v[42:43], v[42:43], v[52:53]
	v_add_f64 v[44:45], v[44:45], -v[46:47]
	s_mov_b32 s26, 0
	v_add_f64 v[42:43], v[42:43], v[44:45]
	s_mov_b32 s27, 0x7ff00000
	v_add_f64 v[42:43], v[48:49], v[42:43]
	v_cmp_neq_f64_e64 s[26:27], s[26:27], v[40:41]
	v_mov_b32_e32 v44, 0x7ff80000
	s_nop 0
	v_cndmask_b32_e64 v43, v62, v43, s[26:27]
	v_cndmask_b32_e64 v43, v44, v43, s[28:29]
	v_cmp_nge_f64_e64 s[28:29], -1.0, v[40:41]
	s_and_b64 s[26:27], s[28:29], s[26:27]
	v_cndmask_b32_e64 v42, 0, v42, s[26:27]
	v_mov_b32_e32 v44, 0xfff00000
	v_cmp_neq_f64_e64 s[26:27], -1.0, v[40:41]
	s_nop 1
	v_cndmask_b32_e64 v43, v44, v43, s[26:27]
	v_add_f64 v[40:41], v[16:17], v[42:43]
.LBB37_44:
	s_or_b64 exec, exec, s[36:37]
	v_mov_b64_e32 v[16:17], v[40:41]
	v_mov_b32_e32 v42, v40
	v_mov_b32_e32 v43, v41
.LBB37_45:
	s_or_b64 exec, exec, s[34:35]
	v_and_b32_e32 v44, 16, v19
	v_mov_b32_dpp v40, v42 row_bcast:15 row_mask:0xf bank_mask:0xf
	v_mov_b32_dpp v41, v43 row_bcast:15 row_mask:0xf bank_mask:0xf
	v_cmp_ne_u32_e64 s[26:27], 0, v44
	s_and_saveexec_b64 s[34:35], s[26:27]
	s_cbranch_execz .LBB37_49
; %bb.46:
	v_max_f64 v[44:45], v[40:41], v[40:41]
	v_max_f64 v[46:47], v[16:17], v[16:17]
	v_min_f64 v[42:43], v[44:45], v[46:47]
	v_cmp_u_f64_e64 s[26:27], v[40:41], v[40:41]
	v_max_f64 v[44:45], v[44:45], v[46:47]
	v_cmp_u_f64_e64 s[28:29], v[16:17], v[16:17]
	v_cndmask_b32_e64 v43, v43, v41, s[26:27]
	v_cndmask_b32_e64 v42, v42, v40, s[26:27]
	v_cndmask_b32_e64 v45, v45, v41, s[26:27]
	v_cndmask_b32_e64 v44, v44, v40, s[26:27]
	v_cndmask_b32_e64 v43, v43, v17, s[28:29]
	v_cndmask_b32_e64 v42, v42, v16, s[28:29]
	v_cndmask_b32_e64 v17, v45, v17, s[28:29]
	v_cndmask_b32_e64 v16, v44, v16, s[28:29]
	s_movk_i32 s28, 0x1f8
	v_cmp_neq_f64_e64 s[26:27], v[42:43], v[16:17]
	v_cmp_class_f64_e64 s[28:29], v[42:43], s28
	s_or_b64 s[26:27], s[26:27], s[28:29]
	s_and_saveexec_b64 s[36:37], s[26:27]
	s_cbranch_execz .LBB37_48
; %bb.47:
	s_mov_b32 s26, 0x652b82fe
	v_add_f64 v[40:41], v[42:43], -v[16:17]
	s_mov_b32 s27, 0x3ff71547
	v_mul_f64 v[42:43], v[40:41], s[26:27]
	v_rndne_f64_e32 v[42:43], v[42:43]
	s_mov_b32 s39, 0xbfe62e42
	s_mov_b32 s38, 0xfefa39ef
	v_fma_f64 v[44:45], s[38:39], v[42:43], v[40:41]
	s_mov_b32 s41, 0xbc7abc9e
	s_mov_b32 s40, 0x3b39803f
	;; [unrolled: 1-line block ×3, first 2 shown]
	v_fmac_f64_e32 v[44:45], s[40:41], v[42:43]
	v_mov_b32_e32 v46, 0xfca7ab0c
	v_mov_b32_e32 v47, 0x3e928af3
	s_mov_b32 s27, 0x3e5ade15
	v_fmac_f64_e32 v[46:47], s[26:27], v[44:45]
	v_mov_b32_e32 v48, 0x623fde64
	v_mov_b32_e32 v49, 0x3ec71dee
	v_fmac_f64_e32 v[48:49], v[44:45], v[46:47]
	v_mov_b32_e32 v46, 0x7c89e6b0
	v_mov_b32_e32 v47, 0x3efa0199
	;; [unrolled: 3-line block ×8, first 2 shown]
	v_fmac_f64_e32 v[46:47], v[44:45], v[48:49]
	v_fma_f64 v[46:47], v[44:45], v[46:47], 1.0
	s_mov_b32 s26, 0
	s_mov_b32 s28, 0
	v_fma_f64 v[44:45], v[44:45], v[46:47], 1.0
	v_cvt_i32_f64_e32 v42, v[42:43]
	s_mov_b32 s27, 0x40900000
	s_mov_b32 s29, 0xc090cc00
	v_ldexp_f64 v[42:43], v[44:45], v42
	v_mov_b32_e32 v62, 0x7ff00000
	v_cmp_nlt_f64_e64 s[26:27], s[26:27], v[40:41]
	v_cmp_ngt_f64_e64 s[28:29], s[28:29], v[40:41]
	s_mov_b32 s39, 0x3fe62e42
	v_cndmask_b32_e64 v43, v62, v43, s[26:27]
	s_and_b64 s[26:27], s[28:29], s[26:27]
	v_cndmask_b32_e64 v41, 0, v43, s[28:29]
	v_cndmask_b32_e64 v40, 0, v42, s[26:27]
	v_add_f64 v[42:43], v[40:41], 1.0
	v_add_f64 v[44:45], v[42:43], -1.0
	v_add_f64 v[46:47], v[44:45], -v[42:43]
	v_add_f64 v[46:47], v[46:47], 1.0
	v_add_f64 v[44:45], v[40:41], -v[44:45]
	s_mov_b32 s26, 0x55555555
	v_add_f64 v[44:45], v[44:45], v[46:47]
	v_frexp_mant_f64_e32 v[46:47], v[42:43]
	s_mov_b32 s27, 0x3fe55555
	v_frexp_exp_i32_f64_e32 v48, v[42:43]
	v_cmp_gt_f64_e64 s[26:27], s[26:27], v[46:47]
	s_mov_b32 s41, 0x3c7abc9e
	v_cmp_ngt_f64_e64 s[28:29], -1.0, v[40:41]
	v_subbrev_co_u32_e64 v63, s[26:27], 0, v48, s[26:27]
	v_sub_u32_e32 v46, 0, v63
	v_ldexp_f64 v[42:43], v[42:43], v46
	v_ldexp_f64 v[44:45], v[44:45], v46
	v_add_f64 v[46:47], v[42:43], -1.0
	v_add_f64 v[52:53], v[42:43], 1.0
	v_add_f64 v[48:49], v[46:47], 1.0
	v_add_f64 v[54:55], v[52:53], -1.0
	v_add_f64 v[48:49], v[42:43], -v[48:49]
	v_add_f64 v[42:43], v[42:43], -v[54:55]
	v_add_f64 v[42:43], v[44:45], v[42:43]
	v_add_f64 v[48:49], v[44:45], v[48:49]
	;; [unrolled: 1-line block ×3, first 2 shown]
	v_rcp_f64_e32 v[54:55], v[44:45]
	v_add_f64 v[50:51], v[46:47], v[48:49]
	v_add_f64 v[46:47], v[50:51], -v[46:47]
	v_add_f64 v[46:47], v[48:49], -v[46:47]
	;; [unrolled: 1-line block ×4, first 2 shown]
	v_fma_f64 v[48:49], -v[44:45], v[54:55], 1.0
	v_fmac_f64_e32 v[54:55], v[48:49], v[54:55]
	v_fma_f64 v[48:49], -v[44:45], v[54:55], 1.0
	v_fmac_f64_e32 v[54:55], v[48:49], v[54:55]
	v_mul_f64 v[48:49], v[50:51], v[54:55]
	v_mul_f64 v[52:53], v[44:45], v[48:49]
	v_fma_f64 v[56:57], v[48:49], v[44:45], -v[52:53]
	v_fmac_f64_e32 v[56:57], v[48:49], v[42:43]
	v_add_f64 v[58:59], v[52:53], v[56:57]
	v_add_f64 v[60:61], v[50:51], -v[58:59]
	v_add_f64 v[50:51], v[50:51], -v[60:61]
	;; [unrolled: 1-line block ×4, first 2 shown]
	v_add_f64 v[46:47], v[46:47], v[50:51]
	v_add_f64 v[50:51], v[52:53], -v[56:57]
	v_add_f64 v[46:47], v[50:51], v[46:47]
	v_add_f64 v[50:51], v[60:61], v[46:47]
	v_add_f64 v[52:53], v[60:61], -v[50:51]
	v_add_f64 v[46:47], v[46:47], v[52:53]
	v_mul_f64 v[52:53], v[54:55], v[50:51]
	v_mul_f64 v[56:57], v[44:45], v[52:53]
	v_fma_f64 v[44:45], v[52:53], v[44:45], -v[56:57]
	v_fmac_f64_e32 v[44:45], v[52:53], v[42:43]
	v_add_f64 v[42:43], v[56:57], v[44:45]
	v_add_f64 v[58:59], v[50:51], -v[42:43]
	v_add_f64 v[50:51], v[50:51], -v[58:59]
	;; [unrolled: 1-line block ×4, first 2 shown]
	v_add_f64 v[42:43], v[46:47], v[42:43]
	v_add_f64 v[44:45], v[56:57], -v[44:45]
	v_add_f64 v[42:43], v[44:45], v[42:43]
	v_add_f64 v[44:45], v[48:49], v[52:53]
	;; [unrolled: 1-line block ×3, first 2 shown]
	v_add_f64 v[46:47], v[44:45], -v[48:49]
	v_mul_f64 v[42:43], v[54:55], v[42:43]
	v_add_f64 v[46:47], v[52:53], -v[46:47]
	v_add_f64 v[42:43], v[46:47], v[42:43]
	v_add_f64 v[46:47], v[44:45], v[42:43]
	v_add_f64 v[44:45], v[46:47], -v[44:45]
	s_mov_b32 s26, 0xbf559e2b
	v_add_f64 v[42:43], v[42:43], -v[44:45]
	v_mul_f64 v[44:45], v[46:47], v[46:47]
	v_mov_b32_e32 v48, 0x6b47b09a
	v_mov_b32_e32 v49, 0x3fc38538
	s_mov_b32 s27, 0x3fc3ab76
	v_fmac_f64_e32 v[48:49], s[26:27], v[44:45]
	v_mov_b32_e32 v50, 0xd7f4df2e
	v_mov_b32_e32 v51, 0x3fc7474d
	v_fmac_f64_e32 v[50:51], v[44:45], v[48:49]
	v_mov_b32_e32 v48, 0x16291751
	v_mov_b32_e32 v49, 0x3fcc71c0
	;; [unrolled: 3-line block ×5, first 2 shown]
	v_fmac_f64_e32 v[50:51], v[44:45], v[48:49]
	v_cvt_f64_i32_e32 v[48:49], v63
	v_mul_f64 v[52:53], v[48:49], s[38:39]
	v_fma_f64 v[54:55], v[48:49], s[38:39], -v[52:53]
	v_fmac_f64_e32 v[54:55], s[40:41], v[48:49]
	v_add_f64 v[48:49], v[52:53], v[54:55]
	v_add_f64 v[52:53], v[48:49], -v[52:53]
	v_mul_f64 v[44:45], v[46:47], v[44:45]
	v_add_f64 v[52:53], v[54:55], -v[52:53]
	v_ldexp_f64 v[54:55], v[46:47], 1
	v_mul_f64 v[44:45], v[44:45], v[50:51]
	v_add_f64 v[46:47], v[54:55], v[44:45]
	v_add_f64 v[50:51], v[46:47], -v[54:55]
	v_ldexp_f64 v[42:43], v[42:43], 1
	v_add_f64 v[44:45], v[44:45], -v[50:51]
	v_add_f64 v[42:43], v[42:43], v[44:45]
	v_add_f64 v[44:45], v[46:47], v[42:43]
	v_add_f64 v[46:47], v[44:45], -v[46:47]
	v_add_f64 v[42:43], v[42:43], -v[46:47]
	v_add_f64 v[46:47], v[48:49], v[44:45]
	v_add_f64 v[50:51], v[46:47], -v[48:49]
	v_add_f64 v[54:55], v[46:47], -v[50:51]
	;; [unrolled: 1-line block ×4, first 2 shown]
	v_add_f64 v[44:45], v[44:45], v[48:49]
	v_add_f64 v[48:49], v[52:53], v[42:43]
	v_add_f64 v[50:51], v[48:49], -v[52:53]
	v_add_f64 v[44:45], v[48:49], v[44:45]
	v_add_f64 v[54:55], v[48:49], -v[50:51]
	;; [unrolled: 2-line block ×3, first 2 shown]
	v_add_f64 v[42:43], v[42:43], -v[50:51]
	v_add_f64 v[46:47], v[48:49], -v[46:47]
	v_add_f64 v[42:43], v[42:43], v[52:53]
	v_add_f64 v[44:45], v[44:45], -v[46:47]
	s_mov_b32 s26, 0
	v_add_f64 v[42:43], v[42:43], v[44:45]
	s_mov_b32 s27, 0x7ff00000
	v_add_f64 v[42:43], v[48:49], v[42:43]
	v_cmp_neq_f64_e64 s[26:27], s[26:27], v[40:41]
	v_mov_b32_e32 v44, 0x7ff80000
	s_nop 0
	v_cndmask_b32_e64 v43, v62, v43, s[26:27]
	v_cndmask_b32_e64 v43, v44, v43, s[28:29]
	v_cmp_nge_f64_e64 s[28:29], -1.0, v[40:41]
	s_and_b64 s[26:27], s[28:29], s[26:27]
	v_cndmask_b32_e64 v42, 0, v42, s[26:27]
	v_mov_b32_e32 v44, 0xfff00000
	v_cmp_neq_f64_e64 s[26:27], -1.0, v[40:41]
	s_nop 1
	v_cndmask_b32_e64 v43, v44, v43, s[26:27]
	v_add_f64 v[40:41], v[16:17], v[42:43]
.LBB37_48:
	s_or_b64 exec, exec, s[36:37]
	v_mov_b32_e32 v42, v40
	v_mov_b32_e32 v43, v41
	v_mov_b64_e32 v[16:17], v[40:41]
.LBB37_49:
	s_or_b64 exec, exec, s[34:35]
	v_mov_b32_dpp v40, v42 row_bcast:31 row_mask:0xf bank_mask:0xf
	v_mov_b32_dpp v41, v43 row_bcast:31 row_mask:0xf bank_mask:0xf
	v_cmp_lt_u32_e64 s[26:27], 31, v19
	s_and_saveexec_b64 s[34:35], s[26:27]
	s_cbranch_execz .LBB37_53
; %bb.50:
	v_max_f64 v[44:45], v[40:41], v[40:41]
	v_max_f64 v[46:47], v[16:17], v[16:17]
	v_min_f64 v[42:43], v[44:45], v[46:47]
	v_cmp_u_f64_e64 s[26:27], v[40:41], v[40:41]
	v_max_f64 v[44:45], v[44:45], v[46:47]
	v_cmp_u_f64_e64 s[28:29], v[16:17], v[16:17]
	v_cndmask_b32_e64 v43, v43, v41, s[26:27]
	v_cndmask_b32_e64 v42, v42, v40, s[26:27]
	;; [unrolled: 1-line block ×8, first 2 shown]
	s_movk_i32 s28, 0x1f8
	v_cmp_neq_f64_e64 s[26:27], v[42:43], v[16:17]
	v_cmp_class_f64_e64 s[28:29], v[42:43], s28
	s_or_b64 s[26:27], s[26:27], s[28:29]
	s_and_saveexec_b64 s[36:37], s[26:27]
	s_cbranch_execz .LBB37_52
; %bb.51:
	s_mov_b32 s26, 0x652b82fe
	v_add_f64 v[40:41], v[42:43], -v[16:17]
	s_mov_b32 s27, 0x3ff71547
	v_mul_f64 v[42:43], v[40:41], s[26:27]
	v_rndne_f64_e32 v[42:43], v[42:43]
	s_mov_b32 s39, 0xbfe62e42
	s_mov_b32 s38, 0xfefa39ef
	v_fma_f64 v[44:45], s[38:39], v[42:43], v[40:41]
	s_mov_b32 s41, 0xbc7abc9e
	s_mov_b32 s40, 0x3b39803f
	;; [unrolled: 1-line block ×3, first 2 shown]
	v_fmac_f64_e32 v[44:45], s[40:41], v[42:43]
	v_mov_b32_e32 v46, 0xfca7ab0c
	v_mov_b32_e32 v47, 0x3e928af3
	s_mov_b32 s27, 0x3e5ade15
	v_fmac_f64_e32 v[46:47], s[26:27], v[44:45]
	v_mov_b32_e32 v48, 0x623fde64
	v_mov_b32_e32 v49, 0x3ec71dee
	v_fmac_f64_e32 v[48:49], v[44:45], v[46:47]
	v_mov_b32_e32 v46, 0x7c89e6b0
	v_mov_b32_e32 v47, 0x3efa0199
	;; [unrolled: 3-line block ×8, first 2 shown]
	v_fmac_f64_e32 v[46:47], v[44:45], v[48:49]
	v_fma_f64 v[46:47], v[44:45], v[46:47], 1.0
	s_mov_b32 s26, 0
	s_mov_b32 s28, 0
	v_fma_f64 v[44:45], v[44:45], v[46:47], 1.0
	v_cvt_i32_f64_e32 v42, v[42:43]
	s_mov_b32 s27, 0x40900000
	s_mov_b32 s29, 0xc090cc00
	v_ldexp_f64 v[42:43], v[44:45], v42
	v_mov_b32_e32 v62, 0x7ff00000
	v_cmp_nlt_f64_e64 s[26:27], s[26:27], v[40:41]
	v_cmp_ngt_f64_e64 s[28:29], s[28:29], v[40:41]
	s_mov_b32 s39, 0x3fe62e42
	v_cndmask_b32_e64 v43, v62, v43, s[26:27]
	s_and_b64 s[26:27], s[28:29], s[26:27]
	v_cndmask_b32_e64 v41, 0, v43, s[28:29]
	v_cndmask_b32_e64 v40, 0, v42, s[26:27]
	v_add_f64 v[42:43], v[40:41], 1.0
	v_add_f64 v[44:45], v[42:43], -1.0
	v_add_f64 v[46:47], v[44:45], -v[42:43]
	v_add_f64 v[46:47], v[46:47], 1.0
	v_add_f64 v[44:45], v[40:41], -v[44:45]
	s_mov_b32 s26, 0x55555555
	v_add_f64 v[44:45], v[44:45], v[46:47]
	v_frexp_mant_f64_e32 v[46:47], v[42:43]
	s_mov_b32 s27, 0x3fe55555
	v_frexp_exp_i32_f64_e32 v48, v[42:43]
	v_cmp_gt_f64_e64 s[26:27], s[26:27], v[46:47]
	s_mov_b32 s41, 0x3c7abc9e
	v_cmp_ngt_f64_e64 s[28:29], -1.0, v[40:41]
	v_subbrev_co_u32_e64 v63, s[26:27], 0, v48, s[26:27]
	v_sub_u32_e32 v46, 0, v63
	v_ldexp_f64 v[42:43], v[42:43], v46
	v_ldexp_f64 v[44:45], v[44:45], v46
	v_add_f64 v[46:47], v[42:43], -1.0
	v_add_f64 v[52:53], v[42:43], 1.0
	v_add_f64 v[48:49], v[46:47], 1.0
	v_add_f64 v[54:55], v[52:53], -1.0
	v_add_f64 v[48:49], v[42:43], -v[48:49]
	v_add_f64 v[42:43], v[42:43], -v[54:55]
	v_add_f64 v[42:43], v[44:45], v[42:43]
	v_add_f64 v[48:49], v[44:45], v[48:49]
	;; [unrolled: 1-line block ×3, first 2 shown]
	v_rcp_f64_e32 v[54:55], v[44:45]
	v_add_f64 v[50:51], v[46:47], v[48:49]
	v_add_f64 v[46:47], v[50:51], -v[46:47]
	v_add_f64 v[46:47], v[48:49], -v[46:47]
	;; [unrolled: 1-line block ×4, first 2 shown]
	v_fma_f64 v[48:49], -v[44:45], v[54:55], 1.0
	v_fmac_f64_e32 v[54:55], v[48:49], v[54:55]
	v_fma_f64 v[48:49], -v[44:45], v[54:55], 1.0
	v_fmac_f64_e32 v[54:55], v[48:49], v[54:55]
	v_mul_f64 v[48:49], v[50:51], v[54:55]
	v_mul_f64 v[52:53], v[44:45], v[48:49]
	v_fma_f64 v[56:57], v[48:49], v[44:45], -v[52:53]
	v_fmac_f64_e32 v[56:57], v[48:49], v[42:43]
	v_add_f64 v[58:59], v[52:53], v[56:57]
	v_add_f64 v[60:61], v[50:51], -v[58:59]
	v_add_f64 v[50:51], v[50:51], -v[60:61]
	;; [unrolled: 1-line block ×4, first 2 shown]
	v_add_f64 v[46:47], v[46:47], v[50:51]
	v_add_f64 v[50:51], v[52:53], -v[56:57]
	v_add_f64 v[46:47], v[50:51], v[46:47]
	v_add_f64 v[50:51], v[60:61], v[46:47]
	v_add_f64 v[52:53], v[60:61], -v[50:51]
	v_add_f64 v[46:47], v[46:47], v[52:53]
	v_mul_f64 v[52:53], v[54:55], v[50:51]
	v_mul_f64 v[56:57], v[44:45], v[52:53]
	v_fma_f64 v[44:45], v[52:53], v[44:45], -v[56:57]
	v_fmac_f64_e32 v[44:45], v[52:53], v[42:43]
	v_add_f64 v[42:43], v[56:57], v[44:45]
	v_add_f64 v[58:59], v[50:51], -v[42:43]
	v_add_f64 v[50:51], v[50:51], -v[58:59]
	;; [unrolled: 1-line block ×4, first 2 shown]
	v_add_f64 v[42:43], v[46:47], v[42:43]
	v_add_f64 v[44:45], v[56:57], -v[44:45]
	v_add_f64 v[42:43], v[44:45], v[42:43]
	v_add_f64 v[44:45], v[48:49], v[52:53]
	;; [unrolled: 1-line block ×3, first 2 shown]
	v_add_f64 v[46:47], v[44:45], -v[48:49]
	v_mul_f64 v[42:43], v[54:55], v[42:43]
	v_add_f64 v[46:47], v[52:53], -v[46:47]
	v_add_f64 v[42:43], v[46:47], v[42:43]
	v_add_f64 v[46:47], v[44:45], v[42:43]
	v_add_f64 v[44:45], v[46:47], -v[44:45]
	s_mov_b32 s26, 0xbf559e2b
	v_add_f64 v[42:43], v[42:43], -v[44:45]
	v_mul_f64 v[44:45], v[46:47], v[46:47]
	v_mov_b32_e32 v48, 0x6b47b09a
	v_mov_b32_e32 v49, 0x3fc38538
	s_mov_b32 s27, 0x3fc3ab76
	v_fmac_f64_e32 v[48:49], s[26:27], v[44:45]
	v_mov_b32_e32 v50, 0xd7f4df2e
	v_mov_b32_e32 v51, 0x3fc7474d
	v_fmac_f64_e32 v[50:51], v[44:45], v[48:49]
	v_mov_b32_e32 v48, 0x16291751
	v_mov_b32_e32 v49, 0x3fcc71c0
	v_fmac_f64_e32 v[48:49], v[44:45], v[50:51]
	v_mov_b32_e32 v50, 0x9b27acf1
	v_mov_b32_e32 v51, 0x3fd24924
	v_fmac_f64_e32 v[50:51], v[44:45], v[48:49]
	v_mov_b32_e32 v48, 0x998ef7b6
	v_mov_b32_e32 v49, 0x3fd99999
	v_fmac_f64_e32 v[48:49], v[44:45], v[50:51]
	v_mov_b32_e32 v50, 0x55555780
	v_mov_b32_e32 v51, 0x3fe55555
	v_fmac_f64_e32 v[50:51], v[44:45], v[48:49]
	v_cvt_f64_i32_e32 v[48:49], v63
	v_mul_f64 v[52:53], v[48:49], s[38:39]
	v_fma_f64 v[54:55], v[48:49], s[38:39], -v[52:53]
	v_fmac_f64_e32 v[54:55], s[40:41], v[48:49]
	v_add_f64 v[48:49], v[52:53], v[54:55]
	v_add_f64 v[52:53], v[48:49], -v[52:53]
	v_mul_f64 v[44:45], v[46:47], v[44:45]
	v_add_f64 v[52:53], v[54:55], -v[52:53]
	v_ldexp_f64 v[54:55], v[46:47], 1
	v_mul_f64 v[44:45], v[44:45], v[50:51]
	v_add_f64 v[46:47], v[54:55], v[44:45]
	v_add_f64 v[50:51], v[46:47], -v[54:55]
	v_ldexp_f64 v[42:43], v[42:43], 1
	v_add_f64 v[44:45], v[44:45], -v[50:51]
	v_add_f64 v[42:43], v[42:43], v[44:45]
	v_add_f64 v[44:45], v[46:47], v[42:43]
	v_add_f64 v[46:47], v[44:45], -v[46:47]
	v_add_f64 v[42:43], v[42:43], -v[46:47]
	v_add_f64 v[46:47], v[48:49], v[44:45]
	v_add_f64 v[50:51], v[46:47], -v[48:49]
	v_add_f64 v[54:55], v[46:47], -v[50:51]
	;; [unrolled: 1-line block ×4, first 2 shown]
	v_add_f64 v[44:45], v[44:45], v[48:49]
	v_add_f64 v[48:49], v[52:53], v[42:43]
	v_add_f64 v[50:51], v[48:49], -v[52:53]
	v_add_f64 v[44:45], v[48:49], v[44:45]
	v_add_f64 v[54:55], v[48:49], -v[50:51]
	;; [unrolled: 2-line block ×3, first 2 shown]
	v_add_f64 v[42:43], v[42:43], -v[50:51]
	v_add_f64 v[46:47], v[48:49], -v[46:47]
	v_add_f64 v[42:43], v[42:43], v[52:53]
	v_add_f64 v[44:45], v[44:45], -v[46:47]
	s_mov_b32 s26, 0
	v_add_f64 v[42:43], v[42:43], v[44:45]
	s_mov_b32 s27, 0x7ff00000
	v_add_f64 v[42:43], v[48:49], v[42:43]
	v_cmp_neq_f64_e64 s[26:27], s[26:27], v[40:41]
	v_mov_b32_e32 v44, 0x7ff80000
	s_nop 0
	v_cndmask_b32_e64 v43, v62, v43, s[26:27]
	v_cndmask_b32_e64 v43, v44, v43, s[28:29]
	v_cmp_nge_f64_e64 s[28:29], -1.0, v[40:41]
	s_and_b64 s[26:27], s[28:29], s[26:27]
	v_cndmask_b32_e64 v42, 0, v42, s[26:27]
	v_mov_b32_e32 v44, 0xfff00000
	v_cmp_neq_f64_e64 s[26:27], -1.0, v[40:41]
	s_nop 1
	v_cndmask_b32_e64 v43, v44, v43, s[26:27]
	v_add_f64 v[40:41], v[16:17], v[42:43]
.LBB37_52:
	s_or_b64 exec, exec, s[36:37]
	v_mov_b64_e32 v[16:17], v[40:41]
.LBB37_53:
	s_or_b64 exec, exec, s[34:35]
	v_add_u32_e32 v40, -1, v19
	v_and_b32_e32 v41, 64, v19
	v_cmp_lt_i32_e64 s[26:27], v40, v41
	s_nop 1
	v_cndmask_b32_e64 v19, v40, v19, s[26:27]
	v_lshlrev_b32_e32 v19, 2, v19
	ds_bpermute_b32 v16, v19, v16
	ds_bpermute_b32 v17, v19, v17
	s_waitcnt lgkmcnt(0)
	v_max_f64 v[42:43], v[16:17], v[16:17]
	v_min_f64 v[40:41], v[42:43], v[38:39]
	v_cmp_u_f64_e64 s[26:27], v[16:17], v[16:17]
	v_max_f64 v[38:39], v[42:43], v[38:39]
	s_nop 0
	v_cndmask_b32_e64 v19, v40, v16, s[26:27]
	v_cndmask_b32_e64 v40, v41, v17, s[26:27]
	;; [unrolled: 1-line block ×8, first 2 shown]
	v_cmp_neq_f64_e64 s[24:25], v[40:41], v[14:15]
	v_cmp_class_f64_e64 s[26:27], v[40:41], s33
	s_or_b64 s[24:25], s[24:25], s[26:27]
	s_and_saveexec_b64 s[28:29], s[24:25]
	s_cbranch_execz .LBB37_55
; %bb.54:
	s_mov_b32 s24, 0x652b82fe
	v_add_f64 v[16:17], v[40:41], -v[14:15]
	s_mov_b32 s25, 0x3ff71547
	v_mul_f64 v[38:39], v[16:17], s[24:25]
	v_rndne_f64_e32 v[38:39], v[38:39]
	s_mov_b32 s35, 0xbfe62e42
	s_mov_b32 s34, 0xfefa39ef
	v_fma_f64 v[40:41], s[34:35], v[38:39], v[16:17]
	s_mov_b32 s37, 0xbc7abc9e
	s_mov_b32 s36, 0x3b39803f
	s_mov_b32 s24, 0x6a5dcb37
	v_fmac_f64_e32 v[40:41], s[36:37], v[38:39]
	v_mov_b32_e32 v42, 0xfca7ab0c
	v_mov_b32_e32 v43, 0x3e928af3
	s_mov_b32 s25, 0x3e5ade15
	v_fmac_f64_e32 v[42:43], s[24:25], v[40:41]
	v_mov_b32_e32 v44, 0x623fde64
	v_mov_b32_e32 v45, 0x3ec71dee
	v_fmac_f64_e32 v[44:45], v[40:41], v[42:43]
	v_mov_b32_e32 v42, 0x7c89e6b0
	v_mov_b32_e32 v43, 0x3efa0199
	;; [unrolled: 3-line block ×8, first 2 shown]
	v_fmac_f64_e32 v[42:43], v[40:41], v[44:45]
	v_fma_f64 v[42:43], v[40:41], v[42:43], 1.0
	s_mov_b32 s24, 0
	s_mov_b32 s26, 0
	v_fma_f64 v[40:41], v[40:41], v[42:43], 1.0
	v_cvt_i32_f64_e32 v19, v[38:39]
	s_mov_b32 s25, 0x40900000
	s_mov_b32 s27, 0xc090cc00
	v_ldexp_f64 v[38:39], v[40:41], v19
	v_mov_b32_e32 v19, 0x7ff00000
	v_cmp_nlt_f64_e64 s[24:25], s[24:25], v[16:17]
	v_cmp_ngt_f64_e64 s[26:27], s[26:27], v[16:17]
	s_mov_b32 s35, 0x3fe62e42
	v_cndmask_b32_e64 v39, v19, v39, s[24:25]
	s_and_b64 s[24:25], s[26:27], s[24:25]
	v_cndmask_b32_e64 v17, 0, v39, s[26:27]
	v_cndmask_b32_e64 v16, 0, v38, s[24:25]
	v_add_f64 v[38:39], v[16:17], 1.0
	v_add_f64 v[40:41], v[38:39], -1.0
	v_add_f64 v[42:43], v[40:41], -v[38:39]
	v_add_f64 v[42:43], v[42:43], 1.0
	v_add_f64 v[40:41], v[16:17], -v[40:41]
	s_mov_b32 s24, 0x55555555
	v_add_f64 v[40:41], v[40:41], v[42:43]
	v_frexp_mant_f64_e32 v[42:43], v[38:39]
	s_mov_b32 s25, 0x3fe55555
	v_frexp_exp_i32_f64_e32 v44, v[38:39]
	v_cmp_gt_f64_e64 s[24:25], s[24:25], v[42:43]
	s_mov_b32 s37, 0x3c7abc9e
	v_cmp_ngt_f64_e64 s[26:27], -1.0, v[16:17]
	v_subbrev_co_u32_e64 v58, s[24:25], 0, v44, s[24:25]
	v_sub_u32_e32 v42, 0, v58
	v_ldexp_f64 v[38:39], v[38:39], v42
	v_ldexp_f64 v[40:41], v[40:41], v42
	v_add_f64 v[42:43], v[38:39], -1.0
	v_add_f64 v[48:49], v[38:39], 1.0
	v_add_f64 v[44:45], v[42:43], 1.0
	v_add_f64 v[50:51], v[48:49], -1.0
	v_add_f64 v[44:45], v[38:39], -v[44:45]
	v_add_f64 v[38:39], v[38:39], -v[50:51]
	v_add_f64 v[38:39], v[40:41], v[38:39]
	v_add_f64 v[44:45], v[40:41], v[44:45]
	;; [unrolled: 1-line block ×3, first 2 shown]
	v_rcp_f64_e32 v[50:51], v[40:41]
	v_add_f64 v[46:47], v[42:43], v[44:45]
	v_add_f64 v[42:43], v[46:47], -v[42:43]
	v_add_f64 v[42:43], v[44:45], -v[42:43]
	;; [unrolled: 1-line block ×4, first 2 shown]
	v_fma_f64 v[44:45], -v[40:41], v[50:51], 1.0
	v_fmac_f64_e32 v[50:51], v[44:45], v[50:51]
	v_fma_f64 v[44:45], -v[40:41], v[50:51], 1.0
	v_fmac_f64_e32 v[50:51], v[44:45], v[50:51]
	v_mul_f64 v[44:45], v[46:47], v[50:51]
	v_mul_f64 v[48:49], v[40:41], v[44:45]
	v_fma_f64 v[52:53], v[44:45], v[40:41], -v[48:49]
	v_fmac_f64_e32 v[52:53], v[44:45], v[38:39]
	v_add_f64 v[54:55], v[48:49], v[52:53]
	v_add_f64 v[56:57], v[46:47], -v[54:55]
	v_add_f64 v[46:47], v[46:47], -v[56:57]
	;; [unrolled: 1-line block ×4, first 2 shown]
	v_add_f64 v[42:43], v[42:43], v[46:47]
	v_add_f64 v[46:47], v[48:49], -v[52:53]
	v_add_f64 v[42:43], v[46:47], v[42:43]
	v_add_f64 v[46:47], v[56:57], v[42:43]
	v_add_f64 v[48:49], v[56:57], -v[46:47]
	v_add_f64 v[42:43], v[42:43], v[48:49]
	v_mul_f64 v[48:49], v[50:51], v[46:47]
	v_mul_f64 v[52:53], v[40:41], v[48:49]
	v_fma_f64 v[40:41], v[48:49], v[40:41], -v[52:53]
	v_fmac_f64_e32 v[40:41], v[48:49], v[38:39]
	v_add_f64 v[38:39], v[52:53], v[40:41]
	v_add_f64 v[54:55], v[46:47], -v[38:39]
	v_add_f64 v[46:47], v[46:47], -v[54:55]
	;; [unrolled: 1-line block ×4, first 2 shown]
	v_add_f64 v[38:39], v[42:43], v[38:39]
	v_add_f64 v[40:41], v[52:53], -v[40:41]
	v_add_f64 v[38:39], v[40:41], v[38:39]
	v_add_f64 v[40:41], v[44:45], v[48:49]
	;; [unrolled: 1-line block ×3, first 2 shown]
	v_add_f64 v[42:43], v[40:41], -v[44:45]
	v_mul_f64 v[38:39], v[50:51], v[38:39]
	v_add_f64 v[42:43], v[48:49], -v[42:43]
	v_add_f64 v[38:39], v[42:43], v[38:39]
	v_add_f64 v[42:43], v[40:41], v[38:39]
	v_add_f64 v[40:41], v[42:43], -v[40:41]
	s_mov_b32 s24, 0xbf559e2b
	v_add_f64 v[38:39], v[38:39], -v[40:41]
	v_mul_f64 v[40:41], v[42:43], v[42:43]
	v_mov_b32_e32 v44, 0x6b47b09a
	v_mov_b32_e32 v45, 0x3fc38538
	s_mov_b32 s25, 0x3fc3ab76
	v_fmac_f64_e32 v[44:45], s[24:25], v[40:41]
	v_mov_b32_e32 v46, 0xd7f4df2e
	v_mov_b32_e32 v47, 0x3fc7474d
	v_fmac_f64_e32 v[46:47], v[40:41], v[44:45]
	v_mov_b32_e32 v44, 0x16291751
	v_mov_b32_e32 v45, 0x3fcc71c0
	;; [unrolled: 3-line block ×5, first 2 shown]
	v_fmac_f64_e32 v[46:47], v[40:41], v[44:45]
	v_cvt_f64_i32_e32 v[44:45], v58
	v_mul_f64 v[48:49], v[44:45], s[34:35]
	v_fma_f64 v[50:51], v[44:45], s[34:35], -v[48:49]
	v_fmac_f64_e32 v[50:51], s[36:37], v[44:45]
	v_add_f64 v[44:45], v[48:49], v[50:51]
	v_add_f64 v[48:49], v[44:45], -v[48:49]
	v_mul_f64 v[40:41], v[42:43], v[40:41]
	v_add_f64 v[48:49], v[50:51], -v[48:49]
	v_ldexp_f64 v[50:51], v[42:43], 1
	v_mul_f64 v[40:41], v[40:41], v[46:47]
	v_add_f64 v[42:43], v[50:51], v[40:41]
	v_add_f64 v[46:47], v[42:43], -v[50:51]
	v_ldexp_f64 v[38:39], v[38:39], 1
	v_add_f64 v[40:41], v[40:41], -v[46:47]
	v_add_f64 v[38:39], v[38:39], v[40:41]
	v_add_f64 v[40:41], v[42:43], v[38:39]
	v_add_f64 v[42:43], v[40:41], -v[42:43]
	v_add_f64 v[38:39], v[38:39], -v[42:43]
	v_add_f64 v[42:43], v[44:45], v[40:41]
	v_add_f64 v[46:47], v[42:43], -v[44:45]
	v_add_f64 v[50:51], v[42:43], -v[46:47]
	;; [unrolled: 1-line block ×4, first 2 shown]
	v_add_f64 v[40:41], v[40:41], v[44:45]
	v_add_f64 v[44:45], v[48:49], v[38:39]
	v_add_f64 v[46:47], v[44:45], -v[48:49]
	v_add_f64 v[40:41], v[44:45], v[40:41]
	v_add_f64 v[50:51], v[44:45], -v[46:47]
	v_add_f64 v[44:45], v[42:43], v[40:41]
	v_add_f64 v[48:49], v[48:49], -v[50:51]
	v_add_f64 v[38:39], v[38:39], -v[46:47]
	v_add_f64 v[42:43], v[44:45], -v[42:43]
	v_add_f64 v[38:39], v[38:39], v[48:49]
	v_add_f64 v[40:41], v[40:41], -v[42:43]
	s_mov_b32 s24, 0
	v_add_f64 v[38:39], v[38:39], v[40:41]
	s_mov_b32 s25, 0x7ff00000
	v_add_f64 v[38:39], v[44:45], v[38:39]
	v_cmp_neq_f64_e64 s[24:25], s[24:25], v[16:17]
	s_nop 1
	v_cndmask_b32_e64 v19, v19, v39, s[24:25]
	v_mov_b32_e32 v39, 0x7ff80000
	v_cndmask_b32_e64 v19, v39, v19, s[26:27]
	v_cmp_nge_f64_e64 s[26:27], -1.0, v[16:17]
	s_and_b64 s[24:25], s[26:27], s[24:25]
	v_cndmask_b32_e64 v38, 0, v38, s[24:25]
	v_mov_b32_e32 v39, 0xfff00000
	v_cmp_neq_f64_e64 s[24:25], -1.0, v[16:17]
	s_nop 1
	v_cndmask_b32_e64 v39, v39, v19, s[24:25]
	v_add_f64 v[16:17], v[14:15], v[38:39]
.LBB37_55:
	s_or_b64 exec, exec, s[28:29]
	v_cmp_eq_u32_e64 s[24:25], 0, v0
	; wave barrier
	s_nop 1
	v_cndmask_b32_e64 v17, v17, v37, s[24:25]
	v_cndmask_b32_e64 v16, v16, v36, s[24:25]
	ds_write_b64 v1, v[16:17]
	; wave barrier
	ds_read_b64 v[14:15], v1 offset:8
	v_max_f64 v[38:39], v[16:17], v[16:17]
	v_cmp_u_f64_e64 s[24:25], v[16:17], v[16:17]
	s_waitcnt lgkmcnt(0)
	v_max_f64 v[40:41], v[14:15], v[14:15]
	v_min_f64 v[36:37], v[38:39], v[40:41]
	v_cndmask_b32_e64 v19, v36, v16, s[24:25]
	v_cndmask_b32_e64 v36, v37, v17, s[24:25]
	v_cmp_u_f64_e64 s[26:27], v[14:15], v[14:15]
	v_max_f64 v[38:39], v[38:39], v[40:41]
	s_nop 0
	v_cndmask_b32_e64 v37, v36, v15, s[26:27]
	v_cndmask_b32_e64 v36, v19, v14, s[26:27]
	;; [unrolled: 1-line block ×6, first 2 shown]
	v_cmp_neq_f64_e64 s[24:25], v[36:37], v[14:15]
	v_cmp_class_f64_e64 s[26:27], v[36:37], s33
	s_or_b64 s[24:25], s[24:25], s[26:27]
	s_and_saveexec_b64 s[28:29], s[24:25]
	s_cbranch_execz .LBB37_57
; %bb.56:
	s_mov_b32 s24, 0x652b82fe
	v_add_f64 v[16:17], v[36:37], -v[14:15]
	s_mov_b32 s25, 0x3ff71547
	v_mul_f64 v[36:37], v[16:17], s[24:25]
	v_rndne_f64_e32 v[36:37], v[36:37]
	s_mov_b32 s35, 0xbfe62e42
	s_mov_b32 s34, 0xfefa39ef
	v_fma_f64 v[38:39], s[34:35], v[36:37], v[16:17]
	s_mov_b32 s37, 0xbc7abc9e
	s_mov_b32 s36, 0x3b39803f
	;; [unrolled: 1-line block ×3, first 2 shown]
	v_fmac_f64_e32 v[38:39], s[36:37], v[36:37]
	v_mov_b32_e32 v40, 0xfca7ab0c
	v_mov_b32_e32 v41, 0x3e928af3
	s_mov_b32 s25, 0x3e5ade15
	v_fmac_f64_e32 v[40:41], s[24:25], v[38:39]
	v_mov_b32_e32 v42, 0x623fde64
	v_mov_b32_e32 v43, 0x3ec71dee
	v_fmac_f64_e32 v[42:43], v[38:39], v[40:41]
	v_mov_b32_e32 v40, 0x7c89e6b0
	v_mov_b32_e32 v41, 0x3efa0199
	;; [unrolled: 3-line block ×8, first 2 shown]
	v_fmac_f64_e32 v[40:41], v[38:39], v[42:43]
	v_fma_f64 v[40:41], v[38:39], v[40:41], 1.0
	s_mov_b32 s24, 0
	s_mov_b32 s26, 0
	v_fma_f64 v[38:39], v[38:39], v[40:41], 1.0
	v_cvt_i32_f64_e32 v19, v[36:37]
	s_mov_b32 s25, 0x40900000
	s_mov_b32 s27, 0xc090cc00
	v_ldexp_f64 v[36:37], v[38:39], v19
	v_mov_b32_e32 v19, 0x7ff00000
	v_cmp_nlt_f64_e64 s[24:25], s[24:25], v[16:17]
	v_cmp_ngt_f64_e64 s[26:27], s[26:27], v[16:17]
	s_mov_b32 s35, 0x3fe62e42
	v_cndmask_b32_e64 v37, v19, v37, s[24:25]
	s_and_b64 s[24:25], s[26:27], s[24:25]
	v_cndmask_b32_e64 v17, 0, v37, s[26:27]
	v_cndmask_b32_e64 v16, 0, v36, s[24:25]
	v_add_f64 v[36:37], v[16:17], 1.0
	v_add_f64 v[38:39], v[36:37], -1.0
	v_add_f64 v[40:41], v[38:39], -v[36:37]
	v_add_f64 v[40:41], v[40:41], 1.0
	v_add_f64 v[38:39], v[16:17], -v[38:39]
	s_mov_b32 s24, 0x55555555
	v_add_f64 v[38:39], v[38:39], v[40:41]
	v_frexp_mant_f64_e32 v[40:41], v[36:37]
	s_mov_b32 s25, 0x3fe55555
	v_frexp_exp_i32_f64_e32 v42, v[36:37]
	v_cmp_gt_f64_e64 s[24:25], s[24:25], v[40:41]
	s_mov_b32 s37, 0x3c7abc9e
	v_cmp_ngt_f64_e64 s[26:27], -1.0, v[16:17]
	v_subbrev_co_u32_e64 v56, s[24:25], 0, v42, s[24:25]
	v_sub_u32_e32 v40, 0, v56
	v_ldexp_f64 v[36:37], v[36:37], v40
	v_ldexp_f64 v[38:39], v[38:39], v40
	v_add_f64 v[40:41], v[36:37], -1.0
	v_add_f64 v[46:47], v[36:37], 1.0
	v_add_f64 v[42:43], v[40:41], 1.0
	v_add_f64 v[48:49], v[46:47], -1.0
	v_add_f64 v[42:43], v[36:37], -v[42:43]
	v_add_f64 v[36:37], v[36:37], -v[48:49]
	v_add_f64 v[36:37], v[38:39], v[36:37]
	v_add_f64 v[42:43], v[38:39], v[42:43]
	;; [unrolled: 1-line block ×3, first 2 shown]
	v_rcp_f64_e32 v[48:49], v[38:39]
	v_add_f64 v[44:45], v[40:41], v[42:43]
	v_add_f64 v[40:41], v[44:45], -v[40:41]
	v_add_f64 v[40:41], v[42:43], -v[40:41]
	;; [unrolled: 1-line block ×4, first 2 shown]
	v_fma_f64 v[42:43], -v[38:39], v[48:49], 1.0
	v_fmac_f64_e32 v[48:49], v[42:43], v[48:49]
	v_fma_f64 v[42:43], -v[38:39], v[48:49], 1.0
	v_fmac_f64_e32 v[48:49], v[42:43], v[48:49]
	v_mul_f64 v[42:43], v[44:45], v[48:49]
	v_mul_f64 v[46:47], v[38:39], v[42:43]
	v_fma_f64 v[50:51], v[42:43], v[38:39], -v[46:47]
	v_fmac_f64_e32 v[50:51], v[42:43], v[36:37]
	v_add_f64 v[52:53], v[46:47], v[50:51]
	v_add_f64 v[54:55], v[44:45], -v[52:53]
	v_add_f64 v[44:45], v[44:45], -v[54:55]
	;; [unrolled: 1-line block ×4, first 2 shown]
	v_add_f64 v[40:41], v[40:41], v[44:45]
	v_add_f64 v[44:45], v[46:47], -v[50:51]
	v_add_f64 v[40:41], v[44:45], v[40:41]
	v_add_f64 v[44:45], v[54:55], v[40:41]
	v_add_f64 v[46:47], v[54:55], -v[44:45]
	v_add_f64 v[40:41], v[40:41], v[46:47]
	v_mul_f64 v[46:47], v[48:49], v[44:45]
	v_mul_f64 v[50:51], v[38:39], v[46:47]
	v_fma_f64 v[38:39], v[46:47], v[38:39], -v[50:51]
	v_fmac_f64_e32 v[38:39], v[46:47], v[36:37]
	v_add_f64 v[36:37], v[50:51], v[38:39]
	v_add_f64 v[52:53], v[44:45], -v[36:37]
	v_add_f64 v[44:45], v[44:45], -v[52:53]
	;; [unrolled: 1-line block ×4, first 2 shown]
	v_add_f64 v[36:37], v[40:41], v[36:37]
	v_add_f64 v[38:39], v[50:51], -v[38:39]
	v_add_f64 v[36:37], v[38:39], v[36:37]
	v_add_f64 v[38:39], v[42:43], v[46:47]
	;; [unrolled: 1-line block ×3, first 2 shown]
	v_add_f64 v[40:41], v[38:39], -v[42:43]
	v_mul_f64 v[36:37], v[48:49], v[36:37]
	v_add_f64 v[40:41], v[46:47], -v[40:41]
	v_add_f64 v[36:37], v[40:41], v[36:37]
	v_add_f64 v[40:41], v[38:39], v[36:37]
	v_add_f64 v[38:39], v[40:41], -v[38:39]
	s_mov_b32 s24, 0xbf559e2b
	v_add_f64 v[36:37], v[36:37], -v[38:39]
	v_mul_f64 v[38:39], v[40:41], v[40:41]
	v_mov_b32_e32 v42, 0x6b47b09a
	v_mov_b32_e32 v43, 0x3fc38538
	s_mov_b32 s25, 0x3fc3ab76
	v_fmac_f64_e32 v[42:43], s[24:25], v[38:39]
	v_mov_b32_e32 v44, 0xd7f4df2e
	v_mov_b32_e32 v45, 0x3fc7474d
	v_fmac_f64_e32 v[44:45], v[38:39], v[42:43]
	v_mov_b32_e32 v42, 0x16291751
	v_mov_b32_e32 v43, 0x3fcc71c0
	;; [unrolled: 3-line block ×5, first 2 shown]
	v_fmac_f64_e32 v[44:45], v[38:39], v[42:43]
	v_cvt_f64_i32_e32 v[42:43], v56
	v_mul_f64 v[46:47], v[42:43], s[34:35]
	v_fma_f64 v[48:49], v[42:43], s[34:35], -v[46:47]
	v_fmac_f64_e32 v[48:49], s[36:37], v[42:43]
	v_add_f64 v[42:43], v[46:47], v[48:49]
	v_add_f64 v[46:47], v[42:43], -v[46:47]
	v_mul_f64 v[38:39], v[40:41], v[38:39]
	v_add_f64 v[46:47], v[48:49], -v[46:47]
	v_ldexp_f64 v[48:49], v[40:41], 1
	v_mul_f64 v[38:39], v[38:39], v[44:45]
	v_add_f64 v[40:41], v[48:49], v[38:39]
	v_add_f64 v[44:45], v[40:41], -v[48:49]
	v_ldexp_f64 v[36:37], v[36:37], 1
	v_add_f64 v[38:39], v[38:39], -v[44:45]
	v_add_f64 v[36:37], v[36:37], v[38:39]
	v_add_f64 v[38:39], v[40:41], v[36:37]
	v_add_f64 v[40:41], v[38:39], -v[40:41]
	v_add_f64 v[36:37], v[36:37], -v[40:41]
	v_add_f64 v[40:41], v[42:43], v[38:39]
	v_add_f64 v[44:45], v[40:41], -v[42:43]
	v_add_f64 v[48:49], v[40:41], -v[44:45]
	;; [unrolled: 1-line block ×4, first 2 shown]
	v_add_f64 v[38:39], v[38:39], v[42:43]
	v_add_f64 v[42:43], v[46:47], v[36:37]
	v_add_f64 v[44:45], v[42:43], -v[46:47]
	v_add_f64 v[38:39], v[42:43], v[38:39]
	v_add_f64 v[48:49], v[42:43], -v[44:45]
	;; [unrolled: 2-line block ×3, first 2 shown]
	v_add_f64 v[36:37], v[36:37], -v[44:45]
	v_add_f64 v[40:41], v[42:43], -v[40:41]
	v_add_f64 v[36:37], v[36:37], v[46:47]
	v_add_f64 v[38:39], v[38:39], -v[40:41]
	s_mov_b32 s24, 0
	v_add_f64 v[36:37], v[36:37], v[38:39]
	s_mov_b32 s25, 0x7ff00000
	v_add_f64 v[36:37], v[42:43], v[36:37]
	v_cmp_neq_f64_e64 s[24:25], s[24:25], v[16:17]
	s_nop 1
	v_cndmask_b32_e64 v19, v19, v37, s[24:25]
	v_mov_b32_e32 v37, 0x7ff80000
	v_cndmask_b32_e64 v19, v37, v19, s[26:27]
	v_cmp_nge_f64_e64 s[26:27], -1.0, v[16:17]
	s_and_b64 s[24:25], s[26:27], s[24:25]
	v_cndmask_b32_e64 v36, 0, v36, s[24:25]
	v_mov_b32_e32 v37, 0xfff00000
	v_cmp_neq_f64_e64 s[24:25], -1.0, v[16:17]
	s_nop 1
	v_cndmask_b32_e64 v37, v37, v19, s[24:25]
	v_add_f64 v[16:17], v[14:15], v[36:37]
.LBB37_57:
	s_or_b64 exec, exec, s[28:29]
	ds_read_b64 v[14:15], v1 offset:16
	v_max_f64 v[38:39], v[16:17], v[16:17]
	v_cmp_u_f64_e64 s[24:25], v[16:17], v[16:17]
	ds_write_b64 v1, v[16:17] offset:8
	s_waitcnt lgkmcnt(1)
	v_max_f64 v[40:41], v[14:15], v[14:15]
	v_min_f64 v[36:37], v[38:39], v[40:41]
	v_cndmask_b32_e64 v19, v36, v16, s[24:25]
	v_cndmask_b32_e64 v36, v37, v17, s[24:25]
	v_cmp_u_f64_e64 s[26:27], v[14:15], v[14:15]
	v_max_f64 v[38:39], v[38:39], v[40:41]
	s_nop 0
	v_cndmask_b32_e64 v37, v36, v15, s[26:27]
	v_cndmask_b32_e64 v36, v19, v14, s[26:27]
	;; [unrolled: 1-line block ×6, first 2 shown]
	v_cmp_neq_f64_e64 s[24:25], v[36:37], v[14:15]
	v_cmp_class_f64_e64 s[26:27], v[36:37], s33
	s_or_b64 s[24:25], s[24:25], s[26:27]
	s_and_saveexec_b64 s[28:29], s[24:25]
	s_cbranch_execz .LBB37_59
; %bb.58:
	s_mov_b32 s24, 0x652b82fe
	v_add_f64 v[16:17], v[36:37], -v[14:15]
	s_mov_b32 s25, 0x3ff71547
	v_mul_f64 v[36:37], v[16:17], s[24:25]
	v_rndne_f64_e32 v[36:37], v[36:37]
	s_mov_b32 s35, 0xbfe62e42
	s_mov_b32 s34, 0xfefa39ef
	v_fma_f64 v[38:39], s[34:35], v[36:37], v[16:17]
	s_mov_b32 s37, 0xbc7abc9e
	s_mov_b32 s36, 0x3b39803f
	;; [unrolled: 1-line block ×3, first 2 shown]
	v_fmac_f64_e32 v[38:39], s[36:37], v[36:37]
	v_mov_b32_e32 v40, 0xfca7ab0c
	v_mov_b32_e32 v41, 0x3e928af3
	s_mov_b32 s25, 0x3e5ade15
	v_fmac_f64_e32 v[40:41], s[24:25], v[38:39]
	v_mov_b32_e32 v42, 0x623fde64
	v_mov_b32_e32 v43, 0x3ec71dee
	v_fmac_f64_e32 v[42:43], v[38:39], v[40:41]
	v_mov_b32_e32 v40, 0x7c89e6b0
	v_mov_b32_e32 v41, 0x3efa0199
	;; [unrolled: 3-line block ×8, first 2 shown]
	v_fmac_f64_e32 v[40:41], v[38:39], v[42:43]
	v_fma_f64 v[40:41], v[38:39], v[40:41], 1.0
	s_mov_b32 s24, 0
	s_mov_b32 s26, 0
	v_fma_f64 v[38:39], v[38:39], v[40:41], 1.0
	v_cvt_i32_f64_e32 v19, v[36:37]
	s_mov_b32 s25, 0x40900000
	s_mov_b32 s27, 0xc090cc00
	v_ldexp_f64 v[36:37], v[38:39], v19
	v_mov_b32_e32 v19, 0x7ff00000
	v_cmp_nlt_f64_e64 s[24:25], s[24:25], v[16:17]
	v_cmp_ngt_f64_e64 s[26:27], s[26:27], v[16:17]
	s_mov_b32 s35, 0x3fe62e42
	v_cndmask_b32_e64 v37, v19, v37, s[24:25]
	s_and_b64 s[24:25], s[26:27], s[24:25]
	v_cndmask_b32_e64 v17, 0, v37, s[26:27]
	v_cndmask_b32_e64 v16, 0, v36, s[24:25]
	v_add_f64 v[36:37], v[16:17], 1.0
	v_add_f64 v[38:39], v[36:37], -1.0
	v_add_f64 v[40:41], v[38:39], -v[36:37]
	v_add_f64 v[40:41], v[40:41], 1.0
	v_add_f64 v[38:39], v[16:17], -v[38:39]
	s_mov_b32 s24, 0x55555555
	v_add_f64 v[38:39], v[38:39], v[40:41]
	v_frexp_mant_f64_e32 v[40:41], v[36:37]
	s_mov_b32 s25, 0x3fe55555
	v_frexp_exp_i32_f64_e32 v42, v[36:37]
	v_cmp_gt_f64_e64 s[24:25], s[24:25], v[40:41]
	s_mov_b32 s37, 0x3c7abc9e
	v_cmp_ngt_f64_e64 s[26:27], -1.0, v[16:17]
	v_subbrev_co_u32_e64 v56, s[24:25], 0, v42, s[24:25]
	v_sub_u32_e32 v40, 0, v56
	v_ldexp_f64 v[36:37], v[36:37], v40
	v_ldexp_f64 v[38:39], v[38:39], v40
	v_add_f64 v[40:41], v[36:37], -1.0
	v_add_f64 v[46:47], v[36:37], 1.0
	v_add_f64 v[42:43], v[40:41], 1.0
	v_add_f64 v[48:49], v[46:47], -1.0
	v_add_f64 v[42:43], v[36:37], -v[42:43]
	v_add_f64 v[36:37], v[36:37], -v[48:49]
	v_add_f64 v[36:37], v[38:39], v[36:37]
	v_add_f64 v[42:43], v[38:39], v[42:43]
	;; [unrolled: 1-line block ×3, first 2 shown]
	v_rcp_f64_e32 v[48:49], v[38:39]
	v_add_f64 v[44:45], v[40:41], v[42:43]
	v_add_f64 v[40:41], v[44:45], -v[40:41]
	v_add_f64 v[40:41], v[42:43], -v[40:41]
	;; [unrolled: 1-line block ×4, first 2 shown]
	v_fma_f64 v[42:43], -v[38:39], v[48:49], 1.0
	v_fmac_f64_e32 v[48:49], v[42:43], v[48:49]
	v_fma_f64 v[42:43], -v[38:39], v[48:49], 1.0
	v_fmac_f64_e32 v[48:49], v[42:43], v[48:49]
	v_mul_f64 v[42:43], v[44:45], v[48:49]
	v_mul_f64 v[46:47], v[38:39], v[42:43]
	v_fma_f64 v[50:51], v[42:43], v[38:39], -v[46:47]
	v_fmac_f64_e32 v[50:51], v[42:43], v[36:37]
	v_add_f64 v[52:53], v[46:47], v[50:51]
	v_add_f64 v[54:55], v[44:45], -v[52:53]
	v_add_f64 v[44:45], v[44:45], -v[54:55]
	;; [unrolled: 1-line block ×4, first 2 shown]
	v_add_f64 v[40:41], v[40:41], v[44:45]
	v_add_f64 v[44:45], v[46:47], -v[50:51]
	v_add_f64 v[40:41], v[44:45], v[40:41]
	v_add_f64 v[44:45], v[54:55], v[40:41]
	v_add_f64 v[46:47], v[54:55], -v[44:45]
	v_add_f64 v[40:41], v[40:41], v[46:47]
	v_mul_f64 v[46:47], v[48:49], v[44:45]
	v_mul_f64 v[50:51], v[38:39], v[46:47]
	v_fma_f64 v[38:39], v[46:47], v[38:39], -v[50:51]
	v_fmac_f64_e32 v[38:39], v[46:47], v[36:37]
	v_add_f64 v[36:37], v[50:51], v[38:39]
	v_add_f64 v[52:53], v[44:45], -v[36:37]
	v_add_f64 v[44:45], v[44:45], -v[52:53]
	;; [unrolled: 1-line block ×4, first 2 shown]
	v_add_f64 v[36:37], v[40:41], v[36:37]
	v_add_f64 v[38:39], v[50:51], -v[38:39]
	v_add_f64 v[36:37], v[38:39], v[36:37]
	v_add_f64 v[38:39], v[42:43], v[46:47]
	;; [unrolled: 1-line block ×3, first 2 shown]
	v_add_f64 v[40:41], v[38:39], -v[42:43]
	v_mul_f64 v[36:37], v[48:49], v[36:37]
	v_add_f64 v[40:41], v[46:47], -v[40:41]
	v_add_f64 v[36:37], v[40:41], v[36:37]
	v_add_f64 v[40:41], v[38:39], v[36:37]
	v_add_f64 v[38:39], v[40:41], -v[38:39]
	s_mov_b32 s24, 0xbf559e2b
	v_add_f64 v[36:37], v[36:37], -v[38:39]
	v_mul_f64 v[38:39], v[40:41], v[40:41]
	v_mov_b32_e32 v42, 0x6b47b09a
	v_mov_b32_e32 v43, 0x3fc38538
	s_mov_b32 s25, 0x3fc3ab76
	v_fmac_f64_e32 v[42:43], s[24:25], v[38:39]
	v_mov_b32_e32 v44, 0xd7f4df2e
	v_mov_b32_e32 v45, 0x3fc7474d
	v_fmac_f64_e32 v[44:45], v[38:39], v[42:43]
	v_mov_b32_e32 v42, 0x16291751
	v_mov_b32_e32 v43, 0x3fcc71c0
	;; [unrolled: 3-line block ×5, first 2 shown]
	v_fmac_f64_e32 v[44:45], v[38:39], v[42:43]
	v_cvt_f64_i32_e32 v[42:43], v56
	v_mul_f64 v[46:47], v[42:43], s[34:35]
	v_fma_f64 v[48:49], v[42:43], s[34:35], -v[46:47]
	v_fmac_f64_e32 v[48:49], s[36:37], v[42:43]
	v_add_f64 v[42:43], v[46:47], v[48:49]
	v_add_f64 v[46:47], v[42:43], -v[46:47]
	v_mul_f64 v[38:39], v[40:41], v[38:39]
	v_add_f64 v[46:47], v[48:49], -v[46:47]
	v_ldexp_f64 v[48:49], v[40:41], 1
	v_mul_f64 v[38:39], v[38:39], v[44:45]
	v_add_f64 v[40:41], v[48:49], v[38:39]
	v_add_f64 v[44:45], v[40:41], -v[48:49]
	v_ldexp_f64 v[36:37], v[36:37], 1
	v_add_f64 v[38:39], v[38:39], -v[44:45]
	v_add_f64 v[36:37], v[36:37], v[38:39]
	v_add_f64 v[38:39], v[40:41], v[36:37]
	v_add_f64 v[40:41], v[38:39], -v[40:41]
	v_add_f64 v[36:37], v[36:37], -v[40:41]
	v_add_f64 v[40:41], v[42:43], v[38:39]
	v_add_f64 v[44:45], v[40:41], -v[42:43]
	v_add_f64 v[48:49], v[40:41], -v[44:45]
	;; [unrolled: 1-line block ×4, first 2 shown]
	v_add_f64 v[38:39], v[38:39], v[42:43]
	v_add_f64 v[42:43], v[46:47], v[36:37]
	v_add_f64 v[44:45], v[42:43], -v[46:47]
	v_add_f64 v[38:39], v[42:43], v[38:39]
	v_add_f64 v[48:49], v[42:43], -v[44:45]
	;; [unrolled: 2-line block ×3, first 2 shown]
	v_add_f64 v[36:37], v[36:37], -v[44:45]
	v_add_f64 v[40:41], v[42:43], -v[40:41]
	v_add_f64 v[36:37], v[36:37], v[46:47]
	v_add_f64 v[38:39], v[38:39], -v[40:41]
	s_mov_b32 s24, 0
	v_add_f64 v[36:37], v[36:37], v[38:39]
	s_mov_b32 s25, 0x7ff00000
	v_add_f64 v[36:37], v[42:43], v[36:37]
	v_cmp_neq_f64_e64 s[24:25], s[24:25], v[16:17]
	s_nop 1
	v_cndmask_b32_e64 v19, v19, v37, s[24:25]
	v_mov_b32_e32 v37, 0x7ff80000
	v_cndmask_b32_e64 v19, v37, v19, s[26:27]
	v_cmp_nge_f64_e64 s[26:27], -1.0, v[16:17]
	s_and_b64 s[24:25], s[26:27], s[24:25]
	v_cndmask_b32_e64 v36, 0, v36, s[24:25]
	v_mov_b32_e32 v37, 0xfff00000
	v_cmp_neq_f64_e64 s[24:25], -1.0, v[16:17]
	s_nop 1
	v_cndmask_b32_e64 v37, v37, v19, s[24:25]
	v_add_f64 v[16:17], v[14:15], v[36:37]
.LBB37_59:
	s_or_b64 exec, exec, s[28:29]
	ds_read_b64 v[14:15], v1 offset:24
	v_max_f64 v[38:39], v[16:17], v[16:17]
	v_cmp_u_f64_e64 s[24:25], v[16:17], v[16:17]
	ds_write_b64 v1, v[16:17] offset:16
	s_waitcnt lgkmcnt(1)
	v_max_f64 v[40:41], v[14:15], v[14:15]
	v_min_f64 v[36:37], v[38:39], v[40:41]
	v_cndmask_b32_e64 v19, v36, v16, s[24:25]
	v_cndmask_b32_e64 v36, v37, v17, s[24:25]
	v_cmp_u_f64_e64 s[26:27], v[14:15], v[14:15]
	v_max_f64 v[38:39], v[38:39], v[40:41]
	s_nop 0
	v_cndmask_b32_e64 v37, v36, v15, s[26:27]
	v_cndmask_b32_e64 v36, v19, v14, s[26:27]
	;; [unrolled: 1-line block ×6, first 2 shown]
	v_cmp_neq_f64_e64 s[24:25], v[36:37], v[14:15]
	v_cmp_class_f64_e64 s[26:27], v[36:37], s33
	s_or_b64 s[24:25], s[24:25], s[26:27]
	s_and_saveexec_b64 s[28:29], s[24:25]
	s_cbranch_execz .LBB37_61
; %bb.60:
	s_mov_b32 s24, 0x652b82fe
	v_add_f64 v[16:17], v[36:37], -v[14:15]
	s_mov_b32 s25, 0x3ff71547
	v_mul_f64 v[36:37], v[16:17], s[24:25]
	v_rndne_f64_e32 v[36:37], v[36:37]
	s_mov_b32 s35, 0xbfe62e42
	s_mov_b32 s34, 0xfefa39ef
	v_fma_f64 v[38:39], s[34:35], v[36:37], v[16:17]
	s_mov_b32 s37, 0xbc7abc9e
	s_mov_b32 s36, 0x3b39803f
	;; [unrolled: 1-line block ×3, first 2 shown]
	v_fmac_f64_e32 v[38:39], s[36:37], v[36:37]
	v_mov_b32_e32 v40, 0xfca7ab0c
	v_mov_b32_e32 v41, 0x3e928af3
	s_mov_b32 s25, 0x3e5ade15
	v_fmac_f64_e32 v[40:41], s[24:25], v[38:39]
	v_mov_b32_e32 v42, 0x623fde64
	v_mov_b32_e32 v43, 0x3ec71dee
	v_fmac_f64_e32 v[42:43], v[38:39], v[40:41]
	v_mov_b32_e32 v40, 0x7c89e6b0
	v_mov_b32_e32 v41, 0x3efa0199
	;; [unrolled: 3-line block ×8, first 2 shown]
	v_fmac_f64_e32 v[40:41], v[38:39], v[42:43]
	v_fma_f64 v[40:41], v[38:39], v[40:41], 1.0
	s_mov_b32 s24, 0
	s_mov_b32 s26, 0
	v_fma_f64 v[38:39], v[38:39], v[40:41], 1.0
	v_cvt_i32_f64_e32 v19, v[36:37]
	s_mov_b32 s25, 0x40900000
	s_mov_b32 s27, 0xc090cc00
	v_ldexp_f64 v[36:37], v[38:39], v19
	v_mov_b32_e32 v19, 0x7ff00000
	v_cmp_nlt_f64_e64 s[24:25], s[24:25], v[16:17]
	v_cmp_ngt_f64_e64 s[26:27], s[26:27], v[16:17]
	s_mov_b32 s35, 0x3fe62e42
	v_cndmask_b32_e64 v37, v19, v37, s[24:25]
	s_and_b64 s[24:25], s[26:27], s[24:25]
	v_cndmask_b32_e64 v17, 0, v37, s[26:27]
	v_cndmask_b32_e64 v16, 0, v36, s[24:25]
	v_add_f64 v[36:37], v[16:17], 1.0
	v_add_f64 v[38:39], v[36:37], -1.0
	v_add_f64 v[40:41], v[38:39], -v[36:37]
	v_add_f64 v[40:41], v[40:41], 1.0
	v_add_f64 v[38:39], v[16:17], -v[38:39]
	s_mov_b32 s24, 0x55555555
	v_add_f64 v[38:39], v[38:39], v[40:41]
	v_frexp_mant_f64_e32 v[40:41], v[36:37]
	s_mov_b32 s25, 0x3fe55555
	v_frexp_exp_i32_f64_e32 v42, v[36:37]
	v_cmp_gt_f64_e64 s[24:25], s[24:25], v[40:41]
	s_mov_b32 s37, 0x3c7abc9e
	v_cmp_ngt_f64_e64 s[26:27], -1.0, v[16:17]
	v_subbrev_co_u32_e64 v56, s[24:25], 0, v42, s[24:25]
	v_sub_u32_e32 v40, 0, v56
	v_ldexp_f64 v[36:37], v[36:37], v40
	v_ldexp_f64 v[38:39], v[38:39], v40
	v_add_f64 v[40:41], v[36:37], -1.0
	v_add_f64 v[46:47], v[36:37], 1.0
	v_add_f64 v[42:43], v[40:41], 1.0
	v_add_f64 v[48:49], v[46:47], -1.0
	v_add_f64 v[42:43], v[36:37], -v[42:43]
	v_add_f64 v[36:37], v[36:37], -v[48:49]
	v_add_f64 v[36:37], v[38:39], v[36:37]
	v_add_f64 v[42:43], v[38:39], v[42:43]
	;; [unrolled: 1-line block ×3, first 2 shown]
	v_rcp_f64_e32 v[48:49], v[38:39]
	v_add_f64 v[44:45], v[40:41], v[42:43]
	v_add_f64 v[40:41], v[44:45], -v[40:41]
	v_add_f64 v[40:41], v[42:43], -v[40:41]
	;; [unrolled: 1-line block ×4, first 2 shown]
	v_fma_f64 v[42:43], -v[38:39], v[48:49], 1.0
	v_fmac_f64_e32 v[48:49], v[42:43], v[48:49]
	v_fma_f64 v[42:43], -v[38:39], v[48:49], 1.0
	v_fmac_f64_e32 v[48:49], v[42:43], v[48:49]
	v_mul_f64 v[42:43], v[44:45], v[48:49]
	v_mul_f64 v[46:47], v[38:39], v[42:43]
	v_fma_f64 v[50:51], v[42:43], v[38:39], -v[46:47]
	v_fmac_f64_e32 v[50:51], v[42:43], v[36:37]
	v_add_f64 v[52:53], v[46:47], v[50:51]
	v_add_f64 v[54:55], v[44:45], -v[52:53]
	v_add_f64 v[44:45], v[44:45], -v[54:55]
	;; [unrolled: 1-line block ×4, first 2 shown]
	v_add_f64 v[40:41], v[40:41], v[44:45]
	v_add_f64 v[44:45], v[46:47], -v[50:51]
	v_add_f64 v[40:41], v[44:45], v[40:41]
	v_add_f64 v[44:45], v[54:55], v[40:41]
	v_add_f64 v[46:47], v[54:55], -v[44:45]
	v_add_f64 v[40:41], v[40:41], v[46:47]
	v_mul_f64 v[46:47], v[48:49], v[44:45]
	v_mul_f64 v[50:51], v[38:39], v[46:47]
	v_fma_f64 v[38:39], v[46:47], v[38:39], -v[50:51]
	v_fmac_f64_e32 v[38:39], v[46:47], v[36:37]
	v_add_f64 v[36:37], v[50:51], v[38:39]
	v_add_f64 v[52:53], v[44:45], -v[36:37]
	v_add_f64 v[44:45], v[44:45], -v[52:53]
	;; [unrolled: 1-line block ×4, first 2 shown]
	v_add_f64 v[36:37], v[40:41], v[36:37]
	v_add_f64 v[38:39], v[50:51], -v[38:39]
	v_add_f64 v[36:37], v[38:39], v[36:37]
	v_add_f64 v[38:39], v[42:43], v[46:47]
	;; [unrolled: 1-line block ×3, first 2 shown]
	v_add_f64 v[40:41], v[38:39], -v[42:43]
	v_mul_f64 v[36:37], v[48:49], v[36:37]
	v_add_f64 v[40:41], v[46:47], -v[40:41]
	v_add_f64 v[36:37], v[40:41], v[36:37]
	v_add_f64 v[40:41], v[38:39], v[36:37]
	v_add_f64 v[38:39], v[40:41], -v[38:39]
	s_mov_b32 s24, 0xbf559e2b
	v_add_f64 v[36:37], v[36:37], -v[38:39]
	v_mul_f64 v[38:39], v[40:41], v[40:41]
	v_mov_b32_e32 v42, 0x6b47b09a
	v_mov_b32_e32 v43, 0x3fc38538
	s_mov_b32 s25, 0x3fc3ab76
	v_fmac_f64_e32 v[42:43], s[24:25], v[38:39]
	v_mov_b32_e32 v44, 0xd7f4df2e
	v_mov_b32_e32 v45, 0x3fc7474d
	v_fmac_f64_e32 v[44:45], v[38:39], v[42:43]
	v_mov_b32_e32 v42, 0x16291751
	v_mov_b32_e32 v43, 0x3fcc71c0
	;; [unrolled: 3-line block ×5, first 2 shown]
	v_fmac_f64_e32 v[44:45], v[38:39], v[42:43]
	v_cvt_f64_i32_e32 v[42:43], v56
	v_mul_f64 v[46:47], v[42:43], s[34:35]
	v_fma_f64 v[48:49], v[42:43], s[34:35], -v[46:47]
	v_fmac_f64_e32 v[48:49], s[36:37], v[42:43]
	v_add_f64 v[42:43], v[46:47], v[48:49]
	v_add_f64 v[46:47], v[42:43], -v[46:47]
	v_mul_f64 v[38:39], v[40:41], v[38:39]
	v_add_f64 v[46:47], v[48:49], -v[46:47]
	v_ldexp_f64 v[48:49], v[40:41], 1
	v_mul_f64 v[38:39], v[38:39], v[44:45]
	v_add_f64 v[40:41], v[48:49], v[38:39]
	v_add_f64 v[44:45], v[40:41], -v[48:49]
	v_ldexp_f64 v[36:37], v[36:37], 1
	v_add_f64 v[38:39], v[38:39], -v[44:45]
	v_add_f64 v[36:37], v[36:37], v[38:39]
	v_add_f64 v[38:39], v[40:41], v[36:37]
	v_add_f64 v[40:41], v[38:39], -v[40:41]
	v_add_f64 v[36:37], v[36:37], -v[40:41]
	v_add_f64 v[40:41], v[42:43], v[38:39]
	v_add_f64 v[44:45], v[40:41], -v[42:43]
	v_add_f64 v[48:49], v[40:41], -v[44:45]
	;; [unrolled: 1-line block ×4, first 2 shown]
	v_add_f64 v[38:39], v[38:39], v[42:43]
	v_add_f64 v[42:43], v[46:47], v[36:37]
	v_add_f64 v[44:45], v[42:43], -v[46:47]
	v_add_f64 v[38:39], v[42:43], v[38:39]
	v_add_f64 v[48:49], v[42:43], -v[44:45]
	;; [unrolled: 2-line block ×3, first 2 shown]
	v_add_f64 v[36:37], v[36:37], -v[44:45]
	v_add_f64 v[40:41], v[42:43], -v[40:41]
	v_add_f64 v[36:37], v[36:37], v[46:47]
	v_add_f64 v[38:39], v[38:39], -v[40:41]
	s_mov_b32 s24, 0
	v_add_f64 v[36:37], v[36:37], v[38:39]
	s_mov_b32 s25, 0x7ff00000
	v_add_f64 v[36:37], v[42:43], v[36:37]
	v_cmp_neq_f64_e64 s[24:25], s[24:25], v[16:17]
	s_nop 1
	v_cndmask_b32_e64 v19, v19, v37, s[24:25]
	v_mov_b32_e32 v37, 0x7ff80000
	v_cndmask_b32_e64 v19, v37, v19, s[26:27]
	v_cmp_nge_f64_e64 s[26:27], -1.0, v[16:17]
	s_and_b64 s[24:25], s[26:27], s[24:25]
	v_cndmask_b32_e64 v36, 0, v36, s[24:25]
	v_mov_b32_e32 v37, 0xfff00000
	v_cmp_neq_f64_e64 s[24:25], -1.0, v[16:17]
	s_nop 1
	v_cndmask_b32_e64 v37, v37, v19, s[24:25]
	v_add_f64 v[16:17], v[14:15], v[36:37]
.LBB37_61:
	s_or_b64 exec, exec, s[28:29]
	ds_write_b64 v1, v[16:17] offset:24
.LBB37_62:
	s_or_b64 exec, exec, s[30:31]
	s_load_dwordx2 s[24:25], s[0:1], 0x20
	v_mul_u32_u24_e32 v19, 40, v0
	v_cmp_ne_u32_e64 s[0:1], 0, v0
	s_waitcnt lgkmcnt(0)
	s_barrier
	s_and_saveexec_b64 s[26:27], s[0:1]
	s_cbranch_execz .LBB37_66
; %bb.63:
	v_add_u32_e32 v0, -1, v0
	v_lshrrev_b32_e32 v1, 2, v0
	v_and_b32_e32 v1, 0x3ffffff8, v1
	v_lshl_add_u32 v0, v0, 3, v1
	ds_read_b64 v[14:15], v0
	s_waitcnt lgkmcnt(0)
	v_max_f64 v[0:1], v[14:15], v[14:15]
	v_min_f64 v[16:17], v[0:1], v[30:31]
	v_max_f64 v[0:1], v[0:1], v[30:31]
	v_cmp_u_f64_e64 s[0:1], v[14:15], v[14:15]
	s_nop 1
	v_cndmask_b32_e64 v16, v16, v14, s[0:1]
	v_cndmask_b32_e64 v17, v17, v15, s[0:1]
	;; [unrolled: 1-line block ×8, first 2 shown]
	s_movk_i32 s22, 0x1f8
	v_cmp_neq_f64_e64 s[0:1], v[16:17], v[0:1]
	v_cmp_class_f64_e64 s[22:23], v[16:17], s22
	s_or_b64 s[0:1], s[0:1], s[22:23]
	s_and_saveexec_b64 s[28:29], s[0:1]
	s_cbranch_execz .LBB37_65
; %bb.64:
	s_mov_b32 s0, 0x652b82fe
	v_add_f64 v[2:3], v[16:17], -v[0:1]
	s_mov_b32 s1, 0x3ff71547
	v_mul_f64 v[14:15], v[2:3], s[0:1]
	v_rndne_f64_e32 v[14:15], v[14:15]
	s_mov_b32 s31, 0xbfe62e42
	s_mov_b32 s30, 0xfefa39ef
	v_fma_f64 v[16:17], s[30:31], v[14:15], v[2:3]
	s_mov_b32 s35, 0xbc7abc9e
	s_mov_b32 s34, 0x3b39803f
	;; [unrolled: 1-line block ×3, first 2 shown]
	v_fmac_f64_e32 v[16:17], s[34:35], v[14:15]
	v_mov_b32_e32 v30, 0xfca7ab0c
	v_mov_b32_e32 v31, 0x3e928af3
	s_mov_b32 s1, 0x3e5ade15
	v_fmac_f64_e32 v[30:31], s[0:1], v[16:17]
	v_mov_b32_e32 v32, 0x623fde64
	v_mov_b32_e32 v33, 0x3ec71dee
	v_fmac_f64_e32 v[32:33], v[16:17], v[30:31]
	v_mov_b32_e32 v30, 0x7c89e6b0
	v_mov_b32_e32 v31, 0x3efa0199
	;; [unrolled: 3-line block ×8, first 2 shown]
	v_fmac_f64_e32 v[30:31], v[16:17], v[32:33]
	v_fma_f64 v[30:31], v[16:17], v[30:31], 1.0
	s_mov_b32 s0, 0
	s_mov_b32 s22, 0
	v_fma_f64 v[16:17], v[16:17], v[30:31], 1.0
	v_cvt_i32_f64_e32 v14, v[14:15]
	s_mov_b32 s1, 0x40900000
	s_mov_b32 s23, 0xc090cc00
	v_ldexp_f64 v[14:15], v[16:17], v14
	v_mov_b32_e32 v46, 0x7ff00000
	v_cmp_nlt_f64_e64 s[0:1], s[0:1], v[2:3]
	v_cmp_ngt_f64_e64 s[22:23], s[22:23], v[2:3]
	s_mov_b32 s31, 0x3fe62e42
	v_cndmask_b32_e64 v15, v46, v15, s[0:1]
	s_and_b64 s[0:1], s[22:23], s[0:1]
	v_cndmask_b32_e64 v3, 0, v15, s[22:23]
	v_cndmask_b32_e64 v2, 0, v14, s[0:1]
	v_add_f64 v[14:15], v[2:3], 1.0
	v_add_f64 v[16:17], v[14:15], -1.0
	v_add_f64 v[30:31], v[16:17], -v[14:15]
	v_add_f64 v[30:31], v[30:31], 1.0
	v_add_f64 v[16:17], v[2:3], -v[16:17]
	s_mov_b32 s0, 0x55555555
	v_add_f64 v[16:17], v[16:17], v[30:31]
	v_frexp_mant_f64_e32 v[30:31], v[14:15]
	s_mov_b32 s1, 0x3fe55555
	v_frexp_exp_i32_f64_e32 v32, v[14:15]
	v_cmp_gt_f64_e64 s[0:1], s[0:1], v[30:31]
	s_mov_b32 s35, 0x3c7abc9e
	v_cmp_ngt_f64_e64 s[22:23], -1.0, v[2:3]
	v_subbrev_co_u32_e64 v47, s[0:1], 0, v32, s[0:1]
	v_sub_u32_e32 v30, 0, v47
	v_ldexp_f64 v[14:15], v[14:15], v30
	v_ldexp_f64 v[16:17], v[16:17], v30
	v_add_f64 v[30:31], v[14:15], -1.0
	v_add_f64 v[36:37], v[14:15], 1.0
	v_add_f64 v[32:33], v[30:31], 1.0
	v_add_f64 v[38:39], v[36:37], -1.0
	v_add_f64 v[32:33], v[14:15], -v[32:33]
	v_add_f64 v[14:15], v[14:15], -v[38:39]
	v_add_f64 v[14:15], v[16:17], v[14:15]
	v_add_f64 v[32:33], v[16:17], v[32:33]
	;; [unrolled: 1-line block ×3, first 2 shown]
	v_rcp_f64_e32 v[38:39], v[16:17]
	v_add_f64 v[34:35], v[30:31], v[32:33]
	v_add_f64 v[30:31], v[34:35], -v[30:31]
	v_add_f64 v[30:31], v[32:33], -v[30:31]
	;; [unrolled: 1-line block ×4, first 2 shown]
	v_fma_f64 v[32:33], -v[16:17], v[38:39], 1.0
	v_fmac_f64_e32 v[38:39], v[32:33], v[38:39]
	v_fma_f64 v[32:33], -v[16:17], v[38:39], 1.0
	v_fmac_f64_e32 v[38:39], v[32:33], v[38:39]
	v_mul_f64 v[32:33], v[34:35], v[38:39]
	v_mul_f64 v[36:37], v[16:17], v[32:33]
	v_fma_f64 v[40:41], v[32:33], v[16:17], -v[36:37]
	v_fmac_f64_e32 v[40:41], v[32:33], v[14:15]
	v_add_f64 v[42:43], v[36:37], v[40:41]
	v_add_f64 v[44:45], v[34:35], -v[42:43]
	v_add_f64 v[34:35], v[34:35], -v[44:45]
	;; [unrolled: 1-line block ×4, first 2 shown]
	v_add_f64 v[30:31], v[30:31], v[34:35]
	v_add_f64 v[34:35], v[36:37], -v[40:41]
	v_add_f64 v[30:31], v[34:35], v[30:31]
	v_add_f64 v[34:35], v[44:45], v[30:31]
	v_add_f64 v[36:37], v[44:45], -v[34:35]
	v_add_f64 v[30:31], v[30:31], v[36:37]
	v_mul_f64 v[36:37], v[38:39], v[34:35]
	v_mul_f64 v[40:41], v[16:17], v[36:37]
	v_fma_f64 v[16:17], v[36:37], v[16:17], -v[40:41]
	v_fmac_f64_e32 v[16:17], v[36:37], v[14:15]
	v_add_f64 v[14:15], v[40:41], v[16:17]
	v_add_f64 v[42:43], v[34:35], -v[14:15]
	v_add_f64 v[34:35], v[34:35], -v[42:43]
	;; [unrolled: 1-line block ×4, first 2 shown]
	v_add_f64 v[14:15], v[30:31], v[14:15]
	v_add_f64 v[16:17], v[40:41], -v[16:17]
	v_add_f64 v[14:15], v[16:17], v[14:15]
	v_add_f64 v[16:17], v[32:33], v[36:37]
	v_add_f64 v[14:15], v[42:43], v[14:15]
	v_add_f64 v[30:31], v[16:17], -v[32:33]
	v_mul_f64 v[14:15], v[38:39], v[14:15]
	v_add_f64 v[30:31], v[36:37], -v[30:31]
	v_add_f64 v[14:15], v[30:31], v[14:15]
	v_add_f64 v[30:31], v[16:17], v[14:15]
	v_add_f64 v[16:17], v[30:31], -v[16:17]
	s_mov_b32 s0, 0xbf559e2b
	v_add_f64 v[14:15], v[14:15], -v[16:17]
	v_mul_f64 v[16:17], v[30:31], v[30:31]
	v_mov_b32_e32 v32, 0x6b47b09a
	v_mov_b32_e32 v33, 0x3fc38538
	s_mov_b32 s1, 0x3fc3ab76
	v_fmac_f64_e32 v[32:33], s[0:1], v[16:17]
	v_mov_b32_e32 v34, 0xd7f4df2e
	v_mov_b32_e32 v35, 0x3fc7474d
	v_fmac_f64_e32 v[34:35], v[16:17], v[32:33]
	v_mov_b32_e32 v32, 0x16291751
	v_mov_b32_e32 v33, 0x3fcc71c0
	;; [unrolled: 3-line block ×5, first 2 shown]
	v_fmac_f64_e32 v[34:35], v[16:17], v[32:33]
	v_cvt_f64_i32_e32 v[32:33], v47
	v_mul_f64 v[36:37], v[32:33], s[30:31]
	v_fma_f64 v[38:39], v[32:33], s[30:31], -v[36:37]
	v_fmac_f64_e32 v[38:39], s[34:35], v[32:33]
	v_add_f64 v[32:33], v[36:37], v[38:39]
	v_add_f64 v[36:37], v[32:33], -v[36:37]
	v_mul_f64 v[16:17], v[30:31], v[16:17]
	v_add_f64 v[36:37], v[38:39], -v[36:37]
	v_ldexp_f64 v[38:39], v[30:31], 1
	v_mul_f64 v[16:17], v[16:17], v[34:35]
	v_add_f64 v[30:31], v[38:39], v[16:17]
	v_add_f64 v[34:35], v[30:31], -v[38:39]
	v_ldexp_f64 v[14:15], v[14:15], 1
	v_add_f64 v[16:17], v[16:17], -v[34:35]
	v_add_f64 v[14:15], v[14:15], v[16:17]
	v_add_f64 v[16:17], v[30:31], v[14:15]
	v_add_f64 v[30:31], v[16:17], -v[30:31]
	v_add_f64 v[14:15], v[14:15], -v[30:31]
	v_add_f64 v[30:31], v[32:33], v[16:17]
	v_add_f64 v[34:35], v[30:31], -v[32:33]
	v_add_f64 v[38:39], v[30:31], -v[34:35]
	;; [unrolled: 1-line block ×4, first 2 shown]
	v_add_f64 v[16:17], v[16:17], v[32:33]
	v_add_f64 v[32:33], v[36:37], v[14:15]
	v_add_f64 v[34:35], v[32:33], -v[36:37]
	v_add_f64 v[16:17], v[32:33], v[16:17]
	v_add_f64 v[38:39], v[32:33], -v[34:35]
	;; [unrolled: 2-line block ×3, first 2 shown]
	v_add_f64 v[14:15], v[14:15], -v[34:35]
	v_add_f64 v[30:31], v[32:33], -v[30:31]
	v_add_f64 v[14:15], v[14:15], v[36:37]
	v_add_f64 v[16:17], v[16:17], -v[30:31]
	s_mov_b32 s0, 0
	v_add_f64 v[14:15], v[14:15], v[16:17]
	s_mov_b32 s1, 0x7ff00000
	v_add_f64 v[14:15], v[32:33], v[14:15]
	v_cmp_neq_f64_e64 s[0:1], s[0:1], v[2:3]
	v_mov_b32_e32 v16, 0x7ff80000
	s_nop 0
	v_cndmask_b32_e64 v15, v46, v15, s[0:1]
	v_cndmask_b32_e64 v15, v16, v15, s[22:23]
	v_cmp_nge_f64_e64 s[22:23], -1.0, v[2:3]
	s_and_b64 s[0:1], s[22:23], s[0:1]
	v_cndmask_b32_e64 v14, 0, v14, s[0:1]
	v_mov_b32_e32 v16, 0xfff00000
	v_cmp_neq_f64_e64 s[0:1], -1.0, v[2:3]
	s_nop 1
	v_cndmask_b32_e64 v15, v16, v15, s[0:1]
	v_add_f64 v[14:15], v[0:1], v[14:15]
.LBB37_65:
	s_or_b64 exec, exec, s[28:29]
	v_max_f64 v[0:1], v[14:15], v[14:15]
	v_min_f64 v[32:33], v[0:1], v[28:29]
	v_max_f64 v[34:35], v[0:1], v[28:29]
	v_mov_b64_e32 v[2:3], v[14:15]
	;;#ASMSTART
	;;#ASMEND
.LBB37_66:
	s_or_b64 exec, exec, s[26:27]
	v_cmp_u_f64_e64 s[0:1], v[2:3], v[2:3]
	s_movk_i32 s30, 0x1f8
	s_nop 0
	v_cndmask_b32_e64 v0, v32, v2, s[0:1]
	v_cndmask_b32_e64 v1, v33, v3, s[0:1]
	v_cndmask_b32_e64 v15, v1, v5, s[10:11]
	v_cndmask_b32_e64 v14, v0, v4, s[10:11]
	v_cndmask_b32_e64 v0, v34, v2, s[0:1]
	v_cndmask_b32_e64 v1, v35, v3, s[0:1]
	v_cndmask_b32_e64 v1, v1, v5, s[10:11]
	v_cndmask_b32_e64 v0, v0, v4, s[10:11]
	v_cmp_neq_f64_e64 s[0:1], v[14:15], v[0:1]
	v_cmp_class_f64_e64 s[10:11], v[14:15], s30
	s_or_b64 s[0:1], s[0:1], s[10:11]
	v_mov_b64_e32 v[4:5], v[2:3]
	s_and_saveexec_b64 s[22:23], s[0:1]
	s_cbranch_execz .LBB37_68
; %bb.67:
	s_mov_b32 s0, 0x652b82fe
	v_add_f64 v[4:5], v[14:15], -v[0:1]
	s_mov_b32 s1, 0x3ff71547
	v_mul_f64 v[14:15], v[4:5], s[0:1]
	v_rndne_f64_e32 v[14:15], v[14:15]
	s_mov_b32 s27, 0xbfe62e42
	s_mov_b32 s26, 0xfefa39ef
	v_fma_f64 v[16:17], s[26:27], v[14:15], v[4:5]
	s_mov_b32 s29, 0xbc7abc9e
	s_mov_b32 s28, 0x3b39803f
	;; [unrolled: 1-line block ×3, first 2 shown]
	v_fmac_f64_e32 v[16:17], s[28:29], v[14:15]
	v_mov_b32_e32 v28, 0xfca7ab0c
	v_mov_b32_e32 v29, 0x3e928af3
	s_mov_b32 s1, 0x3e5ade15
	v_fmac_f64_e32 v[28:29], s[0:1], v[16:17]
	v_mov_b32_e32 v30, 0x623fde64
	v_mov_b32_e32 v31, 0x3ec71dee
	v_fmac_f64_e32 v[30:31], v[16:17], v[28:29]
	v_mov_b32_e32 v28, 0x7c89e6b0
	v_mov_b32_e32 v29, 0x3efa0199
	;; [unrolled: 3-line block ×8, first 2 shown]
	v_fmac_f64_e32 v[28:29], v[16:17], v[30:31]
	v_fma_f64 v[28:29], v[16:17], v[28:29], 1.0
	s_mov_b32 s0, 0
	s_mov_b32 s10, 0
	v_fma_f64 v[16:17], v[16:17], v[28:29], 1.0
	v_cvt_i32_f64_e32 v14, v[14:15]
	s_mov_b32 s1, 0x40900000
	s_mov_b32 s11, 0xc090cc00
	v_ldexp_f64 v[14:15], v[16:17], v14
	v_mov_b32_e32 v44, 0x7ff00000
	v_cmp_nlt_f64_e64 s[0:1], s[0:1], v[4:5]
	v_cmp_ngt_f64_e64 s[10:11], s[10:11], v[4:5]
	s_mov_b32 s27, 0x3fe62e42
	v_cndmask_b32_e64 v15, v44, v15, s[0:1]
	s_and_b64 s[0:1], s[10:11], s[0:1]
	v_cndmask_b32_e64 v5, 0, v15, s[10:11]
	v_cndmask_b32_e64 v4, 0, v14, s[0:1]
	v_add_f64 v[14:15], v[4:5], 1.0
	v_add_f64 v[16:17], v[14:15], -1.0
	v_add_f64 v[28:29], v[16:17], -v[14:15]
	v_add_f64 v[28:29], v[28:29], 1.0
	v_add_f64 v[16:17], v[4:5], -v[16:17]
	s_mov_b32 s0, 0x55555555
	v_add_f64 v[16:17], v[16:17], v[28:29]
	v_frexp_mant_f64_e32 v[28:29], v[14:15]
	s_mov_b32 s1, 0x3fe55555
	v_frexp_exp_i32_f64_e32 v30, v[14:15]
	v_cmp_gt_f64_e64 s[0:1], s[0:1], v[28:29]
	s_mov_b32 s29, 0x3c7abc9e
	v_cmp_ngt_f64_e64 s[10:11], -1.0, v[4:5]
	v_subbrev_co_u32_e64 v45, s[0:1], 0, v30, s[0:1]
	v_sub_u32_e32 v28, 0, v45
	v_ldexp_f64 v[14:15], v[14:15], v28
	v_ldexp_f64 v[16:17], v[16:17], v28
	v_add_f64 v[28:29], v[14:15], -1.0
	v_add_f64 v[34:35], v[14:15], 1.0
	v_add_f64 v[30:31], v[28:29], 1.0
	v_add_f64 v[36:37], v[34:35], -1.0
	v_add_f64 v[30:31], v[14:15], -v[30:31]
	v_add_f64 v[14:15], v[14:15], -v[36:37]
	v_add_f64 v[14:15], v[16:17], v[14:15]
	v_add_f64 v[30:31], v[16:17], v[30:31]
	;; [unrolled: 1-line block ×3, first 2 shown]
	v_rcp_f64_e32 v[36:37], v[16:17]
	v_add_f64 v[32:33], v[28:29], v[30:31]
	v_add_f64 v[28:29], v[32:33], -v[28:29]
	v_add_f64 v[28:29], v[30:31], -v[28:29]
	;; [unrolled: 1-line block ×4, first 2 shown]
	v_fma_f64 v[30:31], -v[16:17], v[36:37], 1.0
	v_fmac_f64_e32 v[36:37], v[30:31], v[36:37]
	v_fma_f64 v[30:31], -v[16:17], v[36:37], 1.0
	v_fmac_f64_e32 v[36:37], v[30:31], v[36:37]
	v_mul_f64 v[30:31], v[32:33], v[36:37]
	v_mul_f64 v[34:35], v[16:17], v[30:31]
	v_fma_f64 v[38:39], v[30:31], v[16:17], -v[34:35]
	v_fmac_f64_e32 v[38:39], v[30:31], v[14:15]
	v_add_f64 v[40:41], v[34:35], v[38:39]
	v_add_f64 v[42:43], v[32:33], -v[40:41]
	v_add_f64 v[32:33], v[32:33], -v[42:43]
	v_add_f64 v[34:35], v[40:41], -v[34:35]
	v_add_f64 v[32:33], v[32:33], -v[40:41]
	v_add_f64 v[28:29], v[28:29], v[32:33]
	v_add_f64 v[32:33], v[34:35], -v[38:39]
	v_add_f64 v[28:29], v[32:33], v[28:29]
	v_add_f64 v[32:33], v[42:43], v[28:29]
	v_add_f64 v[34:35], v[42:43], -v[32:33]
	v_add_f64 v[28:29], v[28:29], v[34:35]
	v_mul_f64 v[34:35], v[36:37], v[32:33]
	v_mul_f64 v[38:39], v[16:17], v[34:35]
	v_fma_f64 v[16:17], v[34:35], v[16:17], -v[38:39]
	v_fmac_f64_e32 v[16:17], v[34:35], v[14:15]
	v_add_f64 v[14:15], v[38:39], v[16:17]
	v_add_f64 v[40:41], v[32:33], -v[14:15]
	v_add_f64 v[32:33], v[32:33], -v[40:41]
	;; [unrolled: 1-line block ×4, first 2 shown]
	v_add_f64 v[14:15], v[28:29], v[14:15]
	v_add_f64 v[16:17], v[38:39], -v[16:17]
	v_add_f64 v[14:15], v[16:17], v[14:15]
	v_add_f64 v[16:17], v[30:31], v[34:35]
	;; [unrolled: 1-line block ×3, first 2 shown]
	v_add_f64 v[28:29], v[16:17], -v[30:31]
	v_mul_f64 v[14:15], v[36:37], v[14:15]
	v_add_f64 v[28:29], v[34:35], -v[28:29]
	v_add_f64 v[14:15], v[28:29], v[14:15]
	v_add_f64 v[28:29], v[16:17], v[14:15]
	v_add_f64 v[16:17], v[28:29], -v[16:17]
	s_mov_b32 s0, 0xbf559e2b
	v_add_f64 v[14:15], v[14:15], -v[16:17]
	v_mul_f64 v[16:17], v[28:29], v[28:29]
	v_mov_b32_e32 v30, 0x6b47b09a
	v_mov_b32_e32 v31, 0x3fc38538
	s_mov_b32 s1, 0x3fc3ab76
	v_fmac_f64_e32 v[30:31], s[0:1], v[16:17]
	v_mov_b32_e32 v32, 0xd7f4df2e
	v_mov_b32_e32 v33, 0x3fc7474d
	v_fmac_f64_e32 v[32:33], v[16:17], v[30:31]
	v_mov_b32_e32 v30, 0x16291751
	v_mov_b32_e32 v31, 0x3fcc71c0
	v_fmac_f64_e32 v[30:31], v[16:17], v[32:33]
	v_mov_b32_e32 v32, 0x9b27acf1
	v_mov_b32_e32 v33, 0x3fd24924
	v_fmac_f64_e32 v[32:33], v[16:17], v[30:31]
	v_mov_b32_e32 v30, 0x998ef7b6
	v_mov_b32_e32 v31, 0x3fd99999
	v_fmac_f64_e32 v[30:31], v[16:17], v[32:33]
	v_mov_b32_e32 v32, 0x55555780
	v_mov_b32_e32 v33, 0x3fe55555
	v_fmac_f64_e32 v[32:33], v[16:17], v[30:31]
	v_cvt_f64_i32_e32 v[30:31], v45
	v_mul_f64 v[34:35], v[30:31], s[26:27]
	v_fma_f64 v[36:37], v[30:31], s[26:27], -v[34:35]
	v_fmac_f64_e32 v[36:37], s[28:29], v[30:31]
	v_add_f64 v[30:31], v[34:35], v[36:37]
	v_add_f64 v[34:35], v[30:31], -v[34:35]
	v_mul_f64 v[16:17], v[28:29], v[16:17]
	v_add_f64 v[34:35], v[36:37], -v[34:35]
	v_ldexp_f64 v[36:37], v[28:29], 1
	v_mul_f64 v[16:17], v[16:17], v[32:33]
	v_add_f64 v[28:29], v[36:37], v[16:17]
	v_add_f64 v[32:33], v[28:29], -v[36:37]
	v_ldexp_f64 v[14:15], v[14:15], 1
	v_add_f64 v[16:17], v[16:17], -v[32:33]
	v_add_f64 v[14:15], v[14:15], v[16:17]
	v_add_f64 v[16:17], v[28:29], v[14:15]
	v_add_f64 v[28:29], v[16:17], -v[28:29]
	v_add_f64 v[14:15], v[14:15], -v[28:29]
	v_add_f64 v[28:29], v[30:31], v[16:17]
	v_add_f64 v[32:33], v[28:29], -v[30:31]
	v_add_f64 v[36:37], v[28:29], -v[32:33]
	;; [unrolled: 1-line block ×4, first 2 shown]
	v_add_f64 v[16:17], v[16:17], v[30:31]
	v_add_f64 v[30:31], v[34:35], v[14:15]
	v_add_f64 v[32:33], v[30:31], -v[34:35]
	v_add_f64 v[16:17], v[30:31], v[16:17]
	v_add_f64 v[36:37], v[30:31], -v[32:33]
	;; [unrolled: 2-line block ×3, first 2 shown]
	v_add_f64 v[14:15], v[14:15], -v[32:33]
	v_add_f64 v[28:29], v[30:31], -v[28:29]
	v_add_f64 v[14:15], v[14:15], v[34:35]
	v_add_f64 v[16:17], v[16:17], -v[28:29]
	s_mov_b32 s0, 0
	v_add_f64 v[14:15], v[14:15], v[16:17]
	s_mov_b32 s1, 0x7ff00000
	v_add_f64 v[14:15], v[30:31], v[14:15]
	v_cmp_neq_f64_e64 s[0:1], s[0:1], v[4:5]
	v_mov_b32_e32 v16, 0x7ff80000
	s_nop 0
	v_cndmask_b32_e64 v15, v44, v15, s[0:1]
	v_cndmask_b32_e64 v15, v16, v15, s[10:11]
	v_cmp_nge_f64_e64 s[10:11], -1.0, v[4:5]
	s_and_b64 s[0:1], s[10:11], s[0:1]
	v_cndmask_b32_e64 v14, 0, v14, s[0:1]
	v_mov_b32_e32 v16, 0xfff00000
	v_cmp_neq_f64_e64 s[0:1], -1.0, v[4:5]
	s_nop 1
	v_cndmask_b32_e64 v15, v16, v15, s[0:1]
	v_add_f64 v[4:5], v[0:1], v[14:15]
.LBB37_68:
	s_or_b64 exec, exec, s[22:23]
	v_max_f64 v[0:1], v[4:5], v[4:5]
	v_min_f64 v[14:15], v[0:1], v[20:21]
	v_cmp_u_f64_e64 s[0:1], v[4:5], v[4:5]
	v_max_f64 v[0:1], v[0:1], v[20:21]
	s_nop 0
	v_cndmask_b32_e64 v14, v14, v4, s[0:1]
	v_cndmask_b32_e64 v15, v15, v5, s[0:1]
	;; [unrolled: 1-line block ×8, first 2 shown]
	v_cmp_neq_f64_e64 s[0:1], v[14:15], v[0:1]
	v_cmp_class_f64_e64 s[10:11], v[14:15], s30
	s_or_b64 s[0:1], s[0:1], s[10:11]
	v_mov_b64_e32 v[10:11], v[4:5]
	s_and_saveexec_b64 s[12:13], s[0:1]
	s_cbranch_execz .LBB37_70
; %bb.69:
	s_mov_b32 s0, 0x652b82fe
	v_add_f64 v[10:11], v[14:15], -v[0:1]
	s_mov_b32 s1, 0x3ff71547
	v_mul_f64 v[14:15], v[10:11], s[0:1]
	v_rndne_f64_e32 v[14:15], v[14:15]
	s_mov_b32 s23, 0xbfe62e42
	s_mov_b32 s22, 0xfefa39ef
	v_fma_f64 v[16:17], s[22:23], v[14:15], v[10:11]
	s_mov_b32 s27, 0xbc7abc9e
	s_mov_b32 s26, 0x3b39803f
	;; [unrolled: 1-line block ×3, first 2 shown]
	v_fmac_f64_e32 v[16:17], s[26:27], v[14:15]
	v_mov_b32_e32 v20, 0xfca7ab0c
	v_mov_b32_e32 v21, 0x3e928af3
	s_mov_b32 s1, 0x3e5ade15
	v_fmac_f64_e32 v[20:21], s[0:1], v[16:17]
	v_mov_b32_e32 v28, 0x623fde64
	v_mov_b32_e32 v29, 0x3ec71dee
	v_fmac_f64_e32 v[28:29], v[16:17], v[20:21]
	v_mov_b32_e32 v20, 0x7c89e6b0
	v_mov_b32_e32 v21, 0x3efa0199
	;; [unrolled: 3-line block ×8, first 2 shown]
	v_fmac_f64_e32 v[20:21], v[16:17], v[28:29]
	v_fma_f64 v[20:21], v[16:17], v[20:21], 1.0
	s_mov_b32 s0, 0
	s_mov_b32 s10, 0
	v_fma_f64 v[16:17], v[16:17], v[20:21], 1.0
	v_cvt_i32_f64_e32 v14, v[14:15]
	s_mov_b32 s1, 0x40900000
	s_mov_b32 s11, 0xc090cc00
	v_ldexp_f64 v[14:15], v[16:17], v14
	v_mov_b32_e32 v42, 0x7ff00000
	v_cmp_nlt_f64_e64 s[0:1], s[0:1], v[10:11]
	v_cmp_ngt_f64_e64 s[10:11], s[10:11], v[10:11]
	s_mov_b32 s23, 0x3fe62e42
	v_cndmask_b32_e64 v15, v42, v15, s[0:1]
	s_and_b64 s[0:1], s[10:11], s[0:1]
	v_cndmask_b32_e64 v11, 0, v15, s[10:11]
	v_cndmask_b32_e64 v10, 0, v14, s[0:1]
	v_add_f64 v[14:15], v[10:11], 1.0
	v_add_f64 v[16:17], v[14:15], -1.0
	v_add_f64 v[20:21], v[16:17], -v[14:15]
	v_add_f64 v[20:21], v[20:21], 1.0
	v_add_f64 v[16:17], v[10:11], -v[16:17]
	s_mov_b32 s0, 0x55555555
	v_add_f64 v[16:17], v[16:17], v[20:21]
	v_frexp_mant_f64_e32 v[20:21], v[14:15]
	s_mov_b32 s1, 0x3fe55555
	v_frexp_exp_i32_f64_e32 v28, v[14:15]
	v_cmp_gt_f64_e64 s[0:1], s[0:1], v[20:21]
	s_mov_b32 s27, 0x3c7abc9e
	v_cmp_ngt_f64_e64 s[10:11], -1.0, v[10:11]
	v_subbrev_co_u32_e64 v43, s[0:1], 0, v28, s[0:1]
	v_sub_u32_e32 v20, 0, v43
	v_ldexp_f64 v[14:15], v[14:15], v20
	v_ldexp_f64 v[16:17], v[16:17], v20
	v_add_f64 v[20:21], v[14:15], -1.0
	v_add_f64 v[32:33], v[14:15], 1.0
	v_add_f64 v[28:29], v[20:21], 1.0
	v_add_f64 v[34:35], v[32:33], -1.0
	v_add_f64 v[28:29], v[14:15], -v[28:29]
	v_add_f64 v[14:15], v[14:15], -v[34:35]
	v_add_f64 v[14:15], v[16:17], v[14:15]
	v_add_f64 v[28:29], v[16:17], v[28:29]
	;; [unrolled: 1-line block ×3, first 2 shown]
	v_rcp_f64_e32 v[34:35], v[16:17]
	v_add_f64 v[30:31], v[20:21], v[28:29]
	v_add_f64 v[20:21], v[30:31], -v[20:21]
	v_add_f64 v[20:21], v[28:29], -v[20:21]
	;; [unrolled: 1-line block ×4, first 2 shown]
	v_fma_f64 v[28:29], -v[16:17], v[34:35], 1.0
	v_fmac_f64_e32 v[34:35], v[28:29], v[34:35]
	v_fma_f64 v[28:29], -v[16:17], v[34:35], 1.0
	v_fmac_f64_e32 v[34:35], v[28:29], v[34:35]
	v_mul_f64 v[28:29], v[30:31], v[34:35]
	v_mul_f64 v[32:33], v[16:17], v[28:29]
	v_fma_f64 v[36:37], v[28:29], v[16:17], -v[32:33]
	v_fmac_f64_e32 v[36:37], v[28:29], v[14:15]
	v_add_f64 v[38:39], v[32:33], v[36:37]
	v_add_f64 v[40:41], v[30:31], -v[38:39]
	v_add_f64 v[30:31], v[30:31], -v[40:41]
	;; [unrolled: 1-line block ×4, first 2 shown]
	v_add_f64 v[20:21], v[20:21], v[30:31]
	v_add_f64 v[30:31], v[32:33], -v[36:37]
	v_add_f64 v[20:21], v[30:31], v[20:21]
	v_add_f64 v[30:31], v[40:41], v[20:21]
	v_add_f64 v[32:33], v[40:41], -v[30:31]
	v_add_f64 v[20:21], v[20:21], v[32:33]
	v_mul_f64 v[32:33], v[34:35], v[30:31]
	v_mul_f64 v[36:37], v[16:17], v[32:33]
	v_fma_f64 v[16:17], v[32:33], v[16:17], -v[36:37]
	v_fmac_f64_e32 v[16:17], v[32:33], v[14:15]
	v_add_f64 v[14:15], v[36:37], v[16:17]
	v_add_f64 v[38:39], v[30:31], -v[14:15]
	v_add_f64 v[30:31], v[30:31], -v[38:39]
	;; [unrolled: 1-line block ×4, first 2 shown]
	v_add_f64 v[14:15], v[20:21], v[14:15]
	v_add_f64 v[16:17], v[36:37], -v[16:17]
	v_add_f64 v[14:15], v[16:17], v[14:15]
	v_add_f64 v[16:17], v[28:29], v[32:33]
	;; [unrolled: 1-line block ×3, first 2 shown]
	v_add_f64 v[20:21], v[16:17], -v[28:29]
	v_mul_f64 v[14:15], v[34:35], v[14:15]
	v_add_f64 v[20:21], v[32:33], -v[20:21]
	v_add_f64 v[14:15], v[20:21], v[14:15]
	v_add_f64 v[20:21], v[16:17], v[14:15]
	v_add_f64 v[16:17], v[20:21], -v[16:17]
	s_mov_b32 s0, 0xbf559e2b
	v_add_f64 v[14:15], v[14:15], -v[16:17]
	v_mul_f64 v[16:17], v[20:21], v[20:21]
	v_mov_b32_e32 v28, 0x6b47b09a
	v_mov_b32_e32 v29, 0x3fc38538
	s_mov_b32 s1, 0x3fc3ab76
	v_fmac_f64_e32 v[28:29], s[0:1], v[16:17]
	v_mov_b32_e32 v30, 0xd7f4df2e
	v_mov_b32_e32 v31, 0x3fc7474d
	v_fmac_f64_e32 v[30:31], v[16:17], v[28:29]
	v_mov_b32_e32 v28, 0x16291751
	v_mov_b32_e32 v29, 0x3fcc71c0
	;; [unrolled: 3-line block ×5, first 2 shown]
	v_fmac_f64_e32 v[30:31], v[16:17], v[28:29]
	v_cvt_f64_i32_e32 v[28:29], v43
	v_mul_f64 v[32:33], v[28:29], s[22:23]
	v_fma_f64 v[34:35], v[28:29], s[22:23], -v[32:33]
	v_fmac_f64_e32 v[34:35], s[26:27], v[28:29]
	v_add_f64 v[28:29], v[32:33], v[34:35]
	v_add_f64 v[32:33], v[28:29], -v[32:33]
	v_mul_f64 v[16:17], v[20:21], v[16:17]
	v_add_f64 v[32:33], v[34:35], -v[32:33]
	v_ldexp_f64 v[34:35], v[20:21], 1
	v_mul_f64 v[16:17], v[16:17], v[30:31]
	v_add_f64 v[20:21], v[34:35], v[16:17]
	v_add_f64 v[30:31], v[20:21], -v[34:35]
	v_ldexp_f64 v[14:15], v[14:15], 1
	v_add_f64 v[16:17], v[16:17], -v[30:31]
	v_add_f64 v[14:15], v[14:15], v[16:17]
	v_add_f64 v[16:17], v[20:21], v[14:15]
	v_add_f64 v[20:21], v[16:17], -v[20:21]
	v_add_f64 v[14:15], v[14:15], -v[20:21]
	v_add_f64 v[20:21], v[28:29], v[16:17]
	v_add_f64 v[30:31], v[20:21], -v[28:29]
	v_add_f64 v[34:35], v[20:21], -v[30:31]
	;; [unrolled: 1-line block ×4, first 2 shown]
	v_add_f64 v[16:17], v[16:17], v[28:29]
	v_add_f64 v[28:29], v[32:33], v[14:15]
	v_add_f64 v[30:31], v[28:29], -v[32:33]
	v_add_f64 v[16:17], v[28:29], v[16:17]
	v_add_f64 v[34:35], v[28:29], -v[30:31]
	;; [unrolled: 2-line block ×3, first 2 shown]
	v_add_f64 v[14:15], v[14:15], -v[30:31]
	v_add_f64 v[20:21], v[28:29], -v[20:21]
	v_add_f64 v[14:15], v[14:15], v[32:33]
	v_add_f64 v[16:17], v[16:17], -v[20:21]
	s_mov_b32 s0, 0
	v_add_f64 v[14:15], v[14:15], v[16:17]
	s_mov_b32 s1, 0x7ff00000
	v_add_f64 v[14:15], v[28:29], v[14:15]
	v_cmp_neq_f64_e64 s[0:1], s[0:1], v[10:11]
	v_mov_b32_e32 v16, 0x7ff80000
	s_nop 0
	v_cndmask_b32_e64 v15, v42, v15, s[0:1]
	v_cndmask_b32_e64 v15, v16, v15, s[10:11]
	v_cmp_nge_f64_e64 s[10:11], -1.0, v[10:11]
	s_and_b64 s[0:1], s[10:11], s[0:1]
	v_cndmask_b32_e64 v14, 0, v14, s[0:1]
	v_mov_b32_e32 v16, 0xfff00000
	v_cmp_neq_f64_e64 s[0:1], -1.0, v[10:11]
	s_nop 1
	v_cndmask_b32_e64 v15, v16, v15, s[0:1]
	v_add_f64 v[10:11], v[0:1], v[14:15]
.LBB37_70:
	s_or_b64 exec, exec, s[12:13]
	v_max_f64 v[0:1], v[10:11], v[10:11]
	v_min_f64 v[14:15], v[0:1], v[22:23]
	v_cmp_u_f64_e64 s[0:1], v[10:11], v[10:11]
	v_max_f64 v[0:1], v[0:1], v[22:23]
	s_movk_i32 s26, 0x1f8
	v_cndmask_b32_e64 v14, v14, v10, s[0:1]
	v_cndmask_b32_e64 v15, v15, v11, s[0:1]
	;; [unrolled: 1-line block ×8, first 2 shown]
	v_cmp_neq_f64_e64 s[0:1], v[14:15], v[0:1]
	v_cmp_class_f64_e64 s[10:11], v[14:15], s26
	s_or_b64 s[0:1], s[0:1], s[10:11]
	v_mov_b64_e32 v[12:13], v[10:11]
	s_and_saveexec_b64 s[12:13], s[0:1]
	s_cbranch_execz .LBB37_72
; %bb.71:
	s_mov_b32 s0, 0x652b82fe
	v_add_f64 v[12:13], v[14:15], -v[0:1]
	s_mov_b32 s1, 0x3ff71547
	v_mul_f64 v[14:15], v[12:13], s[0:1]
	v_rndne_f64_e32 v[14:15], v[14:15]
	s_mov_b32 s15, 0xbfe62e42
	s_mov_b32 s14, 0xfefa39ef
	v_fma_f64 v[16:17], s[14:15], v[14:15], v[12:13]
	s_mov_b32 s23, 0xbc7abc9e
	s_mov_b32 s22, 0x3b39803f
	;; [unrolled: 1-line block ×3, first 2 shown]
	v_fmac_f64_e32 v[16:17], s[22:23], v[14:15]
	v_mov_b32_e32 v20, 0xfca7ab0c
	v_mov_b32_e32 v21, 0x3e928af3
	s_mov_b32 s1, 0x3e5ade15
	v_fmac_f64_e32 v[20:21], s[0:1], v[16:17]
	v_mov_b32_e32 v22, 0x623fde64
	v_mov_b32_e32 v23, 0x3ec71dee
	v_fmac_f64_e32 v[22:23], v[16:17], v[20:21]
	v_mov_b32_e32 v20, 0x7c89e6b0
	v_mov_b32_e32 v21, 0x3efa0199
	;; [unrolled: 3-line block ×8, first 2 shown]
	v_fmac_f64_e32 v[20:21], v[16:17], v[22:23]
	v_fma_f64 v[20:21], v[16:17], v[20:21], 1.0
	s_mov_b32 s0, 0
	s_mov_b32 s10, 0
	v_fma_f64 v[16:17], v[16:17], v[20:21], 1.0
	v_cvt_i32_f64_e32 v14, v[14:15]
	s_mov_b32 s1, 0x40900000
	s_mov_b32 s11, 0xc090cc00
	v_ldexp_f64 v[14:15], v[16:17], v14
	v_mov_b32_e32 v40, 0x7ff00000
	v_cmp_nlt_f64_e64 s[0:1], s[0:1], v[12:13]
	v_cmp_ngt_f64_e64 s[10:11], s[10:11], v[12:13]
	s_mov_b32 s15, 0x3fe62e42
	v_cndmask_b32_e64 v15, v40, v15, s[0:1]
	s_and_b64 s[0:1], s[10:11], s[0:1]
	v_cndmask_b32_e64 v13, 0, v15, s[10:11]
	v_cndmask_b32_e64 v12, 0, v14, s[0:1]
	v_add_f64 v[14:15], v[12:13], 1.0
	v_add_f64 v[16:17], v[14:15], -1.0
	v_add_f64 v[20:21], v[16:17], -v[14:15]
	v_add_f64 v[20:21], v[20:21], 1.0
	v_add_f64 v[16:17], v[12:13], -v[16:17]
	s_mov_b32 s0, 0x55555555
	v_add_f64 v[16:17], v[16:17], v[20:21]
	v_frexp_mant_f64_e32 v[20:21], v[14:15]
	s_mov_b32 s1, 0x3fe55555
	v_frexp_exp_i32_f64_e32 v22, v[14:15]
	v_cmp_gt_f64_e64 s[0:1], s[0:1], v[20:21]
	s_mov_b32 s23, 0x3c7abc9e
	v_cmp_ngt_f64_e64 s[10:11], -1.0, v[12:13]
	v_subbrev_co_u32_e64 v41, s[0:1], 0, v22, s[0:1]
	v_sub_u32_e32 v20, 0, v41
	v_ldexp_f64 v[14:15], v[14:15], v20
	v_ldexp_f64 v[16:17], v[16:17], v20
	v_add_f64 v[20:21], v[14:15], -1.0
	v_add_f64 v[30:31], v[14:15], 1.0
	v_add_f64 v[22:23], v[20:21], 1.0
	v_add_f64 v[32:33], v[30:31], -1.0
	v_add_f64 v[22:23], v[14:15], -v[22:23]
	v_add_f64 v[14:15], v[14:15], -v[32:33]
	v_add_f64 v[14:15], v[16:17], v[14:15]
	v_add_f64 v[22:23], v[16:17], v[22:23]
	;; [unrolled: 1-line block ×3, first 2 shown]
	v_rcp_f64_e32 v[32:33], v[16:17]
	v_add_f64 v[28:29], v[20:21], v[22:23]
	v_add_f64 v[20:21], v[28:29], -v[20:21]
	v_add_f64 v[20:21], v[22:23], -v[20:21]
	;; [unrolled: 1-line block ×4, first 2 shown]
	v_fma_f64 v[22:23], -v[16:17], v[32:33], 1.0
	v_fmac_f64_e32 v[32:33], v[22:23], v[32:33]
	v_fma_f64 v[22:23], -v[16:17], v[32:33], 1.0
	v_fmac_f64_e32 v[32:33], v[22:23], v[32:33]
	v_mul_f64 v[22:23], v[28:29], v[32:33]
	v_mul_f64 v[30:31], v[16:17], v[22:23]
	v_fma_f64 v[34:35], v[22:23], v[16:17], -v[30:31]
	v_fmac_f64_e32 v[34:35], v[22:23], v[14:15]
	v_add_f64 v[36:37], v[30:31], v[34:35]
	v_add_f64 v[38:39], v[28:29], -v[36:37]
	v_add_f64 v[28:29], v[28:29], -v[38:39]
	;; [unrolled: 1-line block ×4, first 2 shown]
	v_add_f64 v[20:21], v[20:21], v[28:29]
	v_add_f64 v[28:29], v[30:31], -v[34:35]
	v_add_f64 v[20:21], v[28:29], v[20:21]
	v_add_f64 v[28:29], v[38:39], v[20:21]
	v_add_f64 v[30:31], v[38:39], -v[28:29]
	v_add_f64 v[20:21], v[20:21], v[30:31]
	v_mul_f64 v[30:31], v[32:33], v[28:29]
	v_mul_f64 v[34:35], v[16:17], v[30:31]
	v_fma_f64 v[16:17], v[30:31], v[16:17], -v[34:35]
	v_fmac_f64_e32 v[16:17], v[30:31], v[14:15]
	v_add_f64 v[14:15], v[34:35], v[16:17]
	v_add_f64 v[36:37], v[28:29], -v[14:15]
	v_add_f64 v[28:29], v[28:29], -v[36:37]
	;; [unrolled: 1-line block ×4, first 2 shown]
	v_add_f64 v[14:15], v[20:21], v[14:15]
	v_add_f64 v[16:17], v[34:35], -v[16:17]
	v_add_f64 v[14:15], v[16:17], v[14:15]
	v_add_f64 v[16:17], v[22:23], v[30:31]
	;; [unrolled: 1-line block ×3, first 2 shown]
	v_add_f64 v[20:21], v[16:17], -v[22:23]
	v_mul_f64 v[14:15], v[32:33], v[14:15]
	v_add_f64 v[20:21], v[30:31], -v[20:21]
	v_add_f64 v[14:15], v[20:21], v[14:15]
	v_add_f64 v[20:21], v[16:17], v[14:15]
	v_add_f64 v[16:17], v[20:21], -v[16:17]
	s_mov_b32 s0, 0xbf559e2b
	v_add_f64 v[14:15], v[14:15], -v[16:17]
	v_mul_f64 v[16:17], v[20:21], v[20:21]
	v_mov_b32_e32 v22, 0x6b47b09a
	v_mov_b32_e32 v23, 0x3fc38538
	s_mov_b32 s1, 0x3fc3ab76
	v_fmac_f64_e32 v[22:23], s[0:1], v[16:17]
	v_mov_b32_e32 v28, 0xd7f4df2e
	v_mov_b32_e32 v29, 0x3fc7474d
	v_fmac_f64_e32 v[28:29], v[16:17], v[22:23]
	v_mov_b32_e32 v22, 0x16291751
	v_mov_b32_e32 v23, 0x3fcc71c0
	;; [unrolled: 3-line block ×5, first 2 shown]
	v_fmac_f64_e32 v[28:29], v[16:17], v[22:23]
	v_cvt_f64_i32_e32 v[22:23], v41
	v_mul_f64 v[30:31], v[22:23], s[14:15]
	v_fma_f64 v[32:33], v[22:23], s[14:15], -v[30:31]
	v_fmac_f64_e32 v[32:33], s[22:23], v[22:23]
	v_add_f64 v[22:23], v[30:31], v[32:33]
	v_add_f64 v[30:31], v[22:23], -v[30:31]
	v_mul_f64 v[16:17], v[20:21], v[16:17]
	v_add_f64 v[30:31], v[32:33], -v[30:31]
	v_ldexp_f64 v[32:33], v[20:21], 1
	v_mul_f64 v[16:17], v[16:17], v[28:29]
	v_add_f64 v[20:21], v[32:33], v[16:17]
	v_add_f64 v[28:29], v[20:21], -v[32:33]
	v_ldexp_f64 v[14:15], v[14:15], 1
	v_add_f64 v[16:17], v[16:17], -v[28:29]
	v_add_f64 v[14:15], v[14:15], v[16:17]
	v_add_f64 v[16:17], v[20:21], v[14:15]
	v_add_f64 v[20:21], v[16:17], -v[20:21]
	v_add_f64 v[14:15], v[14:15], -v[20:21]
	v_add_f64 v[20:21], v[22:23], v[16:17]
	v_add_f64 v[28:29], v[20:21], -v[22:23]
	v_add_f64 v[32:33], v[20:21], -v[28:29]
	;; [unrolled: 1-line block ×4, first 2 shown]
	v_add_f64 v[16:17], v[16:17], v[22:23]
	v_add_f64 v[22:23], v[30:31], v[14:15]
	v_add_f64 v[28:29], v[22:23], -v[30:31]
	v_add_f64 v[16:17], v[22:23], v[16:17]
	v_add_f64 v[32:33], v[22:23], -v[28:29]
	;; [unrolled: 2-line block ×3, first 2 shown]
	v_add_f64 v[14:15], v[14:15], -v[28:29]
	v_add_f64 v[20:21], v[22:23], -v[20:21]
	v_add_f64 v[14:15], v[14:15], v[30:31]
	v_add_f64 v[16:17], v[16:17], -v[20:21]
	s_mov_b32 s0, 0
	v_add_f64 v[14:15], v[14:15], v[16:17]
	s_mov_b32 s1, 0x7ff00000
	v_add_f64 v[14:15], v[22:23], v[14:15]
	v_cmp_neq_f64_e64 s[0:1], s[0:1], v[12:13]
	v_mov_b32_e32 v16, 0x7ff80000
	s_nop 0
	v_cndmask_b32_e64 v15, v40, v15, s[0:1]
	v_cndmask_b32_e64 v15, v16, v15, s[10:11]
	v_cmp_nge_f64_e64 s[10:11], -1.0, v[12:13]
	s_and_b64 s[0:1], s[10:11], s[0:1]
	v_cndmask_b32_e64 v14, 0, v14, s[0:1]
	v_mov_b32_e32 v16, 0xfff00000
	v_cmp_neq_f64_e64 s[0:1], -1.0, v[12:13]
	s_nop 1
	v_cndmask_b32_e64 v15, v16, v15, s[0:1]
	v_add_f64 v[12:13], v[0:1], v[14:15]
.LBB37_72:
	s_or_b64 exec, exec, s[12:13]
	v_max_f64 v[0:1], v[12:13], v[12:13]
	v_min_f64 v[14:15], v[0:1], v[24:25]
	v_cmp_u_f64_e64 s[0:1], v[12:13], v[12:13]
	v_max_f64 v[0:1], v[0:1], v[24:25]
	s_nop 0
	v_cndmask_b32_e64 v14, v14, v12, s[0:1]
	v_cndmask_b32_e64 v15, v15, v13, s[0:1]
	;; [unrolled: 1-line block ×8, first 2 shown]
	v_cmp_neq_f64_e64 s[0:1], v[14:15], v[0:1]
	v_cmp_class_f64_e64 s[10:11], v[14:15], s26
	s_or_b64 s[0:1], s[0:1], s[10:11]
	v_mov_b64_e32 v[6:7], v[12:13]
	s_and_saveexec_b64 s[12:13], s[0:1]
	s_cbranch_execz .LBB37_74
; %bb.73:
	s_mov_b32 s0, 0x652b82fe
	v_add_f64 v[6:7], v[14:15], -v[0:1]
	s_mov_b32 s1, 0x3ff71547
	v_mul_f64 v[14:15], v[6:7], s[0:1]
	v_rndne_f64_e32 v[14:15], v[14:15]
	s_mov_b32 s15, 0xbfe62e42
	s_mov_b32 s14, 0xfefa39ef
	v_fma_f64 v[16:17], s[14:15], v[14:15], v[6:7]
	s_mov_b32 s17, 0xbc7abc9e
	s_mov_b32 s16, 0x3b39803f
	;; [unrolled: 1-line block ×3, first 2 shown]
	v_fmac_f64_e32 v[16:17], s[16:17], v[14:15]
	v_mov_b32_e32 v20, 0xfca7ab0c
	v_mov_b32_e32 v21, 0x3e928af3
	s_mov_b32 s1, 0x3e5ade15
	v_fmac_f64_e32 v[20:21], s[0:1], v[16:17]
	v_mov_b32_e32 v22, 0x623fde64
	v_mov_b32_e32 v23, 0x3ec71dee
	v_fmac_f64_e32 v[22:23], v[16:17], v[20:21]
	v_mov_b32_e32 v20, 0x7c89e6b0
	v_mov_b32_e32 v21, 0x3efa0199
	;; [unrolled: 3-line block ×8, first 2 shown]
	v_fmac_f64_e32 v[20:21], v[16:17], v[22:23]
	v_fma_f64 v[20:21], v[16:17], v[20:21], 1.0
	s_mov_b32 s0, 0
	s_mov_b32 s10, 0
	v_fma_f64 v[16:17], v[16:17], v[20:21], 1.0
	v_cvt_i32_f64_e32 v14, v[14:15]
	s_mov_b32 s1, 0x40900000
	s_mov_b32 s11, 0xc090cc00
	v_ldexp_f64 v[14:15], v[16:17], v14
	v_mov_b32_e32 v38, 0x7ff00000
	v_cmp_nlt_f64_e64 s[0:1], s[0:1], v[6:7]
	v_cmp_ngt_f64_e64 s[10:11], s[10:11], v[6:7]
	s_mov_b32 s15, 0x3fe62e42
	v_cndmask_b32_e64 v15, v38, v15, s[0:1]
	s_and_b64 s[0:1], s[10:11], s[0:1]
	v_cndmask_b32_e64 v7, 0, v15, s[10:11]
	v_cndmask_b32_e64 v6, 0, v14, s[0:1]
	v_add_f64 v[14:15], v[6:7], 1.0
	v_add_f64 v[16:17], v[14:15], -1.0
	v_add_f64 v[20:21], v[16:17], -v[14:15]
	v_add_f64 v[20:21], v[20:21], 1.0
	v_add_f64 v[16:17], v[6:7], -v[16:17]
	s_mov_b32 s0, 0x55555555
	v_add_f64 v[16:17], v[16:17], v[20:21]
	v_frexp_mant_f64_e32 v[20:21], v[14:15]
	s_mov_b32 s1, 0x3fe55555
	v_frexp_exp_i32_f64_e32 v22, v[14:15]
	v_cmp_gt_f64_e64 s[0:1], s[0:1], v[20:21]
	s_mov_b32 s17, 0x3c7abc9e
	v_cmp_ngt_f64_e64 s[10:11], -1.0, v[6:7]
	v_subbrev_co_u32_e64 v39, s[0:1], 0, v22, s[0:1]
	v_sub_u32_e32 v20, 0, v39
	v_ldexp_f64 v[14:15], v[14:15], v20
	v_ldexp_f64 v[16:17], v[16:17], v20
	v_add_f64 v[20:21], v[14:15], -1.0
	v_add_f64 v[28:29], v[14:15], 1.0
	v_add_f64 v[22:23], v[20:21], 1.0
	v_add_f64 v[30:31], v[28:29], -1.0
	v_add_f64 v[22:23], v[14:15], -v[22:23]
	v_add_f64 v[14:15], v[14:15], -v[30:31]
	v_add_f64 v[14:15], v[16:17], v[14:15]
	v_add_f64 v[22:23], v[16:17], v[22:23]
	;; [unrolled: 1-line block ×3, first 2 shown]
	v_rcp_f64_e32 v[30:31], v[16:17]
	v_add_f64 v[24:25], v[20:21], v[22:23]
	v_add_f64 v[20:21], v[24:25], -v[20:21]
	v_add_f64 v[20:21], v[22:23], -v[20:21]
	;; [unrolled: 1-line block ×4, first 2 shown]
	v_fma_f64 v[22:23], -v[16:17], v[30:31], 1.0
	v_fmac_f64_e32 v[30:31], v[22:23], v[30:31]
	v_fma_f64 v[22:23], -v[16:17], v[30:31], 1.0
	v_fmac_f64_e32 v[30:31], v[22:23], v[30:31]
	v_mul_f64 v[22:23], v[24:25], v[30:31]
	v_mul_f64 v[28:29], v[16:17], v[22:23]
	v_fma_f64 v[32:33], v[22:23], v[16:17], -v[28:29]
	v_fmac_f64_e32 v[32:33], v[22:23], v[14:15]
	v_add_f64 v[34:35], v[28:29], v[32:33]
	v_add_f64 v[36:37], v[24:25], -v[34:35]
	v_add_f64 v[24:25], v[24:25], -v[36:37]
	;; [unrolled: 1-line block ×4, first 2 shown]
	v_add_f64 v[20:21], v[20:21], v[24:25]
	v_add_f64 v[24:25], v[28:29], -v[32:33]
	v_add_f64 v[20:21], v[24:25], v[20:21]
	v_add_f64 v[24:25], v[36:37], v[20:21]
	v_add_f64 v[28:29], v[36:37], -v[24:25]
	v_add_f64 v[20:21], v[20:21], v[28:29]
	v_mul_f64 v[28:29], v[30:31], v[24:25]
	v_mul_f64 v[32:33], v[16:17], v[28:29]
	v_fma_f64 v[16:17], v[28:29], v[16:17], -v[32:33]
	v_fmac_f64_e32 v[16:17], v[28:29], v[14:15]
	v_add_f64 v[14:15], v[32:33], v[16:17]
	v_add_f64 v[34:35], v[24:25], -v[14:15]
	v_add_f64 v[24:25], v[24:25], -v[34:35]
	;; [unrolled: 1-line block ×4, first 2 shown]
	v_add_f64 v[14:15], v[20:21], v[14:15]
	v_add_f64 v[16:17], v[32:33], -v[16:17]
	v_add_f64 v[14:15], v[16:17], v[14:15]
	v_add_f64 v[16:17], v[22:23], v[28:29]
	;; [unrolled: 1-line block ×3, first 2 shown]
	v_add_f64 v[20:21], v[16:17], -v[22:23]
	v_mul_f64 v[14:15], v[30:31], v[14:15]
	v_add_f64 v[20:21], v[28:29], -v[20:21]
	v_add_f64 v[14:15], v[20:21], v[14:15]
	v_add_f64 v[20:21], v[16:17], v[14:15]
	v_add_f64 v[16:17], v[20:21], -v[16:17]
	s_mov_b32 s0, 0xbf559e2b
	v_add_f64 v[14:15], v[14:15], -v[16:17]
	v_mul_f64 v[16:17], v[20:21], v[20:21]
	v_mov_b32_e32 v22, 0x6b47b09a
	v_mov_b32_e32 v23, 0x3fc38538
	s_mov_b32 s1, 0x3fc3ab76
	v_fmac_f64_e32 v[22:23], s[0:1], v[16:17]
	v_mov_b32_e32 v24, 0xd7f4df2e
	v_mov_b32_e32 v25, 0x3fc7474d
	v_fmac_f64_e32 v[24:25], v[16:17], v[22:23]
	v_mov_b32_e32 v22, 0x16291751
	v_mov_b32_e32 v23, 0x3fcc71c0
	;; [unrolled: 3-line block ×5, first 2 shown]
	v_fmac_f64_e32 v[24:25], v[16:17], v[22:23]
	v_cvt_f64_i32_e32 v[22:23], v39
	v_mul_f64 v[28:29], v[22:23], s[14:15]
	v_fma_f64 v[30:31], v[22:23], s[14:15], -v[28:29]
	v_fmac_f64_e32 v[30:31], s[16:17], v[22:23]
	v_add_f64 v[22:23], v[28:29], v[30:31]
	v_add_f64 v[28:29], v[22:23], -v[28:29]
	v_mul_f64 v[16:17], v[20:21], v[16:17]
	v_add_f64 v[28:29], v[30:31], -v[28:29]
	v_ldexp_f64 v[30:31], v[20:21], 1
	v_mul_f64 v[16:17], v[16:17], v[24:25]
	v_add_f64 v[20:21], v[30:31], v[16:17]
	v_add_f64 v[24:25], v[20:21], -v[30:31]
	v_ldexp_f64 v[14:15], v[14:15], 1
	v_add_f64 v[16:17], v[16:17], -v[24:25]
	v_add_f64 v[14:15], v[14:15], v[16:17]
	v_add_f64 v[16:17], v[20:21], v[14:15]
	v_add_f64 v[20:21], v[16:17], -v[20:21]
	v_add_f64 v[14:15], v[14:15], -v[20:21]
	v_add_f64 v[20:21], v[22:23], v[16:17]
	v_add_f64 v[24:25], v[20:21], -v[22:23]
	v_add_f64 v[30:31], v[20:21], -v[24:25]
	;; [unrolled: 1-line block ×4, first 2 shown]
	v_add_f64 v[16:17], v[16:17], v[22:23]
	v_add_f64 v[22:23], v[28:29], v[14:15]
	v_add_f64 v[24:25], v[22:23], -v[28:29]
	v_add_f64 v[16:17], v[22:23], v[16:17]
	v_add_f64 v[30:31], v[22:23], -v[24:25]
	;; [unrolled: 2-line block ×3, first 2 shown]
	v_add_f64 v[14:15], v[14:15], -v[24:25]
	v_add_f64 v[20:21], v[22:23], -v[20:21]
	v_add_f64 v[14:15], v[14:15], v[28:29]
	v_add_f64 v[16:17], v[16:17], -v[20:21]
	s_mov_b32 s0, 0
	v_add_f64 v[14:15], v[14:15], v[16:17]
	s_mov_b32 s1, 0x7ff00000
	v_add_f64 v[14:15], v[22:23], v[14:15]
	v_cmp_neq_f64_e64 s[0:1], s[0:1], v[6:7]
	v_mov_b32_e32 v16, 0x7ff80000
	s_nop 0
	v_cndmask_b32_e64 v15, v38, v15, s[0:1]
	v_cndmask_b32_e64 v15, v16, v15, s[10:11]
	v_cmp_nge_f64_e64 s[10:11], -1.0, v[6:7]
	s_and_b64 s[0:1], s[10:11], s[0:1]
	v_cndmask_b32_e64 v14, 0, v14, s[0:1]
	v_mov_b32_e32 v16, 0xfff00000
	v_cmp_neq_f64_e64 s[0:1], -1.0, v[6:7]
	s_nop 1
	v_cndmask_b32_e64 v15, v16, v15, s[0:1]
	v_add_f64 v[6:7], v[0:1], v[14:15]
.LBB37_74:
	s_or_b64 exec, exec, s[12:13]
	v_max_f64 v[0:1], v[6:7], v[6:7]
	v_min_f64 v[14:15], v[0:1], v[26:27]
	v_cmp_u_f64_e64 s[0:1], v[6:7], v[6:7]
	v_max_f64 v[0:1], v[0:1], v[26:27]
	s_movk_i32 s10, 0x1f8
	v_cndmask_b32_e64 v14, v14, v6, s[0:1]
	v_cndmask_b32_e64 v15, v15, v7, s[0:1]
	;; [unrolled: 1-line block ×8, first 2 shown]
	v_cmp_neq_f64_e64 s[0:1], v[14:15], v[0:1]
	v_cmp_class_f64_e64 s[10:11], v[14:15], s10
	s_or_b64 s[0:1], s[0:1], s[10:11]
	v_mov_b64_e32 v[8:9], v[6:7]
	s_and_saveexec_b64 s[12:13], s[0:1]
	s_cbranch_execz .LBB37_76
; %bb.75:
	s_mov_b32 s0, 0x652b82fe
	v_add_f64 v[8:9], v[14:15], -v[0:1]
	s_mov_b32 s1, 0x3ff71547
	v_mul_f64 v[14:15], v[8:9], s[0:1]
	v_rndne_f64_e32 v[14:15], v[14:15]
	s_mov_b32 s15, 0xbfe62e42
	s_mov_b32 s14, 0xfefa39ef
	v_fma_f64 v[16:17], s[14:15], v[14:15], v[8:9]
	s_mov_b32 s17, 0xbc7abc9e
	s_mov_b32 s16, 0x3b39803f
	;; [unrolled: 1-line block ×3, first 2 shown]
	v_fmac_f64_e32 v[16:17], s[16:17], v[14:15]
	v_mov_b32_e32 v20, 0xfca7ab0c
	v_mov_b32_e32 v21, 0x3e928af3
	s_mov_b32 s1, 0x3e5ade15
	v_fmac_f64_e32 v[20:21], s[0:1], v[16:17]
	v_mov_b32_e32 v22, 0x623fde64
	v_mov_b32_e32 v23, 0x3ec71dee
	v_fmac_f64_e32 v[22:23], v[16:17], v[20:21]
	v_mov_b32_e32 v20, 0x7c89e6b0
	v_mov_b32_e32 v21, 0x3efa0199
	;; [unrolled: 3-line block ×8, first 2 shown]
	v_fmac_f64_e32 v[20:21], v[16:17], v[22:23]
	v_fma_f64 v[20:21], v[16:17], v[20:21], 1.0
	s_mov_b32 s0, 0
	s_mov_b32 s10, 0
	v_fma_f64 v[16:17], v[16:17], v[20:21], 1.0
	v_cvt_i32_f64_e32 v14, v[14:15]
	s_mov_b32 s1, 0x40900000
	s_mov_b32 s11, 0xc090cc00
	v_ldexp_f64 v[14:15], v[16:17], v14
	v_mov_b32_e32 v36, 0x7ff00000
	v_cmp_nlt_f64_e64 s[0:1], s[0:1], v[8:9]
	v_cmp_ngt_f64_e64 s[10:11], s[10:11], v[8:9]
	s_mov_b32 s15, 0x3fe62e42
	v_cndmask_b32_e64 v15, v36, v15, s[0:1]
	s_and_b64 s[0:1], s[10:11], s[0:1]
	v_cndmask_b32_e64 v9, 0, v15, s[10:11]
	v_cndmask_b32_e64 v8, 0, v14, s[0:1]
	v_add_f64 v[14:15], v[8:9], 1.0
	v_add_f64 v[16:17], v[14:15], -1.0
	v_add_f64 v[20:21], v[16:17], -v[14:15]
	v_add_f64 v[20:21], v[20:21], 1.0
	v_add_f64 v[16:17], v[8:9], -v[16:17]
	s_mov_b32 s0, 0x55555555
	v_add_f64 v[16:17], v[16:17], v[20:21]
	v_frexp_mant_f64_e32 v[20:21], v[14:15]
	s_mov_b32 s1, 0x3fe55555
	v_frexp_exp_i32_f64_e32 v22, v[14:15]
	v_cmp_gt_f64_e64 s[0:1], s[0:1], v[20:21]
	s_mov_b32 s17, 0x3c7abc9e
	v_cmp_ngt_f64_e64 s[10:11], -1.0, v[8:9]
	v_subbrev_co_u32_e64 v37, s[0:1], 0, v22, s[0:1]
	v_sub_u32_e32 v20, 0, v37
	v_ldexp_f64 v[14:15], v[14:15], v20
	v_ldexp_f64 v[16:17], v[16:17], v20
	v_add_f64 v[20:21], v[14:15], -1.0
	v_add_f64 v[26:27], v[14:15], 1.0
	v_add_f64 v[22:23], v[20:21], 1.0
	v_add_f64 v[28:29], v[26:27], -1.0
	v_add_f64 v[22:23], v[14:15], -v[22:23]
	v_add_f64 v[14:15], v[14:15], -v[28:29]
	v_add_f64 v[14:15], v[16:17], v[14:15]
	v_add_f64 v[22:23], v[16:17], v[22:23]
	;; [unrolled: 1-line block ×3, first 2 shown]
	v_rcp_f64_e32 v[28:29], v[16:17]
	v_add_f64 v[24:25], v[20:21], v[22:23]
	v_add_f64 v[20:21], v[24:25], -v[20:21]
	v_add_f64 v[20:21], v[22:23], -v[20:21]
	;; [unrolled: 1-line block ×4, first 2 shown]
	v_fma_f64 v[22:23], -v[16:17], v[28:29], 1.0
	v_fmac_f64_e32 v[28:29], v[22:23], v[28:29]
	v_fma_f64 v[22:23], -v[16:17], v[28:29], 1.0
	v_fmac_f64_e32 v[28:29], v[22:23], v[28:29]
	v_mul_f64 v[22:23], v[24:25], v[28:29]
	v_mul_f64 v[26:27], v[16:17], v[22:23]
	v_fma_f64 v[30:31], v[22:23], v[16:17], -v[26:27]
	v_fmac_f64_e32 v[30:31], v[22:23], v[14:15]
	v_add_f64 v[32:33], v[26:27], v[30:31]
	v_add_f64 v[34:35], v[24:25], -v[32:33]
	v_add_f64 v[24:25], v[24:25], -v[34:35]
	;; [unrolled: 1-line block ×4, first 2 shown]
	v_add_f64 v[20:21], v[20:21], v[24:25]
	v_add_f64 v[24:25], v[26:27], -v[30:31]
	v_add_f64 v[20:21], v[24:25], v[20:21]
	v_add_f64 v[24:25], v[34:35], v[20:21]
	v_add_f64 v[26:27], v[34:35], -v[24:25]
	v_add_f64 v[20:21], v[20:21], v[26:27]
	v_mul_f64 v[26:27], v[28:29], v[24:25]
	v_mul_f64 v[30:31], v[16:17], v[26:27]
	v_fma_f64 v[16:17], v[26:27], v[16:17], -v[30:31]
	v_fmac_f64_e32 v[16:17], v[26:27], v[14:15]
	v_add_f64 v[14:15], v[30:31], v[16:17]
	v_add_f64 v[32:33], v[24:25], -v[14:15]
	v_add_f64 v[24:25], v[24:25], -v[32:33]
	;; [unrolled: 1-line block ×4, first 2 shown]
	v_add_f64 v[14:15], v[20:21], v[14:15]
	v_add_f64 v[16:17], v[30:31], -v[16:17]
	v_add_f64 v[14:15], v[16:17], v[14:15]
	v_add_f64 v[16:17], v[22:23], v[26:27]
	;; [unrolled: 1-line block ×3, first 2 shown]
	v_add_f64 v[20:21], v[16:17], -v[22:23]
	v_mul_f64 v[14:15], v[28:29], v[14:15]
	v_add_f64 v[20:21], v[26:27], -v[20:21]
	v_add_f64 v[14:15], v[20:21], v[14:15]
	v_add_f64 v[20:21], v[16:17], v[14:15]
	v_add_f64 v[16:17], v[20:21], -v[16:17]
	s_mov_b32 s0, 0xbf559e2b
	v_add_f64 v[14:15], v[14:15], -v[16:17]
	v_mul_f64 v[16:17], v[20:21], v[20:21]
	v_mov_b32_e32 v22, 0x6b47b09a
	v_mov_b32_e32 v23, 0x3fc38538
	s_mov_b32 s1, 0x3fc3ab76
	v_fmac_f64_e32 v[22:23], s[0:1], v[16:17]
	v_mov_b32_e32 v24, 0xd7f4df2e
	v_mov_b32_e32 v25, 0x3fc7474d
	v_fmac_f64_e32 v[24:25], v[16:17], v[22:23]
	v_mov_b32_e32 v22, 0x16291751
	v_mov_b32_e32 v23, 0x3fcc71c0
	;; [unrolled: 3-line block ×5, first 2 shown]
	v_fmac_f64_e32 v[24:25], v[16:17], v[22:23]
	v_cvt_f64_i32_e32 v[22:23], v37
	v_mul_f64 v[26:27], v[22:23], s[14:15]
	v_fma_f64 v[28:29], v[22:23], s[14:15], -v[26:27]
	v_fmac_f64_e32 v[28:29], s[16:17], v[22:23]
	v_add_f64 v[22:23], v[26:27], v[28:29]
	v_add_f64 v[26:27], v[22:23], -v[26:27]
	v_mul_f64 v[16:17], v[20:21], v[16:17]
	v_add_f64 v[26:27], v[28:29], -v[26:27]
	v_ldexp_f64 v[28:29], v[20:21], 1
	v_mul_f64 v[16:17], v[16:17], v[24:25]
	v_add_f64 v[20:21], v[28:29], v[16:17]
	v_add_f64 v[24:25], v[20:21], -v[28:29]
	v_ldexp_f64 v[14:15], v[14:15], 1
	v_add_f64 v[16:17], v[16:17], -v[24:25]
	v_add_f64 v[14:15], v[14:15], v[16:17]
	v_add_f64 v[16:17], v[20:21], v[14:15]
	v_add_f64 v[20:21], v[16:17], -v[20:21]
	v_add_f64 v[14:15], v[14:15], -v[20:21]
	v_add_f64 v[20:21], v[22:23], v[16:17]
	v_add_f64 v[24:25], v[20:21], -v[22:23]
	v_add_f64 v[28:29], v[20:21], -v[24:25]
	;; [unrolled: 1-line block ×4, first 2 shown]
	v_add_f64 v[16:17], v[16:17], v[22:23]
	v_add_f64 v[22:23], v[26:27], v[14:15]
	v_add_f64 v[24:25], v[22:23], -v[26:27]
	v_add_f64 v[16:17], v[22:23], v[16:17]
	v_add_f64 v[28:29], v[22:23], -v[24:25]
	;; [unrolled: 2-line block ×3, first 2 shown]
	v_add_f64 v[14:15], v[14:15], -v[24:25]
	v_add_f64 v[20:21], v[22:23], -v[20:21]
	v_add_f64 v[14:15], v[14:15], v[26:27]
	v_add_f64 v[16:17], v[16:17], -v[20:21]
	s_mov_b32 s0, 0
	v_add_f64 v[14:15], v[14:15], v[16:17]
	s_mov_b32 s1, 0x7ff00000
	v_add_f64 v[14:15], v[22:23], v[14:15]
	v_cmp_neq_f64_e64 s[0:1], s[0:1], v[8:9]
	v_mov_b32_e32 v16, 0x7ff80000
	s_nop 0
	v_cndmask_b32_e64 v15, v36, v15, s[0:1]
	v_cndmask_b32_e64 v15, v16, v15, s[10:11]
	v_cmp_nge_f64_e64 s[10:11], -1.0, v[8:9]
	s_and_b64 s[0:1], s[10:11], s[0:1]
	v_cndmask_b32_e64 v14, 0, v14, s[0:1]
	v_mov_b32_e32 v16, 0xfff00000
	v_cmp_neq_f64_e64 s[0:1], -1.0, v[8:9]
	s_nop 1
	v_cndmask_b32_e64 v15, v16, v15, s[0:1]
	v_add_f64 v[8:9], v[0:1], v[14:15]
.LBB37_76:
	s_or_b64 exec, exec, s[12:13]
	v_add_u32_e32 v0, v18, v19
	s_barrier
	ds_write_b128 v0, v[2:5]
	ds_write_b128 v0, v[10:13] offset:16
	ds_write_b128 v0, v[6:9] offset:32
	s_waitcnt lgkmcnt(0)
	s_barrier
	ds_read2st64_b64 v[4:7], v18 offset0:4 offset1:8
	ds_read2st64_b64 v[0:3], v18 offset0:12 offset1:16
	ds_read_b64 v[8:9], v18 offset:10240
	v_mov_b32_e32 v19, 0
	v_lshl_add_u64 v[10:11], s[24:25], 0, v[18:19]
	s_and_saveexec_b64 s[0:1], vcc
	s_cbranch_execnz .LBB37_83
; %bb.77:
	s_or_b64 exec, exec, s[0:1]
	s_and_saveexec_b64 s[0:1], s[20:21]
	s_cbranch_execnz .LBB37_84
.LBB37_78:
	s_or_b64 exec, exec, s[0:1]
	s_and_saveexec_b64 s[0:1], s[2:3]
	s_cbranch_execnz .LBB37_85
.LBB37_79:
	s_or_b64 exec, exec, s[0:1]
	s_and_saveexec_b64 s[0:1], s[4:5]
	s_cbranch_execnz .LBB37_86
.LBB37_80:
	s_or_b64 exec, exec, s[0:1]
	s_and_saveexec_b64 s[0:1], s[6:7]
	s_cbranch_execnz .LBB37_87
.LBB37_81:
	s_or_b64 exec, exec, s[0:1]
	s_and_saveexec_b64 s[0:1], s[8:9]
	s_cbranch_execnz .LBB37_88
.LBB37_82:
	s_endpgm
.LBB37_83:
	ds_read_b64 v[12:13], v18
	s_waitcnt lgkmcnt(0)
	global_store_dwordx2 v[10:11], v[12:13], off
	s_or_b64 exec, exec, s[0:1]
	s_and_saveexec_b64 s[0:1], s[20:21]
	s_cbranch_execz .LBB37_78
.LBB37_84:
	s_waitcnt lgkmcnt(2)
	global_store_dwordx2 v[10:11], v[4:5], off offset:2048
	s_or_b64 exec, exec, s[0:1]
	s_and_saveexec_b64 s[0:1], s[2:3]
	s_cbranch_execz .LBB37_79
.LBB37_85:
	s_waitcnt lgkmcnt(2)
	v_add_co_u32_e32 v4, vcc, 0x1000, v10
	s_nop 1
	v_addc_co_u32_e32 v5, vcc, 0, v11, vcc
	global_store_dwordx2 v[4:5], v[6:7], off
	s_or_b64 exec, exec, s[0:1]
	s_and_saveexec_b64 s[0:1], s[4:5]
	s_cbranch_execz .LBB37_80
.LBB37_86:
	s_waitcnt lgkmcnt(2)
	v_add_co_u32_e32 v4, vcc, 0x1000, v10
	s_nop 1
	v_addc_co_u32_e32 v5, vcc, 0, v11, vcc
	s_waitcnt lgkmcnt(1)
	global_store_dwordx2 v[4:5], v[0:1], off offset:2048
	s_or_b64 exec, exec, s[0:1]
	s_and_saveexec_b64 s[0:1], s[6:7]
	s_cbranch_execz .LBB37_81
.LBB37_87:
	s_waitcnt lgkmcnt(1)
	v_add_co_u32_e32 v0, vcc, 0x2000, v10
	s_nop 1
	v_addc_co_u32_e32 v1, vcc, 0, v11, vcc
	global_store_dwordx2 v[0:1], v[2:3], off
	s_or_b64 exec, exec, s[0:1]
	s_and_saveexec_b64 s[0:1], s[8:9]
	s_cbranch_execz .LBB37_82
.LBB37_88:
	s_waitcnt lgkmcnt(1)
	v_add_co_u32_e32 v0, vcc, 0x2000, v10
	s_nop 1
	v_addc_co_u32_e32 v1, vcc, 0, v11, vcc
	s_waitcnt lgkmcnt(0)
	global_store_dwordx2 v[0:1], v[8:9], off offset:2048
	s_endpgm
	.section	.rodata,"a",@progbits
	.p2align	6, 0x0
	.amdhsa_kernel _ZN7rocprim17ROCPRIM_400000_NS6detail17trampoline_kernelINS0_14default_configENS1_20scan_config_selectorIdEEZZNS1_9scan_implILNS1_25lookback_scan_determinismE0ELb0ELb0ES3_PKdPddZZZN2at6native31launch_logcumsumexp_cuda_kernelERKNSB_10TensorBaseESF_lENKUlvE_clEvENKUlvE_clEvEUlddE_dEEDaPvRmT3_T4_T5_mT6_P12ihipStream_tbENKUlT_T0_E_clISt17integral_constantIbLb1EESW_EEDaSR_SS_EUlSR_E0_NS1_11comp_targetILNS1_3genE0ELNS1_11target_archE4294967295ELNS1_3gpuE0ELNS1_3repE0EEENS1_30default_config_static_selectorELNS0_4arch9wavefront6targetE1EEEvT1_
		.amdhsa_group_segment_fixed_size 12288
		.amdhsa_private_segment_fixed_size 0
		.amdhsa_kernarg_size 40
		.amdhsa_user_sgpr_count 2
		.amdhsa_user_sgpr_dispatch_ptr 0
		.amdhsa_user_sgpr_queue_ptr 0
		.amdhsa_user_sgpr_kernarg_segment_ptr 1
		.amdhsa_user_sgpr_dispatch_id 0
		.amdhsa_user_sgpr_kernarg_preload_length 0
		.amdhsa_user_sgpr_kernarg_preload_offset 0
		.amdhsa_user_sgpr_private_segment_size 0
		.amdhsa_uses_dynamic_stack 0
		.amdhsa_enable_private_segment 0
		.amdhsa_system_sgpr_workgroup_id_x 1
		.amdhsa_system_sgpr_workgroup_id_y 0
		.amdhsa_system_sgpr_workgroup_id_z 0
		.amdhsa_system_sgpr_workgroup_info 0
		.amdhsa_system_vgpr_workitem_id 0
		.amdhsa_next_free_vgpr 65
		.amdhsa_next_free_sgpr 42
		.amdhsa_accum_offset 68
		.amdhsa_reserve_vcc 1
		.amdhsa_float_round_mode_32 0
		.amdhsa_float_round_mode_16_64 0
		.amdhsa_float_denorm_mode_32 3
		.amdhsa_float_denorm_mode_16_64 3
		.amdhsa_dx10_clamp 1
		.amdhsa_ieee_mode 1
		.amdhsa_fp16_overflow 0
		.amdhsa_tg_split 0
		.amdhsa_exception_fp_ieee_invalid_op 0
		.amdhsa_exception_fp_denorm_src 0
		.amdhsa_exception_fp_ieee_div_zero 0
		.amdhsa_exception_fp_ieee_overflow 0
		.amdhsa_exception_fp_ieee_underflow 0
		.amdhsa_exception_fp_ieee_inexact 0
		.amdhsa_exception_int_div_zero 0
	.end_amdhsa_kernel
	.section	.text._ZN7rocprim17ROCPRIM_400000_NS6detail17trampoline_kernelINS0_14default_configENS1_20scan_config_selectorIdEEZZNS1_9scan_implILNS1_25lookback_scan_determinismE0ELb0ELb0ES3_PKdPddZZZN2at6native31launch_logcumsumexp_cuda_kernelERKNSB_10TensorBaseESF_lENKUlvE_clEvENKUlvE_clEvEUlddE_dEEDaPvRmT3_T4_T5_mT6_P12ihipStream_tbENKUlT_T0_E_clISt17integral_constantIbLb1EESW_EEDaSR_SS_EUlSR_E0_NS1_11comp_targetILNS1_3genE0ELNS1_11target_archE4294967295ELNS1_3gpuE0ELNS1_3repE0EEENS1_30default_config_static_selectorELNS0_4arch9wavefront6targetE1EEEvT1_,"axG",@progbits,_ZN7rocprim17ROCPRIM_400000_NS6detail17trampoline_kernelINS0_14default_configENS1_20scan_config_selectorIdEEZZNS1_9scan_implILNS1_25lookback_scan_determinismE0ELb0ELb0ES3_PKdPddZZZN2at6native31launch_logcumsumexp_cuda_kernelERKNSB_10TensorBaseESF_lENKUlvE_clEvENKUlvE_clEvEUlddE_dEEDaPvRmT3_T4_T5_mT6_P12ihipStream_tbENKUlT_T0_E_clISt17integral_constantIbLb1EESW_EEDaSR_SS_EUlSR_E0_NS1_11comp_targetILNS1_3genE0ELNS1_11target_archE4294967295ELNS1_3gpuE0ELNS1_3repE0EEENS1_30default_config_static_selectorELNS0_4arch9wavefront6targetE1EEEvT1_,comdat
.Lfunc_end37:
	.size	_ZN7rocprim17ROCPRIM_400000_NS6detail17trampoline_kernelINS0_14default_configENS1_20scan_config_selectorIdEEZZNS1_9scan_implILNS1_25lookback_scan_determinismE0ELb0ELb0ES3_PKdPddZZZN2at6native31launch_logcumsumexp_cuda_kernelERKNSB_10TensorBaseESF_lENKUlvE_clEvENKUlvE_clEvEUlddE_dEEDaPvRmT3_T4_T5_mT6_P12ihipStream_tbENKUlT_T0_E_clISt17integral_constantIbLb1EESW_EEDaSR_SS_EUlSR_E0_NS1_11comp_targetILNS1_3genE0ELNS1_11target_archE4294967295ELNS1_3gpuE0ELNS1_3repE0EEENS1_30default_config_static_selectorELNS0_4arch9wavefront6targetE1EEEvT1_, .Lfunc_end37-_ZN7rocprim17ROCPRIM_400000_NS6detail17trampoline_kernelINS0_14default_configENS1_20scan_config_selectorIdEEZZNS1_9scan_implILNS1_25lookback_scan_determinismE0ELb0ELb0ES3_PKdPddZZZN2at6native31launch_logcumsumexp_cuda_kernelERKNSB_10TensorBaseESF_lENKUlvE_clEvENKUlvE_clEvEUlddE_dEEDaPvRmT3_T4_T5_mT6_P12ihipStream_tbENKUlT_T0_E_clISt17integral_constantIbLb1EESW_EEDaSR_SS_EUlSR_E0_NS1_11comp_targetILNS1_3genE0ELNS1_11target_archE4294967295ELNS1_3gpuE0ELNS1_3repE0EEENS1_30default_config_static_selectorELNS0_4arch9wavefront6targetE1EEEvT1_
                                        ; -- End function
	.set _ZN7rocprim17ROCPRIM_400000_NS6detail17trampoline_kernelINS0_14default_configENS1_20scan_config_selectorIdEEZZNS1_9scan_implILNS1_25lookback_scan_determinismE0ELb0ELb0ES3_PKdPddZZZN2at6native31launch_logcumsumexp_cuda_kernelERKNSB_10TensorBaseESF_lENKUlvE_clEvENKUlvE_clEvEUlddE_dEEDaPvRmT3_T4_T5_mT6_P12ihipStream_tbENKUlT_T0_E_clISt17integral_constantIbLb1EESW_EEDaSR_SS_EUlSR_E0_NS1_11comp_targetILNS1_3genE0ELNS1_11target_archE4294967295ELNS1_3gpuE0ELNS1_3repE0EEENS1_30default_config_static_selectorELNS0_4arch9wavefront6targetE1EEEvT1_.num_vgpr, 65
	.set _ZN7rocprim17ROCPRIM_400000_NS6detail17trampoline_kernelINS0_14default_configENS1_20scan_config_selectorIdEEZZNS1_9scan_implILNS1_25lookback_scan_determinismE0ELb0ELb0ES3_PKdPddZZZN2at6native31launch_logcumsumexp_cuda_kernelERKNSB_10TensorBaseESF_lENKUlvE_clEvENKUlvE_clEvEUlddE_dEEDaPvRmT3_T4_T5_mT6_P12ihipStream_tbENKUlT_T0_E_clISt17integral_constantIbLb1EESW_EEDaSR_SS_EUlSR_E0_NS1_11comp_targetILNS1_3genE0ELNS1_11target_archE4294967295ELNS1_3gpuE0ELNS1_3repE0EEENS1_30default_config_static_selectorELNS0_4arch9wavefront6targetE1EEEvT1_.num_agpr, 0
	.set _ZN7rocprim17ROCPRIM_400000_NS6detail17trampoline_kernelINS0_14default_configENS1_20scan_config_selectorIdEEZZNS1_9scan_implILNS1_25lookback_scan_determinismE0ELb0ELb0ES3_PKdPddZZZN2at6native31launch_logcumsumexp_cuda_kernelERKNSB_10TensorBaseESF_lENKUlvE_clEvENKUlvE_clEvEUlddE_dEEDaPvRmT3_T4_T5_mT6_P12ihipStream_tbENKUlT_T0_E_clISt17integral_constantIbLb1EESW_EEDaSR_SS_EUlSR_E0_NS1_11comp_targetILNS1_3genE0ELNS1_11target_archE4294967295ELNS1_3gpuE0ELNS1_3repE0EEENS1_30default_config_static_selectorELNS0_4arch9wavefront6targetE1EEEvT1_.numbered_sgpr, 42
	.set _ZN7rocprim17ROCPRIM_400000_NS6detail17trampoline_kernelINS0_14default_configENS1_20scan_config_selectorIdEEZZNS1_9scan_implILNS1_25lookback_scan_determinismE0ELb0ELb0ES3_PKdPddZZZN2at6native31launch_logcumsumexp_cuda_kernelERKNSB_10TensorBaseESF_lENKUlvE_clEvENKUlvE_clEvEUlddE_dEEDaPvRmT3_T4_T5_mT6_P12ihipStream_tbENKUlT_T0_E_clISt17integral_constantIbLb1EESW_EEDaSR_SS_EUlSR_E0_NS1_11comp_targetILNS1_3genE0ELNS1_11target_archE4294967295ELNS1_3gpuE0ELNS1_3repE0EEENS1_30default_config_static_selectorELNS0_4arch9wavefront6targetE1EEEvT1_.num_named_barrier, 0
	.set _ZN7rocprim17ROCPRIM_400000_NS6detail17trampoline_kernelINS0_14default_configENS1_20scan_config_selectorIdEEZZNS1_9scan_implILNS1_25lookback_scan_determinismE0ELb0ELb0ES3_PKdPddZZZN2at6native31launch_logcumsumexp_cuda_kernelERKNSB_10TensorBaseESF_lENKUlvE_clEvENKUlvE_clEvEUlddE_dEEDaPvRmT3_T4_T5_mT6_P12ihipStream_tbENKUlT_T0_E_clISt17integral_constantIbLb1EESW_EEDaSR_SS_EUlSR_E0_NS1_11comp_targetILNS1_3genE0ELNS1_11target_archE4294967295ELNS1_3gpuE0ELNS1_3repE0EEENS1_30default_config_static_selectorELNS0_4arch9wavefront6targetE1EEEvT1_.private_seg_size, 0
	.set _ZN7rocprim17ROCPRIM_400000_NS6detail17trampoline_kernelINS0_14default_configENS1_20scan_config_selectorIdEEZZNS1_9scan_implILNS1_25lookback_scan_determinismE0ELb0ELb0ES3_PKdPddZZZN2at6native31launch_logcumsumexp_cuda_kernelERKNSB_10TensorBaseESF_lENKUlvE_clEvENKUlvE_clEvEUlddE_dEEDaPvRmT3_T4_T5_mT6_P12ihipStream_tbENKUlT_T0_E_clISt17integral_constantIbLb1EESW_EEDaSR_SS_EUlSR_E0_NS1_11comp_targetILNS1_3genE0ELNS1_11target_archE4294967295ELNS1_3gpuE0ELNS1_3repE0EEENS1_30default_config_static_selectorELNS0_4arch9wavefront6targetE1EEEvT1_.uses_vcc, 1
	.set _ZN7rocprim17ROCPRIM_400000_NS6detail17trampoline_kernelINS0_14default_configENS1_20scan_config_selectorIdEEZZNS1_9scan_implILNS1_25lookback_scan_determinismE0ELb0ELb0ES3_PKdPddZZZN2at6native31launch_logcumsumexp_cuda_kernelERKNSB_10TensorBaseESF_lENKUlvE_clEvENKUlvE_clEvEUlddE_dEEDaPvRmT3_T4_T5_mT6_P12ihipStream_tbENKUlT_T0_E_clISt17integral_constantIbLb1EESW_EEDaSR_SS_EUlSR_E0_NS1_11comp_targetILNS1_3genE0ELNS1_11target_archE4294967295ELNS1_3gpuE0ELNS1_3repE0EEENS1_30default_config_static_selectorELNS0_4arch9wavefront6targetE1EEEvT1_.uses_flat_scratch, 0
	.set _ZN7rocprim17ROCPRIM_400000_NS6detail17trampoline_kernelINS0_14default_configENS1_20scan_config_selectorIdEEZZNS1_9scan_implILNS1_25lookback_scan_determinismE0ELb0ELb0ES3_PKdPddZZZN2at6native31launch_logcumsumexp_cuda_kernelERKNSB_10TensorBaseESF_lENKUlvE_clEvENKUlvE_clEvEUlddE_dEEDaPvRmT3_T4_T5_mT6_P12ihipStream_tbENKUlT_T0_E_clISt17integral_constantIbLb1EESW_EEDaSR_SS_EUlSR_E0_NS1_11comp_targetILNS1_3genE0ELNS1_11target_archE4294967295ELNS1_3gpuE0ELNS1_3repE0EEENS1_30default_config_static_selectorELNS0_4arch9wavefront6targetE1EEEvT1_.has_dyn_sized_stack, 0
	.set _ZN7rocprim17ROCPRIM_400000_NS6detail17trampoline_kernelINS0_14default_configENS1_20scan_config_selectorIdEEZZNS1_9scan_implILNS1_25lookback_scan_determinismE0ELb0ELb0ES3_PKdPddZZZN2at6native31launch_logcumsumexp_cuda_kernelERKNSB_10TensorBaseESF_lENKUlvE_clEvENKUlvE_clEvEUlddE_dEEDaPvRmT3_T4_T5_mT6_P12ihipStream_tbENKUlT_T0_E_clISt17integral_constantIbLb1EESW_EEDaSR_SS_EUlSR_E0_NS1_11comp_targetILNS1_3genE0ELNS1_11target_archE4294967295ELNS1_3gpuE0ELNS1_3repE0EEENS1_30default_config_static_selectorELNS0_4arch9wavefront6targetE1EEEvT1_.has_recursion, 0
	.set _ZN7rocprim17ROCPRIM_400000_NS6detail17trampoline_kernelINS0_14default_configENS1_20scan_config_selectorIdEEZZNS1_9scan_implILNS1_25lookback_scan_determinismE0ELb0ELb0ES3_PKdPddZZZN2at6native31launch_logcumsumexp_cuda_kernelERKNSB_10TensorBaseESF_lENKUlvE_clEvENKUlvE_clEvEUlddE_dEEDaPvRmT3_T4_T5_mT6_P12ihipStream_tbENKUlT_T0_E_clISt17integral_constantIbLb1EESW_EEDaSR_SS_EUlSR_E0_NS1_11comp_targetILNS1_3genE0ELNS1_11target_archE4294967295ELNS1_3gpuE0ELNS1_3repE0EEENS1_30default_config_static_selectorELNS0_4arch9wavefront6targetE1EEEvT1_.has_indirect_call, 0
	.section	.AMDGPU.csdata,"",@progbits
; Kernel info:
; codeLenInByte = 39776
; TotalNumSgprs: 48
; NumVgprs: 65
; NumAgprs: 0
; TotalNumVgprs: 65
; ScratchSize: 0
; MemoryBound: 0
; FloatMode: 240
; IeeeMode: 1
; LDSByteSize: 12288 bytes/workgroup (compile time only)
; SGPRBlocks: 5
; VGPRBlocks: 8
; NumSGPRsForWavesPerEU: 48
; NumVGPRsForWavesPerEU: 65
; AccumOffset: 68
; Occupancy: 7
; WaveLimiterHint : 0
; COMPUTE_PGM_RSRC2:SCRATCH_EN: 0
; COMPUTE_PGM_RSRC2:USER_SGPR: 2
; COMPUTE_PGM_RSRC2:TRAP_HANDLER: 0
; COMPUTE_PGM_RSRC2:TGID_X_EN: 1
; COMPUTE_PGM_RSRC2:TGID_Y_EN: 0
; COMPUTE_PGM_RSRC2:TGID_Z_EN: 0
; COMPUTE_PGM_RSRC2:TIDIG_COMP_CNT: 0
; COMPUTE_PGM_RSRC3_GFX90A:ACCUM_OFFSET: 16
; COMPUTE_PGM_RSRC3_GFX90A:TG_SPLIT: 0
	.section	.text._ZN7rocprim17ROCPRIM_400000_NS6detail17trampoline_kernelINS0_14default_configENS1_20scan_config_selectorIdEEZZNS1_9scan_implILNS1_25lookback_scan_determinismE0ELb0ELb0ES3_PKdPddZZZN2at6native31launch_logcumsumexp_cuda_kernelERKNSB_10TensorBaseESF_lENKUlvE_clEvENKUlvE_clEvEUlddE_dEEDaPvRmT3_T4_T5_mT6_P12ihipStream_tbENKUlT_T0_E_clISt17integral_constantIbLb1EESW_EEDaSR_SS_EUlSR_E0_NS1_11comp_targetILNS1_3genE5ELNS1_11target_archE942ELNS1_3gpuE9ELNS1_3repE0EEENS1_30default_config_static_selectorELNS0_4arch9wavefront6targetE1EEEvT1_,"axG",@progbits,_ZN7rocprim17ROCPRIM_400000_NS6detail17trampoline_kernelINS0_14default_configENS1_20scan_config_selectorIdEEZZNS1_9scan_implILNS1_25lookback_scan_determinismE0ELb0ELb0ES3_PKdPddZZZN2at6native31launch_logcumsumexp_cuda_kernelERKNSB_10TensorBaseESF_lENKUlvE_clEvENKUlvE_clEvEUlddE_dEEDaPvRmT3_T4_T5_mT6_P12ihipStream_tbENKUlT_T0_E_clISt17integral_constantIbLb1EESW_EEDaSR_SS_EUlSR_E0_NS1_11comp_targetILNS1_3genE5ELNS1_11target_archE942ELNS1_3gpuE9ELNS1_3repE0EEENS1_30default_config_static_selectorELNS0_4arch9wavefront6targetE1EEEvT1_,comdat
	.globl	_ZN7rocprim17ROCPRIM_400000_NS6detail17trampoline_kernelINS0_14default_configENS1_20scan_config_selectorIdEEZZNS1_9scan_implILNS1_25lookback_scan_determinismE0ELb0ELb0ES3_PKdPddZZZN2at6native31launch_logcumsumexp_cuda_kernelERKNSB_10TensorBaseESF_lENKUlvE_clEvENKUlvE_clEvEUlddE_dEEDaPvRmT3_T4_T5_mT6_P12ihipStream_tbENKUlT_T0_E_clISt17integral_constantIbLb1EESW_EEDaSR_SS_EUlSR_E0_NS1_11comp_targetILNS1_3genE5ELNS1_11target_archE942ELNS1_3gpuE9ELNS1_3repE0EEENS1_30default_config_static_selectorELNS0_4arch9wavefront6targetE1EEEvT1_ ; -- Begin function _ZN7rocprim17ROCPRIM_400000_NS6detail17trampoline_kernelINS0_14default_configENS1_20scan_config_selectorIdEEZZNS1_9scan_implILNS1_25lookback_scan_determinismE0ELb0ELb0ES3_PKdPddZZZN2at6native31launch_logcumsumexp_cuda_kernelERKNSB_10TensorBaseESF_lENKUlvE_clEvENKUlvE_clEvEUlddE_dEEDaPvRmT3_T4_T5_mT6_P12ihipStream_tbENKUlT_T0_E_clISt17integral_constantIbLb1EESW_EEDaSR_SS_EUlSR_E0_NS1_11comp_targetILNS1_3genE5ELNS1_11target_archE942ELNS1_3gpuE9ELNS1_3repE0EEENS1_30default_config_static_selectorELNS0_4arch9wavefront6targetE1EEEvT1_
	.p2align	8
	.type	_ZN7rocprim17ROCPRIM_400000_NS6detail17trampoline_kernelINS0_14default_configENS1_20scan_config_selectorIdEEZZNS1_9scan_implILNS1_25lookback_scan_determinismE0ELb0ELb0ES3_PKdPddZZZN2at6native31launch_logcumsumexp_cuda_kernelERKNSB_10TensorBaseESF_lENKUlvE_clEvENKUlvE_clEvEUlddE_dEEDaPvRmT3_T4_T5_mT6_P12ihipStream_tbENKUlT_T0_E_clISt17integral_constantIbLb1EESW_EEDaSR_SS_EUlSR_E0_NS1_11comp_targetILNS1_3genE5ELNS1_11target_archE942ELNS1_3gpuE9ELNS1_3repE0EEENS1_30default_config_static_selectorELNS0_4arch9wavefront6targetE1EEEvT1_,@function
_ZN7rocprim17ROCPRIM_400000_NS6detail17trampoline_kernelINS0_14default_configENS1_20scan_config_selectorIdEEZZNS1_9scan_implILNS1_25lookback_scan_determinismE0ELb0ELb0ES3_PKdPddZZZN2at6native31launch_logcumsumexp_cuda_kernelERKNSB_10TensorBaseESF_lENKUlvE_clEvENKUlvE_clEvEUlddE_dEEDaPvRmT3_T4_T5_mT6_P12ihipStream_tbENKUlT_T0_E_clISt17integral_constantIbLb1EESW_EEDaSR_SS_EUlSR_E0_NS1_11comp_targetILNS1_3genE5ELNS1_11target_archE942ELNS1_3gpuE9ELNS1_3repE0EEENS1_30default_config_static_selectorELNS0_4arch9wavefront6targetE1EEEvT1_: ; @_ZN7rocprim17ROCPRIM_400000_NS6detail17trampoline_kernelINS0_14default_configENS1_20scan_config_selectorIdEEZZNS1_9scan_implILNS1_25lookback_scan_determinismE0ELb0ELb0ES3_PKdPddZZZN2at6native31launch_logcumsumexp_cuda_kernelERKNSB_10TensorBaseESF_lENKUlvE_clEvENKUlvE_clEvEUlddE_dEEDaPvRmT3_T4_T5_mT6_P12ihipStream_tbENKUlT_T0_E_clISt17integral_constantIbLb1EESW_EEDaSR_SS_EUlSR_E0_NS1_11comp_targetILNS1_3genE5ELNS1_11target_archE942ELNS1_3gpuE9ELNS1_3repE0EEENS1_30default_config_static_selectorELNS0_4arch9wavefront6targetE1EEEvT1_
; %bb.0:
	.section	.rodata,"a",@progbits
	.p2align	6, 0x0
	.amdhsa_kernel _ZN7rocprim17ROCPRIM_400000_NS6detail17trampoline_kernelINS0_14default_configENS1_20scan_config_selectorIdEEZZNS1_9scan_implILNS1_25lookback_scan_determinismE0ELb0ELb0ES3_PKdPddZZZN2at6native31launch_logcumsumexp_cuda_kernelERKNSB_10TensorBaseESF_lENKUlvE_clEvENKUlvE_clEvEUlddE_dEEDaPvRmT3_T4_T5_mT6_P12ihipStream_tbENKUlT_T0_E_clISt17integral_constantIbLb1EESW_EEDaSR_SS_EUlSR_E0_NS1_11comp_targetILNS1_3genE5ELNS1_11target_archE942ELNS1_3gpuE9ELNS1_3repE0EEENS1_30default_config_static_selectorELNS0_4arch9wavefront6targetE1EEEvT1_
		.amdhsa_group_segment_fixed_size 0
		.amdhsa_private_segment_fixed_size 0
		.amdhsa_kernarg_size 40
		.amdhsa_user_sgpr_count 2
		.amdhsa_user_sgpr_dispatch_ptr 0
		.amdhsa_user_sgpr_queue_ptr 0
		.amdhsa_user_sgpr_kernarg_segment_ptr 1
		.amdhsa_user_sgpr_dispatch_id 0
		.amdhsa_user_sgpr_kernarg_preload_length 0
		.amdhsa_user_sgpr_kernarg_preload_offset 0
		.amdhsa_user_sgpr_private_segment_size 0
		.amdhsa_uses_dynamic_stack 0
		.amdhsa_enable_private_segment 0
		.amdhsa_system_sgpr_workgroup_id_x 1
		.amdhsa_system_sgpr_workgroup_id_y 0
		.amdhsa_system_sgpr_workgroup_id_z 0
		.amdhsa_system_sgpr_workgroup_info 0
		.amdhsa_system_vgpr_workitem_id 0
		.amdhsa_next_free_vgpr 1
		.amdhsa_next_free_sgpr 0
		.amdhsa_accum_offset 4
		.amdhsa_reserve_vcc 0
		.amdhsa_float_round_mode_32 0
		.amdhsa_float_round_mode_16_64 0
		.amdhsa_float_denorm_mode_32 3
		.amdhsa_float_denorm_mode_16_64 3
		.amdhsa_dx10_clamp 1
		.amdhsa_ieee_mode 1
		.amdhsa_fp16_overflow 0
		.amdhsa_tg_split 0
		.amdhsa_exception_fp_ieee_invalid_op 0
		.amdhsa_exception_fp_denorm_src 0
		.amdhsa_exception_fp_ieee_div_zero 0
		.amdhsa_exception_fp_ieee_overflow 0
		.amdhsa_exception_fp_ieee_underflow 0
		.amdhsa_exception_fp_ieee_inexact 0
		.amdhsa_exception_int_div_zero 0
	.end_amdhsa_kernel
	.section	.text._ZN7rocprim17ROCPRIM_400000_NS6detail17trampoline_kernelINS0_14default_configENS1_20scan_config_selectorIdEEZZNS1_9scan_implILNS1_25lookback_scan_determinismE0ELb0ELb0ES3_PKdPddZZZN2at6native31launch_logcumsumexp_cuda_kernelERKNSB_10TensorBaseESF_lENKUlvE_clEvENKUlvE_clEvEUlddE_dEEDaPvRmT3_T4_T5_mT6_P12ihipStream_tbENKUlT_T0_E_clISt17integral_constantIbLb1EESW_EEDaSR_SS_EUlSR_E0_NS1_11comp_targetILNS1_3genE5ELNS1_11target_archE942ELNS1_3gpuE9ELNS1_3repE0EEENS1_30default_config_static_selectorELNS0_4arch9wavefront6targetE1EEEvT1_,"axG",@progbits,_ZN7rocprim17ROCPRIM_400000_NS6detail17trampoline_kernelINS0_14default_configENS1_20scan_config_selectorIdEEZZNS1_9scan_implILNS1_25lookback_scan_determinismE0ELb0ELb0ES3_PKdPddZZZN2at6native31launch_logcumsumexp_cuda_kernelERKNSB_10TensorBaseESF_lENKUlvE_clEvENKUlvE_clEvEUlddE_dEEDaPvRmT3_T4_T5_mT6_P12ihipStream_tbENKUlT_T0_E_clISt17integral_constantIbLb1EESW_EEDaSR_SS_EUlSR_E0_NS1_11comp_targetILNS1_3genE5ELNS1_11target_archE942ELNS1_3gpuE9ELNS1_3repE0EEENS1_30default_config_static_selectorELNS0_4arch9wavefront6targetE1EEEvT1_,comdat
.Lfunc_end38:
	.size	_ZN7rocprim17ROCPRIM_400000_NS6detail17trampoline_kernelINS0_14default_configENS1_20scan_config_selectorIdEEZZNS1_9scan_implILNS1_25lookback_scan_determinismE0ELb0ELb0ES3_PKdPddZZZN2at6native31launch_logcumsumexp_cuda_kernelERKNSB_10TensorBaseESF_lENKUlvE_clEvENKUlvE_clEvEUlddE_dEEDaPvRmT3_T4_T5_mT6_P12ihipStream_tbENKUlT_T0_E_clISt17integral_constantIbLb1EESW_EEDaSR_SS_EUlSR_E0_NS1_11comp_targetILNS1_3genE5ELNS1_11target_archE942ELNS1_3gpuE9ELNS1_3repE0EEENS1_30default_config_static_selectorELNS0_4arch9wavefront6targetE1EEEvT1_, .Lfunc_end38-_ZN7rocprim17ROCPRIM_400000_NS6detail17trampoline_kernelINS0_14default_configENS1_20scan_config_selectorIdEEZZNS1_9scan_implILNS1_25lookback_scan_determinismE0ELb0ELb0ES3_PKdPddZZZN2at6native31launch_logcumsumexp_cuda_kernelERKNSB_10TensorBaseESF_lENKUlvE_clEvENKUlvE_clEvEUlddE_dEEDaPvRmT3_T4_T5_mT6_P12ihipStream_tbENKUlT_T0_E_clISt17integral_constantIbLb1EESW_EEDaSR_SS_EUlSR_E0_NS1_11comp_targetILNS1_3genE5ELNS1_11target_archE942ELNS1_3gpuE9ELNS1_3repE0EEENS1_30default_config_static_selectorELNS0_4arch9wavefront6targetE1EEEvT1_
                                        ; -- End function
	.set _ZN7rocprim17ROCPRIM_400000_NS6detail17trampoline_kernelINS0_14default_configENS1_20scan_config_selectorIdEEZZNS1_9scan_implILNS1_25lookback_scan_determinismE0ELb0ELb0ES3_PKdPddZZZN2at6native31launch_logcumsumexp_cuda_kernelERKNSB_10TensorBaseESF_lENKUlvE_clEvENKUlvE_clEvEUlddE_dEEDaPvRmT3_T4_T5_mT6_P12ihipStream_tbENKUlT_T0_E_clISt17integral_constantIbLb1EESW_EEDaSR_SS_EUlSR_E0_NS1_11comp_targetILNS1_3genE5ELNS1_11target_archE942ELNS1_3gpuE9ELNS1_3repE0EEENS1_30default_config_static_selectorELNS0_4arch9wavefront6targetE1EEEvT1_.num_vgpr, 0
	.set _ZN7rocprim17ROCPRIM_400000_NS6detail17trampoline_kernelINS0_14default_configENS1_20scan_config_selectorIdEEZZNS1_9scan_implILNS1_25lookback_scan_determinismE0ELb0ELb0ES3_PKdPddZZZN2at6native31launch_logcumsumexp_cuda_kernelERKNSB_10TensorBaseESF_lENKUlvE_clEvENKUlvE_clEvEUlddE_dEEDaPvRmT3_T4_T5_mT6_P12ihipStream_tbENKUlT_T0_E_clISt17integral_constantIbLb1EESW_EEDaSR_SS_EUlSR_E0_NS1_11comp_targetILNS1_3genE5ELNS1_11target_archE942ELNS1_3gpuE9ELNS1_3repE0EEENS1_30default_config_static_selectorELNS0_4arch9wavefront6targetE1EEEvT1_.num_agpr, 0
	.set _ZN7rocprim17ROCPRIM_400000_NS6detail17trampoline_kernelINS0_14default_configENS1_20scan_config_selectorIdEEZZNS1_9scan_implILNS1_25lookback_scan_determinismE0ELb0ELb0ES3_PKdPddZZZN2at6native31launch_logcumsumexp_cuda_kernelERKNSB_10TensorBaseESF_lENKUlvE_clEvENKUlvE_clEvEUlddE_dEEDaPvRmT3_T4_T5_mT6_P12ihipStream_tbENKUlT_T0_E_clISt17integral_constantIbLb1EESW_EEDaSR_SS_EUlSR_E0_NS1_11comp_targetILNS1_3genE5ELNS1_11target_archE942ELNS1_3gpuE9ELNS1_3repE0EEENS1_30default_config_static_selectorELNS0_4arch9wavefront6targetE1EEEvT1_.numbered_sgpr, 0
	.set _ZN7rocprim17ROCPRIM_400000_NS6detail17trampoline_kernelINS0_14default_configENS1_20scan_config_selectorIdEEZZNS1_9scan_implILNS1_25lookback_scan_determinismE0ELb0ELb0ES3_PKdPddZZZN2at6native31launch_logcumsumexp_cuda_kernelERKNSB_10TensorBaseESF_lENKUlvE_clEvENKUlvE_clEvEUlddE_dEEDaPvRmT3_T4_T5_mT6_P12ihipStream_tbENKUlT_T0_E_clISt17integral_constantIbLb1EESW_EEDaSR_SS_EUlSR_E0_NS1_11comp_targetILNS1_3genE5ELNS1_11target_archE942ELNS1_3gpuE9ELNS1_3repE0EEENS1_30default_config_static_selectorELNS0_4arch9wavefront6targetE1EEEvT1_.num_named_barrier, 0
	.set _ZN7rocprim17ROCPRIM_400000_NS6detail17trampoline_kernelINS0_14default_configENS1_20scan_config_selectorIdEEZZNS1_9scan_implILNS1_25lookback_scan_determinismE0ELb0ELb0ES3_PKdPddZZZN2at6native31launch_logcumsumexp_cuda_kernelERKNSB_10TensorBaseESF_lENKUlvE_clEvENKUlvE_clEvEUlddE_dEEDaPvRmT3_T4_T5_mT6_P12ihipStream_tbENKUlT_T0_E_clISt17integral_constantIbLb1EESW_EEDaSR_SS_EUlSR_E0_NS1_11comp_targetILNS1_3genE5ELNS1_11target_archE942ELNS1_3gpuE9ELNS1_3repE0EEENS1_30default_config_static_selectorELNS0_4arch9wavefront6targetE1EEEvT1_.private_seg_size, 0
	.set _ZN7rocprim17ROCPRIM_400000_NS6detail17trampoline_kernelINS0_14default_configENS1_20scan_config_selectorIdEEZZNS1_9scan_implILNS1_25lookback_scan_determinismE0ELb0ELb0ES3_PKdPddZZZN2at6native31launch_logcumsumexp_cuda_kernelERKNSB_10TensorBaseESF_lENKUlvE_clEvENKUlvE_clEvEUlddE_dEEDaPvRmT3_T4_T5_mT6_P12ihipStream_tbENKUlT_T0_E_clISt17integral_constantIbLb1EESW_EEDaSR_SS_EUlSR_E0_NS1_11comp_targetILNS1_3genE5ELNS1_11target_archE942ELNS1_3gpuE9ELNS1_3repE0EEENS1_30default_config_static_selectorELNS0_4arch9wavefront6targetE1EEEvT1_.uses_vcc, 0
	.set _ZN7rocprim17ROCPRIM_400000_NS6detail17trampoline_kernelINS0_14default_configENS1_20scan_config_selectorIdEEZZNS1_9scan_implILNS1_25lookback_scan_determinismE0ELb0ELb0ES3_PKdPddZZZN2at6native31launch_logcumsumexp_cuda_kernelERKNSB_10TensorBaseESF_lENKUlvE_clEvENKUlvE_clEvEUlddE_dEEDaPvRmT3_T4_T5_mT6_P12ihipStream_tbENKUlT_T0_E_clISt17integral_constantIbLb1EESW_EEDaSR_SS_EUlSR_E0_NS1_11comp_targetILNS1_3genE5ELNS1_11target_archE942ELNS1_3gpuE9ELNS1_3repE0EEENS1_30default_config_static_selectorELNS0_4arch9wavefront6targetE1EEEvT1_.uses_flat_scratch, 0
	.set _ZN7rocprim17ROCPRIM_400000_NS6detail17trampoline_kernelINS0_14default_configENS1_20scan_config_selectorIdEEZZNS1_9scan_implILNS1_25lookback_scan_determinismE0ELb0ELb0ES3_PKdPddZZZN2at6native31launch_logcumsumexp_cuda_kernelERKNSB_10TensorBaseESF_lENKUlvE_clEvENKUlvE_clEvEUlddE_dEEDaPvRmT3_T4_T5_mT6_P12ihipStream_tbENKUlT_T0_E_clISt17integral_constantIbLb1EESW_EEDaSR_SS_EUlSR_E0_NS1_11comp_targetILNS1_3genE5ELNS1_11target_archE942ELNS1_3gpuE9ELNS1_3repE0EEENS1_30default_config_static_selectorELNS0_4arch9wavefront6targetE1EEEvT1_.has_dyn_sized_stack, 0
	.set _ZN7rocprim17ROCPRIM_400000_NS6detail17trampoline_kernelINS0_14default_configENS1_20scan_config_selectorIdEEZZNS1_9scan_implILNS1_25lookback_scan_determinismE0ELb0ELb0ES3_PKdPddZZZN2at6native31launch_logcumsumexp_cuda_kernelERKNSB_10TensorBaseESF_lENKUlvE_clEvENKUlvE_clEvEUlddE_dEEDaPvRmT3_T4_T5_mT6_P12ihipStream_tbENKUlT_T0_E_clISt17integral_constantIbLb1EESW_EEDaSR_SS_EUlSR_E0_NS1_11comp_targetILNS1_3genE5ELNS1_11target_archE942ELNS1_3gpuE9ELNS1_3repE0EEENS1_30default_config_static_selectorELNS0_4arch9wavefront6targetE1EEEvT1_.has_recursion, 0
	.set _ZN7rocprim17ROCPRIM_400000_NS6detail17trampoline_kernelINS0_14default_configENS1_20scan_config_selectorIdEEZZNS1_9scan_implILNS1_25lookback_scan_determinismE0ELb0ELb0ES3_PKdPddZZZN2at6native31launch_logcumsumexp_cuda_kernelERKNSB_10TensorBaseESF_lENKUlvE_clEvENKUlvE_clEvEUlddE_dEEDaPvRmT3_T4_T5_mT6_P12ihipStream_tbENKUlT_T0_E_clISt17integral_constantIbLb1EESW_EEDaSR_SS_EUlSR_E0_NS1_11comp_targetILNS1_3genE5ELNS1_11target_archE942ELNS1_3gpuE9ELNS1_3repE0EEENS1_30default_config_static_selectorELNS0_4arch9wavefront6targetE1EEEvT1_.has_indirect_call, 0
	.section	.AMDGPU.csdata,"",@progbits
; Kernel info:
; codeLenInByte = 0
; TotalNumSgprs: 6
; NumVgprs: 0
; NumAgprs: 0
; TotalNumVgprs: 0
; ScratchSize: 0
; MemoryBound: 0
; FloatMode: 240
; IeeeMode: 1
; LDSByteSize: 0 bytes/workgroup (compile time only)
; SGPRBlocks: 0
; VGPRBlocks: 0
; NumSGPRsForWavesPerEU: 6
; NumVGPRsForWavesPerEU: 1
; AccumOffset: 4
; Occupancy: 8
; WaveLimiterHint : 0
; COMPUTE_PGM_RSRC2:SCRATCH_EN: 0
; COMPUTE_PGM_RSRC2:USER_SGPR: 2
; COMPUTE_PGM_RSRC2:TRAP_HANDLER: 0
; COMPUTE_PGM_RSRC2:TGID_X_EN: 1
; COMPUTE_PGM_RSRC2:TGID_Y_EN: 0
; COMPUTE_PGM_RSRC2:TGID_Z_EN: 0
; COMPUTE_PGM_RSRC2:TIDIG_COMP_CNT: 0
; COMPUTE_PGM_RSRC3_GFX90A:ACCUM_OFFSET: 0
; COMPUTE_PGM_RSRC3_GFX90A:TG_SPLIT: 0
	.section	.text._ZN7rocprim17ROCPRIM_400000_NS6detail17trampoline_kernelINS0_14default_configENS1_20scan_config_selectorIdEEZZNS1_9scan_implILNS1_25lookback_scan_determinismE0ELb0ELb0ES3_PKdPddZZZN2at6native31launch_logcumsumexp_cuda_kernelERKNSB_10TensorBaseESF_lENKUlvE_clEvENKUlvE_clEvEUlddE_dEEDaPvRmT3_T4_T5_mT6_P12ihipStream_tbENKUlT_T0_E_clISt17integral_constantIbLb1EESW_EEDaSR_SS_EUlSR_E0_NS1_11comp_targetILNS1_3genE4ELNS1_11target_archE910ELNS1_3gpuE8ELNS1_3repE0EEENS1_30default_config_static_selectorELNS0_4arch9wavefront6targetE1EEEvT1_,"axG",@progbits,_ZN7rocprim17ROCPRIM_400000_NS6detail17trampoline_kernelINS0_14default_configENS1_20scan_config_selectorIdEEZZNS1_9scan_implILNS1_25lookback_scan_determinismE0ELb0ELb0ES3_PKdPddZZZN2at6native31launch_logcumsumexp_cuda_kernelERKNSB_10TensorBaseESF_lENKUlvE_clEvENKUlvE_clEvEUlddE_dEEDaPvRmT3_T4_T5_mT6_P12ihipStream_tbENKUlT_T0_E_clISt17integral_constantIbLb1EESW_EEDaSR_SS_EUlSR_E0_NS1_11comp_targetILNS1_3genE4ELNS1_11target_archE910ELNS1_3gpuE8ELNS1_3repE0EEENS1_30default_config_static_selectorELNS0_4arch9wavefront6targetE1EEEvT1_,comdat
	.globl	_ZN7rocprim17ROCPRIM_400000_NS6detail17trampoline_kernelINS0_14default_configENS1_20scan_config_selectorIdEEZZNS1_9scan_implILNS1_25lookback_scan_determinismE0ELb0ELb0ES3_PKdPddZZZN2at6native31launch_logcumsumexp_cuda_kernelERKNSB_10TensorBaseESF_lENKUlvE_clEvENKUlvE_clEvEUlddE_dEEDaPvRmT3_T4_T5_mT6_P12ihipStream_tbENKUlT_T0_E_clISt17integral_constantIbLb1EESW_EEDaSR_SS_EUlSR_E0_NS1_11comp_targetILNS1_3genE4ELNS1_11target_archE910ELNS1_3gpuE8ELNS1_3repE0EEENS1_30default_config_static_selectorELNS0_4arch9wavefront6targetE1EEEvT1_ ; -- Begin function _ZN7rocprim17ROCPRIM_400000_NS6detail17trampoline_kernelINS0_14default_configENS1_20scan_config_selectorIdEEZZNS1_9scan_implILNS1_25lookback_scan_determinismE0ELb0ELb0ES3_PKdPddZZZN2at6native31launch_logcumsumexp_cuda_kernelERKNSB_10TensorBaseESF_lENKUlvE_clEvENKUlvE_clEvEUlddE_dEEDaPvRmT3_T4_T5_mT6_P12ihipStream_tbENKUlT_T0_E_clISt17integral_constantIbLb1EESW_EEDaSR_SS_EUlSR_E0_NS1_11comp_targetILNS1_3genE4ELNS1_11target_archE910ELNS1_3gpuE8ELNS1_3repE0EEENS1_30default_config_static_selectorELNS0_4arch9wavefront6targetE1EEEvT1_
	.p2align	8
	.type	_ZN7rocprim17ROCPRIM_400000_NS6detail17trampoline_kernelINS0_14default_configENS1_20scan_config_selectorIdEEZZNS1_9scan_implILNS1_25lookback_scan_determinismE0ELb0ELb0ES3_PKdPddZZZN2at6native31launch_logcumsumexp_cuda_kernelERKNSB_10TensorBaseESF_lENKUlvE_clEvENKUlvE_clEvEUlddE_dEEDaPvRmT3_T4_T5_mT6_P12ihipStream_tbENKUlT_T0_E_clISt17integral_constantIbLb1EESW_EEDaSR_SS_EUlSR_E0_NS1_11comp_targetILNS1_3genE4ELNS1_11target_archE910ELNS1_3gpuE8ELNS1_3repE0EEENS1_30default_config_static_selectorELNS0_4arch9wavefront6targetE1EEEvT1_,@function
_ZN7rocprim17ROCPRIM_400000_NS6detail17trampoline_kernelINS0_14default_configENS1_20scan_config_selectorIdEEZZNS1_9scan_implILNS1_25lookback_scan_determinismE0ELb0ELb0ES3_PKdPddZZZN2at6native31launch_logcumsumexp_cuda_kernelERKNSB_10TensorBaseESF_lENKUlvE_clEvENKUlvE_clEvEUlddE_dEEDaPvRmT3_T4_T5_mT6_P12ihipStream_tbENKUlT_T0_E_clISt17integral_constantIbLb1EESW_EEDaSR_SS_EUlSR_E0_NS1_11comp_targetILNS1_3genE4ELNS1_11target_archE910ELNS1_3gpuE8ELNS1_3repE0EEENS1_30default_config_static_selectorELNS0_4arch9wavefront6targetE1EEEvT1_: ; @_ZN7rocprim17ROCPRIM_400000_NS6detail17trampoline_kernelINS0_14default_configENS1_20scan_config_selectorIdEEZZNS1_9scan_implILNS1_25lookback_scan_determinismE0ELb0ELb0ES3_PKdPddZZZN2at6native31launch_logcumsumexp_cuda_kernelERKNSB_10TensorBaseESF_lENKUlvE_clEvENKUlvE_clEvEUlddE_dEEDaPvRmT3_T4_T5_mT6_P12ihipStream_tbENKUlT_T0_E_clISt17integral_constantIbLb1EESW_EEDaSR_SS_EUlSR_E0_NS1_11comp_targetILNS1_3genE4ELNS1_11target_archE910ELNS1_3gpuE8ELNS1_3repE0EEENS1_30default_config_static_selectorELNS0_4arch9wavefront6targetE1EEEvT1_
; %bb.0:
	.section	.rodata,"a",@progbits
	.p2align	6, 0x0
	.amdhsa_kernel _ZN7rocprim17ROCPRIM_400000_NS6detail17trampoline_kernelINS0_14default_configENS1_20scan_config_selectorIdEEZZNS1_9scan_implILNS1_25lookback_scan_determinismE0ELb0ELb0ES3_PKdPddZZZN2at6native31launch_logcumsumexp_cuda_kernelERKNSB_10TensorBaseESF_lENKUlvE_clEvENKUlvE_clEvEUlddE_dEEDaPvRmT3_T4_T5_mT6_P12ihipStream_tbENKUlT_T0_E_clISt17integral_constantIbLb1EESW_EEDaSR_SS_EUlSR_E0_NS1_11comp_targetILNS1_3genE4ELNS1_11target_archE910ELNS1_3gpuE8ELNS1_3repE0EEENS1_30default_config_static_selectorELNS0_4arch9wavefront6targetE1EEEvT1_
		.amdhsa_group_segment_fixed_size 0
		.amdhsa_private_segment_fixed_size 0
		.amdhsa_kernarg_size 40
		.amdhsa_user_sgpr_count 2
		.amdhsa_user_sgpr_dispatch_ptr 0
		.amdhsa_user_sgpr_queue_ptr 0
		.amdhsa_user_sgpr_kernarg_segment_ptr 1
		.amdhsa_user_sgpr_dispatch_id 0
		.amdhsa_user_sgpr_kernarg_preload_length 0
		.amdhsa_user_sgpr_kernarg_preload_offset 0
		.amdhsa_user_sgpr_private_segment_size 0
		.amdhsa_uses_dynamic_stack 0
		.amdhsa_enable_private_segment 0
		.amdhsa_system_sgpr_workgroup_id_x 1
		.amdhsa_system_sgpr_workgroup_id_y 0
		.amdhsa_system_sgpr_workgroup_id_z 0
		.amdhsa_system_sgpr_workgroup_info 0
		.amdhsa_system_vgpr_workitem_id 0
		.amdhsa_next_free_vgpr 1
		.amdhsa_next_free_sgpr 0
		.amdhsa_accum_offset 4
		.amdhsa_reserve_vcc 0
		.amdhsa_float_round_mode_32 0
		.amdhsa_float_round_mode_16_64 0
		.amdhsa_float_denorm_mode_32 3
		.amdhsa_float_denorm_mode_16_64 3
		.amdhsa_dx10_clamp 1
		.amdhsa_ieee_mode 1
		.amdhsa_fp16_overflow 0
		.amdhsa_tg_split 0
		.amdhsa_exception_fp_ieee_invalid_op 0
		.amdhsa_exception_fp_denorm_src 0
		.amdhsa_exception_fp_ieee_div_zero 0
		.amdhsa_exception_fp_ieee_overflow 0
		.amdhsa_exception_fp_ieee_underflow 0
		.amdhsa_exception_fp_ieee_inexact 0
		.amdhsa_exception_int_div_zero 0
	.end_amdhsa_kernel
	.section	.text._ZN7rocprim17ROCPRIM_400000_NS6detail17trampoline_kernelINS0_14default_configENS1_20scan_config_selectorIdEEZZNS1_9scan_implILNS1_25lookback_scan_determinismE0ELb0ELb0ES3_PKdPddZZZN2at6native31launch_logcumsumexp_cuda_kernelERKNSB_10TensorBaseESF_lENKUlvE_clEvENKUlvE_clEvEUlddE_dEEDaPvRmT3_T4_T5_mT6_P12ihipStream_tbENKUlT_T0_E_clISt17integral_constantIbLb1EESW_EEDaSR_SS_EUlSR_E0_NS1_11comp_targetILNS1_3genE4ELNS1_11target_archE910ELNS1_3gpuE8ELNS1_3repE0EEENS1_30default_config_static_selectorELNS0_4arch9wavefront6targetE1EEEvT1_,"axG",@progbits,_ZN7rocprim17ROCPRIM_400000_NS6detail17trampoline_kernelINS0_14default_configENS1_20scan_config_selectorIdEEZZNS1_9scan_implILNS1_25lookback_scan_determinismE0ELb0ELb0ES3_PKdPddZZZN2at6native31launch_logcumsumexp_cuda_kernelERKNSB_10TensorBaseESF_lENKUlvE_clEvENKUlvE_clEvEUlddE_dEEDaPvRmT3_T4_T5_mT6_P12ihipStream_tbENKUlT_T0_E_clISt17integral_constantIbLb1EESW_EEDaSR_SS_EUlSR_E0_NS1_11comp_targetILNS1_3genE4ELNS1_11target_archE910ELNS1_3gpuE8ELNS1_3repE0EEENS1_30default_config_static_selectorELNS0_4arch9wavefront6targetE1EEEvT1_,comdat
.Lfunc_end39:
	.size	_ZN7rocprim17ROCPRIM_400000_NS6detail17trampoline_kernelINS0_14default_configENS1_20scan_config_selectorIdEEZZNS1_9scan_implILNS1_25lookback_scan_determinismE0ELb0ELb0ES3_PKdPddZZZN2at6native31launch_logcumsumexp_cuda_kernelERKNSB_10TensorBaseESF_lENKUlvE_clEvENKUlvE_clEvEUlddE_dEEDaPvRmT3_T4_T5_mT6_P12ihipStream_tbENKUlT_T0_E_clISt17integral_constantIbLb1EESW_EEDaSR_SS_EUlSR_E0_NS1_11comp_targetILNS1_3genE4ELNS1_11target_archE910ELNS1_3gpuE8ELNS1_3repE0EEENS1_30default_config_static_selectorELNS0_4arch9wavefront6targetE1EEEvT1_, .Lfunc_end39-_ZN7rocprim17ROCPRIM_400000_NS6detail17trampoline_kernelINS0_14default_configENS1_20scan_config_selectorIdEEZZNS1_9scan_implILNS1_25lookback_scan_determinismE0ELb0ELb0ES3_PKdPddZZZN2at6native31launch_logcumsumexp_cuda_kernelERKNSB_10TensorBaseESF_lENKUlvE_clEvENKUlvE_clEvEUlddE_dEEDaPvRmT3_T4_T5_mT6_P12ihipStream_tbENKUlT_T0_E_clISt17integral_constantIbLb1EESW_EEDaSR_SS_EUlSR_E0_NS1_11comp_targetILNS1_3genE4ELNS1_11target_archE910ELNS1_3gpuE8ELNS1_3repE0EEENS1_30default_config_static_selectorELNS0_4arch9wavefront6targetE1EEEvT1_
                                        ; -- End function
	.set _ZN7rocprim17ROCPRIM_400000_NS6detail17trampoline_kernelINS0_14default_configENS1_20scan_config_selectorIdEEZZNS1_9scan_implILNS1_25lookback_scan_determinismE0ELb0ELb0ES3_PKdPddZZZN2at6native31launch_logcumsumexp_cuda_kernelERKNSB_10TensorBaseESF_lENKUlvE_clEvENKUlvE_clEvEUlddE_dEEDaPvRmT3_T4_T5_mT6_P12ihipStream_tbENKUlT_T0_E_clISt17integral_constantIbLb1EESW_EEDaSR_SS_EUlSR_E0_NS1_11comp_targetILNS1_3genE4ELNS1_11target_archE910ELNS1_3gpuE8ELNS1_3repE0EEENS1_30default_config_static_selectorELNS0_4arch9wavefront6targetE1EEEvT1_.num_vgpr, 0
	.set _ZN7rocprim17ROCPRIM_400000_NS6detail17trampoline_kernelINS0_14default_configENS1_20scan_config_selectorIdEEZZNS1_9scan_implILNS1_25lookback_scan_determinismE0ELb0ELb0ES3_PKdPddZZZN2at6native31launch_logcumsumexp_cuda_kernelERKNSB_10TensorBaseESF_lENKUlvE_clEvENKUlvE_clEvEUlddE_dEEDaPvRmT3_T4_T5_mT6_P12ihipStream_tbENKUlT_T0_E_clISt17integral_constantIbLb1EESW_EEDaSR_SS_EUlSR_E0_NS1_11comp_targetILNS1_3genE4ELNS1_11target_archE910ELNS1_3gpuE8ELNS1_3repE0EEENS1_30default_config_static_selectorELNS0_4arch9wavefront6targetE1EEEvT1_.num_agpr, 0
	.set _ZN7rocprim17ROCPRIM_400000_NS6detail17trampoline_kernelINS0_14default_configENS1_20scan_config_selectorIdEEZZNS1_9scan_implILNS1_25lookback_scan_determinismE0ELb0ELb0ES3_PKdPddZZZN2at6native31launch_logcumsumexp_cuda_kernelERKNSB_10TensorBaseESF_lENKUlvE_clEvENKUlvE_clEvEUlddE_dEEDaPvRmT3_T4_T5_mT6_P12ihipStream_tbENKUlT_T0_E_clISt17integral_constantIbLb1EESW_EEDaSR_SS_EUlSR_E0_NS1_11comp_targetILNS1_3genE4ELNS1_11target_archE910ELNS1_3gpuE8ELNS1_3repE0EEENS1_30default_config_static_selectorELNS0_4arch9wavefront6targetE1EEEvT1_.numbered_sgpr, 0
	.set _ZN7rocprim17ROCPRIM_400000_NS6detail17trampoline_kernelINS0_14default_configENS1_20scan_config_selectorIdEEZZNS1_9scan_implILNS1_25lookback_scan_determinismE0ELb0ELb0ES3_PKdPddZZZN2at6native31launch_logcumsumexp_cuda_kernelERKNSB_10TensorBaseESF_lENKUlvE_clEvENKUlvE_clEvEUlddE_dEEDaPvRmT3_T4_T5_mT6_P12ihipStream_tbENKUlT_T0_E_clISt17integral_constantIbLb1EESW_EEDaSR_SS_EUlSR_E0_NS1_11comp_targetILNS1_3genE4ELNS1_11target_archE910ELNS1_3gpuE8ELNS1_3repE0EEENS1_30default_config_static_selectorELNS0_4arch9wavefront6targetE1EEEvT1_.num_named_barrier, 0
	.set _ZN7rocprim17ROCPRIM_400000_NS6detail17trampoline_kernelINS0_14default_configENS1_20scan_config_selectorIdEEZZNS1_9scan_implILNS1_25lookback_scan_determinismE0ELb0ELb0ES3_PKdPddZZZN2at6native31launch_logcumsumexp_cuda_kernelERKNSB_10TensorBaseESF_lENKUlvE_clEvENKUlvE_clEvEUlddE_dEEDaPvRmT3_T4_T5_mT6_P12ihipStream_tbENKUlT_T0_E_clISt17integral_constantIbLb1EESW_EEDaSR_SS_EUlSR_E0_NS1_11comp_targetILNS1_3genE4ELNS1_11target_archE910ELNS1_3gpuE8ELNS1_3repE0EEENS1_30default_config_static_selectorELNS0_4arch9wavefront6targetE1EEEvT1_.private_seg_size, 0
	.set _ZN7rocprim17ROCPRIM_400000_NS6detail17trampoline_kernelINS0_14default_configENS1_20scan_config_selectorIdEEZZNS1_9scan_implILNS1_25lookback_scan_determinismE0ELb0ELb0ES3_PKdPddZZZN2at6native31launch_logcumsumexp_cuda_kernelERKNSB_10TensorBaseESF_lENKUlvE_clEvENKUlvE_clEvEUlddE_dEEDaPvRmT3_T4_T5_mT6_P12ihipStream_tbENKUlT_T0_E_clISt17integral_constantIbLb1EESW_EEDaSR_SS_EUlSR_E0_NS1_11comp_targetILNS1_3genE4ELNS1_11target_archE910ELNS1_3gpuE8ELNS1_3repE0EEENS1_30default_config_static_selectorELNS0_4arch9wavefront6targetE1EEEvT1_.uses_vcc, 0
	.set _ZN7rocprim17ROCPRIM_400000_NS6detail17trampoline_kernelINS0_14default_configENS1_20scan_config_selectorIdEEZZNS1_9scan_implILNS1_25lookback_scan_determinismE0ELb0ELb0ES3_PKdPddZZZN2at6native31launch_logcumsumexp_cuda_kernelERKNSB_10TensorBaseESF_lENKUlvE_clEvENKUlvE_clEvEUlddE_dEEDaPvRmT3_T4_T5_mT6_P12ihipStream_tbENKUlT_T0_E_clISt17integral_constantIbLb1EESW_EEDaSR_SS_EUlSR_E0_NS1_11comp_targetILNS1_3genE4ELNS1_11target_archE910ELNS1_3gpuE8ELNS1_3repE0EEENS1_30default_config_static_selectorELNS0_4arch9wavefront6targetE1EEEvT1_.uses_flat_scratch, 0
	.set _ZN7rocprim17ROCPRIM_400000_NS6detail17trampoline_kernelINS0_14default_configENS1_20scan_config_selectorIdEEZZNS1_9scan_implILNS1_25lookback_scan_determinismE0ELb0ELb0ES3_PKdPddZZZN2at6native31launch_logcumsumexp_cuda_kernelERKNSB_10TensorBaseESF_lENKUlvE_clEvENKUlvE_clEvEUlddE_dEEDaPvRmT3_T4_T5_mT6_P12ihipStream_tbENKUlT_T0_E_clISt17integral_constantIbLb1EESW_EEDaSR_SS_EUlSR_E0_NS1_11comp_targetILNS1_3genE4ELNS1_11target_archE910ELNS1_3gpuE8ELNS1_3repE0EEENS1_30default_config_static_selectorELNS0_4arch9wavefront6targetE1EEEvT1_.has_dyn_sized_stack, 0
	.set _ZN7rocprim17ROCPRIM_400000_NS6detail17trampoline_kernelINS0_14default_configENS1_20scan_config_selectorIdEEZZNS1_9scan_implILNS1_25lookback_scan_determinismE0ELb0ELb0ES3_PKdPddZZZN2at6native31launch_logcumsumexp_cuda_kernelERKNSB_10TensorBaseESF_lENKUlvE_clEvENKUlvE_clEvEUlddE_dEEDaPvRmT3_T4_T5_mT6_P12ihipStream_tbENKUlT_T0_E_clISt17integral_constantIbLb1EESW_EEDaSR_SS_EUlSR_E0_NS1_11comp_targetILNS1_3genE4ELNS1_11target_archE910ELNS1_3gpuE8ELNS1_3repE0EEENS1_30default_config_static_selectorELNS0_4arch9wavefront6targetE1EEEvT1_.has_recursion, 0
	.set _ZN7rocprim17ROCPRIM_400000_NS6detail17trampoline_kernelINS0_14default_configENS1_20scan_config_selectorIdEEZZNS1_9scan_implILNS1_25lookback_scan_determinismE0ELb0ELb0ES3_PKdPddZZZN2at6native31launch_logcumsumexp_cuda_kernelERKNSB_10TensorBaseESF_lENKUlvE_clEvENKUlvE_clEvEUlddE_dEEDaPvRmT3_T4_T5_mT6_P12ihipStream_tbENKUlT_T0_E_clISt17integral_constantIbLb1EESW_EEDaSR_SS_EUlSR_E0_NS1_11comp_targetILNS1_3genE4ELNS1_11target_archE910ELNS1_3gpuE8ELNS1_3repE0EEENS1_30default_config_static_selectorELNS0_4arch9wavefront6targetE1EEEvT1_.has_indirect_call, 0
	.section	.AMDGPU.csdata,"",@progbits
; Kernel info:
; codeLenInByte = 0
; TotalNumSgprs: 6
; NumVgprs: 0
; NumAgprs: 0
; TotalNumVgprs: 0
; ScratchSize: 0
; MemoryBound: 0
; FloatMode: 240
; IeeeMode: 1
; LDSByteSize: 0 bytes/workgroup (compile time only)
; SGPRBlocks: 0
; VGPRBlocks: 0
; NumSGPRsForWavesPerEU: 6
; NumVGPRsForWavesPerEU: 1
; AccumOffset: 4
; Occupancy: 8
; WaveLimiterHint : 0
; COMPUTE_PGM_RSRC2:SCRATCH_EN: 0
; COMPUTE_PGM_RSRC2:USER_SGPR: 2
; COMPUTE_PGM_RSRC2:TRAP_HANDLER: 0
; COMPUTE_PGM_RSRC2:TGID_X_EN: 1
; COMPUTE_PGM_RSRC2:TGID_Y_EN: 0
; COMPUTE_PGM_RSRC2:TGID_Z_EN: 0
; COMPUTE_PGM_RSRC2:TIDIG_COMP_CNT: 0
; COMPUTE_PGM_RSRC3_GFX90A:ACCUM_OFFSET: 0
; COMPUTE_PGM_RSRC3_GFX90A:TG_SPLIT: 0
	.section	.text._ZN7rocprim17ROCPRIM_400000_NS6detail17trampoline_kernelINS0_14default_configENS1_20scan_config_selectorIdEEZZNS1_9scan_implILNS1_25lookback_scan_determinismE0ELb0ELb0ES3_PKdPddZZZN2at6native31launch_logcumsumexp_cuda_kernelERKNSB_10TensorBaseESF_lENKUlvE_clEvENKUlvE_clEvEUlddE_dEEDaPvRmT3_T4_T5_mT6_P12ihipStream_tbENKUlT_T0_E_clISt17integral_constantIbLb1EESW_EEDaSR_SS_EUlSR_E0_NS1_11comp_targetILNS1_3genE3ELNS1_11target_archE908ELNS1_3gpuE7ELNS1_3repE0EEENS1_30default_config_static_selectorELNS0_4arch9wavefront6targetE1EEEvT1_,"axG",@progbits,_ZN7rocprim17ROCPRIM_400000_NS6detail17trampoline_kernelINS0_14default_configENS1_20scan_config_selectorIdEEZZNS1_9scan_implILNS1_25lookback_scan_determinismE0ELb0ELb0ES3_PKdPddZZZN2at6native31launch_logcumsumexp_cuda_kernelERKNSB_10TensorBaseESF_lENKUlvE_clEvENKUlvE_clEvEUlddE_dEEDaPvRmT3_T4_T5_mT6_P12ihipStream_tbENKUlT_T0_E_clISt17integral_constantIbLb1EESW_EEDaSR_SS_EUlSR_E0_NS1_11comp_targetILNS1_3genE3ELNS1_11target_archE908ELNS1_3gpuE7ELNS1_3repE0EEENS1_30default_config_static_selectorELNS0_4arch9wavefront6targetE1EEEvT1_,comdat
	.globl	_ZN7rocprim17ROCPRIM_400000_NS6detail17trampoline_kernelINS0_14default_configENS1_20scan_config_selectorIdEEZZNS1_9scan_implILNS1_25lookback_scan_determinismE0ELb0ELb0ES3_PKdPddZZZN2at6native31launch_logcumsumexp_cuda_kernelERKNSB_10TensorBaseESF_lENKUlvE_clEvENKUlvE_clEvEUlddE_dEEDaPvRmT3_T4_T5_mT6_P12ihipStream_tbENKUlT_T0_E_clISt17integral_constantIbLb1EESW_EEDaSR_SS_EUlSR_E0_NS1_11comp_targetILNS1_3genE3ELNS1_11target_archE908ELNS1_3gpuE7ELNS1_3repE0EEENS1_30default_config_static_selectorELNS0_4arch9wavefront6targetE1EEEvT1_ ; -- Begin function _ZN7rocprim17ROCPRIM_400000_NS6detail17trampoline_kernelINS0_14default_configENS1_20scan_config_selectorIdEEZZNS1_9scan_implILNS1_25lookback_scan_determinismE0ELb0ELb0ES3_PKdPddZZZN2at6native31launch_logcumsumexp_cuda_kernelERKNSB_10TensorBaseESF_lENKUlvE_clEvENKUlvE_clEvEUlddE_dEEDaPvRmT3_T4_T5_mT6_P12ihipStream_tbENKUlT_T0_E_clISt17integral_constantIbLb1EESW_EEDaSR_SS_EUlSR_E0_NS1_11comp_targetILNS1_3genE3ELNS1_11target_archE908ELNS1_3gpuE7ELNS1_3repE0EEENS1_30default_config_static_selectorELNS0_4arch9wavefront6targetE1EEEvT1_
	.p2align	8
	.type	_ZN7rocprim17ROCPRIM_400000_NS6detail17trampoline_kernelINS0_14default_configENS1_20scan_config_selectorIdEEZZNS1_9scan_implILNS1_25lookback_scan_determinismE0ELb0ELb0ES3_PKdPddZZZN2at6native31launch_logcumsumexp_cuda_kernelERKNSB_10TensorBaseESF_lENKUlvE_clEvENKUlvE_clEvEUlddE_dEEDaPvRmT3_T4_T5_mT6_P12ihipStream_tbENKUlT_T0_E_clISt17integral_constantIbLb1EESW_EEDaSR_SS_EUlSR_E0_NS1_11comp_targetILNS1_3genE3ELNS1_11target_archE908ELNS1_3gpuE7ELNS1_3repE0EEENS1_30default_config_static_selectorELNS0_4arch9wavefront6targetE1EEEvT1_,@function
_ZN7rocprim17ROCPRIM_400000_NS6detail17trampoline_kernelINS0_14default_configENS1_20scan_config_selectorIdEEZZNS1_9scan_implILNS1_25lookback_scan_determinismE0ELb0ELb0ES3_PKdPddZZZN2at6native31launch_logcumsumexp_cuda_kernelERKNSB_10TensorBaseESF_lENKUlvE_clEvENKUlvE_clEvEUlddE_dEEDaPvRmT3_T4_T5_mT6_P12ihipStream_tbENKUlT_T0_E_clISt17integral_constantIbLb1EESW_EEDaSR_SS_EUlSR_E0_NS1_11comp_targetILNS1_3genE3ELNS1_11target_archE908ELNS1_3gpuE7ELNS1_3repE0EEENS1_30default_config_static_selectorELNS0_4arch9wavefront6targetE1EEEvT1_: ; @_ZN7rocprim17ROCPRIM_400000_NS6detail17trampoline_kernelINS0_14default_configENS1_20scan_config_selectorIdEEZZNS1_9scan_implILNS1_25lookback_scan_determinismE0ELb0ELb0ES3_PKdPddZZZN2at6native31launch_logcumsumexp_cuda_kernelERKNSB_10TensorBaseESF_lENKUlvE_clEvENKUlvE_clEvEUlddE_dEEDaPvRmT3_T4_T5_mT6_P12ihipStream_tbENKUlT_T0_E_clISt17integral_constantIbLb1EESW_EEDaSR_SS_EUlSR_E0_NS1_11comp_targetILNS1_3genE3ELNS1_11target_archE908ELNS1_3gpuE7ELNS1_3repE0EEENS1_30default_config_static_selectorELNS0_4arch9wavefront6targetE1EEEvT1_
; %bb.0:
	.section	.rodata,"a",@progbits
	.p2align	6, 0x0
	.amdhsa_kernel _ZN7rocprim17ROCPRIM_400000_NS6detail17trampoline_kernelINS0_14default_configENS1_20scan_config_selectorIdEEZZNS1_9scan_implILNS1_25lookback_scan_determinismE0ELb0ELb0ES3_PKdPddZZZN2at6native31launch_logcumsumexp_cuda_kernelERKNSB_10TensorBaseESF_lENKUlvE_clEvENKUlvE_clEvEUlddE_dEEDaPvRmT3_T4_T5_mT6_P12ihipStream_tbENKUlT_T0_E_clISt17integral_constantIbLb1EESW_EEDaSR_SS_EUlSR_E0_NS1_11comp_targetILNS1_3genE3ELNS1_11target_archE908ELNS1_3gpuE7ELNS1_3repE0EEENS1_30default_config_static_selectorELNS0_4arch9wavefront6targetE1EEEvT1_
		.amdhsa_group_segment_fixed_size 0
		.amdhsa_private_segment_fixed_size 0
		.amdhsa_kernarg_size 40
		.amdhsa_user_sgpr_count 2
		.amdhsa_user_sgpr_dispatch_ptr 0
		.amdhsa_user_sgpr_queue_ptr 0
		.amdhsa_user_sgpr_kernarg_segment_ptr 1
		.amdhsa_user_sgpr_dispatch_id 0
		.amdhsa_user_sgpr_kernarg_preload_length 0
		.amdhsa_user_sgpr_kernarg_preload_offset 0
		.amdhsa_user_sgpr_private_segment_size 0
		.amdhsa_uses_dynamic_stack 0
		.amdhsa_enable_private_segment 0
		.amdhsa_system_sgpr_workgroup_id_x 1
		.amdhsa_system_sgpr_workgroup_id_y 0
		.amdhsa_system_sgpr_workgroup_id_z 0
		.amdhsa_system_sgpr_workgroup_info 0
		.amdhsa_system_vgpr_workitem_id 0
		.amdhsa_next_free_vgpr 1
		.amdhsa_next_free_sgpr 0
		.amdhsa_accum_offset 4
		.amdhsa_reserve_vcc 0
		.amdhsa_float_round_mode_32 0
		.amdhsa_float_round_mode_16_64 0
		.amdhsa_float_denorm_mode_32 3
		.amdhsa_float_denorm_mode_16_64 3
		.amdhsa_dx10_clamp 1
		.amdhsa_ieee_mode 1
		.amdhsa_fp16_overflow 0
		.amdhsa_tg_split 0
		.amdhsa_exception_fp_ieee_invalid_op 0
		.amdhsa_exception_fp_denorm_src 0
		.amdhsa_exception_fp_ieee_div_zero 0
		.amdhsa_exception_fp_ieee_overflow 0
		.amdhsa_exception_fp_ieee_underflow 0
		.amdhsa_exception_fp_ieee_inexact 0
		.amdhsa_exception_int_div_zero 0
	.end_amdhsa_kernel
	.section	.text._ZN7rocprim17ROCPRIM_400000_NS6detail17trampoline_kernelINS0_14default_configENS1_20scan_config_selectorIdEEZZNS1_9scan_implILNS1_25lookback_scan_determinismE0ELb0ELb0ES3_PKdPddZZZN2at6native31launch_logcumsumexp_cuda_kernelERKNSB_10TensorBaseESF_lENKUlvE_clEvENKUlvE_clEvEUlddE_dEEDaPvRmT3_T4_T5_mT6_P12ihipStream_tbENKUlT_T0_E_clISt17integral_constantIbLb1EESW_EEDaSR_SS_EUlSR_E0_NS1_11comp_targetILNS1_3genE3ELNS1_11target_archE908ELNS1_3gpuE7ELNS1_3repE0EEENS1_30default_config_static_selectorELNS0_4arch9wavefront6targetE1EEEvT1_,"axG",@progbits,_ZN7rocprim17ROCPRIM_400000_NS6detail17trampoline_kernelINS0_14default_configENS1_20scan_config_selectorIdEEZZNS1_9scan_implILNS1_25lookback_scan_determinismE0ELb0ELb0ES3_PKdPddZZZN2at6native31launch_logcumsumexp_cuda_kernelERKNSB_10TensorBaseESF_lENKUlvE_clEvENKUlvE_clEvEUlddE_dEEDaPvRmT3_T4_T5_mT6_P12ihipStream_tbENKUlT_T0_E_clISt17integral_constantIbLb1EESW_EEDaSR_SS_EUlSR_E0_NS1_11comp_targetILNS1_3genE3ELNS1_11target_archE908ELNS1_3gpuE7ELNS1_3repE0EEENS1_30default_config_static_selectorELNS0_4arch9wavefront6targetE1EEEvT1_,comdat
.Lfunc_end40:
	.size	_ZN7rocprim17ROCPRIM_400000_NS6detail17trampoline_kernelINS0_14default_configENS1_20scan_config_selectorIdEEZZNS1_9scan_implILNS1_25lookback_scan_determinismE0ELb0ELb0ES3_PKdPddZZZN2at6native31launch_logcumsumexp_cuda_kernelERKNSB_10TensorBaseESF_lENKUlvE_clEvENKUlvE_clEvEUlddE_dEEDaPvRmT3_T4_T5_mT6_P12ihipStream_tbENKUlT_T0_E_clISt17integral_constantIbLb1EESW_EEDaSR_SS_EUlSR_E0_NS1_11comp_targetILNS1_3genE3ELNS1_11target_archE908ELNS1_3gpuE7ELNS1_3repE0EEENS1_30default_config_static_selectorELNS0_4arch9wavefront6targetE1EEEvT1_, .Lfunc_end40-_ZN7rocprim17ROCPRIM_400000_NS6detail17trampoline_kernelINS0_14default_configENS1_20scan_config_selectorIdEEZZNS1_9scan_implILNS1_25lookback_scan_determinismE0ELb0ELb0ES3_PKdPddZZZN2at6native31launch_logcumsumexp_cuda_kernelERKNSB_10TensorBaseESF_lENKUlvE_clEvENKUlvE_clEvEUlddE_dEEDaPvRmT3_T4_T5_mT6_P12ihipStream_tbENKUlT_T0_E_clISt17integral_constantIbLb1EESW_EEDaSR_SS_EUlSR_E0_NS1_11comp_targetILNS1_3genE3ELNS1_11target_archE908ELNS1_3gpuE7ELNS1_3repE0EEENS1_30default_config_static_selectorELNS0_4arch9wavefront6targetE1EEEvT1_
                                        ; -- End function
	.set _ZN7rocprim17ROCPRIM_400000_NS6detail17trampoline_kernelINS0_14default_configENS1_20scan_config_selectorIdEEZZNS1_9scan_implILNS1_25lookback_scan_determinismE0ELb0ELb0ES3_PKdPddZZZN2at6native31launch_logcumsumexp_cuda_kernelERKNSB_10TensorBaseESF_lENKUlvE_clEvENKUlvE_clEvEUlddE_dEEDaPvRmT3_T4_T5_mT6_P12ihipStream_tbENKUlT_T0_E_clISt17integral_constantIbLb1EESW_EEDaSR_SS_EUlSR_E0_NS1_11comp_targetILNS1_3genE3ELNS1_11target_archE908ELNS1_3gpuE7ELNS1_3repE0EEENS1_30default_config_static_selectorELNS0_4arch9wavefront6targetE1EEEvT1_.num_vgpr, 0
	.set _ZN7rocprim17ROCPRIM_400000_NS6detail17trampoline_kernelINS0_14default_configENS1_20scan_config_selectorIdEEZZNS1_9scan_implILNS1_25lookback_scan_determinismE0ELb0ELb0ES3_PKdPddZZZN2at6native31launch_logcumsumexp_cuda_kernelERKNSB_10TensorBaseESF_lENKUlvE_clEvENKUlvE_clEvEUlddE_dEEDaPvRmT3_T4_T5_mT6_P12ihipStream_tbENKUlT_T0_E_clISt17integral_constantIbLb1EESW_EEDaSR_SS_EUlSR_E0_NS1_11comp_targetILNS1_3genE3ELNS1_11target_archE908ELNS1_3gpuE7ELNS1_3repE0EEENS1_30default_config_static_selectorELNS0_4arch9wavefront6targetE1EEEvT1_.num_agpr, 0
	.set _ZN7rocprim17ROCPRIM_400000_NS6detail17trampoline_kernelINS0_14default_configENS1_20scan_config_selectorIdEEZZNS1_9scan_implILNS1_25lookback_scan_determinismE0ELb0ELb0ES3_PKdPddZZZN2at6native31launch_logcumsumexp_cuda_kernelERKNSB_10TensorBaseESF_lENKUlvE_clEvENKUlvE_clEvEUlddE_dEEDaPvRmT3_T4_T5_mT6_P12ihipStream_tbENKUlT_T0_E_clISt17integral_constantIbLb1EESW_EEDaSR_SS_EUlSR_E0_NS1_11comp_targetILNS1_3genE3ELNS1_11target_archE908ELNS1_3gpuE7ELNS1_3repE0EEENS1_30default_config_static_selectorELNS0_4arch9wavefront6targetE1EEEvT1_.numbered_sgpr, 0
	.set _ZN7rocprim17ROCPRIM_400000_NS6detail17trampoline_kernelINS0_14default_configENS1_20scan_config_selectorIdEEZZNS1_9scan_implILNS1_25lookback_scan_determinismE0ELb0ELb0ES3_PKdPddZZZN2at6native31launch_logcumsumexp_cuda_kernelERKNSB_10TensorBaseESF_lENKUlvE_clEvENKUlvE_clEvEUlddE_dEEDaPvRmT3_T4_T5_mT6_P12ihipStream_tbENKUlT_T0_E_clISt17integral_constantIbLb1EESW_EEDaSR_SS_EUlSR_E0_NS1_11comp_targetILNS1_3genE3ELNS1_11target_archE908ELNS1_3gpuE7ELNS1_3repE0EEENS1_30default_config_static_selectorELNS0_4arch9wavefront6targetE1EEEvT1_.num_named_barrier, 0
	.set _ZN7rocprim17ROCPRIM_400000_NS6detail17trampoline_kernelINS0_14default_configENS1_20scan_config_selectorIdEEZZNS1_9scan_implILNS1_25lookback_scan_determinismE0ELb0ELb0ES3_PKdPddZZZN2at6native31launch_logcumsumexp_cuda_kernelERKNSB_10TensorBaseESF_lENKUlvE_clEvENKUlvE_clEvEUlddE_dEEDaPvRmT3_T4_T5_mT6_P12ihipStream_tbENKUlT_T0_E_clISt17integral_constantIbLb1EESW_EEDaSR_SS_EUlSR_E0_NS1_11comp_targetILNS1_3genE3ELNS1_11target_archE908ELNS1_3gpuE7ELNS1_3repE0EEENS1_30default_config_static_selectorELNS0_4arch9wavefront6targetE1EEEvT1_.private_seg_size, 0
	.set _ZN7rocprim17ROCPRIM_400000_NS6detail17trampoline_kernelINS0_14default_configENS1_20scan_config_selectorIdEEZZNS1_9scan_implILNS1_25lookback_scan_determinismE0ELb0ELb0ES3_PKdPddZZZN2at6native31launch_logcumsumexp_cuda_kernelERKNSB_10TensorBaseESF_lENKUlvE_clEvENKUlvE_clEvEUlddE_dEEDaPvRmT3_T4_T5_mT6_P12ihipStream_tbENKUlT_T0_E_clISt17integral_constantIbLb1EESW_EEDaSR_SS_EUlSR_E0_NS1_11comp_targetILNS1_3genE3ELNS1_11target_archE908ELNS1_3gpuE7ELNS1_3repE0EEENS1_30default_config_static_selectorELNS0_4arch9wavefront6targetE1EEEvT1_.uses_vcc, 0
	.set _ZN7rocprim17ROCPRIM_400000_NS6detail17trampoline_kernelINS0_14default_configENS1_20scan_config_selectorIdEEZZNS1_9scan_implILNS1_25lookback_scan_determinismE0ELb0ELb0ES3_PKdPddZZZN2at6native31launch_logcumsumexp_cuda_kernelERKNSB_10TensorBaseESF_lENKUlvE_clEvENKUlvE_clEvEUlddE_dEEDaPvRmT3_T4_T5_mT6_P12ihipStream_tbENKUlT_T0_E_clISt17integral_constantIbLb1EESW_EEDaSR_SS_EUlSR_E0_NS1_11comp_targetILNS1_3genE3ELNS1_11target_archE908ELNS1_3gpuE7ELNS1_3repE0EEENS1_30default_config_static_selectorELNS0_4arch9wavefront6targetE1EEEvT1_.uses_flat_scratch, 0
	.set _ZN7rocprim17ROCPRIM_400000_NS6detail17trampoline_kernelINS0_14default_configENS1_20scan_config_selectorIdEEZZNS1_9scan_implILNS1_25lookback_scan_determinismE0ELb0ELb0ES3_PKdPddZZZN2at6native31launch_logcumsumexp_cuda_kernelERKNSB_10TensorBaseESF_lENKUlvE_clEvENKUlvE_clEvEUlddE_dEEDaPvRmT3_T4_T5_mT6_P12ihipStream_tbENKUlT_T0_E_clISt17integral_constantIbLb1EESW_EEDaSR_SS_EUlSR_E0_NS1_11comp_targetILNS1_3genE3ELNS1_11target_archE908ELNS1_3gpuE7ELNS1_3repE0EEENS1_30default_config_static_selectorELNS0_4arch9wavefront6targetE1EEEvT1_.has_dyn_sized_stack, 0
	.set _ZN7rocprim17ROCPRIM_400000_NS6detail17trampoline_kernelINS0_14default_configENS1_20scan_config_selectorIdEEZZNS1_9scan_implILNS1_25lookback_scan_determinismE0ELb0ELb0ES3_PKdPddZZZN2at6native31launch_logcumsumexp_cuda_kernelERKNSB_10TensorBaseESF_lENKUlvE_clEvENKUlvE_clEvEUlddE_dEEDaPvRmT3_T4_T5_mT6_P12ihipStream_tbENKUlT_T0_E_clISt17integral_constantIbLb1EESW_EEDaSR_SS_EUlSR_E0_NS1_11comp_targetILNS1_3genE3ELNS1_11target_archE908ELNS1_3gpuE7ELNS1_3repE0EEENS1_30default_config_static_selectorELNS0_4arch9wavefront6targetE1EEEvT1_.has_recursion, 0
	.set _ZN7rocprim17ROCPRIM_400000_NS6detail17trampoline_kernelINS0_14default_configENS1_20scan_config_selectorIdEEZZNS1_9scan_implILNS1_25lookback_scan_determinismE0ELb0ELb0ES3_PKdPddZZZN2at6native31launch_logcumsumexp_cuda_kernelERKNSB_10TensorBaseESF_lENKUlvE_clEvENKUlvE_clEvEUlddE_dEEDaPvRmT3_T4_T5_mT6_P12ihipStream_tbENKUlT_T0_E_clISt17integral_constantIbLb1EESW_EEDaSR_SS_EUlSR_E0_NS1_11comp_targetILNS1_3genE3ELNS1_11target_archE908ELNS1_3gpuE7ELNS1_3repE0EEENS1_30default_config_static_selectorELNS0_4arch9wavefront6targetE1EEEvT1_.has_indirect_call, 0
	.section	.AMDGPU.csdata,"",@progbits
; Kernel info:
; codeLenInByte = 0
; TotalNumSgprs: 6
; NumVgprs: 0
; NumAgprs: 0
; TotalNumVgprs: 0
; ScratchSize: 0
; MemoryBound: 0
; FloatMode: 240
; IeeeMode: 1
; LDSByteSize: 0 bytes/workgroup (compile time only)
; SGPRBlocks: 0
; VGPRBlocks: 0
; NumSGPRsForWavesPerEU: 6
; NumVGPRsForWavesPerEU: 1
; AccumOffset: 4
; Occupancy: 8
; WaveLimiterHint : 0
; COMPUTE_PGM_RSRC2:SCRATCH_EN: 0
; COMPUTE_PGM_RSRC2:USER_SGPR: 2
; COMPUTE_PGM_RSRC2:TRAP_HANDLER: 0
; COMPUTE_PGM_RSRC2:TGID_X_EN: 1
; COMPUTE_PGM_RSRC2:TGID_Y_EN: 0
; COMPUTE_PGM_RSRC2:TGID_Z_EN: 0
; COMPUTE_PGM_RSRC2:TIDIG_COMP_CNT: 0
; COMPUTE_PGM_RSRC3_GFX90A:ACCUM_OFFSET: 0
; COMPUTE_PGM_RSRC3_GFX90A:TG_SPLIT: 0
	.section	.text._ZN7rocprim17ROCPRIM_400000_NS6detail17trampoline_kernelINS0_14default_configENS1_20scan_config_selectorIdEEZZNS1_9scan_implILNS1_25lookback_scan_determinismE0ELb0ELb0ES3_PKdPddZZZN2at6native31launch_logcumsumexp_cuda_kernelERKNSB_10TensorBaseESF_lENKUlvE_clEvENKUlvE_clEvEUlddE_dEEDaPvRmT3_T4_T5_mT6_P12ihipStream_tbENKUlT_T0_E_clISt17integral_constantIbLb1EESW_EEDaSR_SS_EUlSR_E0_NS1_11comp_targetILNS1_3genE2ELNS1_11target_archE906ELNS1_3gpuE6ELNS1_3repE0EEENS1_30default_config_static_selectorELNS0_4arch9wavefront6targetE1EEEvT1_,"axG",@progbits,_ZN7rocprim17ROCPRIM_400000_NS6detail17trampoline_kernelINS0_14default_configENS1_20scan_config_selectorIdEEZZNS1_9scan_implILNS1_25lookback_scan_determinismE0ELb0ELb0ES3_PKdPddZZZN2at6native31launch_logcumsumexp_cuda_kernelERKNSB_10TensorBaseESF_lENKUlvE_clEvENKUlvE_clEvEUlddE_dEEDaPvRmT3_T4_T5_mT6_P12ihipStream_tbENKUlT_T0_E_clISt17integral_constantIbLb1EESW_EEDaSR_SS_EUlSR_E0_NS1_11comp_targetILNS1_3genE2ELNS1_11target_archE906ELNS1_3gpuE6ELNS1_3repE0EEENS1_30default_config_static_selectorELNS0_4arch9wavefront6targetE1EEEvT1_,comdat
	.globl	_ZN7rocprim17ROCPRIM_400000_NS6detail17trampoline_kernelINS0_14default_configENS1_20scan_config_selectorIdEEZZNS1_9scan_implILNS1_25lookback_scan_determinismE0ELb0ELb0ES3_PKdPddZZZN2at6native31launch_logcumsumexp_cuda_kernelERKNSB_10TensorBaseESF_lENKUlvE_clEvENKUlvE_clEvEUlddE_dEEDaPvRmT3_T4_T5_mT6_P12ihipStream_tbENKUlT_T0_E_clISt17integral_constantIbLb1EESW_EEDaSR_SS_EUlSR_E0_NS1_11comp_targetILNS1_3genE2ELNS1_11target_archE906ELNS1_3gpuE6ELNS1_3repE0EEENS1_30default_config_static_selectorELNS0_4arch9wavefront6targetE1EEEvT1_ ; -- Begin function _ZN7rocprim17ROCPRIM_400000_NS6detail17trampoline_kernelINS0_14default_configENS1_20scan_config_selectorIdEEZZNS1_9scan_implILNS1_25lookback_scan_determinismE0ELb0ELb0ES3_PKdPddZZZN2at6native31launch_logcumsumexp_cuda_kernelERKNSB_10TensorBaseESF_lENKUlvE_clEvENKUlvE_clEvEUlddE_dEEDaPvRmT3_T4_T5_mT6_P12ihipStream_tbENKUlT_T0_E_clISt17integral_constantIbLb1EESW_EEDaSR_SS_EUlSR_E0_NS1_11comp_targetILNS1_3genE2ELNS1_11target_archE906ELNS1_3gpuE6ELNS1_3repE0EEENS1_30default_config_static_selectorELNS0_4arch9wavefront6targetE1EEEvT1_
	.p2align	8
	.type	_ZN7rocprim17ROCPRIM_400000_NS6detail17trampoline_kernelINS0_14default_configENS1_20scan_config_selectorIdEEZZNS1_9scan_implILNS1_25lookback_scan_determinismE0ELb0ELb0ES3_PKdPddZZZN2at6native31launch_logcumsumexp_cuda_kernelERKNSB_10TensorBaseESF_lENKUlvE_clEvENKUlvE_clEvEUlddE_dEEDaPvRmT3_T4_T5_mT6_P12ihipStream_tbENKUlT_T0_E_clISt17integral_constantIbLb1EESW_EEDaSR_SS_EUlSR_E0_NS1_11comp_targetILNS1_3genE2ELNS1_11target_archE906ELNS1_3gpuE6ELNS1_3repE0EEENS1_30default_config_static_selectorELNS0_4arch9wavefront6targetE1EEEvT1_,@function
_ZN7rocprim17ROCPRIM_400000_NS6detail17trampoline_kernelINS0_14default_configENS1_20scan_config_selectorIdEEZZNS1_9scan_implILNS1_25lookback_scan_determinismE0ELb0ELb0ES3_PKdPddZZZN2at6native31launch_logcumsumexp_cuda_kernelERKNSB_10TensorBaseESF_lENKUlvE_clEvENKUlvE_clEvEUlddE_dEEDaPvRmT3_T4_T5_mT6_P12ihipStream_tbENKUlT_T0_E_clISt17integral_constantIbLb1EESW_EEDaSR_SS_EUlSR_E0_NS1_11comp_targetILNS1_3genE2ELNS1_11target_archE906ELNS1_3gpuE6ELNS1_3repE0EEENS1_30default_config_static_selectorELNS0_4arch9wavefront6targetE1EEEvT1_: ; @_ZN7rocprim17ROCPRIM_400000_NS6detail17trampoline_kernelINS0_14default_configENS1_20scan_config_selectorIdEEZZNS1_9scan_implILNS1_25lookback_scan_determinismE0ELb0ELb0ES3_PKdPddZZZN2at6native31launch_logcumsumexp_cuda_kernelERKNSB_10TensorBaseESF_lENKUlvE_clEvENKUlvE_clEvEUlddE_dEEDaPvRmT3_T4_T5_mT6_P12ihipStream_tbENKUlT_T0_E_clISt17integral_constantIbLb1EESW_EEDaSR_SS_EUlSR_E0_NS1_11comp_targetILNS1_3genE2ELNS1_11target_archE906ELNS1_3gpuE6ELNS1_3repE0EEENS1_30default_config_static_selectorELNS0_4arch9wavefront6targetE1EEEvT1_
; %bb.0:
	.section	.rodata,"a",@progbits
	.p2align	6, 0x0
	.amdhsa_kernel _ZN7rocprim17ROCPRIM_400000_NS6detail17trampoline_kernelINS0_14default_configENS1_20scan_config_selectorIdEEZZNS1_9scan_implILNS1_25lookback_scan_determinismE0ELb0ELb0ES3_PKdPddZZZN2at6native31launch_logcumsumexp_cuda_kernelERKNSB_10TensorBaseESF_lENKUlvE_clEvENKUlvE_clEvEUlddE_dEEDaPvRmT3_T4_T5_mT6_P12ihipStream_tbENKUlT_T0_E_clISt17integral_constantIbLb1EESW_EEDaSR_SS_EUlSR_E0_NS1_11comp_targetILNS1_3genE2ELNS1_11target_archE906ELNS1_3gpuE6ELNS1_3repE0EEENS1_30default_config_static_selectorELNS0_4arch9wavefront6targetE1EEEvT1_
		.amdhsa_group_segment_fixed_size 0
		.amdhsa_private_segment_fixed_size 0
		.amdhsa_kernarg_size 40
		.amdhsa_user_sgpr_count 2
		.amdhsa_user_sgpr_dispatch_ptr 0
		.amdhsa_user_sgpr_queue_ptr 0
		.amdhsa_user_sgpr_kernarg_segment_ptr 1
		.amdhsa_user_sgpr_dispatch_id 0
		.amdhsa_user_sgpr_kernarg_preload_length 0
		.amdhsa_user_sgpr_kernarg_preload_offset 0
		.amdhsa_user_sgpr_private_segment_size 0
		.amdhsa_uses_dynamic_stack 0
		.amdhsa_enable_private_segment 0
		.amdhsa_system_sgpr_workgroup_id_x 1
		.amdhsa_system_sgpr_workgroup_id_y 0
		.amdhsa_system_sgpr_workgroup_id_z 0
		.amdhsa_system_sgpr_workgroup_info 0
		.amdhsa_system_vgpr_workitem_id 0
		.amdhsa_next_free_vgpr 1
		.amdhsa_next_free_sgpr 0
		.amdhsa_accum_offset 4
		.amdhsa_reserve_vcc 0
		.amdhsa_float_round_mode_32 0
		.amdhsa_float_round_mode_16_64 0
		.amdhsa_float_denorm_mode_32 3
		.amdhsa_float_denorm_mode_16_64 3
		.amdhsa_dx10_clamp 1
		.amdhsa_ieee_mode 1
		.amdhsa_fp16_overflow 0
		.amdhsa_tg_split 0
		.amdhsa_exception_fp_ieee_invalid_op 0
		.amdhsa_exception_fp_denorm_src 0
		.amdhsa_exception_fp_ieee_div_zero 0
		.amdhsa_exception_fp_ieee_overflow 0
		.amdhsa_exception_fp_ieee_underflow 0
		.amdhsa_exception_fp_ieee_inexact 0
		.amdhsa_exception_int_div_zero 0
	.end_amdhsa_kernel
	.section	.text._ZN7rocprim17ROCPRIM_400000_NS6detail17trampoline_kernelINS0_14default_configENS1_20scan_config_selectorIdEEZZNS1_9scan_implILNS1_25lookback_scan_determinismE0ELb0ELb0ES3_PKdPddZZZN2at6native31launch_logcumsumexp_cuda_kernelERKNSB_10TensorBaseESF_lENKUlvE_clEvENKUlvE_clEvEUlddE_dEEDaPvRmT3_T4_T5_mT6_P12ihipStream_tbENKUlT_T0_E_clISt17integral_constantIbLb1EESW_EEDaSR_SS_EUlSR_E0_NS1_11comp_targetILNS1_3genE2ELNS1_11target_archE906ELNS1_3gpuE6ELNS1_3repE0EEENS1_30default_config_static_selectorELNS0_4arch9wavefront6targetE1EEEvT1_,"axG",@progbits,_ZN7rocprim17ROCPRIM_400000_NS6detail17trampoline_kernelINS0_14default_configENS1_20scan_config_selectorIdEEZZNS1_9scan_implILNS1_25lookback_scan_determinismE0ELb0ELb0ES3_PKdPddZZZN2at6native31launch_logcumsumexp_cuda_kernelERKNSB_10TensorBaseESF_lENKUlvE_clEvENKUlvE_clEvEUlddE_dEEDaPvRmT3_T4_T5_mT6_P12ihipStream_tbENKUlT_T0_E_clISt17integral_constantIbLb1EESW_EEDaSR_SS_EUlSR_E0_NS1_11comp_targetILNS1_3genE2ELNS1_11target_archE906ELNS1_3gpuE6ELNS1_3repE0EEENS1_30default_config_static_selectorELNS0_4arch9wavefront6targetE1EEEvT1_,comdat
.Lfunc_end41:
	.size	_ZN7rocprim17ROCPRIM_400000_NS6detail17trampoline_kernelINS0_14default_configENS1_20scan_config_selectorIdEEZZNS1_9scan_implILNS1_25lookback_scan_determinismE0ELb0ELb0ES3_PKdPddZZZN2at6native31launch_logcumsumexp_cuda_kernelERKNSB_10TensorBaseESF_lENKUlvE_clEvENKUlvE_clEvEUlddE_dEEDaPvRmT3_T4_T5_mT6_P12ihipStream_tbENKUlT_T0_E_clISt17integral_constantIbLb1EESW_EEDaSR_SS_EUlSR_E0_NS1_11comp_targetILNS1_3genE2ELNS1_11target_archE906ELNS1_3gpuE6ELNS1_3repE0EEENS1_30default_config_static_selectorELNS0_4arch9wavefront6targetE1EEEvT1_, .Lfunc_end41-_ZN7rocprim17ROCPRIM_400000_NS6detail17trampoline_kernelINS0_14default_configENS1_20scan_config_selectorIdEEZZNS1_9scan_implILNS1_25lookback_scan_determinismE0ELb0ELb0ES3_PKdPddZZZN2at6native31launch_logcumsumexp_cuda_kernelERKNSB_10TensorBaseESF_lENKUlvE_clEvENKUlvE_clEvEUlddE_dEEDaPvRmT3_T4_T5_mT6_P12ihipStream_tbENKUlT_T0_E_clISt17integral_constantIbLb1EESW_EEDaSR_SS_EUlSR_E0_NS1_11comp_targetILNS1_3genE2ELNS1_11target_archE906ELNS1_3gpuE6ELNS1_3repE0EEENS1_30default_config_static_selectorELNS0_4arch9wavefront6targetE1EEEvT1_
                                        ; -- End function
	.set _ZN7rocprim17ROCPRIM_400000_NS6detail17trampoline_kernelINS0_14default_configENS1_20scan_config_selectorIdEEZZNS1_9scan_implILNS1_25lookback_scan_determinismE0ELb0ELb0ES3_PKdPddZZZN2at6native31launch_logcumsumexp_cuda_kernelERKNSB_10TensorBaseESF_lENKUlvE_clEvENKUlvE_clEvEUlddE_dEEDaPvRmT3_T4_T5_mT6_P12ihipStream_tbENKUlT_T0_E_clISt17integral_constantIbLb1EESW_EEDaSR_SS_EUlSR_E0_NS1_11comp_targetILNS1_3genE2ELNS1_11target_archE906ELNS1_3gpuE6ELNS1_3repE0EEENS1_30default_config_static_selectorELNS0_4arch9wavefront6targetE1EEEvT1_.num_vgpr, 0
	.set _ZN7rocprim17ROCPRIM_400000_NS6detail17trampoline_kernelINS0_14default_configENS1_20scan_config_selectorIdEEZZNS1_9scan_implILNS1_25lookback_scan_determinismE0ELb0ELb0ES3_PKdPddZZZN2at6native31launch_logcumsumexp_cuda_kernelERKNSB_10TensorBaseESF_lENKUlvE_clEvENKUlvE_clEvEUlddE_dEEDaPvRmT3_T4_T5_mT6_P12ihipStream_tbENKUlT_T0_E_clISt17integral_constantIbLb1EESW_EEDaSR_SS_EUlSR_E0_NS1_11comp_targetILNS1_3genE2ELNS1_11target_archE906ELNS1_3gpuE6ELNS1_3repE0EEENS1_30default_config_static_selectorELNS0_4arch9wavefront6targetE1EEEvT1_.num_agpr, 0
	.set _ZN7rocprim17ROCPRIM_400000_NS6detail17trampoline_kernelINS0_14default_configENS1_20scan_config_selectorIdEEZZNS1_9scan_implILNS1_25lookback_scan_determinismE0ELb0ELb0ES3_PKdPddZZZN2at6native31launch_logcumsumexp_cuda_kernelERKNSB_10TensorBaseESF_lENKUlvE_clEvENKUlvE_clEvEUlddE_dEEDaPvRmT3_T4_T5_mT6_P12ihipStream_tbENKUlT_T0_E_clISt17integral_constantIbLb1EESW_EEDaSR_SS_EUlSR_E0_NS1_11comp_targetILNS1_3genE2ELNS1_11target_archE906ELNS1_3gpuE6ELNS1_3repE0EEENS1_30default_config_static_selectorELNS0_4arch9wavefront6targetE1EEEvT1_.numbered_sgpr, 0
	.set _ZN7rocprim17ROCPRIM_400000_NS6detail17trampoline_kernelINS0_14default_configENS1_20scan_config_selectorIdEEZZNS1_9scan_implILNS1_25lookback_scan_determinismE0ELb0ELb0ES3_PKdPddZZZN2at6native31launch_logcumsumexp_cuda_kernelERKNSB_10TensorBaseESF_lENKUlvE_clEvENKUlvE_clEvEUlddE_dEEDaPvRmT3_T4_T5_mT6_P12ihipStream_tbENKUlT_T0_E_clISt17integral_constantIbLb1EESW_EEDaSR_SS_EUlSR_E0_NS1_11comp_targetILNS1_3genE2ELNS1_11target_archE906ELNS1_3gpuE6ELNS1_3repE0EEENS1_30default_config_static_selectorELNS0_4arch9wavefront6targetE1EEEvT1_.num_named_barrier, 0
	.set _ZN7rocprim17ROCPRIM_400000_NS6detail17trampoline_kernelINS0_14default_configENS1_20scan_config_selectorIdEEZZNS1_9scan_implILNS1_25lookback_scan_determinismE0ELb0ELb0ES3_PKdPddZZZN2at6native31launch_logcumsumexp_cuda_kernelERKNSB_10TensorBaseESF_lENKUlvE_clEvENKUlvE_clEvEUlddE_dEEDaPvRmT3_T4_T5_mT6_P12ihipStream_tbENKUlT_T0_E_clISt17integral_constantIbLb1EESW_EEDaSR_SS_EUlSR_E0_NS1_11comp_targetILNS1_3genE2ELNS1_11target_archE906ELNS1_3gpuE6ELNS1_3repE0EEENS1_30default_config_static_selectorELNS0_4arch9wavefront6targetE1EEEvT1_.private_seg_size, 0
	.set _ZN7rocprim17ROCPRIM_400000_NS6detail17trampoline_kernelINS0_14default_configENS1_20scan_config_selectorIdEEZZNS1_9scan_implILNS1_25lookback_scan_determinismE0ELb0ELb0ES3_PKdPddZZZN2at6native31launch_logcumsumexp_cuda_kernelERKNSB_10TensorBaseESF_lENKUlvE_clEvENKUlvE_clEvEUlddE_dEEDaPvRmT3_T4_T5_mT6_P12ihipStream_tbENKUlT_T0_E_clISt17integral_constantIbLb1EESW_EEDaSR_SS_EUlSR_E0_NS1_11comp_targetILNS1_3genE2ELNS1_11target_archE906ELNS1_3gpuE6ELNS1_3repE0EEENS1_30default_config_static_selectorELNS0_4arch9wavefront6targetE1EEEvT1_.uses_vcc, 0
	.set _ZN7rocprim17ROCPRIM_400000_NS6detail17trampoline_kernelINS0_14default_configENS1_20scan_config_selectorIdEEZZNS1_9scan_implILNS1_25lookback_scan_determinismE0ELb0ELb0ES3_PKdPddZZZN2at6native31launch_logcumsumexp_cuda_kernelERKNSB_10TensorBaseESF_lENKUlvE_clEvENKUlvE_clEvEUlddE_dEEDaPvRmT3_T4_T5_mT6_P12ihipStream_tbENKUlT_T0_E_clISt17integral_constantIbLb1EESW_EEDaSR_SS_EUlSR_E0_NS1_11comp_targetILNS1_3genE2ELNS1_11target_archE906ELNS1_3gpuE6ELNS1_3repE0EEENS1_30default_config_static_selectorELNS0_4arch9wavefront6targetE1EEEvT1_.uses_flat_scratch, 0
	.set _ZN7rocprim17ROCPRIM_400000_NS6detail17trampoline_kernelINS0_14default_configENS1_20scan_config_selectorIdEEZZNS1_9scan_implILNS1_25lookback_scan_determinismE0ELb0ELb0ES3_PKdPddZZZN2at6native31launch_logcumsumexp_cuda_kernelERKNSB_10TensorBaseESF_lENKUlvE_clEvENKUlvE_clEvEUlddE_dEEDaPvRmT3_T4_T5_mT6_P12ihipStream_tbENKUlT_T0_E_clISt17integral_constantIbLb1EESW_EEDaSR_SS_EUlSR_E0_NS1_11comp_targetILNS1_3genE2ELNS1_11target_archE906ELNS1_3gpuE6ELNS1_3repE0EEENS1_30default_config_static_selectorELNS0_4arch9wavefront6targetE1EEEvT1_.has_dyn_sized_stack, 0
	.set _ZN7rocprim17ROCPRIM_400000_NS6detail17trampoline_kernelINS0_14default_configENS1_20scan_config_selectorIdEEZZNS1_9scan_implILNS1_25lookback_scan_determinismE0ELb0ELb0ES3_PKdPddZZZN2at6native31launch_logcumsumexp_cuda_kernelERKNSB_10TensorBaseESF_lENKUlvE_clEvENKUlvE_clEvEUlddE_dEEDaPvRmT3_T4_T5_mT6_P12ihipStream_tbENKUlT_T0_E_clISt17integral_constantIbLb1EESW_EEDaSR_SS_EUlSR_E0_NS1_11comp_targetILNS1_3genE2ELNS1_11target_archE906ELNS1_3gpuE6ELNS1_3repE0EEENS1_30default_config_static_selectorELNS0_4arch9wavefront6targetE1EEEvT1_.has_recursion, 0
	.set _ZN7rocprim17ROCPRIM_400000_NS6detail17trampoline_kernelINS0_14default_configENS1_20scan_config_selectorIdEEZZNS1_9scan_implILNS1_25lookback_scan_determinismE0ELb0ELb0ES3_PKdPddZZZN2at6native31launch_logcumsumexp_cuda_kernelERKNSB_10TensorBaseESF_lENKUlvE_clEvENKUlvE_clEvEUlddE_dEEDaPvRmT3_T4_T5_mT6_P12ihipStream_tbENKUlT_T0_E_clISt17integral_constantIbLb1EESW_EEDaSR_SS_EUlSR_E0_NS1_11comp_targetILNS1_3genE2ELNS1_11target_archE906ELNS1_3gpuE6ELNS1_3repE0EEENS1_30default_config_static_selectorELNS0_4arch9wavefront6targetE1EEEvT1_.has_indirect_call, 0
	.section	.AMDGPU.csdata,"",@progbits
; Kernel info:
; codeLenInByte = 0
; TotalNumSgprs: 6
; NumVgprs: 0
; NumAgprs: 0
; TotalNumVgprs: 0
; ScratchSize: 0
; MemoryBound: 0
; FloatMode: 240
; IeeeMode: 1
; LDSByteSize: 0 bytes/workgroup (compile time only)
; SGPRBlocks: 0
; VGPRBlocks: 0
; NumSGPRsForWavesPerEU: 6
; NumVGPRsForWavesPerEU: 1
; AccumOffset: 4
; Occupancy: 8
; WaveLimiterHint : 0
; COMPUTE_PGM_RSRC2:SCRATCH_EN: 0
; COMPUTE_PGM_RSRC2:USER_SGPR: 2
; COMPUTE_PGM_RSRC2:TRAP_HANDLER: 0
; COMPUTE_PGM_RSRC2:TGID_X_EN: 1
; COMPUTE_PGM_RSRC2:TGID_Y_EN: 0
; COMPUTE_PGM_RSRC2:TGID_Z_EN: 0
; COMPUTE_PGM_RSRC2:TIDIG_COMP_CNT: 0
; COMPUTE_PGM_RSRC3_GFX90A:ACCUM_OFFSET: 0
; COMPUTE_PGM_RSRC3_GFX90A:TG_SPLIT: 0
	.section	.text._ZN7rocprim17ROCPRIM_400000_NS6detail17trampoline_kernelINS0_14default_configENS1_20scan_config_selectorIdEEZZNS1_9scan_implILNS1_25lookback_scan_determinismE0ELb0ELb0ES3_PKdPddZZZN2at6native31launch_logcumsumexp_cuda_kernelERKNSB_10TensorBaseESF_lENKUlvE_clEvENKUlvE_clEvEUlddE_dEEDaPvRmT3_T4_T5_mT6_P12ihipStream_tbENKUlT_T0_E_clISt17integral_constantIbLb1EESW_EEDaSR_SS_EUlSR_E0_NS1_11comp_targetILNS1_3genE10ELNS1_11target_archE1201ELNS1_3gpuE5ELNS1_3repE0EEENS1_30default_config_static_selectorELNS0_4arch9wavefront6targetE1EEEvT1_,"axG",@progbits,_ZN7rocprim17ROCPRIM_400000_NS6detail17trampoline_kernelINS0_14default_configENS1_20scan_config_selectorIdEEZZNS1_9scan_implILNS1_25lookback_scan_determinismE0ELb0ELb0ES3_PKdPddZZZN2at6native31launch_logcumsumexp_cuda_kernelERKNSB_10TensorBaseESF_lENKUlvE_clEvENKUlvE_clEvEUlddE_dEEDaPvRmT3_T4_T5_mT6_P12ihipStream_tbENKUlT_T0_E_clISt17integral_constantIbLb1EESW_EEDaSR_SS_EUlSR_E0_NS1_11comp_targetILNS1_3genE10ELNS1_11target_archE1201ELNS1_3gpuE5ELNS1_3repE0EEENS1_30default_config_static_selectorELNS0_4arch9wavefront6targetE1EEEvT1_,comdat
	.globl	_ZN7rocprim17ROCPRIM_400000_NS6detail17trampoline_kernelINS0_14default_configENS1_20scan_config_selectorIdEEZZNS1_9scan_implILNS1_25lookback_scan_determinismE0ELb0ELb0ES3_PKdPddZZZN2at6native31launch_logcumsumexp_cuda_kernelERKNSB_10TensorBaseESF_lENKUlvE_clEvENKUlvE_clEvEUlddE_dEEDaPvRmT3_T4_T5_mT6_P12ihipStream_tbENKUlT_T0_E_clISt17integral_constantIbLb1EESW_EEDaSR_SS_EUlSR_E0_NS1_11comp_targetILNS1_3genE10ELNS1_11target_archE1201ELNS1_3gpuE5ELNS1_3repE0EEENS1_30default_config_static_selectorELNS0_4arch9wavefront6targetE1EEEvT1_ ; -- Begin function _ZN7rocprim17ROCPRIM_400000_NS6detail17trampoline_kernelINS0_14default_configENS1_20scan_config_selectorIdEEZZNS1_9scan_implILNS1_25lookback_scan_determinismE0ELb0ELb0ES3_PKdPddZZZN2at6native31launch_logcumsumexp_cuda_kernelERKNSB_10TensorBaseESF_lENKUlvE_clEvENKUlvE_clEvEUlddE_dEEDaPvRmT3_T4_T5_mT6_P12ihipStream_tbENKUlT_T0_E_clISt17integral_constantIbLb1EESW_EEDaSR_SS_EUlSR_E0_NS1_11comp_targetILNS1_3genE10ELNS1_11target_archE1201ELNS1_3gpuE5ELNS1_3repE0EEENS1_30default_config_static_selectorELNS0_4arch9wavefront6targetE1EEEvT1_
	.p2align	8
	.type	_ZN7rocprim17ROCPRIM_400000_NS6detail17trampoline_kernelINS0_14default_configENS1_20scan_config_selectorIdEEZZNS1_9scan_implILNS1_25lookback_scan_determinismE0ELb0ELb0ES3_PKdPddZZZN2at6native31launch_logcumsumexp_cuda_kernelERKNSB_10TensorBaseESF_lENKUlvE_clEvENKUlvE_clEvEUlddE_dEEDaPvRmT3_T4_T5_mT6_P12ihipStream_tbENKUlT_T0_E_clISt17integral_constantIbLb1EESW_EEDaSR_SS_EUlSR_E0_NS1_11comp_targetILNS1_3genE10ELNS1_11target_archE1201ELNS1_3gpuE5ELNS1_3repE0EEENS1_30default_config_static_selectorELNS0_4arch9wavefront6targetE1EEEvT1_,@function
_ZN7rocprim17ROCPRIM_400000_NS6detail17trampoline_kernelINS0_14default_configENS1_20scan_config_selectorIdEEZZNS1_9scan_implILNS1_25lookback_scan_determinismE0ELb0ELb0ES3_PKdPddZZZN2at6native31launch_logcumsumexp_cuda_kernelERKNSB_10TensorBaseESF_lENKUlvE_clEvENKUlvE_clEvEUlddE_dEEDaPvRmT3_T4_T5_mT6_P12ihipStream_tbENKUlT_T0_E_clISt17integral_constantIbLb1EESW_EEDaSR_SS_EUlSR_E0_NS1_11comp_targetILNS1_3genE10ELNS1_11target_archE1201ELNS1_3gpuE5ELNS1_3repE0EEENS1_30default_config_static_selectorELNS0_4arch9wavefront6targetE1EEEvT1_: ; @_ZN7rocprim17ROCPRIM_400000_NS6detail17trampoline_kernelINS0_14default_configENS1_20scan_config_selectorIdEEZZNS1_9scan_implILNS1_25lookback_scan_determinismE0ELb0ELb0ES3_PKdPddZZZN2at6native31launch_logcumsumexp_cuda_kernelERKNSB_10TensorBaseESF_lENKUlvE_clEvENKUlvE_clEvEUlddE_dEEDaPvRmT3_T4_T5_mT6_P12ihipStream_tbENKUlT_T0_E_clISt17integral_constantIbLb1EESW_EEDaSR_SS_EUlSR_E0_NS1_11comp_targetILNS1_3genE10ELNS1_11target_archE1201ELNS1_3gpuE5ELNS1_3repE0EEENS1_30default_config_static_selectorELNS0_4arch9wavefront6targetE1EEEvT1_
; %bb.0:
	.section	.rodata,"a",@progbits
	.p2align	6, 0x0
	.amdhsa_kernel _ZN7rocprim17ROCPRIM_400000_NS6detail17trampoline_kernelINS0_14default_configENS1_20scan_config_selectorIdEEZZNS1_9scan_implILNS1_25lookback_scan_determinismE0ELb0ELb0ES3_PKdPddZZZN2at6native31launch_logcumsumexp_cuda_kernelERKNSB_10TensorBaseESF_lENKUlvE_clEvENKUlvE_clEvEUlddE_dEEDaPvRmT3_T4_T5_mT6_P12ihipStream_tbENKUlT_T0_E_clISt17integral_constantIbLb1EESW_EEDaSR_SS_EUlSR_E0_NS1_11comp_targetILNS1_3genE10ELNS1_11target_archE1201ELNS1_3gpuE5ELNS1_3repE0EEENS1_30default_config_static_selectorELNS0_4arch9wavefront6targetE1EEEvT1_
		.amdhsa_group_segment_fixed_size 0
		.amdhsa_private_segment_fixed_size 0
		.amdhsa_kernarg_size 40
		.amdhsa_user_sgpr_count 2
		.amdhsa_user_sgpr_dispatch_ptr 0
		.amdhsa_user_sgpr_queue_ptr 0
		.amdhsa_user_sgpr_kernarg_segment_ptr 1
		.amdhsa_user_sgpr_dispatch_id 0
		.amdhsa_user_sgpr_kernarg_preload_length 0
		.amdhsa_user_sgpr_kernarg_preload_offset 0
		.amdhsa_user_sgpr_private_segment_size 0
		.amdhsa_uses_dynamic_stack 0
		.amdhsa_enable_private_segment 0
		.amdhsa_system_sgpr_workgroup_id_x 1
		.amdhsa_system_sgpr_workgroup_id_y 0
		.amdhsa_system_sgpr_workgroup_id_z 0
		.amdhsa_system_sgpr_workgroup_info 0
		.amdhsa_system_vgpr_workitem_id 0
		.amdhsa_next_free_vgpr 1
		.amdhsa_next_free_sgpr 0
		.amdhsa_accum_offset 4
		.amdhsa_reserve_vcc 0
		.amdhsa_float_round_mode_32 0
		.amdhsa_float_round_mode_16_64 0
		.amdhsa_float_denorm_mode_32 3
		.amdhsa_float_denorm_mode_16_64 3
		.amdhsa_dx10_clamp 1
		.amdhsa_ieee_mode 1
		.amdhsa_fp16_overflow 0
		.amdhsa_tg_split 0
		.amdhsa_exception_fp_ieee_invalid_op 0
		.amdhsa_exception_fp_denorm_src 0
		.amdhsa_exception_fp_ieee_div_zero 0
		.amdhsa_exception_fp_ieee_overflow 0
		.amdhsa_exception_fp_ieee_underflow 0
		.amdhsa_exception_fp_ieee_inexact 0
		.amdhsa_exception_int_div_zero 0
	.end_amdhsa_kernel
	.section	.text._ZN7rocprim17ROCPRIM_400000_NS6detail17trampoline_kernelINS0_14default_configENS1_20scan_config_selectorIdEEZZNS1_9scan_implILNS1_25lookback_scan_determinismE0ELb0ELb0ES3_PKdPddZZZN2at6native31launch_logcumsumexp_cuda_kernelERKNSB_10TensorBaseESF_lENKUlvE_clEvENKUlvE_clEvEUlddE_dEEDaPvRmT3_T4_T5_mT6_P12ihipStream_tbENKUlT_T0_E_clISt17integral_constantIbLb1EESW_EEDaSR_SS_EUlSR_E0_NS1_11comp_targetILNS1_3genE10ELNS1_11target_archE1201ELNS1_3gpuE5ELNS1_3repE0EEENS1_30default_config_static_selectorELNS0_4arch9wavefront6targetE1EEEvT1_,"axG",@progbits,_ZN7rocprim17ROCPRIM_400000_NS6detail17trampoline_kernelINS0_14default_configENS1_20scan_config_selectorIdEEZZNS1_9scan_implILNS1_25lookback_scan_determinismE0ELb0ELb0ES3_PKdPddZZZN2at6native31launch_logcumsumexp_cuda_kernelERKNSB_10TensorBaseESF_lENKUlvE_clEvENKUlvE_clEvEUlddE_dEEDaPvRmT3_T4_T5_mT6_P12ihipStream_tbENKUlT_T0_E_clISt17integral_constantIbLb1EESW_EEDaSR_SS_EUlSR_E0_NS1_11comp_targetILNS1_3genE10ELNS1_11target_archE1201ELNS1_3gpuE5ELNS1_3repE0EEENS1_30default_config_static_selectorELNS0_4arch9wavefront6targetE1EEEvT1_,comdat
.Lfunc_end42:
	.size	_ZN7rocprim17ROCPRIM_400000_NS6detail17trampoline_kernelINS0_14default_configENS1_20scan_config_selectorIdEEZZNS1_9scan_implILNS1_25lookback_scan_determinismE0ELb0ELb0ES3_PKdPddZZZN2at6native31launch_logcumsumexp_cuda_kernelERKNSB_10TensorBaseESF_lENKUlvE_clEvENKUlvE_clEvEUlddE_dEEDaPvRmT3_T4_T5_mT6_P12ihipStream_tbENKUlT_T0_E_clISt17integral_constantIbLb1EESW_EEDaSR_SS_EUlSR_E0_NS1_11comp_targetILNS1_3genE10ELNS1_11target_archE1201ELNS1_3gpuE5ELNS1_3repE0EEENS1_30default_config_static_selectorELNS0_4arch9wavefront6targetE1EEEvT1_, .Lfunc_end42-_ZN7rocprim17ROCPRIM_400000_NS6detail17trampoline_kernelINS0_14default_configENS1_20scan_config_selectorIdEEZZNS1_9scan_implILNS1_25lookback_scan_determinismE0ELb0ELb0ES3_PKdPddZZZN2at6native31launch_logcumsumexp_cuda_kernelERKNSB_10TensorBaseESF_lENKUlvE_clEvENKUlvE_clEvEUlddE_dEEDaPvRmT3_T4_T5_mT6_P12ihipStream_tbENKUlT_T0_E_clISt17integral_constantIbLb1EESW_EEDaSR_SS_EUlSR_E0_NS1_11comp_targetILNS1_3genE10ELNS1_11target_archE1201ELNS1_3gpuE5ELNS1_3repE0EEENS1_30default_config_static_selectorELNS0_4arch9wavefront6targetE1EEEvT1_
                                        ; -- End function
	.set _ZN7rocprim17ROCPRIM_400000_NS6detail17trampoline_kernelINS0_14default_configENS1_20scan_config_selectorIdEEZZNS1_9scan_implILNS1_25lookback_scan_determinismE0ELb0ELb0ES3_PKdPddZZZN2at6native31launch_logcumsumexp_cuda_kernelERKNSB_10TensorBaseESF_lENKUlvE_clEvENKUlvE_clEvEUlddE_dEEDaPvRmT3_T4_T5_mT6_P12ihipStream_tbENKUlT_T0_E_clISt17integral_constantIbLb1EESW_EEDaSR_SS_EUlSR_E0_NS1_11comp_targetILNS1_3genE10ELNS1_11target_archE1201ELNS1_3gpuE5ELNS1_3repE0EEENS1_30default_config_static_selectorELNS0_4arch9wavefront6targetE1EEEvT1_.num_vgpr, 0
	.set _ZN7rocprim17ROCPRIM_400000_NS6detail17trampoline_kernelINS0_14default_configENS1_20scan_config_selectorIdEEZZNS1_9scan_implILNS1_25lookback_scan_determinismE0ELb0ELb0ES3_PKdPddZZZN2at6native31launch_logcumsumexp_cuda_kernelERKNSB_10TensorBaseESF_lENKUlvE_clEvENKUlvE_clEvEUlddE_dEEDaPvRmT3_T4_T5_mT6_P12ihipStream_tbENKUlT_T0_E_clISt17integral_constantIbLb1EESW_EEDaSR_SS_EUlSR_E0_NS1_11comp_targetILNS1_3genE10ELNS1_11target_archE1201ELNS1_3gpuE5ELNS1_3repE0EEENS1_30default_config_static_selectorELNS0_4arch9wavefront6targetE1EEEvT1_.num_agpr, 0
	.set _ZN7rocprim17ROCPRIM_400000_NS6detail17trampoline_kernelINS0_14default_configENS1_20scan_config_selectorIdEEZZNS1_9scan_implILNS1_25lookback_scan_determinismE0ELb0ELb0ES3_PKdPddZZZN2at6native31launch_logcumsumexp_cuda_kernelERKNSB_10TensorBaseESF_lENKUlvE_clEvENKUlvE_clEvEUlddE_dEEDaPvRmT3_T4_T5_mT6_P12ihipStream_tbENKUlT_T0_E_clISt17integral_constantIbLb1EESW_EEDaSR_SS_EUlSR_E0_NS1_11comp_targetILNS1_3genE10ELNS1_11target_archE1201ELNS1_3gpuE5ELNS1_3repE0EEENS1_30default_config_static_selectorELNS0_4arch9wavefront6targetE1EEEvT1_.numbered_sgpr, 0
	.set _ZN7rocprim17ROCPRIM_400000_NS6detail17trampoline_kernelINS0_14default_configENS1_20scan_config_selectorIdEEZZNS1_9scan_implILNS1_25lookback_scan_determinismE0ELb0ELb0ES3_PKdPddZZZN2at6native31launch_logcumsumexp_cuda_kernelERKNSB_10TensorBaseESF_lENKUlvE_clEvENKUlvE_clEvEUlddE_dEEDaPvRmT3_T4_T5_mT6_P12ihipStream_tbENKUlT_T0_E_clISt17integral_constantIbLb1EESW_EEDaSR_SS_EUlSR_E0_NS1_11comp_targetILNS1_3genE10ELNS1_11target_archE1201ELNS1_3gpuE5ELNS1_3repE0EEENS1_30default_config_static_selectorELNS0_4arch9wavefront6targetE1EEEvT1_.num_named_barrier, 0
	.set _ZN7rocprim17ROCPRIM_400000_NS6detail17trampoline_kernelINS0_14default_configENS1_20scan_config_selectorIdEEZZNS1_9scan_implILNS1_25lookback_scan_determinismE0ELb0ELb0ES3_PKdPddZZZN2at6native31launch_logcumsumexp_cuda_kernelERKNSB_10TensorBaseESF_lENKUlvE_clEvENKUlvE_clEvEUlddE_dEEDaPvRmT3_T4_T5_mT6_P12ihipStream_tbENKUlT_T0_E_clISt17integral_constantIbLb1EESW_EEDaSR_SS_EUlSR_E0_NS1_11comp_targetILNS1_3genE10ELNS1_11target_archE1201ELNS1_3gpuE5ELNS1_3repE0EEENS1_30default_config_static_selectorELNS0_4arch9wavefront6targetE1EEEvT1_.private_seg_size, 0
	.set _ZN7rocprim17ROCPRIM_400000_NS6detail17trampoline_kernelINS0_14default_configENS1_20scan_config_selectorIdEEZZNS1_9scan_implILNS1_25lookback_scan_determinismE0ELb0ELb0ES3_PKdPddZZZN2at6native31launch_logcumsumexp_cuda_kernelERKNSB_10TensorBaseESF_lENKUlvE_clEvENKUlvE_clEvEUlddE_dEEDaPvRmT3_T4_T5_mT6_P12ihipStream_tbENKUlT_T0_E_clISt17integral_constantIbLb1EESW_EEDaSR_SS_EUlSR_E0_NS1_11comp_targetILNS1_3genE10ELNS1_11target_archE1201ELNS1_3gpuE5ELNS1_3repE0EEENS1_30default_config_static_selectorELNS0_4arch9wavefront6targetE1EEEvT1_.uses_vcc, 0
	.set _ZN7rocprim17ROCPRIM_400000_NS6detail17trampoline_kernelINS0_14default_configENS1_20scan_config_selectorIdEEZZNS1_9scan_implILNS1_25lookback_scan_determinismE0ELb0ELb0ES3_PKdPddZZZN2at6native31launch_logcumsumexp_cuda_kernelERKNSB_10TensorBaseESF_lENKUlvE_clEvENKUlvE_clEvEUlddE_dEEDaPvRmT3_T4_T5_mT6_P12ihipStream_tbENKUlT_T0_E_clISt17integral_constantIbLb1EESW_EEDaSR_SS_EUlSR_E0_NS1_11comp_targetILNS1_3genE10ELNS1_11target_archE1201ELNS1_3gpuE5ELNS1_3repE0EEENS1_30default_config_static_selectorELNS0_4arch9wavefront6targetE1EEEvT1_.uses_flat_scratch, 0
	.set _ZN7rocprim17ROCPRIM_400000_NS6detail17trampoline_kernelINS0_14default_configENS1_20scan_config_selectorIdEEZZNS1_9scan_implILNS1_25lookback_scan_determinismE0ELb0ELb0ES3_PKdPddZZZN2at6native31launch_logcumsumexp_cuda_kernelERKNSB_10TensorBaseESF_lENKUlvE_clEvENKUlvE_clEvEUlddE_dEEDaPvRmT3_T4_T5_mT6_P12ihipStream_tbENKUlT_T0_E_clISt17integral_constantIbLb1EESW_EEDaSR_SS_EUlSR_E0_NS1_11comp_targetILNS1_3genE10ELNS1_11target_archE1201ELNS1_3gpuE5ELNS1_3repE0EEENS1_30default_config_static_selectorELNS0_4arch9wavefront6targetE1EEEvT1_.has_dyn_sized_stack, 0
	.set _ZN7rocprim17ROCPRIM_400000_NS6detail17trampoline_kernelINS0_14default_configENS1_20scan_config_selectorIdEEZZNS1_9scan_implILNS1_25lookback_scan_determinismE0ELb0ELb0ES3_PKdPddZZZN2at6native31launch_logcumsumexp_cuda_kernelERKNSB_10TensorBaseESF_lENKUlvE_clEvENKUlvE_clEvEUlddE_dEEDaPvRmT3_T4_T5_mT6_P12ihipStream_tbENKUlT_T0_E_clISt17integral_constantIbLb1EESW_EEDaSR_SS_EUlSR_E0_NS1_11comp_targetILNS1_3genE10ELNS1_11target_archE1201ELNS1_3gpuE5ELNS1_3repE0EEENS1_30default_config_static_selectorELNS0_4arch9wavefront6targetE1EEEvT1_.has_recursion, 0
	.set _ZN7rocprim17ROCPRIM_400000_NS6detail17trampoline_kernelINS0_14default_configENS1_20scan_config_selectorIdEEZZNS1_9scan_implILNS1_25lookback_scan_determinismE0ELb0ELb0ES3_PKdPddZZZN2at6native31launch_logcumsumexp_cuda_kernelERKNSB_10TensorBaseESF_lENKUlvE_clEvENKUlvE_clEvEUlddE_dEEDaPvRmT3_T4_T5_mT6_P12ihipStream_tbENKUlT_T0_E_clISt17integral_constantIbLb1EESW_EEDaSR_SS_EUlSR_E0_NS1_11comp_targetILNS1_3genE10ELNS1_11target_archE1201ELNS1_3gpuE5ELNS1_3repE0EEENS1_30default_config_static_selectorELNS0_4arch9wavefront6targetE1EEEvT1_.has_indirect_call, 0
	.section	.AMDGPU.csdata,"",@progbits
; Kernel info:
; codeLenInByte = 0
; TotalNumSgprs: 6
; NumVgprs: 0
; NumAgprs: 0
; TotalNumVgprs: 0
; ScratchSize: 0
; MemoryBound: 0
; FloatMode: 240
; IeeeMode: 1
; LDSByteSize: 0 bytes/workgroup (compile time only)
; SGPRBlocks: 0
; VGPRBlocks: 0
; NumSGPRsForWavesPerEU: 6
; NumVGPRsForWavesPerEU: 1
; AccumOffset: 4
; Occupancy: 8
; WaveLimiterHint : 0
; COMPUTE_PGM_RSRC2:SCRATCH_EN: 0
; COMPUTE_PGM_RSRC2:USER_SGPR: 2
; COMPUTE_PGM_RSRC2:TRAP_HANDLER: 0
; COMPUTE_PGM_RSRC2:TGID_X_EN: 1
; COMPUTE_PGM_RSRC2:TGID_Y_EN: 0
; COMPUTE_PGM_RSRC2:TGID_Z_EN: 0
; COMPUTE_PGM_RSRC2:TIDIG_COMP_CNT: 0
; COMPUTE_PGM_RSRC3_GFX90A:ACCUM_OFFSET: 0
; COMPUTE_PGM_RSRC3_GFX90A:TG_SPLIT: 0
	.section	.text._ZN7rocprim17ROCPRIM_400000_NS6detail17trampoline_kernelINS0_14default_configENS1_20scan_config_selectorIdEEZZNS1_9scan_implILNS1_25lookback_scan_determinismE0ELb0ELb0ES3_PKdPddZZZN2at6native31launch_logcumsumexp_cuda_kernelERKNSB_10TensorBaseESF_lENKUlvE_clEvENKUlvE_clEvEUlddE_dEEDaPvRmT3_T4_T5_mT6_P12ihipStream_tbENKUlT_T0_E_clISt17integral_constantIbLb1EESW_EEDaSR_SS_EUlSR_E0_NS1_11comp_targetILNS1_3genE10ELNS1_11target_archE1200ELNS1_3gpuE4ELNS1_3repE0EEENS1_30default_config_static_selectorELNS0_4arch9wavefront6targetE1EEEvT1_,"axG",@progbits,_ZN7rocprim17ROCPRIM_400000_NS6detail17trampoline_kernelINS0_14default_configENS1_20scan_config_selectorIdEEZZNS1_9scan_implILNS1_25lookback_scan_determinismE0ELb0ELb0ES3_PKdPddZZZN2at6native31launch_logcumsumexp_cuda_kernelERKNSB_10TensorBaseESF_lENKUlvE_clEvENKUlvE_clEvEUlddE_dEEDaPvRmT3_T4_T5_mT6_P12ihipStream_tbENKUlT_T0_E_clISt17integral_constantIbLb1EESW_EEDaSR_SS_EUlSR_E0_NS1_11comp_targetILNS1_3genE10ELNS1_11target_archE1200ELNS1_3gpuE4ELNS1_3repE0EEENS1_30default_config_static_selectorELNS0_4arch9wavefront6targetE1EEEvT1_,comdat
	.globl	_ZN7rocprim17ROCPRIM_400000_NS6detail17trampoline_kernelINS0_14default_configENS1_20scan_config_selectorIdEEZZNS1_9scan_implILNS1_25lookback_scan_determinismE0ELb0ELb0ES3_PKdPddZZZN2at6native31launch_logcumsumexp_cuda_kernelERKNSB_10TensorBaseESF_lENKUlvE_clEvENKUlvE_clEvEUlddE_dEEDaPvRmT3_T4_T5_mT6_P12ihipStream_tbENKUlT_T0_E_clISt17integral_constantIbLb1EESW_EEDaSR_SS_EUlSR_E0_NS1_11comp_targetILNS1_3genE10ELNS1_11target_archE1200ELNS1_3gpuE4ELNS1_3repE0EEENS1_30default_config_static_selectorELNS0_4arch9wavefront6targetE1EEEvT1_ ; -- Begin function _ZN7rocprim17ROCPRIM_400000_NS6detail17trampoline_kernelINS0_14default_configENS1_20scan_config_selectorIdEEZZNS1_9scan_implILNS1_25lookback_scan_determinismE0ELb0ELb0ES3_PKdPddZZZN2at6native31launch_logcumsumexp_cuda_kernelERKNSB_10TensorBaseESF_lENKUlvE_clEvENKUlvE_clEvEUlddE_dEEDaPvRmT3_T4_T5_mT6_P12ihipStream_tbENKUlT_T0_E_clISt17integral_constantIbLb1EESW_EEDaSR_SS_EUlSR_E0_NS1_11comp_targetILNS1_3genE10ELNS1_11target_archE1200ELNS1_3gpuE4ELNS1_3repE0EEENS1_30default_config_static_selectorELNS0_4arch9wavefront6targetE1EEEvT1_
	.p2align	8
	.type	_ZN7rocprim17ROCPRIM_400000_NS6detail17trampoline_kernelINS0_14default_configENS1_20scan_config_selectorIdEEZZNS1_9scan_implILNS1_25lookback_scan_determinismE0ELb0ELb0ES3_PKdPddZZZN2at6native31launch_logcumsumexp_cuda_kernelERKNSB_10TensorBaseESF_lENKUlvE_clEvENKUlvE_clEvEUlddE_dEEDaPvRmT3_T4_T5_mT6_P12ihipStream_tbENKUlT_T0_E_clISt17integral_constantIbLb1EESW_EEDaSR_SS_EUlSR_E0_NS1_11comp_targetILNS1_3genE10ELNS1_11target_archE1200ELNS1_3gpuE4ELNS1_3repE0EEENS1_30default_config_static_selectorELNS0_4arch9wavefront6targetE1EEEvT1_,@function
_ZN7rocprim17ROCPRIM_400000_NS6detail17trampoline_kernelINS0_14default_configENS1_20scan_config_selectorIdEEZZNS1_9scan_implILNS1_25lookback_scan_determinismE0ELb0ELb0ES3_PKdPddZZZN2at6native31launch_logcumsumexp_cuda_kernelERKNSB_10TensorBaseESF_lENKUlvE_clEvENKUlvE_clEvEUlddE_dEEDaPvRmT3_T4_T5_mT6_P12ihipStream_tbENKUlT_T0_E_clISt17integral_constantIbLb1EESW_EEDaSR_SS_EUlSR_E0_NS1_11comp_targetILNS1_3genE10ELNS1_11target_archE1200ELNS1_3gpuE4ELNS1_3repE0EEENS1_30default_config_static_selectorELNS0_4arch9wavefront6targetE1EEEvT1_: ; @_ZN7rocprim17ROCPRIM_400000_NS6detail17trampoline_kernelINS0_14default_configENS1_20scan_config_selectorIdEEZZNS1_9scan_implILNS1_25lookback_scan_determinismE0ELb0ELb0ES3_PKdPddZZZN2at6native31launch_logcumsumexp_cuda_kernelERKNSB_10TensorBaseESF_lENKUlvE_clEvENKUlvE_clEvEUlddE_dEEDaPvRmT3_T4_T5_mT6_P12ihipStream_tbENKUlT_T0_E_clISt17integral_constantIbLb1EESW_EEDaSR_SS_EUlSR_E0_NS1_11comp_targetILNS1_3genE10ELNS1_11target_archE1200ELNS1_3gpuE4ELNS1_3repE0EEENS1_30default_config_static_selectorELNS0_4arch9wavefront6targetE1EEEvT1_
; %bb.0:
	.section	.rodata,"a",@progbits
	.p2align	6, 0x0
	.amdhsa_kernel _ZN7rocprim17ROCPRIM_400000_NS6detail17trampoline_kernelINS0_14default_configENS1_20scan_config_selectorIdEEZZNS1_9scan_implILNS1_25lookback_scan_determinismE0ELb0ELb0ES3_PKdPddZZZN2at6native31launch_logcumsumexp_cuda_kernelERKNSB_10TensorBaseESF_lENKUlvE_clEvENKUlvE_clEvEUlddE_dEEDaPvRmT3_T4_T5_mT6_P12ihipStream_tbENKUlT_T0_E_clISt17integral_constantIbLb1EESW_EEDaSR_SS_EUlSR_E0_NS1_11comp_targetILNS1_3genE10ELNS1_11target_archE1200ELNS1_3gpuE4ELNS1_3repE0EEENS1_30default_config_static_selectorELNS0_4arch9wavefront6targetE1EEEvT1_
		.amdhsa_group_segment_fixed_size 0
		.amdhsa_private_segment_fixed_size 0
		.amdhsa_kernarg_size 40
		.amdhsa_user_sgpr_count 2
		.amdhsa_user_sgpr_dispatch_ptr 0
		.amdhsa_user_sgpr_queue_ptr 0
		.amdhsa_user_sgpr_kernarg_segment_ptr 1
		.amdhsa_user_sgpr_dispatch_id 0
		.amdhsa_user_sgpr_kernarg_preload_length 0
		.amdhsa_user_sgpr_kernarg_preload_offset 0
		.amdhsa_user_sgpr_private_segment_size 0
		.amdhsa_uses_dynamic_stack 0
		.amdhsa_enable_private_segment 0
		.amdhsa_system_sgpr_workgroup_id_x 1
		.amdhsa_system_sgpr_workgroup_id_y 0
		.amdhsa_system_sgpr_workgroup_id_z 0
		.amdhsa_system_sgpr_workgroup_info 0
		.amdhsa_system_vgpr_workitem_id 0
		.amdhsa_next_free_vgpr 1
		.amdhsa_next_free_sgpr 0
		.amdhsa_accum_offset 4
		.amdhsa_reserve_vcc 0
		.amdhsa_float_round_mode_32 0
		.amdhsa_float_round_mode_16_64 0
		.amdhsa_float_denorm_mode_32 3
		.amdhsa_float_denorm_mode_16_64 3
		.amdhsa_dx10_clamp 1
		.amdhsa_ieee_mode 1
		.amdhsa_fp16_overflow 0
		.amdhsa_tg_split 0
		.amdhsa_exception_fp_ieee_invalid_op 0
		.amdhsa_exception_fp_denorm_src 0
		.amdhsa_exception_fp_ieee_div_zero 0
		.amdhsa_exception_fp_ieee_overflow 0
		.amdhsa_exception_fp_ieee_underflow 0
		.amdhsa_exception_fp_ieee_inexact 0
		.amdhsa_exception_int_div_zero 0
	.end_amdhsa_kernel
	.section	.text._ZN7rocprim17ROCPRIM_400000_NS6detail17trampoline_kernelINS0_14default_configENS1_20scan_config_selectorIdEEZZNS1_9scan_implILNS1_25lookback_scan_determinismE0ELb0ELb0ES3_PKdPddZZZN2at6native31launch_logcumsumexp_cuda_kernelERKNSB_10TensorBaseESF_lENKUlvE_clEvENKUlvE_clEvEUlddE_dEEDaPvRmT3_T4_T5_mT6_P12ihipStream_tbENKUlT_T0_E_clISt17integral_constantIbLb1EESW_EEDaSR_SS_EUlSR_E0_NS1_11comp_targetILNS1_3genE10ELNS1_11target_archE1200ELNS1_3gpuE4ELNS1_3repE0EEENS1_30default_config_static_selectorELNS0_4arch9wavefront6targetE1EEEvT1_,"axG",@progbits,_ZN7rocprim17ROCPRIM_400000_NS6detail17trampoline_kernelINS0_14default_configENS1_20scan_config_selectorIdEEZZNS1_9scan_implILNS1_25lookback_scan_determinismE0ELb0ELb0ES3_PKdPddZZZN2at6native31launch_logcumsumexp_cuda_kernelERKNSB_10TensorBaseESF_lENKUlvE_clEvENKUlvE_clEvEUlddE_dEEDaPvRmT3_T4_T5_mT6_P12ihipStream_tbENKUlT_T0_E_clISt17integral_constantIbLb1EESW_EEDaSR_SS_EUlSR_E0_NS1_11comp_targetILNS1_3genE10ELNS1_11target_archE1200ELNS1_3gpuE4ELNS1_3repE0EEENS1_30default_config_static_selectorELNS0_4arch9wavefront6targetE1EEEvT1_,comdat
.Lfunc_end43:
	.size	_ZN7rocprim17ROCPRIM_400000_NS6detail17trampoline_kernelINS0_14default_configENS1_20scan_config_selectorIdEEZZNS1_9scan_implILNS1_25lookback_scan_determinismE0ELb0ELb0ES3_PKdPddZZZN2at6native31launch_logcumsumexp_cuda_kernelERKNSB_10TensorBaseESF_lENKUlvE_clEvENKUlvE_clEvEUlddE_dEEDaPvRmT3_T4_T5_mT6_P12ihipStream_tbENKUlT_T0_E_clISt17integral_constantIbLb1EESW_EEDaSR_SS_EUlSR_E0_NS1_11comp_targetILNS1_3genE10ELNS1_11target_archE1200ELNS1_3gpuE4ELNS1_3repE0EEENS1_30default_config_static_selectorELNS0_4arch9wavefront6targetE1EEEvT1_, .Lfunc_end43-_ZN7rocprim17ROCPRIM_400000_NS6detail17trampoline_kernelINS0_14default_configENS1_20scan_config_selectorIdEEZZNS1_9scan_implILNS1_25lookback_scan_determinismE0ELb0ELb0ES3_PKdPddZZZN2at6native31launch_logcumsumexp_cuda_kernelERKNSB_10TensorBaseESF_lENKUlvE_clEvENKUlvE_clEvEUlddE_dEEDaPvRmT3_T4_T5_mT6_P12ihipStream_tbENKUlT_T0_E_clISt17integral_constantIbLb1EESW_EEDaSR_SS_EUlSR_E0_NS1_11comp_targetILNS1_3genE10ELNS1_11target_archE1200ELNS1_3gpuE4ELNS1_3repE0EEENS1_30default_config_static_selectorELNS0_4arch9wavefront6targetE1EEEvT1_
                                        ; -- End function
	.set _ZN7rocprim17ROCPRIM_400000_NS6detail17trampoline_kernelINS0_14default_configENS1_20scan_config_selectorIdEEZZNS1_9scan_implILNS1_25lookback_scan_determinismE0ELb0ELb0ES3_PKdPddZZZN2at6native31launch_logcumsumexp_cuda_kernelERKNSB_10TensorBaseESF_lENKUlvE_clEvENKUlvE_clEvEUlddE_dEEDaPvRmT3_T4_T5_mT6_P12ihipStream_tbENKUlT_T0_E_clISt17integral_constantIbLb1EESW_EEDaSR_SS_EUlSR_E0_NS1_11comp_targetILNS1_3genE10ELNS1_11target_archE1200ELNS1_3gpuE4ELNS1_3repE0EEENS1_30default_config_static_selectorELNS0_4arch9wavefront6targetE1EEEvT1_.num_vgpr, 0
	.set _ZN7rocprim17ROCPRIM_400000_NS6detail17trampoline_kernelINS0_14default_configENS1_20scan_config_selectorIdEEZZNS1_9scan_implILNS1_25lookback_scan_determinismE0ELb0ELb0ES3_PKdPddZZZN2at6native31launch_logcumsumexp_cuda_kernelERKNSB_10TensorBaseESF_lENKUlvE_clEvENKUlvE_clEvEUlddE_dEEDaPvRmT3_T4_T5_mT6_P12ihipStream_tbENKUlT_T0_E_clISt17integral_constantIbLb1EESW_EEDaSR_SS_EUlSR_E0_NS1_11comp_targetILNS1_3genE10ELNS1_11target_archE1200ELNS1_3gpuE4ELNS1_3repE0EEENS1_30default_config_static_selectorELNS0_4arch9wavefront6targetE1EEEvT1_.num_agpr, 0
	.set _ZN7rocprim17ROCPRIM_400000_NS6detail17trampoline_kernelINS0_14default_configENS1_20scan_config_selectorIdEEZZNS1_9scan_implILNS1_25lookback_scan_determinismE0ELb0ELb0ES3_PKdPddZZZN2at6native31launch_logcumsumexp_cuda_kernelERKNSB_10TensorBaseESF_lENKUlvE_clEvENKUlvE_clEvEUlddE_dEEDaPvRmT3_T4_T5_mT6_P12ihipStream_tbENKUlT_T0_E_clISt17integral_constantIbLb1EESW_EEDaSR_SS_EUlSR_E0_NS1_11comp_targetILNS1_3genE10ELNS1_11target_archE1200ELNS1_3gpuE4ELNS1_3repE0EEENS1_30default_config_static_selectorELNS0_4arch9wavefront6targetE1EEEvT1_.numbered_sgpr, 0
	.set _ZN7rocprim17ROCPRIM_400000_NS6detail17trampoline_kernelINS0_14default_configENS1_20scan_config_selectorIdEEZZNS1_9scan_implILNS1_25lookback_scan_determinismE0ELb0ELb0ES3_PKdPddZZZN2at6native31launch_logcumsumexp_cuda_kernelERKNSB_10TensorBaseESF_lENKUlvE_clEvENKUlvE_clEvEUlddE_dEEDaPvRmT3_T4_T5_mT6_P12ihipStream_tbENKUlT_T0_E_clISt17integral_constantIbLb1EESW_EEDaSR_SS_EUlSR_E0_NS1_11comp_targetILNS1_3genE10ELNS1_11target_archE1200ELNS1_3gpuE4ELNS1_3repE0EEENS1_30default_config_static_selectorELNS0_4arch9wavefront6targetE1EEEvT1_.num_named_barrier, 0
	.set _ZN7rocprim17ROCPRIM_400000_NS6detail17trampoline_kernelINS0_14default_configENS1_20scan_config_selectorIdEEZZNS1_9scan_implILNS1_25lookback_scan_determinismE0ELb0ELb0ES3_PKdPddZZZN2at6native31launch_logcumsumexp_cuda_kernelERKNSB_10TensorBaseESF_lENKUlvE_clEvENKUlvE_clEvEUlddE_dEEDaPvRmT3_T4_T5_mT6_P12ihipStream_tbENKUlT_T0_E_clISt17integral_constantIbLb1EESW_EEDaSR_SS_EUlSR_E0_NS1_11comp_targetILNS1_3genE10ELNS1_11target_archE1200ELNS1_3gpuE4ELNS1_3repE0EEENS1_30default_config_static_selectorELNS0_4arch9wavefront6targetE1EEEvT1_.private_seg_size, 0
	.set _ZN7rocprim17ROCPRIM_400000_NS6detail17trampoline_kernelINS0_14default_configENS1_20scan_config_selectorIdEEZZNS1_9scan_implILNS1_25lookback_scan_determinismE0ELb0ELb0ES3_PKdPddZZZN2at6native31launch_logcumsumexp_cuda_kernelERKNSB_10TensorBaseESF_lENKUlvE_clEvENKUlvE_clEvEUlddE_dEEDaPvRmT3_T4_T5_mT6_P12ihipStream_tbENKUlT_T0_E_clISt17integral_constantIbLb1EESW_EEDaSR_SS_EUlSR_E0_NS1_11comp_targetILNS1_3genE10ELNS1_11target_archE1200ELNS1_3gpuE4ELNS1_3repE0EEENS1_30default_config_static_selectorELNS0_4arch9wavefront6targetE1EEEvT1_.uses_vcc, 0
	.set _ZN7rocprim17ROCPRIM_400000_NS6detail17trampoline_kernelINS0_14default_configENS1_20scan_config_selectorIdEEZZNS1_9scan_implILNS1_25lookback_scan_determinismE0ELb0ELb0ES3_PKdPddZZZN2at6native31launch_logcumsumexp_cuda_kernelERKNSB_10TensorBaseESF_lENKUlvE_clEvENKUlvE_clEvEUlddE_dEEDaPvRmT3_T4_T5_mT6_P12ihipStream_tbENKUlT_T0_E_clISt17integral_constantIbLb1EESW_EEDaSR_SS_EUlSR_E0_NS1_11comp_targetILNS1_3genE10ELNS1_11target_archE1200ELNS1_3gpuE4ELNS1_3repE0EEENS1_30default_config_static_selectorELNS0_4arch9wavefront6targetE1EEEvT1_.uses_flat_scratch, 0
	.set _ZN7rocprim17ROCPRIM_400000_NS6detail17trampoline_kernelINS0_14default_configENS1_20scan_config_selectorIdEEZZNS1_9scan_implILNS1_25lookback_scan_determinismE0ELb0ELb0ES3_PKdPddZZZN2at6native31launch_logcumsumexp_cuda_kernelERKNSB_10TensorBaseESF_lENKUlvE_clEvENKUlvE_clEvEUlddE_dEEDaPvRmT3_T4_T5_mT6_P12ihipStream_tbENKUlT_T0_E_clISt17integral_constantIbLb1EESW_EEDaSR_SS_EUlSR_E0_NS1_11comp_targetILNS1_3genE10ELNS1_11target_archE1200ELNS1_3gpuE4ELNS1_3repE0EEENS1_30default_config_static_selectorELNS0_4arch9wavefront6targetE1EEEvT1_.has_dyn_sized_stack, 0
	.set _ZN7rocprim17ROCPRIM_400000_NS6detail17trampoline_kernelINS0_14default_configENS1_20scan_config_selectorIdEEZZNS1_9scan_implILNS1_25lookback_scan_determinismE0ELb0ELb0ES3_PKdPddZZZN2at6native31launch_logcumsumexp_cuda_kernelERKNSB_10TensorBaseESF_lENKUlvE_clEvENKUlvE_clEvEUlddE_dEEDaPvRmT3_T4_T5_mT6_P12ihipStream_tbENKUlT_T0_E_clISt17integral_constantIbLb1EESW_EEDaSR_SS_EUlSR_E0_NS1_11comp_targetILNS1_3genE10ELNS1_11target_archE1200ELNS1_3gpuE4ELNS1_3repE0EEENS1_30default_config_static_selectorELNS0_4arch9wavefront6targetE1EEEvT1_.has_recursion, 0
	.set _ZN7rocprim17ROCPRIM_400000_NS6detail17trampoline_kernelINS0_14default_configENS1_20scan_config_selectorIdEEZZNS1_9scan_implILNS1_25lookback_scan_determinismE0ELb0ELb0ES3_PKdPddZZZN2at6native31launch_logcumsumexp_cuda_kernelERKNSB_10TensorBaseESF_lENKUlvE_clEvENKUlvE_clEvEUlddE_dEEDaPvRmT3_T4_T5_mT6_P12ihipStream_tbENKUlT_T0_E_clISt17integral_constantIbLb1EESW_EEDaSR_SS_EUlSR_E0_NS1_11comp_targetILNS1_3genE10ELNS1_11target_archE1200ELNS1_3gpuE4ELNS1_3repE0EEENS1_30default_config_static_selectorELNS0_4arch9wavefront6targetE1EEEvT1_.has_indirect_call, 0
	.section	.AMDGPU.csdata,"",@progbits
; Kernel info:
; codeLenInByte = 0
; TotalNumSgprs: 6
; NumVgprs: 0
; NumAgprs: 0
; TotalNumVgprs: 0
; ScratchSize: 0
; MemoryBound: 0
; FloatMode: 240
; IeeeMode: 1
; LDSByteSize: 0 bytes/workgroup (compile time only)
; SGPRBlocks: 0
; VGPRBlocks: 0
; NumSGPRsForWavesPerEU: 6
; NumVGPRsForWavesPerEU: 1
; AccumOffset: 4
; Occupancy: 8
; WaveLimiterHint : 0
; COMPUTE_PGM_RSRC2:SCRATCH_EN: 0
; COMPUTE_PGM_RSRC2:USER_SGPR: 2
; COMPUTE_PGM_RSRC2:TRAP_HANDLER: 0
; COMPUTE_PGM_RSRC2:TGID_X_EN: 1
; COMPUTE_PGM_RSRC2:TGID_Y_EN: 0
; COMPUTE_PGM_RSRC2:TGID_Z_EN: 0
; COMPUTE_PGM_RSRC2:TIDIG_COMP_CNT: 0
; COMPUTE_PGM_RSRC3_GFX90A:ACCUM_OFFSET: 0
; COMPUTE_PGM_RSRC3_GFX90A:TG_SPLIT: 0
	.section	.text._ZN7rocprim17ROCPRIM_400000_NS6detail17trampoline_kernelINS0_14default_configENS1_20scan_config_selectorIdEEZZNS1_9scan_implILNS1_25lookback_scan_determinismE0ELb0ELb0ES3_PKdPddZZZN2at6native31launch_logcumsumexp_cuda_kernelERKNSB_10TensorBaseESF_lENKUlvE_clEvENKUlvE_clEvEUlddE_dEEDaPvRmT3_T4_T5_mT6_P12ihipStream_tbENKUlT_T0_E_clISt17integral_constantIbLb1EESW_EEDaSR_SS_EUlSR_E0_NS1_11comp_targetILNS1_3genE9ELNS1_11target_archE1100ELNS1_3gpuE3ELNS1_3repE0EEENS1_30default_config_static_selectorELNS0_4arch9wavefront6targetE1EEEvT1_,"axG",@progbits,_ZN7rocprim17ROCPRIM_400000_NS6detail17trampoline_kernelINS0_14default_configENS1_20scan_config_selectorIdEEZZNS1_9scan_implILNS1_25lookback_scan_determinismE0ELb0ELb0ES3_PKdPddZZZN2at6native31launch_logcumsumexp_cuda_kernelERKNSB_10TensorBaseESF_lENKUlvE_clEvENKUlvE_clEvEUlddE_dEEDaPvRmT3_T4_T5_mT6_P12ihipStream_tbENKUlT_T0_E_clISt17integral_constantIbLb1EESW_EEDaSR_SS_EUlSR_E0_NS1_11comp_targetILNS1_3genE9ELNS1_11target_archE1100ELNS1_3gpuE3ELNS1_3repE0EEENS1_30default_config_static_selectorELNS0_4arch9wavefront6targetE1EEEvT1_,comdat
	.globl	_ZN7rocprim17ROCPRIM_400000_NS6detail17trampoline_kernelINS0_14default_configENS1_20scan_config_selectorIdEEZZNS1_9scan_implILNS1_25lookback_scan_determinismE0ELb0ELb0ES3_PKdPddZZZN2at6native31launch_logcumsumexp_cuda_kernelERKNSB_10TensorBaseESF_lENKUlvE_clEvENKUlvE_clEvEUlddE_dEEDaPvRmT3_T4_T5_mT6_P12ihipStream_tbENKUlT_T0_E_clISt17integral_constantIbLb1EESW_EEDaSR_SS_EUlSR_E0_NS1_11comp_targetILNS1_3genE9ELNS1_11target_archE1100ELNS1_3gpuE3ELNS1_3repE0EEENS1_30default_config_static_selectorELNS0_4arch9wavefront6targetE1EEEvT1_ ; -- Begin function _ZN7rocprim17ROCPRIM_400000_NS6detail17trampoline_kernelINS0_14default_configENS1_20scan_config_selectorIdEEZZNS1_9scan_implILNS1_25lookback_scan_determinismE0ELb0ELb0ES3_PKdPddZZZN2at6native31launch_logcumsumexp_cuda_kernelERKNSB_10TensorBaseESF_lENKUlvE_clEvENKUlvE_clEvEUlddE_dEEDaPvRmT3_T4_T5_mT6_P12ihipStream_tbENKUlT_T0_E_clISt17integral_constantIbLb1EESW_EEDaSR_SS_EUlSR_E0_NS1_11comp_targetILNS1_3genE9ELNS1_11target_archE1100ELNS1_3gpuE3ELNS1_3repE0EEENS1_30default_config_static_selectorELNS0_4arch9wavefront6targetE1EEEvT1_
	.p2align	8
	.type	_ZN7rocprim17ROCPRIM_400000_NS6detail17trampoline_kernelINS0_14default_configENS1_20scan_config_selectorIdEEZZNS1_9scan_implILNS1_25lookback_scan_determinismE0ELb0ELb0ES3_PKdPddZZZN2at6native31launch_logcumsumexp_cuda_kernelERKNSB_10TensorBaseESF_lENKUlvE_clEvENKUlvE_clEvEUlddE_dEEDaPvRmT3_T4_T5_mT6_P12ihipStream_tbENKUlT_T0_E_clISt17integral_constantIbLb1EESW_EEDaSR_SS_EUlSR_E0_NS1_11comp_targetILNS1_3genE9ELNS1_11target_archE1100ELNS1_3gpuE3ELNS1_3repE0EEENS1_30default_config_static_selectorELNS0_4arch9wavefront6targetE1EEEvT1_,@function
_ZN7rocprim17ROCPRIM_400000_NS6detail17trampoline_kernelINS0_14default_configENS1_20scan_config_selectorIdEEZZNS1_9scan_implILNS1_25lookback_scan_determinismE0ELb0ELb0ES3_PKdPddZZZN2at6native31launch_logcumsumexp_cuda_kernelERKNSB_10TensorBaseESF_lENKUlvE_clEvENKUlvE_clEvEUlddE_dEEDaPvRmT3_T4_T5_mT6_P12ihipStream_tbENKUlT_T0_E_clISt17integral_constantIbLb1EESW_EEDaSR_SS_EUlSR_E0_NS1_11comp_targetILNS1_3genE9ELNS1_11target_archE1100ELNS1_3gpuE3ELNS1_3repE0EEENS1_30default_config_static_selectorELNS0_4arch9wavefront6targetE1EEEvT1_: ; @_ZN7rocprim17ROCPRIM_400000_NS6detail17trampoline_kernelINS0_14default_configENS1_20scan_config_selectorIdEEZZNS1_9scan_implILNS1_25lookback_scan_determinismE0ELb0ELb0ES3_PKdPddZZZN2at6native31launch_logcumsumexp_cuda_kernelERKNSB_10TensorBaseESF_lENKUlvE_clEvENKUlvE_clEvEUlddE_dEEDaPvRmT3_T4_T5_mT6_P12ihipStream_tbENKUlT_T0_E_clISt17integral_constantIbLb1EESW_EEDaSR_SS_EUlSR_E0_NS1_11comp_targetILNS1_3genE9ELNS1_11target_archE1100ELNS1_3gpuE3ELNS1_3repE0EEENS1_30default_config_static_selectorELNS0_4arch9wavefront6targetE1EEEvT1_
; %bb.0:
	.section	.rodata,"a",@progbits
	.p2align	6, 0x0
	.amdhsa_kernel _ZN7rocprim17ROCPRIM_400000_NS6detail17trampoline_kernelINS0_14default_configENS1_20scan_config_selectorIdEEZZNS1_9scan_implILNS1_25lookback_scan_determinismE0ELb0ELb0ES3_PKdPddZZZN2at6native31launch_logcumsumexp_cuda_kernelERKNSB_10TensorBaseESF_lENKUlvE_clEvENKUlvE_clEvEUlddE_dEEDaPvRmT3_T4_T5_mT6_P12ihipStream_tbENKUlT_T0_E_clISt17integral_constantIbLb1EESW_EEDaSR_SS_EUlSR_E0_NS1_11comp_targetILNS1_3genE9ELNS1_11target_archE1100ELNS1_3gpuE3ELNS1_3repE0EEENS1_30default_config_static_selectorELNS0_4arch9wavefront6targetE1EEEvT1_
		.amdhsa_group_segment_fixed_size 0
		.amdhsa_private_segment_fixed_size 0
		.amdhsa_kernarg_size 40
		.amdhsa_user_sgpr_count 2
		.amdhsa_user_sgpr_dispatch_ptr 0
		.amdhsa_user_sgpr_queue_ptr 0
		.amdhsa_user_sgpr_kernarg_segment_ptr 1
		.amdhsa_user_sgpr_dispatch_id 0
		.amdhsa_user_sgpr_kernarg_preload_length 0
		.amdhsa_user_sgpr_kernarg_preload_offset 0
		.amdhsa_user_sgpr_private_segment_size 0
		.amdhsa_uses_dynamic_stack 0
		.amdhsa_enable_private_segment 0
		.amdhsa_system_sgpr_workgroup_id_x 1
		.amdhsa_system_sgpr_workgroup_id_y 0
		.amdhsa_system_sgpr_workgroup_id_z 0
		.amdhsa_system_sgpr_workgroup_info 0
		.amdhsa_system_vgpr_workitem_id 0
		.amdhsa_next_free_vgpr 1
		.amdhsa_next_free_sgpr 0
		.amdhsa_accum_offset 4
		.amdhsa_reserve_vcc 0
		.amdhsa_float_round_mode_32 0
		.amdhsa_float_round_mode_16_64 0
		.amdhsa_float_denorm_mode_32 3
		.amdhsa_float_denorm_mode_16_64 3
		.amdhsa_dx10_clamp 1
		.amdhsa_ieee_mode 1
		.amdhsa_fp16_overflow 0
		.amdhsa_tg_split 0
		.amdhsa_exception_fp_ieee_invalid_op 0
		.amdhsa_exception_fp_denorm_src 0
		.amdhsa_exception_fp_ieee_div_zero 0
		.amdhsa_exception_fp_ieee_overflow 0
		.amdhsa_exception_fp_ieee_underflow 0
		.amdhsa_exception_fp_ieee_inexact 0
		.amdhsa_exception_int_div_zero 0
	.end_amdhsa_kernel
	.section	.text._ZN7rocprim17ROCPRIM_400000_NS6detail17trampoline_kernelINS0_14default_configENS1_20scan_config_selectorIdEEZZNS1_9scan_implILNS1_25lookback_scan_determinismE0ELb0ELb0ES3_PKdPddZZZN2at6native31launch_logcumsumexp_cuda_kernelERKNSB_10TensorBaseESF_lENKUlvE_clEvENKUlvE_clEvEUlddE_dEEDaPvRmT3_T4_T5_mT6_P12ihipStream_tbENKUlT_T0_E_clISt17integral_constantIbLb1EESW_EEDaSR_SS_EUlSR_E0_NS1_11comp_targetILNS1_3genE9ELNS1_11target_archE1100ELNS1_3gpuE3ELNS1_3repE0EEENS1_30default_config_static_selectorELNS0_4arch9wavefront6targetE1EEEvT1_,"axG",@progbits,_ZN7rocprim17ROCPRIM_400000_NS6detail17trampoline_kernelINS0_14default_configENS1_20scan_config_selectorIdEEZZNS1_9scan_implILNS1_25lookback_scan_determinismE0ELb0ELb0ES3_PKdPddZZZN2at6native31launch_logcumsumexp_cuda_kernelERKNSB_10TensorBaseESF_lENKUlvE_clEvENKUlvE_clEvEUlddE_dEEDaPvRmT3_T4_T5_mT6_P12ihipStream_tbENKUlT_T0_E_clISt17integral_constantIbLb1EESW_EEDaSR_SS_EUlSR_E0_NS1_11comp_targetILNS1_3genE9ELNS1_11target_archE1100ELNS1_3gpuE3ELNS1_3repE0EEENS1_30default_config_static_selectorELNS0_4arch9wavefront6targetE1EEEvT1_,comdat
.Lfunc_end44:
	.size	_ZN7rocprim17ROCPRIM_400000_NS6detail17trampoline_kernelINS0_14default_configENS1_20scan_config_selectorIdEEZZNS1_9scan_implILNS1_25lookback_scan_determinismE0ELb0ELb0ES3_PKdPddZZZN2at6native31launch_logcumsumexp_cuda_kernelERKNSB_10TensorBaseESF_lENKUlvE_clEvENKUlvE_clEvEUlddE_dEEDaPvRmT3_T4_T5_mT6_P12ihipStream_tbENKUlT_T0_E_clISt17integral_constantIbLb1EESW_EEDaSR_SS_EUlSR_E0_NS1_11comp_targetILNS1_3genE9ELNS1_11target_archE1100ELNS1_3gpuE3ELNS1_3repE0EEENS1_30default_config_static_selectorELNS0_4arch9wavefront6targetE1EEEvT1_, .Lfunc_end44-_ZN7rocprim17ROCPRIM_400000_NS6detail17trampoline_kernelINS0_14default_configENS1_20scan_config_selectorIdEEZZNS1_9scan_implILNS1_25lookback_scan_determinismE0ELb0ELb0ES3_PKdPddZZZN2at6native31launch_logcumsumexp_cuda_kernelERKNSB_10TensorBaseESF_lENKUlvE_clEvENKUlvE_clEvEUlddE_dEEDaPvRmT3_T4_T5_mT6_P12ihipStream_tbENKUlT_T0_E_clISt17integral_constantIbLb1EESW_EEDaSR_SS_EUlSR_E0_NS1_11comp_targetILNS1_3genE9ELNS1_11target_archE1100ELNS1_3gpuE3ELNS1_3repE0EEENS1_30default_config_static_selectorELNS0_4arch9wavefront6targetE1EEEvT1_
                                        ; -- End function
	.set _ZN7rocprim17ROCPRIM_400000_NS6detail17trampoline_kernelINS0_14default_configENS1_20scan_config_selectorIdEEZZNS1_9scan_implILNS1_25lookback_scan_determinismE0ELb0ELb0ES3_PKdPddZZZN2at6native31launch_logcumsumexp_cuda_kernelERKNSB_10TensorBaseESF_lENKUlvE_clEvENKUlvE_clEvEUlddE_dEEDaPvRmT3_T4_T5_mT6_P12ihipStream_tbENKUlT_T0_E_clISt17integral_constantIbLb1EESW_EEDaSR_SS_EUlSR_E0_NS1_11comp_targetILNS1_3genE9ELNS1_11target_archE1100ELNS1_3gpuE3ELNS1_3repE0EEENS1_30default_config_static_selectorELNS0_4arch9wavefront6targetE1EEEvT1_.num_vgpr, 0
	.set _ZN7rocprim17ROCPRIM_400000_NS6detail17trampoline_kernelINS0_14default_configENS1_20scan_config_selectorIdEEZZNS1_9scan_implILNS1_25lookback_scan_determinismE0ELb0ELb0ES3_PKdPddZZZN2at6native31launch_logcumsumexp_cuda_kernelERKNSB_10TensorBaseESF_lENKUlvE_clEvENKUlvE_clEvEUlddE_dEEDaPvRmT3_T4_T5_mT6_P12ihipStream_tbENKUlT_T0_E_clISt17integral_constantIbLb1EESW_EEDaSR_SS_EUlSR_E0_NS1_11comp_targetILNS1_3genE9ELNS1_11target_archE1100ELNS1_3gpuE3ELNS1_3repE0EEENS1_30default_config_static_selectorELNS0_4arch9wavefront6targetE1EEEvT1_.num_agpr, 0
	.set _ZN7rocprim17ROCPRIM_400000_NS6detail17trampoline_kernelINS0_14default_configENS1_20scan_config_selectorIdEEZZNS1_9scan_implILNS1_25lookback_scan_determinismE0ELb0ELb0ES3_PKdPddZZZN2at6native31launch_logcumsumexp_cuda_kernelERKNSB_10TensorBaseESF_lENKUlvE_clEvENKUlvE_clEvEUlddE_dEEDaPvRmT3_T4_T5_mT6_P12ihipStream_tbENKUlT_T0_E_clISt17integral_constantIbLb1EESW_EEDaSR_SS_EUlSR_E0_NS1_11comp_targetILNS1_3genE9ELNS1_11target_archE1100ELNS1_3gpuE3ELNS1_3repE0EEENS1_30default_config_static_selectorELNS0_4arch9wavefront6targetE1EEEvT1_.numbered_sgpr, 0
	.set _ZN7rocprim17ROCPRIM_400000_NS6detail17trampoline_kernelINS0_14default_configENS1_20scan_config_selectorIdEEZZNS1_9scan_implILNS1_25lookback_scan_determinismE0ELb0ELb0ES3_PKdPddZZZN2at6native31launch_logcumsumexp_cuda_kernelERKNSB_10TensorBaseESF_lENKUlvE_clEvENKUlvE_clEvEUlddE_dEEDaPvRmT3_T4_T5_mT6_P12ihipStream_tbENKUlT_T0_E_clISt17integral_constantIbLb1EESW_EEDaSR_SS_EUlSR_E0_NS1_11comp_targetILNS1_3genE9ELNS1_11target_archE1100ELNS1_3gpuE3ELNS1_3repE0EEENS1_30default_config_static_selectorELNS0_4arch9wavefront6targetE1EEEvT1_.num_named_barrier, 0
	.set _ZN7rocprim17ROCPRIM_400000_NS6detail17trampoline_kernelINS0_14default_configENS1_20scan_config_selectorIdEEZZNS1_9scan_implILNS1_25lookback_scan_determinismE0ELb0ELb0ES3_PKdPddZZZN2at6native31launch_logcumsumexp_cuda_kernelERKNSB_10TensorBaseESF_lENKUlvE_clEvENKUlvE_clEvEUlddE_dEEDaPvRmT3_T4_T5_mT6_P12ihipStream_tbENKUlT_T0_E_clISt17integral_constantIbLb1EESW_EEDaSR_SS_EUlSR_E0_NS1_11comp_targetILNS1_3genE9ELNS1_11target_archE1100ELNS1_3gpuE3ELNS1_3repE0EEENS1_30default_config_static_selectorELNS0_4arch9wavefront6targetE1EEEvT1_.private_seg_size, 0
	.set _ZN7rocprim17ROCPRIM_400000_NS6detail17trampoline_kernelINS0_14default_configENS1_20scan_config_selectorIdEEZZNS1_9scan_implILNS1_25lookback_scan_determinismE0ELb0ELb0ES3_PKdPddZZZN2at6native31launch_logcumsumexp_cuda_kernelERKNSB_10TensorBaseESF_lENKUlvE_clEvENKUlvE_clEvEUlddE_dEEDaPvRmT3_T4_T5_mT6_P12ihipStream_tbENKUlT_T0_E_clISt17integral_constantIbLb1EESW_EEDaSR_SS_EUlSR_E0_NS1_11comp_targetILNS1_3genE9ELNS1_11target_archE1100ELNS1_3gpuE3ELNS1_3repE0EEENS1_30default_config_static_selectorELNS0_4arch9wavefront6targetE1EEEvT1_.uses_vcc, 0
	.set _ZN7rocprim17ROCPRIM_400000_NS6detail17trampoline_kernelINS0_14default_configENS1_20scan_config_selectorIdEEZZNS1_9scan_implILNS1_25lookback_scan_determinismE0ELb0ELb0ES3_PKdPddZZZN2at6native31launch_logcumsumexp_cuda_kernelERKNSB_10TensorBaseESF_lENKUlvE_clEvENKUlvE_clEvEUlddE_dEEDaPvRmT3_T4_T5_mT6_P12ihipStream_tbENKUlT_T0_E_clISt17integral_constantIbLb1EESW_EEDaSR_SS_EUlSR_E0_NS1_11comp_targetILNS1_3genE9ELNS1_11target_archE1100ELNS1_3gpuE3ELNS1_3repE0EEENS1_30default_config_static_selectorELNS0_4arch9wavefront6targetE1EEEvT1_.uses_flat_scratch, 0
	.set _ZN7rocprim17ROCPRIM_400000_NS6detail17trampoline_kernelINS0_14default_configENS1_20scan_config_selectorIdEEZZNS1_9scan_implILNS1_25lookback_scan_determinismE0ELb0ELb0ES3_PKdPddZZZN2at6native31launch_logcumsumexp_cuda_kernelERKNSB_10TensorBaseESF_lENKUlvE_clEvENKUlvE_clEvEUlddE_dEEDaPvRmT3_T4_T5_mT6_P12ihipStream_tbENKUlT_T0_E_clISt17integral_constantIbLb1EESW_EEDaSR_SS_EUlSR_E0_NS1_11comp_targetILNS1_3genE9ELNS1_11target_archE1100ELNS1_3gpuE3ELNS1_3repE0EEENS1_30default_config_static_selectorELNS0_4arch9wavefront6targetE1EEEvT1_.has_dyn_sized_stack, 0
	.set _ZN7rocprim17ROCPRIM_400000_NS6detail17trampoline_kernelINS0_14default_configENS1_20scan_config_selectorIdEEZZNS1_9scan_implILNS1_25lookback_scan_determinismE0ELb0ELb0ES3_PKdPddZZZN2at6native31launch_logcumsumexp_cuda_kernelERKNSB_10TensorBaseESF_lENKUlvE_clEvENKUlvE_clEvEUlddE_dEEDaPvRmT3_T4_T5_mT6_P12ihipStream_tbENKUlT_T0_E_clISt17integral_constantIbLb1EESW_EEDaSR_SS_EUlSR_E0_NS1_11comp_targetILNS1_3genE9ELNS1_11target_archE1100ELNS1_3gpuE3ELNS1_3repE0EEENS1_30default_config_static_selectorELNS0_4arch9wavefront6targetE1EEEvT1_.has_recursion, 0
	.set _ZN7rocprim17ROCPRIM_400000_NS6detail17trampoline_kernelINS0_14default_configENS1_20scan_config_selectorIdEEZZNS1_9scan_implILNS1_25lookback_scan_determinismE0ELb0ELb0ES3_PKdPddZZZN2at6native31launch_logcumsumexp_cuda_kernelERKNSB_10TensorBaseESF_lENKUlvE_clEvENKUlvE_clEvEUlddE_dEEDaPvRmT3_T4_T5_mT6_P12ihipStream_tbENKUlT_T0_E_clISt17integral_constantIbLb1EESW_EEDaSR_SS_EUlSR_E0_NS1_11comp_targetILNS1_3genE9ELNS1_11target_archE1100ELNS1_3gpuE3ELNS1_3repE0EEENS1_30default_config_static_selectorELNS0_4arch9wavefront6targetE1EEEvT1_.has_indirect_call, 0
	.section	.AMDGPU.csdata,"",@progbits
; Kernel info:
; codeLenInByte = 0
; TotalNumSgprs: 6
; NumVgprs: 0
; NumAgprs: 0
; TotalNumVgprs: 0
; ScratchSize: 0
; MemoryBound: 0
; FloatMode: 240
; IeeeMode: 1
; LDSByteSize: 0 bytes/workgroup (compile time only)
; SGPRBlocks: 0
; VGPRBlocks: 0
; NumSGPRsForWavesPerEU: 6
; NumVGPRsForWavesPerEU: 1
; AccumOffset: 4
; Occupancy: 8
; WaveLimiterHint : 0
; COMPUTE_PGM_RSRC2:SCRATCH_EN: 0
; COMPUTE_PGM_RSRC2:USER_SGPR: 2
; COMPUTE_PGM_RSRC2:TRAP_HANDLER: 0
; COMPUTE_PGM_RSRC2:TGID_X_EN: 1
; COMPUTE_PGM_RSRC2:TGID_Y_EN: 0
; COMPUTE_PGM_RSRC2:TGID_Z_EN: 0
; COMPUTE_PGM_RSRC2:TIDIG_COMP_CNT: 0
; COMPUTE_PGM_RSRC3_GFX90A:ACCUM_OFFSET: 0
; COMPUTE_PGM_RSRC3_GFX90A:TG_SPLIT: 0
	.section	.text._ZN7rocprim17ROCPRIM_400000_NS6detail17trampoline_kernelINS0_14default_configENS1_20scan_config_selectorIdEEZZNS1_9scan_implILNS1_25lookback_scan_determinismE0ELb0ELb0ES3_PKdPddZZZN2at6native31launch_logcumsumexp_cuda_kernelERKNSB_10TensorBaseESF_lENKUlvE_clEvENKUlvE_clEvEUlddE_dEEDaPvRmT3_T4_T5_mT6_P12ihipStream_tbENKUlT_T0_E_clISt17integral_constantIbLb1EESW_EEDaSR_SS_EUlSR_E0_NS1_11comp_targetILNS1_3genE8ELNS1_11target_archE1030ELNS1_3gpuE2ELNS1_3repE0EEENS1_30default_config_static_selectorELNS0_4arch9wavefront6targetE1EEEvT1_,"axG",@progbits,_ZN7rocprim17ROCPRIM_400000_NS6detail17trampoline_kernelINS0_14default_configENS1_20scan_config_selectorIdEEZZNS1_9scan_implILNS1_25lookback_scan_determinismE0ELb0ELb0ES3_PKdPddZZZN2at6native31launch_logcumsumexp_cuda_kernelERKNSB_10TensorBaseESF_lENKUlvE_clEvENKUlvE_clEvEUlddE_dEEDaPvRmT3_T4_T5_mT6_P12ihipStream_tbENKUlT_T0_E_clISt17integral_constantIbLb1EESW_EEDaSR_SS_EUlSR_E0_NS1_11comp_targetILNS1_3genE8ELNS1_11target_archE1030ELNS1_3gpuE2ELNS1_3repE0EEENS1_30default_config_static_selectorELNS0_4arch9wavefront6targetE1EEEvT1_,comdat
	.globl	_ZN7rocprim17ROCPRIM_400000_NS6detail17trampoline_kernelINS0_14default_configENS1_20scan_config_selectorIdEEZZNS1_9scan_implILNS1_25lookback_scan_determinismE0ELb0ELb0ES3_PKdPddZZZN2at6native31launch_logcumsumexp_cuda_kernelERKNSB_10TensorBaseESF_lENKUlvE_clEvENKUlvE_clEvEUlddE_dEEDaPvRmT3_T4_T5_mT6_P12ihipStream_tbENKUlT_T0_E_clISt17integral_constantIbLb1EESW_EEDaSR_SS_EUlSR_E0_NS1_11comp_targetILNS1_3genE8ELNS1_11target_archE1030ELNS1_3gpuE2ELNS1_3repE0EEENS1_30default_config_static_selectorELNS0_4arch9wavefront6targetE1EEEvT1_ ; -- Begin function _ZN7rocprim17ROCPRIM_400000_NS6detail17trampoline_kernelINS0_14default_configENS1_20scan_config_selectorIdEEZZNS1_9scan_implILNS1_25lookback_scan_determinismE0ELb0ELb0ES3_PKdPddZZZN2at6native31launch_logcumsumexp_cuda_kernelERKNSB_10TensorBaseESF_lENKUlvE_clEvENKUlvE_clEvEUlddE_dEEDaPvRmT3_T4_T5_mT6_P12ihipStream_tbENKUlT_T0_E_clISt17integral_constantIbLb1EESW_EEDaSR_SS_EUlSR_E0_NS1_11comp_targetILNS1_3genE8ELNS1_11target_archE1030ELNS1_3gpuE2ELNS1_3repE0EEENS1_30default_config_static_selectorELNS0_4arch9wavefront6targetE1EEEvT1_
	.p2align	8
	.type	_ZN7rocprim17ROCPRIM_400000_NS6detail17trampoline_kernelINS0_14default_configENS1_20scan_config_selectorIdEEZZNS1_9scan_implILNS1_25lookback_scan_determinismE0ELb0ELb0ES3_PKdPddZZZN2at6native31launch_logcumsumexp_cuda_kernelERKNSB_10TensorBaseESF_lENKUlvE_clEvENKUlvE_clEvEUlddE_dEEDaPvRmT3_T4_T5_mT6_P12ihipStream_tbENKUlT_T0_E_clISt17integral_constantIbLb1EESW_EEDaSR_SS_EUlSR_E0_NS1_11comp_targetILNS1_3genE8ELNS1_11target_archE1030ELNS1_3gpuE2ELNS1_3repE0EEENS1_30default_config_static_selectorELNS0_4arch9wavefront6targetE1EEEvT1_,@function
_ZN7rocprim17ROCPRIM_400000_NS6detail17trampoline_kernelINS0_14default_configENS1_20scan_config_selectorIdEEZZNS1_9scan_implILNS1_25lookback_scan_determinismE0ELb0ELb0ES3_PKdPddZZZN2at6native31launch_logcumsumexp_cuda_kernelERKNSB_10TensorBaseESF_lENKUlvE_clEvENKUlvE_clEvEUlddE_dEEDaPvRmT3_T4_T5_mT6_P12ihipStream_tbENKUlT_T0_E_clISt17integral_constantIbLb1EESW_EEDaSR_SS_EUlSR_E0_NS1_11comp_targetILNS1_3genE8ELNS1_11target_archE1030ELNS1_3gpuE2ELNS1_3repE0EEENS1_30default_config_static_selectorELNS0_4arch9wavefront6targetE1EEEvT1_: ; @_ZN7rocprim17ROCPRIM_400000_NS6detail17trampoline_kernelINS0_14default_configENS1_20scan_config_selectorIdEEZZNS1_9scan_implILNS1_25lookback_scan_determinismE0ELb0ELb0ES3_PKdPddZZZN2at6native31launch_logcumsumexp_cuda_kernelERKNSB_10TensorBaseESF_lENKUlvE_clEvENKUlvE_clEvEUlddE_dEEDaPvRmT3_T4_T5_mT6_P12ihipStream_tbENKUlT_T0_E_clISt17integral_constantIbLb1EESW_EEDaSR_SS_EUlSR_E0_NS1_11comp_targetILNS1_3genE8ELNS1_11target_archE1030ELNS1_3gpuE2ELNS1_3repE0EEENS1_30default_config_static_selectorELNS0_4arch9wavefront6targetE1EEEvT1_
; %bb.0:
	.section	.rodata,"a",@progbits
	.p2align	6, 0x0
	.amdhsa_kernel _ZN7rocprim17ROCPRIM_400000_NS6detail17trampoline_kernelINS0_14default_configENS1_20scan_config_selectorIdEEZZNS1_9scan_implILNS1_25lookback_scan_determinismE0ELb0ELb0ES3_PKdPddZZZN2at6native31launch_logcumsumexp_cuda_kernelERKNSB_10TensorBaseESF_lENKUlvE_clEvENKUlvE_clEvEUlddE_dEEDaPvRmT3_T4_T5_mT6_P12ihipStream_tbENKUlT_T0_E_clISt17integral_constantIbLb1EESW_EEDaSR_SS_EUlSR_E0_NS1_11comp_targetILNS1_3genE8ELNS1_11target_archE1030ELNS1_3gpuE2ELNS1_3repE0EEENS1_30default_config_static_selectorELNS0_4arch9wavefront6targetE1EEEvT1_
		.amdhsa_group_segment_fixed_size 0
		.amdhsa_private_segment_fixed_size 0
		.amdhsa_kernarg_size 40
		.amdhsa_user_sgpr_count 2
		.amdhsa_user_sgpr_dispatch_ptr 0
		.amdhsa_user_sgpr_queue_ptr 0
		.amdhsa_user_sgpr_kernarg_segment_ptr 1
		.amdhsa_user_sgpr_dispatch_id 0
		.amdhsa_user_sgpr_kernarg_preload_length 0
		.amdhsa_user_sgpr_kernarg_preload_offset 0
		.amdhsa_user_sgpr_private_segment_size 0
		.amdhsa_uses_dynamic_stack 0
		.amdhsa_enable_private_segment 0
		.amdhsa_system_sgpr_workgroup_id_x 1
		.amdhsa_system_sgpr_workgroup_id_y 0
		.amdhsa_system_sgpr_workgroup_id_z 0
		.amdhsa_system_sgpr_workgroup_info 0
		.amdhsa_system_vgpr_workitem_id 0
		.amdhsa_next_free_vgpr 1
		.amdhsa_next_free_sgpr 0
		.amdhsa_accum_offset 4
		.amdhsa_reserve_vcc 0
		.amdhsa_float_round_mode_32 0
		.amdhsa_float_round_mode_16_64 0
		.amdhsa_float_denorm_mode_32 3
		.amdhsa_float_denorm_mode_16_64 3
		.amdhsa_dx10_clamp 1
		.amdhsa_ieee_mode 1
		.amdhsa_fp16_overflow 0
		.amdhsa_tg_split 0
		.amdhsa_exception_fp_ieee_invalid_op 0
		.amdhsa_exception_fp_denorm_src 0
		.amdhsa_exception_fp_ieee_div_zero 0
		.amdhsa_exception_fp_ieee_overflow 0
		.amdhsa_exception_fp_ieee_underflow 0
		.amdhsa_exception_fp_ieee_inexact 0
		.amdhsa_exception_int_div_zero 0
	.end_amdhsa_kernel
	.section	.text._ZN7rocprim17ROCPRIM_400000_NS6detail17trampoline_kernelINS0_14default_configENS1_20scan_config_selectorIdEEZZNS1_9scan_implILNS1_25lookback_scan_determinismE0ELb0ELb0ES3_PKdPddZZZN2at6native31launch_logcumsumexp_cuda_kernelERKNSB_10TensorBaseESF_lENKUlvE_clEvENKUlvE_clEvEUlddE_dEEDaPvRmT3_T4_T5_mT6_P12ihipStream_tbENKUlT_T0_E_clISt17integral_constantIbLb1EESW_EEDaSR_SS_EUlSR_E0_NS1_11comp_targetILNS1_3genE8ELNS1_11target_archE1030ELNS1_3gpuE2ELNS1_3repE0EEENS1_30default_config_static_selectorELNS0_4arch9wavefront6targetE1EEEvT1_,"axG",@progbits,_ZN7rocprim17ROCPRIM_400000_NS6detail17trampoline_kernelINS0_14default_configENS1_20scan_config_selectorIdEEZZNS1_9scan_implILNS1_25lookback_scan_determinismE0ELb0ELb0ES3_PKdPddZZZN2at6native31launch_logcumsumexp_cuda_kernelERKNSB_10TensorBaseESF_lENKUlvE_clEvENKUlvE_clEvEUlddE_dEEDaPvRmT3_T4_T5_mT6_P12ihipStream_tbENKUlT_T0_E_clISt17integral_constantIbLb1EESW_EEDaSR_SS_EUlSR_E0_NS1_11comp_targetILNS1_3genE8ELNS1_11target_archE1030ELNS1_3gpuE2ELNS1_3repE0EEENS1_30default_config_static_selectorELNS0_4arch9wavefront6targetE1EEEvT1_,comdat
.Lfunc_end45:
	.size	_ZN7rocprim17ROCPRIM_400000_NS6detail17trampoline_kernelINS0_14default_configENS1_20scan_config_selectorIdEEZZNS1_9scan_implILNS1_25lookback_scan_determinismE0ELb0ELb0ES3_PKdPddZZZN2at6native31launch_logcumsumexp_cuda_kernelERKNSB_10TensorBaseESF_lENKUlvE_clEvENKUlvE_clEvEUlddE_dEEDaPvRmT3_T4_T5_mT6_P12ihipStream_tbENKUlT_T0_E_clISt17integral_constantIbLb1EESW_EEDaSR_SS_EUlSR_E0_NS1_11comp_targetILNS1_3genE8ELNS1_11target_archE1030ELNS1_3gpuE2ELNS1_3repE0EEENS1_30default_config_static_selectorELNS0_4arch9wavefront6targetE1EEEvT1_, .Lfunc_end45-_ZN7rocprim17ROCPRIM_400000_NS6detail17trampoline_kernelINS0_14default_configENS1_20scan_config_selectorIdEEZZNS1_9scan_implILNS1_25lookback_scan_determinismE0ELb0ELb0ES3_PKdPddZZZN2at6native31launch_logcumsumexp_cuda_kernelERKNSB_10TensorBaseESF_lENKUlvE_clEvENKUlvE_clEvEUlddE_dEEDaPvRmT3_T4_T5_mT6_P12ihipStream_tbENKUlT_T0_E_clISt17integral_constantIbLb1EESW_EEDaSR_SS_EUlSR_E0_NS1_11comp_targetILNS1_3genE8ELNS1_11target_archE1030ELNS1_3gpuE2ELNS1_3repE0EEENS1_30default_config_static_selectorELNS0_4arch9wavefront6targetE1EEEvT1_
                                        ; -- End function
	.set _ZN7rocprim17ROCPRIM_400000_NS6detail17trampoline_kernelINS0_14default_configENS1_20scan_config_selectorIdEEZZNS1_9scan_implILNS1_25lookback_scan_determinismE0ELb0ELb0ES3_PKdPddZZZN2at6native31launch_logcumsumexp_cuda_kernelERKNSB_10TensorBaseESF_lENKUlvE_clEvENKUlvE_clEvEUlddE_dEEDaPvRmT3_T4_T5_mT6_P12ihipStream_tbENKUlT_T0_E_clISt17integral_constantIbLb1EESW_EEDaSR_SS_EUlSR_E0_NS1_11comp_targetILNS1_3genE8ELNS1_11target_archE1030ELNS1_3gpuE2ELNS1_3repE0EEENS1_30default_config_static_selectorELNS0_4arch9wavefront6targetE1EEEvT1_.num_vgpr, 0
	.set _ZN7rocprim17ROCPRIM_400000_NS6detail17trampoline_kernelINS0_14default_configENS1_20scan_config_selectorIdEEZZNS1_9scan_implILNS1_25lookback_scan_determinismE0ELb0ELb0ES3_PKdPddZZZN2at6native31launch_logcumsumexp_cuda_kernelERKNSB_10TensorBaseESF_lENKUlvE_clEvENKUlvE_clEvEUlddE_dEEDaPvRmT3_T4_T5_mT6_P12ihipStream_tbENKUlT_T0_E_clISt17integral_constantIbLb1EESW_EEDaSR_SS_EUlSR_E0_NS1_11comp_targetILNS1_3genE8ELNS1_11target_archE1030ELNS1_3gpuE2ELNS1_3repE0EEENS1_30default_config_static_selectorELNS0_4arch9wavefront6targetE1EEEvT1_.num_agpr, 0
	.set _ZN7rocprim17ROCPRIM_400000_NS6detail17trampoline_kernelINS0_14default_configENS1_20scan_config_selectorIdEEZZNS1_9scan_implILNS1_25lookback_scan_determinismE0ELb0ELb0ES3_PKdPddZZZN2at6native31launch_logcumsumexp_cuda_kernelERKNSB_10TensorBaseESF_lENKUlvE_clEvENKUlvE_clEvEUlddE_dEEDaPvRmT3_T4_T5_mT6_P12ihipStream_tbENKUlT_T0_E_clISt17integral_constantIbLb1EESW_EEDaSR_SS_EUlSR_E0_NS1_11comp_targetILNS1_3genE8ELNS1_11target_archE1030ELNS1_3gpuE2ELNS1_3repE0EEENS1_30default_config_static_selectorELNS0_4arch9wavefront6targetE1EEEvT1_.numbered_sgpr, 0
	.set _ZN7rocprim17ROCPRIM_400000_NS6detail17trampoline_kernelINS0_14default_configENS1_20scan_config_selectorIdEEZZNS1_9scan_implILNS1_25lookback_scan_determinismE0ELb0ELb0ES3_PKdPddZZZN2at6native31launch_logcumsumexp_cuda_kernelERKNSB_10TensorBaseESF_lENKUlvE_clEvENKUlvE_clEvEUlddE_dEEDaPvRmT3_T4_T5_mT6_P12ihipStream_tbENKUlT_T0_E_clISt17integral_constantIbLb1EESW_EEDaSR_SS_EUlSR_E0_NS1_11comp_targetILNS1_3genE8ELNS1_11target_archE1030ELNS1_3gpuE2ELNS1_3repE0EEENS1_30default_config_static_selectorELNS0_4arch9wavefront6targetE1EEEvT1_.num_named_barrier, 0
	.set _ZN7rocprim17ROCPRIM_400000_NS6detail17trampoline_kernelINS0_14default_configENS1_20scan_config_selectorIdEEZZNS1_9scan_implILNS1_25lookback_scan_determinismE0ELb0ELb0ES3_PKdPddZZZN2at6native31launch_logcumsumexp_cuda_kernelERKNSB_10TensorBaseESF_lENKUlvE_clEvENKUlvE_clEvEUlddE_dEEDaPvRmT3_T4_T5_mT6_P12ihipStream_tbENKUlT_T0_E_clISt17integral_constantIbLb1EESW_EEDaSR_SS_EUlSR_E0_NS1_11comp_targetILNS1_3genE8ELNS1_11target_archE1030ELNS1_3gpuE2ELNS1_3repE0EEENS1_30default_config_static_selectorELNS0_4arch9wavefront6targetE1EEEvT1_.private_seg_size, 0
	.set _ZN7rocprim17ROCPRIM_400000_NS6detail17trampoline_kernelINS0_14default_configENS1_20scan_config_selectorIdEEZZNS1_9scan_implILNS1_25lookback_scan_determinismE0ELb0ELb0ES3_PKdPddZZZN2at6native31launch_logcumsumexp_cuda_kernelERKNSB_10TensorBaseESF_lENKUlvE_clEvENKUlvE_clEvEUlddE_dEEDaPvRmT3_T4_T5_mT6_P12ihipStream_tbENKUlT_T0_E_clISt17integral_constantIbLb1EESW_EEDaSR_SS_EUlSR_E0_NS1_11comp_targetILNS1_3genE8ELNS1_11target_archE1030ELNS1_3gpuE2ELNS1_3repE0EEENS1_30default_config_static_selectorELNS0_4arch9wavefront6targetE1EEEvT1_.uses_vcc, 0
	.set _ZN7rocprim17ROCPRIM_400000_NS6detail17trampoline_kernelINS0_14default_configENS1_20scan_config_selectorIdEEZZNS1_9scan_implILNS1_25lookback_scan_determinismE0ELb0ELb0ES3_PKdPddZZZN2at6native31launch_logcumsumexp_cuda_kernelERKNSB_10TensorBaseESF_lENKUlvE_clEvENKUlvE_clEvEUlddE_dEEDaPvRmT3_T4_T5_mT6_P12ihipStream_tbENKUlT_T0_E_clISt17integral_constantIbLb1EESW_EEDaSR_SS_EUlSR_E0_NS1_11comp_targetILNS1_3genE8ELNS1_11target_archE1030ELNS1_3gpuE2ELNS1_3repE0EEENS1_30default_config_static_selectorELNS0_4arch9wavefront6targetE1EEEvT1_.uses_flat_scratch, 0
	.set _ZN7rocprim17ROCPRIM_400000_NS6detail17trampoline_kernelINS0_14default_configENS1_20scan_config_selectorIdEEZZNS1_9scan_implILNS1_25lookback_scan_determinismE0ELb0ELb0ES3_PKdPddZZZN2at6native31launch_logcumsumexp_cuda_kernelERKNSB_10TensorBaseESF_lENKUlvE_clEvENKUlvE_clEvEUlddE_dEEDaPvRmT3_T4_T5_mT6_P12ihipStream_tbENKUlT_T0_E_clISt17integral_constantIbLb1EESW_EEDaSR_SS_EUlSR_E0_NS1_11comp_targetILNS1_3genE8ELNS1_11target_archE1030ELNS1_3gpuE2ELNS1_3repE0EEENS1_30default_config_static_selectorELNS0_4arch9wavefront6targetE1EEEvT1_.has_dyn_sized_stack, 0
	.set _ZN7rocprim17ROCPRIM_400000_NS6detail17trampoline_kernelINS0_14default_configENS1_20scan_config_selectorIdEEZZNS1_9scan_implILNS1_25lookback_scan_determinismE0ELb0ELb0ES3_PKdPddZZZN2at6native31launch_logcumsumexp_cuda_kernelERKNSB_10TensorBaseESF_lENKUlvE_clEvENKUlvE_clEvEUlddE_dEEDaPvRmT3_T4_T5_mT6_P12ihipStream_tbENKUlT_T0_E_clISt17integral_constantIbLb1EESW_EEDaSR_SS_EUlSR_E0_NS1_11comp_targetILNS1_3genE8ELNS1_11target_archE1030ELNS1_3gpuE2ELNS1_3repE0EEENS1_30default_config_static_selectorELNS0_4arch9wavefront6targetE1EEEvT1_.has_recursion, 0
	.set _ZN7rocprim17ROCPRIM_400000_NS6detail17trampoline_kernelINS0_14default_configENS1_20scan_config_selectorIdEEZZNS1_9scan_implILNS1_25lookback_scan_determinismE0ELb0ELb0ES3_PKdPddZZZN2at6native31launch_logcumsumexp_cuda_kernelERKNSB_10TensorBaseESF_lENKUlvE_clEvENKUlvE_clEvEUlddE_dEEDaPvRmT3_T4_T5_mT6_P12ihipStream_tbENKUlT_T0_E_clISt17integral_constantIbLb1EESW_EEDaSR_SS_EUlSR_E0_NS1_11comp_targetILNS1_3genE8ELNS1_11target_archE1030ELNS1_3gpuE2ELNS1_3repE0EEENS1_30default_config_static_selectorELNS0_4arch9wavefront6targetE1EEEvT1_.has_indirect_call, 0
	.section	.AMDGPU.csdata,"",@progbits
; Kernel info:
; codeLenInByte = 0
; TotalNumSgprs: 6
; NumVgprs: 0
; NumAgprs: 0
; TotalNumVgprs: 0
; ScratchSize: 0
; MemoryBound: 0
; FloatMode: 240
; IeeeMode: 1
; LDSByteSize: 0 bytes/workgroup (compile time only)
; SGPRBlocks: 0
; VGPRBlocks: 0
; NumSGPRsForWavesPerEU: 6
; NumVGPRsForWavesPerEU: 1
; AccumOffset: 4
; Occupancy: 8
; WaveLimiterHint : 0
; COMPUTE_PGM_RSRC2:SCRATCH_EN: 0
; COMPUTE_PGM_RSRC2:USER_SGPR: 2
; COMPUTE_PGM_RSRC2:TRAP_HANDLER: 0
; COMPUTE_PGM_RSRC2:TGID_X_EN: 1
; COMPUTE_PGM_RSRC2:TGID_Y_EN: 0
; COMPUTE_PGM_RSRC2:TGID_Z_EN: 0
; COMPUTE_PGM_RSRC2:TIDIG_COMP_CNT: 0
; COMPUTE_PGM_RSRC3_GFX90A:ACCUM_OFFSET: 0
; COMPUTE_PGM_RSRC3_GFX90A:TG_SPLIT: 0
	.section	.text._ZN7rocprim17ROCPRIM_400000_NS6detail31init_lookback_scan_state_kernelINS1_19lookback_scan_stateIdLb1ELb1EEENS1_16block_id_wrapperIjLb0EEEEEvT_jT0_jPNS7_10value_typeE,"axG",@progbits,_ZN7rocprim17ROCPRIM_400000_NS6detail31init_lookback_scan_state_kernelINS1_19lookback_scan_stateIdLb1ELb1EEENS1_16block_id_wrapperIjLb0EEEEEvT_jT0_jPNS7_10value_typeE,comdat
	.protected	_ZN7rocprim17ROCPRIM_400000_NS6detail31init_lookback_scan_state_kernelINS1_19lookback_scan_stateIdLb1ELb1EEENS1_16block_id_wrapperIjLb0EEEEEvT_jT0_jPNS7_10value_typeE ; -- Begin function _ZN7rocprim17ROCPRIM_400000_NS6detail31init_lookback_scan_state_kernelINS1_19lookback_scan_stateIdLb1ELb1EEENS1_16block_id_wrapperIjLb0EEEEEvT_jT0_jPNS7_10value_typeE
	.globl	_ZN7rocprim17ROCPRIM_400000_NS6detail31init_lookback_scan_state_kernelINS1_19lookback_scan_stateIdLb1ELb1EEENS1_16block_id_wrapperIjLb0EEEEEvT_jT0_jPNS7_10value_typeE
	.p2align	8
	.type	_ZN7rocprim17ROCPRIM_400000_NS6detail31init_lookback_scan_state_kernelINS1_19lookback_scan_stateIdLb1ELb1EEENS1_16block_id_wrapperIjLb0EEEEEvT_jT0_jPNS7_10value_typeE,@function
_ZN7rocprim17ROCPRIM_400000_NS6detail31init_lookback_scan_state_kernelINS1_19lookback_scan_stateIdLb1ELb1EEENS1_16block_id_wrapperIjLb0EEEEEvT_jT0_jPNS7_10value_typeE: ; @_ZN7rocprim17ROCPRIM_400000_NS6detail31init_lookback_scan_state_kernelINS1_19lookback_scan_stateIdLb1ELb1EEENS1_16block_id_wrapperIjLb0EEEEEvT_jT0_jPNS7_10value_typeE
; %bb.0:
	s_load_dword s3, s[0:1], 0x2c
	s_load_dwordx2 s[6:7], s[0:1], 0x18
	s_load_dwordx2 s[4:5], s[0:1], 0x0
	s_load_dword s12, s[0:1], 0x8
	s_waitcnt lgkmcnt(0)
	s_and_b32 s3, s3, 0xffff
	s_mul_i32 s2, s2, s3
	s_cmp_eq_u64 s[6:7], 0
	v_add_u32_e32 v0, s2, v0
	s_cbranch_scc1 .LBB46_10
; %bb.1:
	s_load_dword s2, s[0:1], 0x10
	s_mov_b32 s3, 0
	s_waitcnt lgkmcnt(0)
	s_cmp_lt_u32 s2, s12
	s_cselect_b32 s0, s2, 0
	v_cmp_eq_u32_e32 vcc, s0, v0
	s_and_saveexec_b64 s[0:1], vcc
	s_cbranch_execz .LBB46_9
; %bb.2:
	s_add_i32 s2, s2, 64
	s_lshl_b64 s[2:3], s[2:3], 4
	s_add_u32 s10, s4, s2
	s_addc_u32 s11, s5, s3
	v_mov_b64_e32 v[2:3], s[10:11]
	;;#ASMSTART
	global_load_dwordx4 v[2:5], v[2:3] off sc1	
s_waitcnt vmcnt(0)
	;;#ASMEND
	v_mov_b32_e32 v7, 0
	v_and_b32_e32 v6, 0xff, v4
	s_mov_b64 s[8:9], 0
	v_cmp_eq_u64_e32 vcc, 0, v[6:7]
	s_and_saveexec_b64 s[2:3], vcc
	s_cbranch_execz .LBB46_8
; %bb.3:
	s_mov_b32 s13, 1
	v_mov_b64_e32 v[8:9], s[10:11]
.LBB46_4:                               ; =>This Loop Header: Depth=1
                                        ;     Child Loop BB46_5 Depth 2
	s_mov_b32 s10, s13
.LBB46_5:                               ;   Parent Loop BB46_4 Depth=1
                                        ; =>  This Inner Loop Header: Depth=2
	s_add_i32 s10, s10, -1
	s_cmp_eq_u32 s10, 0
	s_sleep 1
	s_cbranch_scc0 .LBB46_5
; %bb.6:                                ;   in Loop: Header=BB46_4 Depth=1
	s_cmp_lt_u32 s13, 32
	s_cselect_b64 s[10:11], -1, 0
	s_cmp_lg_u64 s[10:11], 0
	;;#ASMSTART
	global_load_dwordx4 v[2:5], v[8:9] off sc1	
s_waitcnt vmcnt(0)
	;;#ASMEND
	s_addc_u32 s13, s13, 0
	v_and_b32_e32 v6, 0xff, v4
	v_cmp_ne_u64_e32 vcc, 0, v[6:7]
	s_or_b64 s[8:9], vcc, s[8:9]
	s_andn2_b64 exec, exec, s[8:9]
	s_cbranch_execnz .LBB46_4
; %bb.7:
	s_or_b64 exec, exec, s[8:9]
.LBB46_8:
	s_or_b64 exec, exec, s[2:3]
	v_mov_b32_e32 v1, 0
	global_store_dwordx2 v1, v[2:3], s[6:7]
.LBB46_9:
	s_or_b64 exec, exec, s[0:1]
.LBB46_10:
	v_cmp_gt_u32_e32 vcc, s12, v0
	s_and_saveexec_b64 s[0:1], vcc
	s_cbranch_execnz .LBB46_13
; %bb.11:
	s_or_b64 exec, exec, s[0:1]
	v_cmp_gt_u32_e32 vcc, 64, v0
	s_and_saveexec_b64 s[0:1], vcc
	s_cbranch_execnz .LBB46_14
.LBB46_12:
	s_endpgm
.LBB46_13:
	v_add_u32_e32 v2, 64, v0
	v_mov_b32_e32 v3, 0
	v_lshl_add_u64 v[6:7], v[2:3], 4, s[4:5]
	v_mov_b32_e32 v2, v3
	v_mov_b32_e32 v4, v3
	;; [unrolled: 1-line block ×3, first 2 shown]
	global_store_dwordx4 v[6:7], v[2:5], off
	s_or_b64 exec, exec, s[0:1]
	v_cmp_gt_u32_e32 vcc, 64, v0
	s_and_saveexec_b64 s[0:1], vcc
	s_cbranch_execz .LBB46_12
.LBB46_14:
	v_mov_b32_e32 v1, 0
	v_lshl_add_u64 v[4:5], v[0:1], 4, s[4:5]
	v_mov_b32_e32 v2, 0xff
	v_mov_b32_e32 v0, v1
	;; [unrolled: 1-line block ×3, first 2 shown]
	global_store_dwordx4 v[4:5], v[0:3], off
	s_endpgm
	.section	.rodata,"a",@progbits
	.p2align	6, 0x0
	.amdhsa_kernel _ZN7rocprim17ROCPRIM_400000_NS6detail31init_lookback_scan_state_kernelINS1_19lookback_scan_stateIdLb1ELb1EEENS1_16block_id_wrapperIjLb0EEEEEvT_jT0_jPNS7_10value_typeE
		.amdhsa_group_segment_fixed_size 0
		.amdhsa_private_segment_fixed_size 0
		.amdhsa_kernarg_size 288
		.amdhsa_user_sgpr_count 2
		.amdhsa_user_sgpr_dispatch_ptr 0
		.amdhsa_user_sgpr_queue_ptr 0
		.amdhsa_user_sgpr_kernarg_segment_ptr 1
		.amdhsa_user_sgpr_dispatch_id 0
		.amdhsa_user_sgpr_kernarg_preload_length 0
		.amdhsa_user_sgpr_kernarg_preload_offset 0
		.amdhsa_user_sgpr_private_segment_size 0
		.amdhsa_uses_dynamic_stack 0
		.amdhsa_enable_private_segment 0
		.amdhsa_system_sgpr_workgroup_id_x 1
		.amdhsa_system_sgpr_workgroup_id_y 0
		.amdhsa_system_sgpr_workgroup_id_z 0
		.amdhsa_system_sgpr_workgroup_info 0
		.amdhsa_system_vgpr_workitem_id 0
		.amdhsa_next_free_vgpr 10
		.amdhsa_next_free_sgpr 14
		.amdhsa_accum_offset 12
		.amdhsa_reserve_vcc 1
		.amdhsa_float_round_mode_32 0
		.amdhsa_float_round_mode_16_64 0
		.amdhsa_float_denorm_mode_32 3
		.amdhsa_float_denorm_mode_16_64 3
		.amdhsa_dx10_clamp 1
		.amdhsa_ieee_mode 1
		.amdhsa_fp16_overflow 0
		.amdhsa_tg_split 0
		.amdhsa_exception_fp_ieee_invalid_op 0
		.amdhsa_exception_fp_denorm_src 0
		.amdhsa_exception_fp_ieee_div_zero 0
		.amdhsa_exception_fp_ieee_overflow 0
		.amdhsa_exception_fp_ieee_underflow 0
		.amdhsa_exception_fp_ieee_inexact 0
		.amdhsa_exception_int_div_zero 0
	.end_amdhsa_kernel
	.section	.text._ZN7rocprim17ROCPRIM_400000_NS6detail31init_lookback_scan_state_kernelINS1_19lookback_scan_stateIdLb1ELb1EEENS1_16block_id_wrapperIjLb0EEEEEvT_jT0_jPNS7_10value_typeE,"axG",@progbits,_ZN7rocprim17ROCPRIM_400000_NS6detail31init_lookback_scan_state_kernelINS1_19lookback_scan_stateIdLb1ELb1EEENS1_16block_id_wrapperIjLb0EEEEEvT_jT0_jPNS7_10value_typeE,comdat
.Lfunc_end46:
	.size	_ZN7rocprim17ROCPRIM_400000_NS6detail31init_lookback_scan_state_kernelINS1_19lookback_scan_stateIdLb1ELb1EEENS1_16block_id_wrapperIjLb0EEEEEvT_jT0_jPNS7_10value_typeE, .Lfunc_end46-_ZN7rocprim17ROCPRIM_400000_NS6detail31init_lookback_scan_state_kernelINS1_19lookback_scan_stateIdLb1ELb1EEENS1_16block_id_wrapperIjLb0EEEEEvT_jT0_jPNS7_10value_typeE
                                        ; -- End function
	.set _ZN7rocprim17ROCPRIM_400000_NS6detail31init_lookback_scan_state_kernelINS1_19lookback_scan_stateIdLb1ELb1EEENS1_16block_id_wrapperIjLb0EEEEEvT_jT0_jPNS7_10value_typeE.num_vgpr, 10
	.set _ZN7rocprim17ROCPRIM_400000_NS6detail31init_lookback_scan_state_kernelINS1_19lookback_scan_stateIdLb1ELb1EEENS1_16block_id_wrapperIjLb0EEEEEvT_jT0_jPNS7_10value_typeE.num_agpr, 0
	.set _ZN7rocprim17ROCPRIM_400000_NS6detail31init_lookback_scan_state_kernelINS1_19lookback_scan_stateIdLb1ELb1EEENS1_16block_id_wrapperIjLb0EEEEEvT_jT0_jPNS7_10value_typeE.numbered_sgpr, 14
	.set _ZN7rocprim17ROCPRIM_400000_NS6detail31init_lookback_scan_state_kernelINS1_19lookback_scan_stateIdLb1ELb1EEENS1_16block_id_wrapperIjLb0EEEEEvT_jT0_jPNS7_10value_typeE.num_named_barrier, 0
	.set _ZN7rocprim17ROCPRIM_400000_NS6detail31init_lookback_scan_state_kernelINS1_19lookback_scan_stateIdLb1ELb1EEENS1_16block_id_wrapperIjLb0EEEEEvT_jT0_jPNS7_10value_typeE.private_seg_size, 0
	.set _ZN7rocprim17ROCPRIM_400000_NS6detail31init_lookback_scan_state_kernelINS1_19lookback_scan_stateIdLb1ELb1EEENS1_16block_id_wrapperIjLb0EEEEEvT_jT0_jPNS7_10value_typeE.uses_vcc, 1
	.set _ZN7rocprim17ROCPRIM_400000_NS6detail31init_lookback_scan_state_kernelINS1_19lookback_scan_stateIdLb1ELb1EEENS1_16block_id_wrapperIjLb0EEEEEvT_jT0_jPNS7_10value_typeE.uses_flat_scratch, 0
	.set _ZN7rocprim17ROCPRIM_400000_NS6detail31init_lookback_scan_state_kernelINS1_19lookback_scan_stateIdLb1ELb1EEENS1_16block_id_wrapperIjLb0EEEEEvT_jT0_jPNS7_10value_typeE.has_dyn_sized_stack, 0
	.set _ZN7rocprim17ROCPRIM_400000_NS6detail31init_lookback_scan_state_kernelINS1_19lookback_scan_stateIdLb1ELb1EEENS1_16block_id_wrapperIjLb0EEEEEvT_jT0_jPNS7_10value_typeE.has_recursion, 0
	.set _ZN7rocprim17ROCPRIM_400000_NS6detail31init_lookback_scan_state_kernelINS1_19lookback_scan_stateIdLb1ELb1EEENS1_16block_id_wrapperIjLb0EEEEEvT_jT0_jPNS7_10value_typeE.has_indirect_call, 0
	.section	.AMDGPU.csdata,"",@progbits
; Kernel info:
; codeLenInByte = 424
; TotalNumSgprs: 20
; NumVgprs: 10
; NumAgprs: 0
; TotalNumVgprs: 10
; ScratchSize: 0
; MemoryBound: 0
; FloatMode: 240
; IeeeMode: 1
; LDSByteSize: 0 bytes/workgroup (compile time only)
; SGPRBlocks: 2
; VGPRBlocks: 1
; NumSGPRsForWavesPerEU: 20
; NumVGPRsForWavesPerEU: 10
; AccumOffset: 12
; Occupancy: 8
; WaveLimiterHint : 0
; COMPUTE_PGM_RSRC2:SCRATCH_EN: 0
; COMPUTE_PGM_RSRC2:USER_SGPR: 2
; COMPUTE_PGM_RSRC2:TRAP_HANDLER: 0
; COMPUTE_PGM_RSRC2:TGID_X_EN: 1
; COMPUTE_PGM_RSRC2:TGID_Y_EN: 0
; COMPUTE_PGM_RSRC2:TGID_Z_EN: 0
; COMPUTE_PGM_RSRC2:TIDIG_COMP_CNT: 0
; COMPUTE_PGM_RSRC3_GFX90A:ACCUM_OFFSET: 2
; COMPUTE_PGM_RSRC3_GFX90A:TG_SPLIT: 0
	.section	.text._ZN7rocprim17ROCPRIM_400000_NS6detail17trampoline_kernelINS0_14default_configENS1_20scan_config_selectorIdEEZZNS1_9scan_implILNS1_25lookback_scan_determinismE0ELb0ELb0ES3_PKdPddZZZN2at6native31launch_logcumsumexp_cuda_kernelERKNSB_10TensorBaseESF_lENKUlvE_clEvENKUlvE_clEvEUlddE_dEEDaPvRmT3_T4_T5_mT6_P12ihipStream_tbENKUlT_T0_E_clISt17integral_constantIbLb1EESV_IbLb0EEEEDaSR_SS_EUlSR_E_NS1_11comp_targetILNS1_3genE0ELNS1_11target_archE4294967295ELNS1_3gpuE0ELNS1_3repE0EEENS1_30default_config_static_selectorELNS0_4arch9wavefront6targetE1EEEvT1_,"axG",@progbits,_ZN7rocprim17ROCPRIM_400000_NS6detail17trampoline_kernelINS0_14default_configENS1_20scan_config_selectorIdEEZZNS1_9scan_implILNS1_25lookback_scan_determinismE0ELb0ELb0ES3_PKdPddZZZN2at6native31launch_logcumsumexp_cuda_kernelERKNSB_10TensorBaseESF_lENKUlvE_clEvENKUlvE_clEvEUlddE_dEEDaPvRmT3_T4_T5_mT6_P12ihipStream_tbENKUlT_T0_E_clISt17integral_constantIbLb1EESV_IbLb0EEEEDaSR_SS_EUlSR_E_NS1_11comp_targetILNS1_3genE0ELNS1_11target_archE4294967295ELNS1_3gpuE0ELNS1_3repE0EEENS1_30default_config_static_selectorELNS0_4arch9wavefront6targetE1EEEvT1_,comdat
	.globl	_ZN7rocprim17ROCPRIM_400000_NS6detail17trampoline_kernelINS0_14default_configENS1_20scan_config_selectorIdEEZZNS1_9scan_implILNS1_25lookback_scan_determinismE0ELb0ELb0ES3_PKdPddZZZN2at6native31launch_logcumsumexp_cuda_kernelERKNSB_10TensorBaseESF_lENKUlvE_clEvENKUlvE_clEvEUlddE_dEEDaPvRmT3_T4_T5_mT6_P12ihipStream_tbENKUlT_T0_E_clISt17integral_constantIbLb1EESV_IbLb0EEEEDaSR_SS_EUlSR_E_NS1_11comp_targetILNS1_3genE0ELNS1_11target_archE4294967295ELNS1_3gpuE0ELNS1_3repE0EEENS1_30default_config_static_selectorELNS0_4arch9wavefront6targetE1EEEvT1_ ; -- Begin function _ZN7rocprim17ROCPRIM_400000_NS6detail17trampoline_kernelINS0_14default_configENS1_20scan_config_selectorIdEEZZNS1_9scan_implILNS1_25lookback_scan_determinismE0ELb0ELb0ES3_PKdPddZZZN2at6native31launch_logcumsumexp_cuda_kernelERKNSB_10TensorBaseESF_lENKUlvE_clEvENKUlvE_clEvEUlddE_dEEDaPvRmT3_T4_T5_mT6_P12ihipStream_tbENKUlT_T0_E_clISt17integral_constantIbLb1EESV_IbLb0EEEEDaSR_SS_EUlSR_E_NS1_11comp_targetILNS1_3genE0ELNS1_11target_archE4294967295ELNS1_3gpuE0ELNS1_3repE0EEENS1_30default_config_static_selectorELNS0_4arch9wavefront6targetE1EEEvT1_
	.p2align	8
	.type	_ZN7rocprim17ROCPRIM_400000_NS6detail17trampoline_kernelINS0_14default_configENS1_20scan_config_selectorIdEEZZNS1_9scan_implILNS1_25lookback_scan_determinismE0ELb0ELb0ES3_PKdPddZZZN2at6native31launch_logcumsumexp_cuda_kernelERKNSB_10TensorBaseESF_lENKUlvE_clEvENKUlvE_clEvEUlddE_dEEDaPvRmT3_T4_T5_mT6_P12ihipStream_tbENKUlT_T0_E_clISt17integral_constantIbLb1EESV_IbLb0EEEEDaSR_SS_EUlSR_E_NS1_11comp_targetILNS1_3genE0ELNS1_11target_archE4294967295ELNS1_3gpuE0ELNS1_3repE0EEENS1_30default_config_static_selectorELNS0_4arch9wavefront6targetE1EEEvT1_,@function
_ZN7rocprim17ROCPRIM_400000_NS6detail17trampoline_kernelINS0_14default_configENS1_20scan_config_selectorIdEEZZNS1_9scan_implILNS1_25lookback_scan_determinismE0ELb0ELb0ES3_PKdPddZZZN2at6native31launch_logcumsumexp_cuda_kernelERKNSB_10TensorBaseESF_lENKUlvE_clEvENKUlvE_clEvEUlddE_dEEDaPvRmT3_T4_T5_mT6_P12ihipStream_tbENKUlT_T0_E_clISt17integral_constantIbLb1EESV_IbLb0EEEEDaSR_SS_EUlSR_E_NS1_11comp_targetILNS1_3genE0ELNS1_11target_archE4294967295ELNS1_3gpuE0ELNS1_3repE0EEENS1_30default_config_static_selectorELNS0_4arch9wavefront6targetE1EEEvT1_: ; @_ZN7rocprim17ROCPRIM_400000_NS6detail17trampoline_kernelINS0_14default_configENS1_20scan_config_selectorIdEEZZNS1_9scan_implILNS1_25lookback_scan_determinismE0ELb0ELb0ES3_PKdPddZZZN2at6native31launch_logcumsumexp_cuda_kernelERKNSB_10TensorBaseESF_lENKUlvE_clEvENKUlvE_clEvEUlddE_dEEDaPvRmT3_T4_T5_mT6_P12ihipStream_tbENKUlT_T0_E_clISt17integral_constantIbLb1EESV_IbLb0EEEEDaSR_SS_EUlSR_E_NS1_11comp_targetILNS1_3genE0ELNS1_11target_archE4294967295ELNS1_3gpuE0ELNS1_3repE0EEENS1_30default_config_static_selectorELNS0_4arch9wavefront6targetE1EEEvT1_
; %bb.0:
	s_endpgm
	.section	.rodata,"a",@progbits
	.p2align	6, 0x0
	.amdhsa_kernel _ZN7rocprim17ROCPRIM_400000_NS6detail17trampoline_kernelINS0_14default_configENS1_20scan_config_selectorIdEEZZNS1_9scan_implILNS1_25lookback_scan_determinismE0ELb0ELb0ES3_PKdPddZZZN2at6native31launch_logcumsumexp_cuda_kernelERKNSB_10TensorBaseESF_lENKUlvE_clEvENKUlvE_clEvEUlddE_dEEDaPvRmT3_T4_T5_mT6_P12ihipStream_tbENKUlT_T0_E_clISt17integral_constantIbLb1EESV_IbLb0EEEEDaSR_SS_EUlSR_E_NS1_11comp_targetILNS1_3genE0ELNS1_11target_archE4294967295ELNS1_3gpuE0ELNS1_3repE0EEENS1_30default_config_static_selectorELNS0_4arch9wavefront6targetE1EEEvT1_
		.amdhsa_group_segment_fixed_size 0
		.amdhsa_private_segment_fixed_size 0
		.amdhsa_kernarg_size 104
		.amdhsa_user_sgpr_count 2
		.amdhsa_user_sgpr_dispatch_ptr 0
		.amdhsa_user_sgpr_queue_ptr 0
		.amdhsa_user_sgpr_kernarg_segment_ptr 1
		.amdhsa_user_sgpr_dispatch_id 0
		.amdhsa_user_sgpr_kernarg_preload_length 0
		.amdhsa_user_sgpr_kernarg_preload_offset 0
		.amdhsa_user_sgpr_private_segment_size 0
		.amdhsa_uses_dynamic_stack 0
		.amdhsa_enable_private_segment 0
		.amdhsa_system_sgpr_workgroup_id_x 1
		.amdhsa_system_sgpr_workgroup_id_y 0
		.amdhsa_system_sgpr_workgroup_id_z 0
		.amdhsa_system_sgpr_workgroup_info 0
		.amdhsa_system_vgpr_workitem_id 0
		.amdhsa_next_free_vgpr 1
		.amdhsa_next_free_sgpr 0
		.amdhsa_accum_offset 4
		.amdhsa_reserve_vcc 0
		.amdhsa_float_round_mode_32 0
		.amdhsa_float_round_mode_16_64 0
		.amdhsa_float_denorm_mode_32 3
		.amdhsa_float_denorm_mode_16_64 3
		.amdhsa_dx10_clamp 1
		.amdhsa_ieee_mode 1
		.amdhsa_fp16_overflow 0
		.amdhsa_tg_split 0
		.amdhsa_exception_fp_ieee_invalid_op 0
		.amdhsa_exception_fp_denorm_src 0
		.amdhsa_exception_fp_ieee_div_zero 0
		.amdhsa_exception_fp_ieee_overflow 0
		.amdhsa_exception_fp_ieee_underflow 0
		.amdhsa_exception_fp_ieee_inexact 0
		.amdhsa_exception_int_div_zero 0
	.end_amdhsa_kernel
	.section	.text._ZN7rocprim17ROCPRIM_400000_NS6detail17trampoline_kernelINS0_14default_configENS1_20scan_config_selectorIdEEZZNS1_9scan_implILNS1_25lookback_scan_determinismE0ELb0ELb0ES3_PKdPddZZZN2at6native31launch_logcumsumexp_cuda_kernelERKNSB_10TensorBaseESF_lENKUlvE_clEvENKUlvE_clEvEUlddE_dEEDaPvRmT3_T4_T5_mT6_P12ihipStream_tbENKUlT_T0_E_clISt17integral_constantIbLb1EESV_IbLb0EEEEDaSR_SS_EUlSR_E_NS1_11comp_targetILNS1_3genE0ELNS1_11target_archE4294967295ELNS1_3gpuE0ELNS1_3repE0EEENS1_30default_config_static_selectorELNS0_4arch9wavefront6targetE1EEEvT1_,"axG",@progbits,_ZN7rocprim17ROCPRIM_400000_NS6detail17trampoline_kernelINS0_14default_configENS1_20scan_config_selectorIdEEZZNS1_9scan_implILNS1_25lookback_scan_determinismE0ELb0ELb0ES3_PKdPddZZZN2at6native31launch_logcumsumexp_cuda_kernelERKNSB_10TensorBaseESF_lENKUlvE_clEvENKUlvE_clEvEUlddE_dEEDaPvRmT3_T4_T5_mT6_P12ihipStream_tbENKUlT_T0_E_clISt17integral_constantIbLb1EESV_IbLb0EEEEDaSR_SS_EUlSR_E_NS1_11comp_targetILNS1_3genE0ELNS1_11target_archE4294967295ELNS1_3gpuE0ELNS1_3repE0EEENS1_30default_config_static_selectorELNS0_4arch9wavefront6targetE1EEEvT1_,comdat
.Lfunc_end47:
	.size	_ZN7rocprim17ROCPRIM_400000_NS6detail17trampoline_kernelINS0_14default_configENS1_20scan_config_selectorIdEEZZNS1_9scan_implILNS1_25lookback_scan_determinismE0ELb0ELb0ES3_PKdPddZZZN2at6native31launch_logcumsumexp_cuda_kernelERKNSB_10TensorBaseESF_lENKUlvE_clEvENKUlvE_clEvEUlddE_dEEDaPvRmT3_T4_T5_mT6_P12ihipStream_tbENKUlT_T0_E_clISt17integral_constantIbLb1EESV_IbLb0EEEEDaSR_SS_EUlSR_E_NS1_11comp_targetILNS1_3genE0ELNS1_11target_archE4294967295ELNS1_3gpuE0ELNS1_3repE0EEENS1_30default_config_static_selectorELNS0_4arch9wavefront6targetE1EEEvT1_, .Lfunc_end47-_ZN7rocprim17ROCPRIM_400000_NS6detail17trampoline_kernelINS0_14default_configENS1_20scan_config_selectorIdEEZZNS1_9scan_implILNS1_25lookback_scan_determinismE0ELb0ELb0ES3_PKdPddZZZN2at6native31launch_logcumsumexp_cuda_kernelERKNSB_10TensorBaseESF_lENKUlvE_clEvENKUlvE_clEvEUlddE_dEEDaPvRmT3_T4_T5_mT6_P12ihipStream_tbENKUlT_T0_E_clISt17integral_constantIbLb1EESV_IbLb0EEEEDaSR_SS_EUlSR_E_NS1_11comp_targetILNS1_3genE0ELNS1_11target_archE4294967295ELNS1_3gpuE0ELNS1_3repE0EEENS1_30default_config_static_selectorELNS0_4arch9wavefront6targetE1EEEvT1_
                                        ; -- End function
	.set _ZN7rocprim17ROCPRIM_400000_NS6detail17trampoline_kernelINS0_14default_configENS1_20scan_config_selectorIdEEZZNS1_9scan_implILNS1_25lookback_scan_determinismE0ELb0ELb0ES3_PKdPddZZZN2at6native31launch_logcumsumexp_cuda_kernelERKNSB_10TensorBaseESF_lENKUlvE_clEvENKUlvE_clEvEUlddE_dEEDaPvRmT3_T4_T5_mT6_P12ihipStream_tbENKUlT_T0_E_clISt17integral_constantIbLb1EESV_IbLb0EEEEDaSR_SS_EUlSR_E_NS1_11comp_targetILNS1_3genE0ELNS1_11target_archE4294967295ELNS1_3gpuE0ELNS1_3repE0EEENS1_30default_config_static_selectorELNS0_4arch9wavefront6targetE1EEEvT1_.num_vgpr, 0
	.set _ZN7rocprim17ROCPRIM_400000_NS6detail17trampoline_kernelINS0_14default_configENS1_20scan_config_selectorIdEEZZNS1_9scan_implILNS1_25lookback_scan_determinismE0ELb0ELb0ES3_PKdPddZZZN2at6native31launch_logcumsumexp_cuda_kernelERKNSB_10TensorBaseESF_lENKUlvE_clEvENKUlvE_clEvEUlddE_dEEDaPvRmT3_T4_T5_mT6_P12ihipStream_tbENKUlT_T0_E_clISt17integral_constantIbLb1EESV_IbLb0EEEEDaSR_SS_EUlSR_E_NS1_11comp_targetILNS1_3genE0ELNS1_11target_archE4294967295ELNS1_3gpuE0ELNS1_3repE0EEENS1_30default_config_static_selectorELNS0_4arch9wavefront6targetE1EEEvT1_.num_agpr, 0
	.set _ZN7rocprim17ROCPRIM_400000_NS6detail17trampoline_kernelINS0_14default_configENS1_20scan_config_selectorIdEEZZNS1_9scan_implILNS1_25lookback_scan_determinismE0ELb0ELb0ES3_PKdPddZZZN2at6native31launch_logcumsumexp_cuda_kernelERKNSB_10TensorBaseESF_lENKUlvE_clEvENKUlvE_clEvEUlddE_dEEDaPvRmT3_T4_T5_mT6_P12ihipStream_tbENKUlT_T0_E_clISt17integral_constantIbLb1EESV_IbLb0EEEEDaSR_SS_EUlSR_E_NS1_11comp_targetILNS1_3genE0ELNS1_11target_archE4294967295ELNS1_3gpuE0ELNS1_3repE0EEENS1_30default_config_static_selectorELNS0_4arch9wavefront6targetE1EEEvT1_.numbered_sgpr, 0
	.set _ZN7rocprim17ROCPRIM_400000_NS6detail17trampoline_kernelINS0_14default_configENS1_20scan_config_selectorIdEEZZNS1_9scan_implILNS1_25lookback_scan_determinismE0ELb0ELb0ES3_PKdPddZZZN2at6native31launch_logcumsumexp_cuda_kernelERKNSB_10TensorBaseESF_lENKUlvE_clEvENKUlvE_clEvEUlddE_dEEDaPvRmT3_T4_T5_mT6_P12ihipStream_tbENKUlT_T0_E_clISt17integral_constantIbLb1EESV_IbLb0EEEEDaSR_SS_EUlSR_E_NS1_11comp_targetILNS1_3genE0ELNS1_11target_archE4294967295ELNS1_3gpuE0ELNS1_3repE0EEENS1_30default_config_static_selectorELNS0_4arch9wavefront6targetE1EEEvT1_.num_named_barrier, 0
	.set _ZN7rocprim17ROCPRIM_400000_NS6detail17trampoline_kernelINS0_14default_configENS1_20scan_config_selectorIdEEZZNS1_9scan_implILNS1_25lookback_scan_determinismE0ELb0ELb0ES3_PKdPddZZZN2at6native31launch_logcumsumexp_cuda_kernelERKNSB_10TensorBaseESF_lENKUlvE_clEvENKUlvE_clEvEUlddE_dEEDaPvRmT3_T4_T5_mT6_P12ihipStream_tbENKUlT_T0_E_clISt17integral_constantIbLb1EESV_IbLb0EEEEDaSR_SS_EUlSR_E_NS1_11comp_targetILNS1_3genE0ELNS1_11target_archE4294967295ELNS1_3gpuE0ELNS1_3repE0EEENS1_30default_config_static_selectorELNS0_4arch9wavefront6targetE1EEEvT1_.private_seg_size, 0
	.set _ZN7rocprim17ROCPRIM_400000_NS6detail17trampoline_kernelINS0_14default_configENS1_20scan_config_selectorIdEEZZNS1_9scan_implILNS1_25lookback_scan_determinismE0ELb0ELb0ES3_PKdPddZZZN2at6native31launch_logcumsumexp_cuda_kernelERKNSB_10TensorBaseESF_lENKUlvE_clEvENKUlvE_clEvEUlddE_dEEDaPvRmT3_T4_T5_mT6_P12ihipStream_tbENKUlT_T0_E_clISt17integral_constantIbLb1EESV_IbLb0EEEEDaSR_SS_EUlSR_E_NS1_11comp_targetILNS1_3genE0ELNS1_11target_archE4294967295ELNS1_3gpuE0ELNS1_3repE0EEENS1_30default_config_static_selectorELNS0_4arch9wavefront6targetE1EEEvT1_.uses_vcc, 0
	.set _ZN7rocprim17ROCPRIM_400000_NS6detail17trampoline_kernelINS0_14default_configENS1_20scan_config_selectorIdEEZZNS1_9scan_implILNS1_25lookback_scan_determinismE0ELb0ELb0ES3_PKdPddZZZN2at6native31launch_logcumsumexp_cuda_kernelERKNSB_10TensorBaseESF_lENKUlvE_clEvENKUlvE_clEvEUlddE_dEEDaPvRmT3_T4_T5_mT6_P12ihipStream_tbENKUlT_T0_E_clISt17integral_constantIbLb1EESV_IbLb0EEEEDaSR_SS_EUlSR_E_NS1_11comp_targetILNS1_3genE0ELNS1_11target_archE4294967295ELNS1_3gpuE0ELNS1_3repE0EEENS1_30default_config_static_selectorELNS0_4arch9wavefront6targetE1EEEvT1_.uses_flat_scratch, 0
	.set _ZN7rocprim17ROCPRIM_400000_NS6detail17trampoline_kernelINS0_14default_configENS1_20scan_config_selectorIdEEZZNS1_9scan_implILNS1_25lookback_scan_determinismE0ELb0ELb0ES3_PKdPddZZZN2at6native31launch_logcumsumexp_cuda_kernelERKNSB_10TensorBaseESF_lENKUlvE_clEvENKUlvE_clEvEUlddE_dEEDaPvRmT3_T4_T5_mT6_P12ihipStream_tbENKUlT_T0_E_clISt17integral_constantIbLb1EESV_IbLb0EEEEDaSR_SS_EUlSR_E_NS1_11comp_targetILNS1_3genE0ELNS1_11target_archE4294967295ELNS1_3gpuE0ELNS1_3repE0EEENS1_30default_config_static_selectorELNS0_4arch9wavefront6targetE1EEEvT1_.has_dyn_sized_stack, 0
	.set _ZN7rocprim17ROCPRIM_400000_NS6detail17trampoline_kernelINS0_14default_configENS1_20scan_config_selectorIdEEZZNS1_9scan_implILNS1_25lookback_scan_determinismE0ELb0ELb0ES3_PKdPddZZZN2at6native31launch_logcumsumexp_cuda_kernelERKNSB_10TensorBaseESF_lENKUlvE_clEvENKUlvE_clEvEUlddE_dEEDaPvRmT3_T4_T5_mT6_P12ihipStream_tbENKUlT_T0_E_clISt17integral_constantIbLb1EESV_IbLb0EEEEDaSR_SS_EUlSR_E_NS1_11comp_targetILNS1_3genE0ELNS1_11target_archE4294967295ELNS1_3gpuE0ELNS1_3repE0EEENS1_30default_config_static_selectorELNS0_4arch9wavefront6targetE1EEEvT1_.has_recursion, 0
	.set _ZN7rocprim17ROCPRIM_400000_NS6detail17trampoline_kernelINS0_14default_configENS1_20scan_config_selectorIdEEZZNS1_9scan_implILNS1_25lookback_scan_determinismE0ELb0ELb0ES3_PKdPddZZZN2at6native31launch_logcumsumexp_cuda_kernelERKNSB_10TensorBaseESF_lENKUlvE_clEvENKUlvE_clEvEUlddE_dEEDaPvRmT3_T4_T5_mT6_P12ihipStream_tbENKUlT_T0_E_clISt17integral_constantIbLb1EESV_IbLb0EEEEDaSR_SS_EUlSR_E_NS1_11comp_targetILNS1_3genE0ELNS1_11target_archE4294967295ELNS1_3gpuE0ELNS1_3repE0EEENS1_30default_config_static_selectorELNS0_4arch9wavefront6targetE1EEEvT1_.has_indirect_call, 0
	.section	.AMDGPU.csdata,"",@progbits
; Kernel info:
; codeLenInByte = 4
; TotalNumSgprs: 6
; NumVgprs: 0
; NumAgprs: 0
; TotalNumVgprs: 0
; ScratchSize: 0
; MemoryBound: 0
; FloatMode: 240
; IeeeMode: 1
; LDSByteSize: 0 bytes/workgroup (compile time only)
; SGPRBlocks: 0
; VGPRBlocks: 0
; NumSGPRsForWavesPerEU: 6
; NumVGPRsForWavesPerEU: 1
; AccumOffset: 4
; Occupancy: 8
; WaveLimiterHint : 0
; COMPUTE_PGM_RSRC2:SCRATCH_EN: 0
; COMPUTE_PGM_RSRC2:USER_SGPR: 2
; COMPUTE_PGM_RSRC2:TRAP_HANDLER: 0
; COMPUTE_PGM_RSRC2:TGID_X_EN: 1
; COMPUTE_PGM_RSRC2:TGID_Y_EN: 0
; COMPUTE_PGM_RSRC2:TGID_Z_EN: 0
; COMPUTE_PGM_RSRC2:TIDIG_COMP_CNT: 0
; COMPUTE_PGM_RSRC3_GFX90A:ACCUM_OFFSET: 0
; COMPUTE_PGM_RSRC3_GFX90A:TG_SPLIT: 0
	.section	.text._ZN7rocprim17ROCPRIM_400000_NS6detail17trampoline_kernelINS0_14default_configENS1_20scan_config_selectorIdEEZZNS1_9scan_implILNS1_25lookback_scan_determinismE0ELb0ELb0ES3_PKdPddZZZN2at6native31launch_logcumsumexp_cuda_kernelERKNSB_10TensorBaseESF_lENKUlvE_clEvENKUlvE_clEvEUlddE_dEEDaPvRmT3_T4_T5_mT6_P12ihipStream_tbENKUlT_T0_E_clISt17integral_constantIbLb1EESV_IbLb0EEEEDaSR_SS_EUlSR_E_NS1_11comp_targetILNS1_3genE5ELNS1_11target_archE942ELNS1_3gpuE9ELNS1_3repE0EEENS1_30default_config_static_selectorELNS0_4arch9wavefront6targetE1EEEvT1_,"axG",@progbits,_ZN7rocprim17ROCPRIM_400000_NS6detail17trampoline_kernelINS0_14default_configENS1_20scan_config_selectorIdEEZZNS1_9scan_implILNS1_25lookback_scan_determinismE0ELb0ELb0ES3_PKdPddZZZN2at6native31launch_logcumsumexp_cuda_kernelERKNSB_10TensorBaseESF_lENKUlvE_clEvENKUlvE_clEvEUlddE_dEEDaPvRmT3_T4_T5_mT6_P12ihipStream_tbENKUlT_T0_E_clISt17integral_constantIbLb1EESV_IbLb0EEEEDaSR_SS_EUlSR_E_NS1_11comp_targetILNS1_3genE5ELNS1_11target_archE942ELNS1_3gpuE9ELNS1_3repE0EEENS1_30default_config_static_selectorELNS0_4arch9wavefront6targetE1EEEvT1_,comdat
	.globl	_ZN7rocprim17ROCPRIM_400000_NS6detail17trampoline_kernelINS0_14default_configENS1_20scan_config_selectorIdEEZZNS1_9scan_implILNS1_25lookback_scan_determinismE0ELb0ELb0ES3_PKdPddZZZN2at6native31launch_logcumsumexp_cuda_kernelERKNSB_10TensorBaseESF_lENKUlvE_clEvENKUlvE_clEvEUlddE_dEEDaPvRmT3_T4_T5_mT6_P12ihipStream_tbENKUlT_T0_E_clISt17integral_constantIbLb1EESV_IbLb0EEEEDaSR_SS_EUlSR_E_NS1_11comp_targetILNS1_3genE5ELNS1_11target_archE942ELNS1_3gpuE9ELNS1_3repE0EEENS1_30default_config_static_selectorELNS0_4arch9wavefront6targetE1EEEvT1_ ; -- Begin function _ZN7rocprim17ROCPRIM_400000_NS6detail17trampoline_kernelINS0_14default_configENS1_20scan_config_selectorIdEEZZNS1_9scan_implILNS1_25lookback_scan_determinismE0ELb0ELb0ES3_PKdPddZZZN2at6native31launch_logcumsumexp_cuda_kernelERKNSB_10TensorBaseESF_lENKUlvE_clEvENKUlvE_clEvEUlddE_dEEDaPvRmT3_T4_T5_mT6_P12ihipStream_tbENKUlT_T0_E_clISt17integral_constantIbLb1EESV_IbLb0EEEEDaSR_SS_EUlSR_E_NS1_11comp_targetILNS1_3genE5ELNS1_11target_archE942ELNS1_3gpuE9ELNS1_3repE0EEENS1_30default_config_static_selectorELNS0_4arch9wavefront6targetE1EEEvT1_
	.p2align	8
	.type	_ZN7rocprim17ROCPRIM_400000_NS6detail17trampoline_kernelINS0_14default_configENS1_20scan_config_selectorIdEEZZNS1_9scan_implILNS1_25lookback_scan_determinismE0ELb0ELb0ES3_PKdPddZZZN2at6native31launch_logcumsumexp_cuda_kernelERKNSB_10TensorBaseESF_lENKUlvE_clEvENKUlvE_clEvEUlddE_dEEDaPvRmT3_T4_T5_mT6_P12ihipStream_tbENKUlT_T0_E_clISt17integral_constantIbLb1EESV_IbLb0EEEEDaSR_SS_EUlSR_E_NS1_11comp_targetILNS1_3genE5ELNS1_11target_archE942ELNS1_3gpuE9ELNS1_3repE0EEENS1_30default_config_static_selectorELNS0_4arch9wavefront6targetE1EEEvT1_,@function
_ZN7rocprim17ROCPRIM_400000_NS6detail17trampoline_kernelINS0_14default_configENS1_20scan_config_selectorIdEEZZNS1_9scan_implILNS1_25lookback_scan_determinismE0ELb0ELb0ES3_PKdPddZZZN2at6native31launch_logcumsumexp_cuda_kernelERKNSB_10TensorBaseESF_lENKUlvE_clEvENKUlvE_clEvEUlddE_dEEDaPvRmT3_T4_T5_mT6_P12ihipStream_tbENKUlT_T0_E_clISt17integral_constantIbLb1EESV_IbLb0EEEEDaSR_SS_EUlSR_E_NS1_11comp_targetILNS1_3genE5ELNS1_11target_archE942ELNS1_3gpuE9ELNS1_3repE0EEENS1_30default_config_static_selectorELNS0_4arch9wavefront6targetE1EEEvT1_: ; @_ZN7rocprim17ROCPRIM_400000_NS6detail17trampoline_kernelINS0_14default_configENS1_20scan_config_selectorIdEEZZNS1_9scan_implILNS1_25lookback_scan_determinismE0ELb0ELb0ES3_PKdPddZZZN2at6native31launch_logcumsumexp_cuda_kernelERKNSB_10TensorBaseESF_lENKUlvE_clEvENKUlvE_clEvEUlddE_dEEDaPvRmT3_T4_T5_mT6_P12ihipStream_tbENKUlT_T0_E_clISt17integral_constantIbLb1EESV_IbLb0EEEEDaSR_SS_EUlSR_E_NS1_11comp_targetILNS1_3genE5ELNS1_11target_archE942ELNS1_3gpuE9ELNS1_3repE0EEENS1_30default_config_static_selectorELNS0_4arch9wavefront6targetE1EEEvT1_
; %bb.0:
	.section	.rodata,"a",@progbits
	.p2align	6, 0x0
	.amdhsa_kernel _ZN7rocprim17ROCPRIM_400000_NS6detail17trampoline_kernelINS0_14default_configENS1_20scan_config_selectorIdEEZZNS1_9scan_implILNS1_25lookback_scan_determinismE0ELb0ELb0ES3_PKdPddZZZN2at6native31launch_logcumsumexp_cuda_kernelERKNSB_10TensorBaseESF_lENKUlvE_clEvENKUlvE_clEvEUlddE_dEEDaPvRmT3_T4_T5_mT6_P12ihipStream_tbENKUlT_T0_E_clISt17integral_constantIbLb1EESV_IbLb0EEEEDaSR_SS_EUlSR_E_NS1_11comp_targetILNS1_3genE5ELNS1_11target_archE942ELNS1_3gpuE9ELNS1_3repE0EEENS1_30default_config_static_selectorELNS0_4arch9wavefront6targetE1EEEvT1_
		.amdhsa_group_segment_fixed_size 0
		.amdhsa_private_segment_fixed_size 0
		.amdhsa_kernarg_size 104
		.amdhsa_user_sgpr_count 2
		.amdhsa_user_sgpr_dispatch_ptr 0
		.amdhsa_user_sgpr_queue_ptr 0
		.amdhsa_user_sgpr_kernarg_segment_ptr 1
		.amdhsa_user_sgpr_dispatch_id 0
		.amdhsa_user_sgpr_kernarg_preload_length 0
		.amdhsa_user_sgpr_kernarg_preload_offset 0
		.amdhsa_user_sgpr_private_segment_size 0
		.amdhsa_uses_dynamic_stack 0
		.amdhsa_enable_private_segment 0
		.amdhsa_system_sgpr_workgroup_id_x 1
		.amdhsa_system_sgpr_workgroup_id_y 0
		.amdhsa_system_sgpr_workgroup_id_z 0
		.amdhsa_system_sgpr_workgroup_info 0
		.amdhsa_system_vgpr_workitem_id 0
		.amdhsa_next_free_vgpr 1
		.amdhsa_next_free_sgpr 0
		.amdhsa_accum_offset 4
		.amdhsa_reserve_vcc 0
		.amdhsa_float_round_mode_32 0
		.amdhsa_float_round_mode_16_64 0
		.amdhsa_float_denorm_mode_32 3
		.amdhsa_float_denorm_mode_16_64 3
		.amdhsa_dx10_clamp 1
		.amdhsa_ieee_mode 1
		.amdhsa_fp16_overflow 0
		.amdhsa_tg_split 0
		.amdhsa_exception_fp_ieee_invalid_op 0
		.amdhsa_exception_fp_denorm_src 0
		.amdhsa_exception_fp_ieee_div_zero 0
		.amdhsa_exception_fp_ieee_overflow 0
		.amdhsa_exception_fp_ieee_underflow 0
		.amdhsa_exception_fp_ieee_inexact 0
		.amdhsa_exception_int_div_zero 0
	.end_amdhsa_kernel
	.section	.text._ZN7rocprim17ROCPRIM_400000_NS6detail17trampoline_kernelINS0_14default_configENS1_20scan_config_selectorIdEEZZNS1_9scan_implILNS1_25lookback_scan_determinismE0ELb0ELb0ES3_PKdPddZZZN2at6native31launch_logcumsumexp_cuda_kernelERKNSB_10TensorBaseESF_lENKUlvE_clEvENKUlvE_clEvEUlddE_dEEDaPvRmT3_T4_T5_mT6_P12ihipStream_tbENKUlT_T0_E_clISt17integral_constantIbLb1EESV_IbLb0EEEEDaSR_SS_EUlSR_E_NS1_11comp_targetILNS1_3genE5ELNS1_11target_archE942ELNS1_3gpuE9ELNS1_3repE0EEENS1_30default_config_static_selectorELNS0_4arch9wavefront6targetE1EEEvT1_,"axG",@progbits,_ZN7rocprim17ROCPRIM_400000_NS6detail17trampoline_kernelINS0_14default_configENS1_20scan_config_selectorIdEEZZNS1_9scan_implILNS1_25lookback_scan_determinismE0ELb0ELb0ES3_PKdPddZZZN2at6native31launch_logcumsumexp_cuda_kernelERKNSB_10TensorBaseESF_lENKUlvE_clEvENKUlvE_clEvEUlddE_dEEDaPvRmT3_T4_T5_mT6_P12ihipStream_tbENKUlT_T0_E_clISt17integral_constantIbLb1EESV_IbLb0EEEEDaSR_SS_EUlSR_E_NS1_11comp_targetILNS1_3genE5ELNS1_11target_archE942ELNS1_3gpuE9ELNS1_3repE0EEENS1_30default_config_static_selectorELNS0_4arch9wavefront6targetE1EEEvT1_,comdat
.Lfunc_end48:
	.size	_ZN7rocprim17ROCPRIM_400000_NS6detail17trampoline_kernelINS0_14default_configENS1_20scan_config_selectorIdEEZZNS1_9scan_implILNS1_25lookback_scan_determinismE0ELb0ELb0ES3_PKdPddZZZN2at6native31launch_logcumsumexp_cuda_kernelERKNSB_10TensorBaseESF_lENKUlvE_clEvENKUlvE_clEvEUlddE_dEEDaPvRmT3_T4_T5_mT6_P12ihipStream_tbENKUlT_T0_E_clISt17integral_constantIbLb1EESV_IbLb0EEEEDaSR_SS_EUlSR_E_NS1_11comp_targetILNS1_3genE5ELNS1_11target_archE942ELNS1_3gpuE9ELNS1_3repE0EEENS1_30default_config_static_selectorELNS0_4arch9wavefront6targetE1EEEvT1_, .Lfunc_end48-_ZN7rocprim17ROCPRIM_400000_NS6detail17trampoline_kernelINS0_14default_configENS1_20scan_config_selectorIdEEZZNS1_9scan_implILNS1_25lookback_scan_determinismE0ELb0ELb0ES3_PKdPddZZZN2at6native31launch_logcumsumexp_cuda_kernelERKNSB_10TensorBaseESF_lENKUlvE_clEvENKUlvE_clEvEUlddE_dEEDaPvRmT3_T4_T5_mT6_P12ihipStream_tbENKUlT_T0_E_clISt17integral_constantIbLb1EESV_IbLb0EEEEDaSR_SS_EUlSR_E_NS1_11comp_targetILNS1_3genE5ELNS1_11target_archE942ELNS1_3gpuE9ELNS1_3repE0EEENS1_30default_config_static_selectorELNS0_4arch9wavefront6targetE1EEEvT1_
                                        ; -- End function
	.set _ZN7rocprim17ROCPRIM_400000_NS6detail17trampoline_kernelINS0_14default_configENS1_20scan_config_selectorIdEEZZNS1_9scan_implILNS1_25lookback_scan_determinismE0ELb0ELb0ES3_PKdPddZZZN2at6native31launch_logcumsumexp_cuda_kernelERKNSB_10TensorBaseESF_lENKUlvE_clEvENKUlvE_clEvEUlddE_dEEDaPvRmT3_T4_T5_mT6_P12ihipStream_tbENKUlT_T0_E_clISt17integral_constantIbLb1EESV_IbLb0EEEEDaSR_SS_EUlSR_E_NS1_11comp_targetILNS1_3genE5ELNS1_11target_archE942ELNS1_3gpuE9ELNS1_3repE0EEENS1_30default_config_static_selectorELNS0_4arch9wavefront6targetE1EEEvT1_.num_vgpr, 0
	.set _ZN7rocprim17ROCPRIM_400000_NS6detail17trampoline_kernelINS0_14default_configENS1_20scan_config_selectorIdEEZZNS1_9scan_implILNS1_25lookback_scan_determinismE0ELb0ELb0ES3_PKdPddZZZN2at6native31launch_logcumsumexp_cuda_kernelERKNSB_10TensorBaseESF_lENKUlvE_clEvENKUlvE_clEvEUlddE_dEEDaPvRmT3_T4_T5_mT6_P12ihipStream_tbENKUlT_T0_E_clISt17integral_constantIbLb1EESV_IbLb0EEEEDaSR_SS_EUlSR_E_NS1_11comp_targetILNS1_3genE5ELNS1_11target_archE942ELNS1_3gpuE9ELNS1_3repE0EEENS1_30default_config_static_selectorELNS0_4arch9wavefront6targetE1EEEvT1_.num_agpr, 0
	.set _ZN7rocprim17ROCPRIM_400000_NS6detail17trampoline_kernelINS0_14default_configENS1_20scan_config_selectorIdEEZZNS1_9scan_implILNS1_25lookback_scan_determinismE0ELb0ELb0ES3_PKdPddZZZN2at6native31launch_logcumsumexp_cuda_kernelERKNSB_10TensorBaseESF_lENKUlvE_clEvENKUlvE_clEvEUlddE_dEEDaPvRmT3_T4_T5_mT6_P12ihipStream_tbENKUlT_T0_E_clISt17integral_constantIbLb1EESV_IbLb0EEEEDaSR_SS_EUlSR_E_NS1_11comp_targetILNS1_3genE5ELNS1_11target_archE942ELNS1_3gpuE9ELNS1_3repE0EEENS1_30default_config_static_selectorELNS0_4arch9wavefront6targetE1EEEvT1_.numbered_sgpr, 0
	.set _ZN7rocprim17ROCPRIM_400000_NS6detail17trampoline_kernelINS0_14default_configENS1_20scan_config_selectorIdEEZZNS1_9scan_implILNS1_25lookback_scan_determinismE0ELb0ELb0ES3_PKdPddZZZN2at6native31launch_logcumsumexp_cuda_kernelERKNSB_10TensorBaseESF_lENKUlvE_clEvENKUlvE_clEvEUlddE_dEEDaPvRmT3_T4_T5_mT6_P12ihipStream_tbENKUlT_T0_E_clISt17integral_constantIbLb1EESV_IbLb0EEEEDaSR_SS_EUlSR_E_NS1_11comp_targetILNS1_3genE5ELNS1_11target_archE942ELNS1_3gpuE9ELNS1_3repE0EEENS1_30default_config_static_selectorELNS0_4arch9wavefront6targetE1EEEvT1_.num_named_barrier, 0
	.set _ZN7rocprim17ROCPRIM_400000_NS6detail17trampoline_kernelINS0_14default_configENS1_20scan_config_selectorIdEEZZNS1_9scan_implILNS1_25lookback_scan_determinismE0ELb0ELb0ES3_PKdPddZZZN2at6native31launch_logcumsumexp_cuda_kernelERKNSB_10TensorBaseESF_lENKUlvE_clEvENKUlvE_clEvEUlddE_dEEDaPvRmT3_T4_T5_mT6_P12ihipStream_tbENKUlT_T0_E_clISt17integral_constantIbLb1EESV_IbLb0EEEEDaSR_SS_EUlSR_E_NS1_11comp_targetILNS1_3genE5ELNS1_11target_archE942ELNS1_3gpuE9ELNS1_3repE0EEENS1_30default_config_static_selectorELNS0_4arch9wavefront6targetE1EEEvT1_.private_seg_size, 0
	.set _ZN7rocprim17ROCPRIM_400000_NS6detail17trampoline_kernelINS0_14default_configENS1_20scan_config_selectorIdEEZZNS1_9scan_implILNS1_25lookback_scan_determinismE0ELb0ELb0ES3_PKdPddZZZN2at6native31launch_logcumsumexp_cuda_kernelERKNSB_10TensorBaseESF_lENKUlvE_clEvENKUlvE_clEvEUlddE_dEEDaPvRmT3_T4_T5_mT6_P12ihipStream_tbENKUlT_T0_E_clISt17integral_constantIbLb1EESV_IbLb0EEEEDaSR_SS_EUlSR_E_NS1_11comp_targetILNS1_3genE5ELNS1_11target_archE942ELNS1_3gpuE9ELNS1_3repE0EEENS1_30default_config_static_selectorELNS0_4arch9wavefront6targetE1EEEvT1_.uses_vcc, 0
	.set _ZN7rocprim17ROCPRIM_400000_NS6detail17trampoline_kernelINS0_14default_configENS1_20scan_config_selectorIdEEZZNS1_9scan_implILNS1_25lookback_scan_determinismE0ELb0ELb0ES3_PKdPddZZZN2at6native31launch_logcumsumexp_cuda_kernelERKNSB_10TensorBaseESF_lENKUlvE_clEvENKUlvE_clEvEUlddE_dEEDaPvRmT3_T4_T5_mT6_P12ihipStream_tbENKUlT_T0_E_clISt17integral_constantIbLb1EESV_IbLb0EEEEDaSR_SS_EUlSR_E_NS1_11comp_targetILNS1_3genE5ELNS1_11target_archE942ELNS1_3gpuE9ELNS1_3repE0EEENS1_30default_config_static_selectorELNS0_4arch9wavefront6targetE1EEEvT1_.uses_flat_scratch, 0
	.set _ZN7rocprim17ROCPRIM_400000_NS6detail17trampoline_kernelINS0_14default_configENS1_20scan_config_selectorIdEEZZNS1_9scan_implILNS1_25lookback_scan_determinismE0ELb0ELb0ES3_PKdPddZZZN2at6native31launch_logcumsumexp_cuda_kernelERKNSB_10TensorBaseESF_lENKUlvE_clEvENKUlvE_clEvEUlddE_dEEDaPvRmT3_T4_T5_mT6_P12ihipStream_tbENKUlT_T0_E_clISt17integral_constantIbLb1EESV_IbLb0EEEEDaSR_SS_EUlSR_E_NS1_11comp_targetILNS1_3genE5ELNS1_11target_archE942ELNS1_3gpuE9ELNS1_3repE0EEENS1_30default_config_static_selectorELNS0_4arch9wavefront6targetE1EEEvT1_.has_dyn_sized_stack, 0
	.set _ZN7rocprim17ROCPRIM_400000_NS6detail17trampoline_kernelINS0_14default_configENS1_20scan_config_selectorIdEEZZNS1_9scan_implILNS1_25lookback_scan_determinismE0ELb0ELb0ES3_PKdPddZZZN2at6native31launch_logcumsumexp_cuda_kernelERKNSB_10TensorBaseESF_lENKUlvE_clEvENKUlvE_clEvEUlddE_dEEDaPvRmT3_T4_T5_mT6_P12ihipStream_tbENKUlT_T0_E_clISt17integral_constantIbLb1EESV_IbLb0EEEEDaSR_SS_EUlSR_E_NS1_11comp_targetILNS1_3genE5ELNS1_11target_archE942ELNS1_3gpuE9ELNS1_3repE0EEENS1_30default_config_static_selectorELNS0_4arch9wavefront6targetE1EEEvT1_.has_recursion, 0
	.set _ZN7rocprim17ROCPRIM_400000_NS6detail17trampoline_kernelINS0_14default_configENS1_20scan_config_selectorIdEEZZNS1_9scan_implILNS1_25lookback_scan_determinismE0ELb0ELb0ES3_PKdPddZZZN2at6native31launch_logcumsumexp_cuda_kernelERKNSB_10TensorBaseESF_lENKUlvE_clEvENKUlvE_clEvEUlddE_dEEDaPvRmT3_T4_T5_mT6_P12ihipStream_tbENKUlT_T0_E_clISt17integral_constantIbLb1EESV_IbLb0EEEEDaSR_SS_EUlSR_E_NS1_11comp_targetILNS1_3genE5ELNS1_11target_archE942ELNS1_3gpuE9ELNS1_3repE0EEENS1_30default_config_static_selectorELNS0_4arch9wavefront6targetE1EEEvT1_.has_indirect_call, 0
	.section	.AMDGPU.csdata,"",@progbits
; Kernel info:
; codeLenInByte = 0
; TotalNumSgprs: 6
; NumVgprs: 0
; NumAgprs: 0
; TotalNumVgprs: 0
; ScratchSize: 0
; MemoryBound: 0
; FloatMode: 240
; IeeeMode: 1
; LDSByteSize: 0 bytes/workgroup (compile time only)
; SGPRBlocks: 0
; VGPRBlocks: 0
; NumSGPRsForWavesPerEU: 6
; NumVGPRsForWavesPerEU: 1
; AccumOffset: 4
; Occupancy: 8
; WaveLimiterHint : 0
; COMPUTE_PGM_RSRC2:SCRATCH_EN: 0
; COMPUTE_PGM_RSRC2:USER_SGPR: 2
; COMPUTE_PGM_RSRC2:TRAP_HANDLER: 0
; COMPUTE_PGM_RSRC2:TGID_X_EN: 1
; COMPUTE_PGM_RSRC2:TGID_Y_EN: 0
; COMPUTE_PGM_RSRC2:TGID_Z_EN: 0
; COMPUTE_PGM_RSRC2:TIDIG_COMP_CNT: 0
; COMPUTE_PGM_RSRC3_GFX90A:ACCUM_OFFSET: 0
; COMPUTE_PGM_RSRC3_GFX90A:TG_SPLIT: 0
	.section	.text._ZN7rocprim17ROCPRIM_400000_NS6detail17trampoline_kernelINS0_14default_configENS1_20scan_config_selectorIdEEZZNS1_9scan_implILNS1_25lookback_scan_determinismE0ELb0ELb0ES3_PKdPddZZZN2at6native31launch_logcumsumexp_cuda_kernelERKNSB_10TensorBaseESF_lENKUlvE_clEvENKUlvE_clEvEUlddE_dEEDaPvRmT3_T4_T5_mT6_P12ihipStream_tbENKUlT_T0_E_clISt17integral_constantIbLb1EESV_IbLb0EEEEDaSR_SS_EUlSR_E_NS1_11comp_targetILNS1_3genE4ELNS1_11target_archE910ELNS1_3gpuE8ELNS1_3repE0EEENS1_30default_config_static_selectorELNS0_4arch9wavefront6targetE1EEEvT1_,"axG",@progbits,_ZN7rocprim17ROCPRIM_400000_NS6detail17trampoline_kernelINS0_14default_configENS1_20scan_config_selectorIdEEZZNS1_9scan_implILNS1_25lookback_scan_determinismE0ELb0ELb0ES3_PKdPddZZZN2at6native31launch_logcumsumexp_cuda_kernelERKNSB_10TensorBaseESF_lENKUlvE_clEvENKUlvE_clEvEUlddE_dEEDaPvRmT3_T4_T5_mT6_P12ihipStream_tbENKUlT_T0_E_clISt17integral_constantIbLb1EESV_IbLb0EEEEDaSR_SS_EUlSR_E_NS1_11comp_targetILNS1_3genE4ELNS1_11target_archE910ELNS1_3gpuE8ELNS1_3repE0EEENS1_30default_config_static_selectorELNS0_4arch9wavefront6targetE1EEEvT1_,comdat
	.globl	_ZN7rocprim17ROCPRIM_400000_NS6detail17trampoline_kernelINS0_14default_configENS1_20scan_config_selectorIdEEZZNS1_9scan_implILNS1_25lookback_scan_determinismE0ELb0ELb0ES3_PKdPddZZZN2at6native31launch_logcumsumexp_cuda_kernelERKNSB_10TensorBaseESF_lENKUlvE_clEvENKUlvE_clEvEUlddE_dEEDaPvRmT3_T4_T5_mT6_P12ihipStream_tbENKUlT_T0_E_clISt17integral_constantIbLb1EESV_IbLb0EEEEDaSR_SS_EUlSR_E_NS1_11comp_targetILNS1_3genE4ELNS1_11target_archE910ELNS1_3gpuE8ELNS1_3repE0EEENS1_30default_config_static_selectorELNS0_4arch9wavefront6targetE1EEEvT1_ ; -- Begin function _ZN7rocprim17ROCPRIM_400000_NS6detail17trampoline_kernelINS0_14default_configENS1_20scan_config_selectorIdEEZZNS1_9scan_implILNS1_25lookback_scan_determinismE0ELb0ELb0ES3_PKdPddZZZN2at6native31launch_logcumsumexp_cuda_kernelERKNSB_10TensorBaseESF_lENKUlvE_clEvENKUlvE_clEvEUlddE_dEEDaPvRmT3_T4_T5_mT6_P12ihipStream_tbENKUlT_T0_E_clISt17integral_constantIbLb1EESV_IbLb0EEEEDaSR_SS_EUlSR_E_NS1_11comp_targetILNS1_3genE4ELNS1_11target_archE910ELNS1_3gpuE8ELNS1_3repE0EEENS1_30default_config_static_selectorELNS0_4arch9wavefront6targetE1EEEvT1_
	.p2align	8
	.type	_ZN7rocprim17ROCPRIM_400000_NS6detail17trampoline_kernelINS0_14default_configENS1_20scan_config_selectorIdEEZZNS1_9scan_implILNS1_25lookback_scan_determinismE0ELb0ELb0ES3_PKdPddZZZN2at6native31launch_logcumsumexp_cuda_kernelERKNSB_10TensorBaseESF_lENKUlvE_clEvENKUlvE_clEvEUlddE_dEEDaPvRmT3_T4_T5_mT6_P12ihipStream_tbENKUlT_T0_E_clISt17integral_constantIbLb1EESV_IbLb0EEEEDaSR_SS_EUlSR_E_NS1_11comp_targetILNS1_3genE4ELNS1_11target_archE910ELNS1_3gpuE8ELNS1_3repE0EEENS1_30default_config_static_selectorELNS0_4arch9wavefront6targetE1EEEvT1_,@function
_ZN7rocprim17ROCPRIM_400000_NS6detail17trampoline_kernelINS0_14default_configENS1_20scan_config_selectorIdEEZZNS1_9scan_implILNS1_25lookback_scan_determinismE0ELb0ELb0ES3_PKdPddZZZN2at6native31launch_logcumsumexp_cuda_kernelERKNSB_10TensorBaseESF_lENKUlvE_clEvENKUlvE_clEvEUlddE_dEEDaPvRmT3_T4_T5_mT6_P12ihipStream_tbENKUlT_T0_E_clISt17integral_constantIbLb1EESV_IbLb0EEEEDaSR_SS_EUlSR_E_NS1_11comp_targetILNS1_3genE4ELNS1_11target_archE910ELNS1_3gpuE8ELNS1_3repE0EEENS1_30default_config_static_selectorELNS0_4arch9wavefront6targetE1EEEvT1_: ; @_ZN7rocprim17ROCPRIM_400000_NS6detail17trampoline_kernelINS0_14default_configENS1_20scan_config_selectorIdEEZZNS1_9scan_implILNS1_25lookback_scan_determinismE0ELb0ELb0ES3_PKdPddZZZN2at6native31launch_logcumsumexp_cuda_kernelERKNSB_10TensorBaseESF_lENKUlvE_clEvENKUlvE_clEvEUlddE_dEEDaPvRmT3_T4_T5_mT6_P12ihipStream_tbENKUlT_T0_E_clISt17integral_constantIbLb1EESV_IbLb0EEEEDaSR_SS_EUlSR_E_NS1_11comp_targetILNS1_3genE4ELNS1_11target_archE910ELNS1_3gpuE8ELNS1_3repE0EEENS1_30default_config_static_selectorELNS0_4arch9wavefront6targetE1EEEvT1_
; %bb.0:
	.section	.rodata,"a",@progbits
	.p2align	6, 0x0
	.amdhsa_kernel _ZN7rocprim17ROCPRIM_400000_NS6detail17trampoline_kernelINS0_14default_configENS1_20scan_config_selectorIdEEZZNS1_9scan_implILNS1_25lookback_scan_determinismE0ELb0ELb0ES3_PKdPddZZZN2at6native31launch_logcumsumexp_cuda_kernelERKNSB_10TensorBaseESF_lENKUlvE_clEvENKUlvE_clEvEUlddE_dEEDaPvRmT3_T4_T5_mT6_P12ihipStream_tbENKUlT_T0_E_clISt17integral_constantIbLb1EESV_IbLb0EEEEDaSR_SS_EUlSR_E_NS1_11comp_targetILNS1_3genE4ELNS1_11target_archE910ELNS1_3gpuE8ELNS1_3repE0EEENS1_30default_config_static_selectorELNS0_4arch9wavefront6targetE1EEEvT1_
		.amdhsa_group_segment_fixed_size 0
		.amdhsa_private_segment_fixed_size 0
		.amdhsa_kernarg_size 104
		.amdhsa_user_sgpr_count 2
		.amdhsa_user_sgpr_dispatch_ptr 0
		.amdhsa_user_sgpr_queue_ptr 0
		.amdhsa_user_sgpr_kernarg_segment_ptr 1
		.amdhsa_user_sgpr_dispatch_id 0
		.amdhsa_user_sgpr_kernarg_preload_length 0
		.amdhsa_user_sgpr_kernarg_preload_offset 0
		.amdhsa_user_sgpr_private_segment_size 0
		.amdhsa_uses_dynamic_stack 0
		.amdhsa_enable_private_segment 0
		.amdhsa_system_sgpr_workgroup_id_x 1
		.amdhsa_system_sgpr_workgroup_id_y 0
		.amdhsa_system_sgpr_workgroup_id_z 0
		.amdhsa_system_sgpr_workgroup_info 0
		.amdhsa_system_vgpr_workitem_id 0
		.amdhsa_next_free_vgpr 1
		.amdhsa_next_free_sgpr 0
		.amdhsa_accum_offset 4
		.amdhsa_reserve_vcc 0
		.amdhsa_float_round_mode_32 0
		.amdhsa_float_round_mode_16_64 0
		.amdhsa_float_denorm_mode_32 3
		.amdhsa_float_denorm_mode_16_64 3
		.amdhsa_dx10_clamp 1
		.amdhsa_ieee_mode 1
		.amdhsa_fp16_overflow 0
		.amdhsa_tg_split 0
		.amdhsa_exception_fp_ieee_invalid_op 0
		.amdhsa_exception_fp_denorm_src 0
		.amdhsa_exception_fp_ieee_div_zero 0
		.amdhsa_exception_fp_ieee_overflow 0
		.amdhsa_exception_fp_ieee_underflow 0
		.amdhsa_exception_fp_ieee_inexact 0
		.amdhsa_exception_int_div_zero 0
	.end_amdhsa_kernel
	.section	.text._ZN7rocprim17ROCPRIM_400000_NS6detail17trampoline_kernelINS0_14default_configENS1_20scan_config_selectorIdEEZZNS1_9scan_implILNS1_25lookback_scan_determinismE0ELb0ELb0ES3_PKdPddZZZN2at6native31launch_logcumsumexp_cuda_kernelERKNSB_10TensorBaseESF_lENKUlvE_clEvENKUlvE_clEvEUlddE_dEEDaPvRmT3_T4_T5_mT6_P12ihipStream_tbENKUlT_T0_E_clISt17integral_constantIbLb1EESV_IbLb0EEEEDaSR_SS_EUlSR_E_NS1_11comp_targetILNS1_3genE4ELNS1_11target_archE910ELNS1_3gpuE8ELNS1_3repE0EEENS1_30default_config_static_selectorELNS0_4arch9wavefront6targetE1EEEvT1_,"axG",@progbits,_ZN7rocprim17ROCPRIM_400000_NS6detail17trampoline_kernelINS0_14default_configENS1_20scan_config_selectorIdEEZZNS1_9scan_implILNS1_25lookback_scan_determinismE0ELb0ELb0ES3_PKdPddZZZN2at6native31launch_logcumsumexp_cuda_kernelERKNSB_10TensorBaseESF_lENKUlvE_clEvENKUlvE_clEvEUlddE_dEEDaPvRmT3_T4_T5_mT6_P12ihipStream_tbENKUlT_T0_E_clISt17integral_constantIbLb1EESV_IbLb0EEEEDaSR_SS_EUlSR_E_NS1_11comp_targetILNS1_3genE4ELNS1_11target_archE910ELNS1_3gpuE8ELNS1_3repE0EEENS1_30default_config_static_selectorELNS0_4arch9wavefront6targetE1EEEvT1_,comdat
.Lfunc_end49:
	.size	_ZN7rocprim17ROCPRIM_400000_NS6detail17trampoline_kernelINS0_14default_configENS1_20scan_config_selectorIdEEZZNS1_9scan_implILNS1_25lookback_scan_determinismE0ELb0ELb0ES3_PKdPddZZZN2at6native31launch_logcumsumexp_cuda_kernelERKNSB_10TensorBaseESF_lENKUlvE_clEvENKUlvE_clEvEUlddE_dEEDaPvRmT3_T4_T5_mT6_P12ihipStream_tbENKUlT_T0_E_clISt17integral_constantIbLb1EESV_IbLb0EEEEDaSR_SS_EUlSR_E_NS1_11comp_targetILNS1_3genE4ELNS1_11target_archE910ELNS1_3gpuE8ELNS1_3repE0EEENS1_30default_config_static_selectorELNS0_4arch9wavefront6targetE1EEEvT1_, .Lfunc_end49-_ZN7rocprim17ROCPRIM_400000_NS6detail17trampoline_kernelINS0_14default_configENS1_20scan_config_selectorIdEEZZNS1_9scan_implILNS1_25lookback_scan_determinismE0ELb0ELb0ES3_PKdPddZZZN2at6native31launch_logcumsumexp_cuda_kernelERKNSB_10TensorBaseESF_lENKUlvE_clEvENKUlvE_clEvEUlddE_dEEDaPvRmT3_T4_T5_mT6_P12ihipStream_tbENKUlT_T0_E_clISt17integral_constantIbLb1EESV_IbLb0EEEEDaSR_SS_EUlSR_E_NS1_11comp_targetILNS1_3genE4ELNS1_11target_archE910ELNS1_3gpuE8ELNS1_3repE0EEENS1_30default_config_static_selectorELNS0_4arch9wavefront6targetE1EEEvT1_
                                        ; -- End function
	.set _ZN7rocprim17ROCPRIM_400000_NS6detail17trampoline_kernelINS0_14default_configENS1_20scan_config_selectorIdEEZZNS1_9scan_implILNS1_25lookback_scan_determinismE0ELb0ELb0ES3_PKdPddZZZN2at6native31launch_logcumsumexp_cuda_kernelERKNSB_10TensorBaseESF_lENKUlvE_clEvENKUlvE_clEvEUlddE_dEEDaPvRmT3_T4_T5_mT6_P12ihipStream_tbENKUlT_T0_E_clISt17integral_constantIbLb1EESV_IbLb0EEEEDaSR_SS_EUlSR_E_NS1_11comp_targetILNS1_3genE4ELNS1_11target_archE910ELNS1_3gpuE8ELNS1_3repE0EEENS1_30default_config_static_selectorELNS0_4arch9wavefront6targetE1EEEvT1_.num_vgpr, 0
	.set _ZN7rocprim17ROCPRIM_400000_NS6detail17trampoline_kernelINS0_14default_configENS1_20scan_config_selectorIdEEZZNS1_9scan_implILNS1_25lookback_scan_determinismE0ELb0ELb0ES3_PKdPddZZZN2at6native31launch_logcumsumexp_cuda_kernelERKNSB_10TensorBaseESF_lENKUlvE_clEvENKUlvE_clEvEUlddE_dEEDaPvRmT3_T4_T5_mT6_P12ihipStream_tbENKUlT_T0_E_clISt17integral_constantIbLb1EESV_IbLb0EEEEDaSR_SS_EUlSR_E_NS1_11comp_targetILNS1_3genE4ELNS1_11target_archE910ELNS1_3gpuE8ELNS1_3repE0EEENS1_30default_config_static_selectorELNS0_4arch9wavefront6targetE1EEEvT1_.num_agpr, 0
	.set _ZN7rocprim17ROCPRIM_400000_NS6detail17trampoline_kernelINS0_14default_configENS1_20scan_config_selectorIdEEZZNS1_9scan_implILNS1_25lookback_scan_determinismE0ELb0ELb0ES3_PKdPddZZZN2at6native31launch_logcumsumexp_cuda_kernelERKNSB_10TensorBaseESF_lENKUlvE_clEvENKUlvE_clEvEUlddE_dEEDaPvRmT3_T4_T5_mT6_P12ihipStream_tbENKUlT_T0_E_clISt17integral_constantIbLb1EESV_IbLb0EEEEDaSR_SS_EUlSR_E_NS1_11comp_targetILNS1_3genE4ELNS1_11target_archE910ELNS1_3gpuE8ELNS1_3repE0EEENS1_30default_config_static_selectorELNS0_4arch9wavefront6targetE1EEEvT1_.numbered_sgpr, 0
	.set _ZN7rocprim17ROCPRIM_400000_NS6detail17trampoline_kernelINS0_14default_configENS1_20scan_config_selectorIdEEZZNS1_9scan_implILNS1_25lookback_scan_determinismE0ELb0ELb0ES3_PKdPddZZZN2at6native31launch_logcumsumexp_cuda_kernelERKNSB_10TensorBaseESF_lENKUlvE_clEvENKUlvE_clEvEUlddE_dEEDaPvRmT3_T4_T5_mT6_P12ihipStream_tbENKUlT_T0_E_clISt17integral_constantIbLb1EESV_IbLb0EEEEDaSR_SS_EUlSR_E_NS1_11comp_targetILNS1_3genE4ELNS1_11target_archE910ELNS1_3gpuE8ELNS1_3repE0EEENS1_30default_config_static_selectorELNS0_4arch9wavefront6targetE1EEEvT1_.num_named_barrier, 0
	.set _ZN7rocprim17ROCPRIM_400000_NS6detail17trampoline_kernelINS0_14default_configENS1_20scan_config_selectorIdEEZZNS1_9scan_implILNS1_25lookback_scan_determinismE0ELb0ELb0ES3_PKdPddZZZN2at6native31launch_logcumsumexp_cuda_kernelERKNSB_10TensorBaseESF_lENKUlvE_clEvENKUlvE_clEvEUlddE_dEEDaPvRmT3_T4_T5_mT6_P12ihipStream_tbENKUlT_T0_E_clISt17integral_constantIbLb1EESV_IbLb0EEEEDaSR_SS_EUlSR_E_NS1_11comp_targetILNS1_3genE4ELNS1_11target_archE910ELNS1_3gpuE8ELNS1_3repE0EEENS1_30default_config_static_selectorELNS0_4arch9wavefront6targetE1EEEvT1_.private_seg_size, 0
	.set _ZN7rocprim17ROCPRIM_400000_NS6detail17trampoline_kernelINS0_14default_configENS1_20scan_config_selectorIdEEZZNS1_9scan_implILNS1_25lookback_scan_determinismE0ELb0ELb0ES3_PKdPddZZZN2at6native31launch_logcumsumexp_cuda_kernelERKNSB_10TensorBaseESF_lENKUlvE_clEvENKUlvE_clEvEUlddE_dEEDaPvRmT3_T4_T5_mT6_P12ihipStream_tbENKUlT_T0_E_clISt17integral_constantIbLb1EESV_IbLb0EEEEDaSR_SS_EUlSR_E_NS1_11comp_targetILNS1_3genE4ELNS1_11target_archE910ELNS1_3gpuE8ELNS1_3repE0EEENS1_30default_config_static_selectorELNS0_4arch9wavefront6targetE1EEEvT1_.uses_vcc, 0
	.set _ZN7rocprim17ROCPRIM_400000_NS6detail17trampoline_kernelINS0_14default_configENS1_20scan_config_selectorIdEEZZNS1_9scan_implILNS1_25lookback_scan_determinismE0ELb0ELb0ES3_PKdPddZZZN2at6native31launch_logcumsumexp_cuda_kernelERKNSB_10TensorBaseESF_lENKUlvE_clEvENKUlvE_clEvEUlddE_dEEDaPvRmT3_T4_T5_mT6_P12ihipStream_tbENKUlT_T0_E_clISt17integral_constantIbLb1EESV_IbLb0EEEEDaSR_SS_EUlSR_E_NS1_11comp_targetILNS1_3genE4ELNS1_11target_archE910ELNS1_3gpuE8ELNS1_3repE0EEENS1_30default_config_static_selectorELNS0_4arch9wavefront6targetE1EEEvT1_.uses_flat_scratch, 0
	.set _ZN7rocprim17ROCPRIM_400000_NS6detail17trampoline_kernelINS0_14default_configENS1_20scan_config_selectorIdEEZZNS1_9scan_implILNS1_25lookback_scan_determinismE0ELb0ELb0ES3_PKdPddZZZN2at6native31launch_logcumsumexp_cuda_kernelERKNSB_10TensorBaseESF_lENKUlvE_clEvENKUlvE_clEvEUlddE_dEEDaPvRmT3_T4_T5_mT6_P12ihipStream_tbENKUlT_T0_E_clISt17integral_constantIbLb1EESV_IbLb0EEEEDaSR_SS_EUlSR_E_NS1_11comp_targetILNS1_3genE4ELNS1_11target_archE910ELNS1_3gpuE8ELNS1_3repE0EEENS1_30default_config_static_selectorELNS0_4arch9wavefront6targetE1EEEvT1_.has_dyn_sized_stack, 0
	.set _ZN7rocprim17ROCPRIM_400000_NS6detail17trampoline_kernelINS0_14default_configENS1_20scan_config_selectorIdEEZZNS1_9scan_implILNS1_25lookback_scan_determinismE0ELb0ELb0ES3_PKdPddZZZN2at6native31launch_logcumsumexp_cuda_kernelERKNSB_10TensorBaseESF_lENKUlvE_clEvENKUlvE_clEvEUlddE_dEEDaPvRmT3_T4_T5_mT6_P12ihipStream_tbENKUlT_T0_E_clISt17integral_constantIbLb1EESV_IbLb0EEEEDaSR_SS_EUlSR_E_NS1_11comp_targetILNS1_3genE4ELNS1_11target_archE910ELNS1_3gpuE8ELNS1_3repE0EEENS1_30default_config_static_selectorELNS0_4arch9wavefront6targetE1EEEvT1_.has_recursion, 0
	.set _ZN7rocprim17ROCPRIM_400000_NS6detail17trampoline_kernelINS0_14default_configENS1_20scan_config_selectorIdEEZZNS1_9scan_implILNS1_25lookback_scan_determinismE0ELb0ELb0ES3_PKdPddZZZN2at6native31launch_logcumsumexp_cuda_kernelERKNSB_10TensorBaseESF_lENKUlvE_clEvENKUlvE_clEvEUlddE_dEEDaPvRmT3_T4_T5_mT6_P12ihipStream_tbENKUlT_T0_E_clISt17integral_constantIbLb1EESV_IbLb0EEEEDaSR_SS_EUlSR_E_NS1_11comp_targetILNS1_3genE4ELNS1_11target_archE910ELNS1_3gpuE8ELNS1_3repE0EEENS1_30default_config_static_selectorELNS0_4arch9wavefront6targetE1EEEvT1_.has_indirect_call, 0
	.section	.AMDGPU.csdata,"",@progbits
; Kernel info:
; codeLenInByte = 0
; TotalNumSgprs: 6
; NumVgprs: 0
; NumAgprs: 0
; TotalNumVgprs: 0
; ScratchSize: 0
; MemoryBound: 0
; FloatMode: 240
; IeeeMode: 1
; LDSByteSize: 0 bytes/workgroup (compile time only)
; SGPRBlocks: 0
; VGPRBlocks: 0
; NumSGPRsForWavesPerEU: 6
; NumVGPRsForWavesPerEU: 1
; AccumOffset: 4
; Occupancy: 8
; WaveLimiterHint : 0
; COMPUTE_PGM_RSRC2:SCRATCH_EN: 0
; COMPUTE_PGM_RSRC2:USER_SGPR: 2
; COMPUTE_PGM_RSRC2:TRAP_HANDLER: 0
; COMPUTE_PGM_RSRC2:TGID_X_EN: 1
; COMPUTE_PGM_RSRC2:TGID_Y_EN: 0
; COMPUTE_PGM_RSRC2:TGID_Z_EN: 0
; COMPUTE_PGM_RSRC2:TIDIG_COMP_CNT: 0
; COMPUTE_PGM_RSRC3_GFX90A:ACCUM_OFFSET: 0
; COMPUTE_PGM_RSRC3_GFX90A:TG_SPLIT: 0
	.section	.text._ZN7rocprim17ROCPRIM_400000_NS6detail17trampoline_kernelINS0_14default_configENS1_20scan_config_selectorIdEEZZNS1_9scan_implILNS1_25lookback_scan_determinismE0ELb0ELb0ES3_PKdPddZZZN2at6native31launch_logcumsumexp_cuda_kernelERKNSB_10TensorBaseESF_lENKUlvE_clEvENKUlvE_clEvEUlddE_dEEDaPvRmT3_T4_T5_mT6_P12ihipStream_tbENKUlT_T0_E_clISt17integral_constantIbLb1EESV_IbLb0EEEEDaSR_SS_EUlSR_E_NS1_11comp_targetILNS1_3genE3ELNS1_11target_archE908ELNS1_3gpuE7ELNS1_3repE0EEENS1_30default_config_static_selectorELNS0_4arch9wavefront6targetE1EEEvT1_,"axG",@progbits,_ZN7rocprim17ROCPRIM_400000_NS6detail17trampoline_kernelINS0_14default_configENS1_20scan_config_selectorIdEEZZNS1_9scan_implILNS1_25lookback_scan_determinismE0ELb0ELb0ES3_PKdPddZZZN2at6native31launch_logcumsumexp_cuda_kernelERKNSB_10TensorBaseESF_lENKUlvE_clEvENKUlvE_clEvEUlddE_dEEDaPvRmT3_T4_T5_mT6_P12ihipStream_tbENKUlT_T0_E_clISt17integral_constantIbLb1EESV_IbLb0EEEEDaSR_SS_EUlSR_E_NS1_11comp_targetILNS1_3genE3ELNS1_11target_archE908ELNS1_3gpuE7ELNS1_3repE0EEENS1_30default_config_static_selectorELNS0_4arch9wavefront6targetE1EEEvT1_,comdat
	.globl	_ZN7rocprim17ROCPRIM_400000_NS6detail17trampoline_kernelINS0_14default_configENS1_20scan_config_selectorIdEEZZNS1_9scan_implILNS1_25lookback_scan_determinismE0ELb0ELb0ES3_PKdPddZZZN2at6native31launch_logcumsumexp_cuda_kernelERKNSB_10TensorBaseESF_lENKUlvE_clEvENKUlvE_clEvEUlddE_dEEDaPvRmT3_T4_T5_mT6_P12ihipStream_tbENKUlT_T0_E_clISt17integral_constantIbLb1EESV_IbLb0EEEEDaSR_SS_EUlSR_E_NS1_11comp_targetILNS1_3genE3ELNS1_11target_archE908ELNS1_3gpuE7ELNS1_3repE0EEENS1_30default_config_static_selectorELNS0_4arch9wavefront6targetE1EEEvT1_ ; -- Begin function _ZN7rocprim17ROCPRIM_400000_NS6detail17trampoline_kernelINS0_14default_configENS1_20scan_config_selectorIdEEZZNS1_9scan_implILNS1_25lookback_scan_determinismE0ELb0ELb0ES3_PKdPddZZZN2at6native31launch_logcumsumexp_cuda_kernelERKNSB_10TensorBaseESF_lENKUlvE_clEvENKUlvE_clEvEUlddE_dEEDaPvRmT3_T4_T5_mT6_P12ihipStream_tbENKUlT_T0_E_clISt17integral_constantIbLb1EESV_IbLb0EEEEDaSR_SS_EUlSR_E_NS1_11comp_targetILNS1_3genE3ELNS1_11target_archE908ELNS1_3gpuE7ELNS1_3repE0EEENS1_30default_config_static_selectorELNS0_4arch9wavefront6targetE1EEEvT1_
	.p2align	8
	.type	_ZN7rocprim17ROCPRIM_400000_NS6detail17trampoline_kernelINS0_14default_configENS1_20scan_config_selectorIdEEZZNS1_9scan_implILNS1_25lookback_scan_determinismE0ELb0ELb0ES3_PKdPddZZZN2at6native31launch_logcumsumexp_cuda_kernelERKNSB_10TensorBaseESF_lENKUlvE_clEvENKUlvE_clEvEUlddE_dEEDaPvRmT3_T4_T5_mT6_P12ihipStream_tbENKUlT_T0_E_clISt17integral_constantIbLb1EESV_IbLb0EEEEDaSR_SS_EUlSR_E_NS1_11comp_targetILNS1_3genE3ELNS1_11target_archE908ELNS1_3gpuE7ELNS1_3repE0EEENS1_30default_config_static_selectorELNS0_4arch9wavefront6targetE1EEEvT1_,@function
_ZN7rocprim17ROCPRIM_400000_NS6detail17trampoline_kernelINS0_14default_configENS1_20scan_config_selectorIdEEZZNS1_9scan_implILNS1_25lookback_scan_determinismE0ELb0ELb0ES3_PKdPddZZZN2at6native31launch_logcumsumexp_cuda_kernelERKNSB_10TensorBaseESF_lENKUlvE_clEvENKUlvE_clEvEUlddE_dEEDaPvRmT3_T4_T5_mT6_P12ihipStream_tbENKUlT_T0_E_clISt17integral_constantIbLb1EESV_IbLb0EEEEDaSR_SS_EUlSR_E_NS1_11comp_targetILNS1_3genE3ELNS1_11target_archE908ELNS1_3gpuE7ELNS1_3repE0EEENS1_30default_config_static_selectorELNS0_4arch9wavefront6targetE1EEEvT1_: ; @_ZN7rocprim17ROCPRIM_400000_NS6detail17trampoline_kernelINS0_14default_configENS1_20scan_config_selectorIdEEZZNS1_9scan_implILNS1_25lookback_scan_determinismE0ELb0ELb0ES3_PKdPddZZZN2at6native31launch_logcumsumexp_cuda_kernelERKNSB_10TensorBaseESF_lENKUlvE_clEvENKUlvE_clEvEUlddE_dEEDaPvRmT3_T4_T5_mT6_P12ihipStream_tbENKUlT_T0_E_clISt17integral_constantIbLb1EESV_IbLb0EEEEDaSR_SS_EUlSR_E_NS1_11comp_targetILNS1_3genE3ELNS1_11target_archE908ELNS1_3gpuE7ELNS1_3repE0EEENS1_30default_config_static_selectorELNS0_4arch9wavefront6targetE1EEEvT1_
; %bb.0:
	.section	.rodata,"a",@progbits
	.p2align	6, 0x0
	.amdhsa_kernel _ZN7rocprim17ROCPRIM_400000_NS6detail17trampoline_kernelINS0_14default_configENS1_20scan_config_selectorIdEEZZNS1_9scan_implILNS1_25lookback_scan_determinismE0ELb0ELb0ES3_PKdPddZZZN2at6native31launch_logcumsumexp_cuda_kernelERKNSB_10TensorBaseESF_lENKUlvE_clEvENKUlvE_clEvEUlddE_dEEDaPvRmT3_T4_T5_mT6_P12ihipStream_tbENKUlT_T0_E_clISt17integral_constantIbLb1EESV_IbLb0EEEEDaSR_SS_EUlSR_E_NS1_11comp_targetILNS1_3genE3ELNS1_11target_archE908ELNS1_3gpuE7ELNS1_3repE0EEENS1_30default_config_static_selectorELNS0_4arch9wavefront6targetE1EEEvT1_
		.amdhsa_group_segment_fixed_size 0
		.amdhsa_private_segment_fixed_size 0
		.amdhsa_kernarg_size 104
		.amdhsa_user_sgpr_count 2
		.amdhsa_user_sgpr_dispatch_ptr 0
		.amdhsa_user_sgpr_queue_ptr 0
		.amdhsa_user_sgpr_kernarg_segment_ptr 1
		.amdhsa_user_sgpr_dispatch_id 0
		.amdhsa_user_sgpr_kernarg_preload_length 0
		.amdhsa_user_sgpr_kernarg_preload_offset 0
		.amdhsa_user_sgpr_private_segment_size 0
		.amdhsa_uses_dynamic_stack 0
		.amdhsa_enable_private_segment 0
		.amdhsa_system_sgpr_workgroup_id_x 1
		.amdhsa_system_sgpr_workgroup_id_y 0
		.amdhsa_system_sgpr_workgroup_id_z 0
		.amdhsa_system_sgpr_workgroup_info 0
		.amdhsa_system_vgpr_workitem_id 0
		.amdhsa_next_free_vgpr 1
		.amdhsa_next_free_sgpr 0
		.amdhsa_accum_offset 4
		.amdhsa_reserve_vcc 0
		.amdhsa_float_round_mode_32 0
		.amdhsa_float_round_mode_16_64 0
		.amdhsa_float_denorm_mode_32 3
		.amdhsa_float_denorm_mode_16_64 3
		.amdhsa_dx10_clamp 1
		.amdhsa_ieee_mode 1
		.amdhsa_fp16_overflow 0
		.amdhsa_tg_split 0
		.amdhsa_exception_fp_ieee_invalid_op 0
		.amdhsa_exception_fp_denorm_src 0
		.amdhsa_exception_fp_ieee_div_zero 0
		.amdhsa_exception_fp_ieee_overflow 0
		.amdhsa_exception_fp_ieee_underflow 0
		.amdhsa_exception_fp_ieee_inexact 0
		.amdhsa_exception_int_div_zero 0
	.end_amdhsa_kernel
	.section	.text._ZN7rocprim17ROCPRIM_400000_NS6detail17trampoline_kernelINS0_14default_configENS1_20scan_config_selectorIdEEZZNS1_9scan_implILNS1_25lookback_scan_determinismE0ELb0ELb0ES3_PKdPddZZZN2at6native31launch_logcumsumexp_cuda_kernelERKNSB_10TensorBaseESF_lENKUlvE_clEvENKUlvE_clEvEUlddE_dEEDaPvRmT3_T4_T5_mT6_P12ihipStream_tbENKUlT_T0_E_clISt17integral_constantIbLb1EESV_IbLb0EEEEDaSR_SS_EUlSR_E_NS1_11comp_targetILNS1_3genE3ELNS1_11target_archE908ELNS1_3gpuE7ELNS1_3repE0EEENS1_30default_config_static_selectorELNS0_4arch9wavefront6targetE1EEEvT1_,"axG",@progbits,_ZN7rocprim17ROCPRIM_400000_NS6detail17trampoline_kernelINS0_14default_configENS1_20scan_config_selectorIdEEZZNS1_9scan_implILNS1_25lookback_scan_determinismE0ELb0ELb0ES3_PKdPddZZZN2at6native31launch_logcumsumexp_cuda_kernelERKNSB_10TensorBaseESF_lENKUlvE_clEvENKUlvE_clEvEUlddE_dEEDaPvRmT3_T4_T5_mT6_P12ihipStream_tbENKUlT_T0_E_clISt17integral_constantIbLb1EESV_IbLb0EEEEDaSR_SS_EUlSR_E_NS1_11comp_targetILNS1_3genE3ELNS1_11target_archE908ELNS1_3gpuE7ELNS1_3repE0EEENS1_30default_config_static_selectorELNS0_4arch9wavefront6targetE1EEEvT1_,comdat
.Lfunc_end50:
	.size	_ZN7rocprim17ROCPRIM_400000_NS6detail17trampoline_kernelINS0_14default_configENS1_20scan_config_selectorIdEEZZNS1_9scan_implILNS1_25lookback_scan_determinismE0ELb0ELb0ES3_PKdPddZZZN2at6native31launch_logcumsumexp_cuda_kernelERKNSB_10TensorBaseESF_lENKUlvE_clEvENKUlvE_clEvEUlddE_dEEDaPvRmT3_T4_T5_mT6_P12ihipStream_tbENKUlT_T0_E_clISt17integral_constantIbLb1EESV_IbLb0EEEEDaSR_SS_EUlSR_E_NS1_11comp_targetILNS1_3genE3ELNS1_11target_archE908ELNS1_3gpuE7ELNS1_3repE0EEENS1_30default_config_static_selectorELNS0_4arch9wavefront6targetE1EEEvT1_, .Lfunc_end50-_ZN7rocprim17ROCPRIM_400000_NS6detail17trampoline_kernelINS0_14default_configENS1_20scan_config_selectorIdEEZZNS1_9scan_implILNS1_25lookback_scan_determinismE0ELb0ELb0ES3_PKdPddZZZN2at6native31launch_logcumsumexp_cuda_kernelERKNSB_10TensorBaseESF_lENKUlvE_clEvENKUlvE_clEvEUlddE_dEEDaPvRmT3_T4_T5_mT6_P12ihipStream_tbENKUlT_T0_E_clISt17integral_constantIbLb1EESV_IbLb0EEEEDaSR_SS_EUlSR_E_NS1_11comp_targetILNS1_3genE3ELNS1_11target_archE908ELNS1_3gpuE7ELNS1_3repE0EEENS1_30default_config_static_selectorELNS0_4arch9wavefront6targetE1EEEvT1_
                                        ; -- End function
	.set _ZN7rocprim17ROCPRIM_400000_NS6detail17trampoline_kernelINS0_14default_configENS1_20scan_config_selectorIdEEZZNS1_9scan_implILNS1_25lookback_scan_determinismE0ELb0ELb0ES3_PKdPddZZZN2at6native31launch_logcumsumexp_cuda_kernelERKNSB_10TensorBaseESF_lENKUlvE_clEvENKUlvE_clEvEUlddE_dEEDaPvRmT3_T4_T5_mT6_P12ihipStream_tbENKUlT_T0_E_clISt17integral_constantIbLb1EESV_IbLb0EEEEDaSR_SS_EUlSR_E_NS1_11comp_targetILNS1_3genE3ELNS1_11target_archE908ELNS1_3gpuE7ELNS1_3repE0EEENS1_30default_config_static_selectorELNS0_4arch9wavefront6targetE1EEEvT1_.num_vgpr, 0
	.set _ZN7rocprim17ROCPRIM_400000_NS6detail17trampoline_kernelINS0_14default_configENS1_20scan_config_selectorIdEEZZNS1_9scan_implILNS1_25lookback_scan_determinismE0ELb0ELb0ES3_PKdPddZZZN2at6native31launch_logcumsumexp_cuda_kernelERKNSB_10TensorBaseESF_lENKUlvE_clEvENKUlvE_clEvEUlddE_dEEDaPvRmT3_T4_T5_mT6_P12ihipStream_tbENKUlT_T0_E_clISt17integral_constantIbLb1EESV_IbLb0EEEEDaSR_SS_EUlSR_E_NS1_11comp_targetILNS1_3genE3ELNS1_11target_archE908ELNS1_3gpuE7ELNS1_3repE0EEENS1_30default_config_static_selectorELNS0_4arch9wavefront6targetE1EEEvT1_.num_agpr, 0
	.set _ZN7rocprim17ROCPRIM_400000_NS6detail17trampoline_kernelINS0_14default_configENS1_20scan_config_selectorIdEEZZNS1_9scan_implILNS1_25lookback_scan_determinismE0ELb0ELb0ES3_PKdPddZZZN2at6native31launch_logcumsumexp_cuda_kernelERKNSB_10TensorBaseESF_lENKUlvE_clEvENKUlvE_clEvEUlddE_dEEDaPvRmT3_T4_T5_mT6_P12ihipStream_tbENKUlT_T0_E_clISt17integral_constantIbLb1EESV_IbLb0EEEEDaSR_SS_EUlSR_E_NS1_11comp_targetILNS1_3genE3ELNS1_11target_archE908ELNS1_3gpuE7ELNS1_3repE0EEENS1_30default_config_static_selectorELNS0_4arch9wavefront6targetE1EEEvT1_.numbered_sgpr, 0
	.set _ZN7rocprim17ROCPRIM_400000_NS6detail17trampoline_kernelINS0_14default_configENS1_20scan_config_selectorIdEEZZNS1_9scan_implILNS1_25lookback_scan_determinismE0ELb0ELb0ES3_PKdPddZZZN2at6native31launch_logcumsumexp_cuda_kernelERKNSB_10TensorBaseESF_lENKUlvE_clEvENKUlvE_clEvEUlddE_dEEDaPvRmT3_T4_T5_mT6_P12ihipStream_tbENKUlT_T0_E_clISt17integral_constantIbLb1EESV_IbLb0EEEEDaSR_SS_EUlSR_E_NS1_11comp_targetILNS1_3genE3ELNS1_11target_archE908ELNS1_3gpuE7ELNS1_3repE0EEENS1_30default_config_static_selectorELNS0_4arch9wavefront6targetE1EEEvT1_.num_named_barrier, 0
	.set _ZN7rocprim17ROCPRIM_400000_NS6detail17trampoline_kernelINS0_14default_configENS1_20scan_config_selectorIdEEZZNS1_9scan_implILNS1_25lookback_scan_determinismE0ELb0ELb0ES3_PKdPddZZZN2at6native31launch_logcumsumexp_cuda_kernelERKNSB_10TensorBaseESF_lENKUlvE_clEvENKUlvE_clEvEUlddE_dEEDaPvRmT3_T4_T5_mT6_P12ihipStream_tbENKUlT_T0_E_clISt17integral_constantIbLb1EESV_IbLb0EEEEDaSR_SS_EUlSR_E_NS1_11comp_targetILNS1_3genE3ELNS1_11target_archE908ELNS1_3gpuE7ELNS1_3repE0EEENS1_30default_config_static_selectorELNS0_4arch9wavefront6targetE1EEEvT1_.private_seg_size, 0
	.set _ZN7rocprim17ROCPRIM_400000_NS6detail17trampoline_kernelINS0_14default_configENS1_20scan_config_selectorIdEEZZNS1_9scan_implILNS1_25lookback_scan_determinismE0ELb0ELb0ES3_PKdPddZZZN2at6native31launch_logcumsumexp_cuda_kernelERKNSB_10TensorBaseESF_lENKUlvE_clEvENKUlvE_clEvEUlddE_dEEDaPvRmT3_T4_T5_mT6_P12ihipStream_tbENKUlT_T0_E_clISt17integral_constantIbLb1EESV_IbLb0EEEEDaSR_SS_EUlSR_E_NS1_11comp_targetILNS1_3genE3ELNS1_11target_archE908ELNS1_3gpuE7ELNS1_3repE0EEENS1_30default_config_static_selectorELNS0_4arch9wavefront6targetE1EEEvT1_.uses_vcc, 0
	.set _ZN7rocprim17ROCPRIM_400000_NS6detail17trampoline_kernelINS0_14default_configENS1_20scan_config_selectorIdEEZZNS1_9scan_implILNS1_25lookback_scan_determinismE0ELb0ELb0ES3_PKdPddZZZN2at6native31launch_logcumsumexp_cuda_kernelERKNSB_10TensorBaseESF_lENKUlvE_clEvENKUlvE_clEvEUlddE_dEEDaPvRmT3_T4_T5_mT6_P12ihipStream_tbENKUlT_T0_E_clISt17integral_constantIbLb1EESV_IbLb0EEEEDaSR_SS_EUlSR_E_NS1_11comp_targetILNS1_3genE3ELNS1_11target_archE908ELNS1_3gpuE7ELNS1_3repE0EEENS1_30default_config_static_selectorELNS0_4arch9wavefront6targetE1EEEvT1_.uses_flat_scratch, 0
	.set _ZN7rocprim17ROCPRIM_400000_NS6detail17trampoline_kernelINS0_14default_configENS1_20scan_config_selectorIdEEZZNS1_9scan_implILNS1_25lookback_scan_determinismE0ELb0ELb0ES3_PKdPddZZZN2at6native31launch_logcumsumexp_cuda_kernelERKNSB_10TensorBaseESF_lENKUlvE_clEvENKUlvE_clEvEUlddE_dEEDaPvRmT3_T4_T5_mT6_P12ihipStream_tbENKUlT_T0_E_clISt17integral_constantIbLb1EESV_IbLb0EEEEDaSR_SS_EUlSR_E_NS1_11comp_targetILNS1_3genE3ELNS1_11target_archE908ELNS1_3gpuE7ELNS1_3repE0EEENS1_30default_config_static_selectorELNS0_4arch9wavefront6targetE1EEEvT1_.has_dyn_sized_stack, 0
	.set _ZN7rocprim17ROCPRIM_400000_NS6detail17trampoline_kernelINS0_14default_configENS1_20scan_config_selectorIdEEZZNS1_9scan_implILNS1_25lookback_scan_determinismE0ELb0ELb0ES3_PKdPddZZZN2at6native31launch_logcumsumexp_cuda_kernelERKNSB_10TensorBaseESF_lENKUlvE_clEvENKUlvE_clEvEUlddE_dEEDaPvRmT3_T4_T5_mT6_P12ihipStream_tbENKUlT_T0_E_clISt17integral_constantIbLb1EESV_IbLb0EEEEDaSR_SS_EUlSR_E_NS1_11comp_targetILNS1_3genE3ELNS1_11target_archE908ELNS1_3gpuE7ELNS1_3repE0EEENS1_30default_config_static_selectorELNS0_4arch9wavefront6targetE1EEEvT1_.has_recursion, 0
	.set _ZN7rocprim17ROCPRIM_400000_NS6detail17trampoline_kernelINS0_14default_configENS1_20scan_config_selectorIdEEZZNS1_9scan_implILNS1_25lookback_scan_determinismE0ELb0ELb0ES3_PKdPddZZZN2at6native31launch_logcumsumexp_cuda_kernelERKNSB_10TensorBaseESF_lENKUlvE_clEvENKUlvE_clEvEUlddE_dEEDaPvRmT3_T4_T5_mT6_P12ihipStream_tbENKUlT_T0_E_clISt17integral_constantIbLb1EESV_IbLb0EEEEDaSR_SS_EUlSR_E_NS1_11comp_targetILNS1_3genE3ELNS1_11target_archE908ELNS1_3gpuE7ELNS1_3repE0EEENS1_30default_config_static_selectorELNS0_4arch9wavefront6targetE1EEEvT1_.has_indirect_call, 0
	.section	.AMDGPU.csdata,"",@progbits
; Kernel info:
; codeLenInByte = 0
; TotalNumSgprs: 6
; NumVgprs: 0
; NumAgprs: 0
; TotalNumVgprs: 0
; ScratchSize: 0
; MemoryBound: 0
; FloatMode: 240
; IeeeMode: 1
; LDSByteSize: 0 bytes/workgroup (compile time only)
; SGPRBlocks: 0
; VGPRBlocks: 0
; NumSGPRsForWavesPerEU: 6
; NumVGPRsForWavesPerEU: 1
; AccumOffset: 4
; Occupancy: 8
; WaveLimiterHint : 0
; COMPUTE_PGM_RSRC2:SCRATCH_EN: 0
; COMPUTE_PGM_RSRC2:USER_SGPR: 2
; COMPUTE_PGM_RSRC2:TRAP_HANDLER: 0
; COMPUTE_PGM_RSRC2:TGID_X_EN: 1
; COMPUTE_PGM_RSRC2:TGID_Y_EN: 0
; COMPUTE_PGM_RSRC2:TGID_Z_EN: 0
; COMPUTE_PGM_RSRC2:TIDIG_COMP_CNT: 0
; COMPUTE_PGM_RSRC3_GFX90A:ACCUM_OFFSET: 0
; COMPUTE_PGM_RSRC3_GFX90A:TG_SPLIT: 0
	.section	.text._ZN7rocprim17ROCPRIM_400000_NS6detail17trampoline_kernelINS0_14default_configENS1_20scan_config_selectorIdEEZZNS1_9scan_implILNS1_25lookback_scan_determinismE0ELb0ELb0ES3_PKdPddZZZN2at6native31launch_logcumsumexp_cuda_kernelERKNSB_10TensorBaseESF_lENKUlvE_clEvENKUlvE_clEvEUlddE_dEEDaPvRmT3_T4_T5_mT6_P12ihipStream_tbENKUlT_T0_E_clISt17integral_constantIbLb1EESV_IbLb0EEEEDaSR_SS_EUlSR_E_NS1_11comp_targetILNS1_3genE2ELNS1_11target_archE906ELNS1_3gpuE6ELNS1_3repE0EEENS1_30default_config_static_selectorELNS0_4arch9wavefront6targetE1EEEvT1_,"axG",@progbits,_ZN7rocprim17ROCPRIM_400000_NS6detail17trampoline_kernelINS0_14default_configENS1_20scan_config_selectorIdEEZZNS1_9scan_implILNS1_25lookback_scan_determinismE0ELb0ELb0ES3_PKdPddZZZN2at6native31launch_logcumsumexp_cuda_kernelERKNSB_10TensorBaseESF_lENKUlvE_clEvENKUlvE_clEvEUlddE_dEEDaPvRmT3_T4_T5_mT6_P12ihipStream_tbENKUlT_T0_E_clISt17integral_constantIbLb1EESV_IbLb0EEEEDaSR_SS_EUlSR_E_NS1_11comp_targetILNS1_3genE2ELNS1_11target_archE906ELNS1_3gpuE6ELNS1_3repE0EEENS1_30default_config_static_selectorELNS0_4arch9wavefront6targetE1EEEvT1_,comdat
	.globl	_ZN7rocprim17ROCPRIM_400000_NS6detail17trampoline_kernelINS0_14default_configENS1_20scan_config_selectorIdEEZZNS1_9scan_implILNS1_25lookback_scan_determinismE0ELb0ELb0ES3_PKdPddZZZN2at6native31launch_logcumsumexp_cuda_kernelERKNSB_10TensorBaseESF_lENKUlvE_clEvENKUlvE_clEvEUlddE_dEEDaPvRmT3_T4_T5_mT6_P12ihipStream_tbENKUlT_T0_E_clISt17integral_constantIbLb1EESV_IbLb0EEEEDaSR_SS_EUlSR_E_NS1_11comp_targetILNS1_3genE2ELNS1_11target_archE906ELNS1_3gpuE6ELNS1_3repE0EEENS1_30default_config_static_selectorELNS0_4arch9wavefront6targetE1EEEvT1_ ; -- Begin function _ZN7rocprim17ROCPRIM_400000_NS6detail17trampoline_kernelINS0_14default_configENS1_20scan_config_selectorIdEEZZNS1_9scan_implILNS1_25lookback_scan_determinismE0ELb0ELb0ES3_PKdPddZZZN2at6native31launch_logcumsumexp_cuda_kernelERKNSB_10TensorBaseESF_lENKUlvE_clEvENKUlvE_clEvEUlddE_dEEDaPvRmT3_T4_T5_mT6_P12ihipStream_tbENKUlT_T0_E_clISt17integral_constantIbLb1EESV_IbLb0EEEEDaSR_SS_EUlSR_E_NS1_11comp_targetILNS1_3genE2ELNS1_11target_archE906ELNS1_3gpuE6ELNS1_3repE0EEENS1_30default_config_static_selectorELNS0_4arch9wavefront6targetE1EEEvT1_
	.p2align	8
	.type	_ZN7rocprim17ROCPRIM_400000_NS6detail17trampoline_kernelINS0_14default_configENS1_20scan_config_selectorIdEEZZNS1_9scan_implILNS1_25lookback_scan_determinismE0ELb0ELb0ES3_PKdPddZZZN2at6native31launch_logcumsumexp_cuda_kernelERKNSB_10TensorBaseESF_lENKUlvE_clEvENKUlvE_clEvEUlddE_dEEDaPvRmT3_T4_T5_mT6_P12ihipStream_tbENKUlT_T0_E_clISt17integral_constantIbLb1EESV_IbLb0EEEEDaSR_SS_EUlSR_E_NS1_11comp_targetILNS1_3genE2ELNS1_11target_archE906ELNS1_3gpuE6ELNS1_3repE0EEENS1_30default_config_static_selectorELNS0_4arch9wavefront6targetE1EEEvT1_,@function
_ZN7rocprim17ROCPRIM_400000_NS6detail17trampoline_kernelINS0_14default_configENS1_20scan_config_selectorIdEEZZNS1_9scan_implILNS1_25lookback_scan_determinismE0ELb0ELb0ES3_PKdPddZZZN2at6native31launch_logcumsumexp_cuda_kernelERKNSB_10TensorBaseESF_lENKUlvE_clEvENKUlvE_clEvEUlddE_dEEDaPvRmT3_T4_T5_mT6_P12ihipStream_tbENKUlT_T0_E_clISt17integral_constantIbLb1EESV_IbLb0EEEEDaSR_SS_EUlSR_E_NS1_11comp_targetILNS1_3genE2ELNS1_11target_archE906ELNS1_3gpuE6ELNS1_3repE0EEENS1_30default_config_static_selectorELNS0_4arch9wavefront6targetE1EEEvT1_: ; @_ZN7rocprim17ROCPRIM_400000_NS6detail17trampoline_kernelINS0_14default_configENS1_20scan_config_selectorIdEEZZNS1_9scan_implILNS1_25lookback_scan_determinismE0ELb0ELb0ES3_PKdPddZZZN2at6native31launch_logcumsumexp_cuda_kernelERKNSB_10TensorBaseESF_lENKUlvE_clEvENKUlvE_clEvEUlddE_dEEDaPvRmT3_T4_T5_mT6_P12ihipStream_tbENKUlT_T0_E_clISt17integral_constantIbLb1EESV_IbLb0EEEEDaSR_SS_EUlSR_E_NS1_11comp_targetILNS1_3genE2ELNS1_11target_archE906ELNS1_3gpuE6ELNS1_3repE0EEENS1_30default_config_static_selectorELNS0_4arch9wavefront6targetE1EEEvT1_
; %bb.0:
	.section	.rodata,"a",@progbits
	.p2align	6, 0x0
	.amdhsa_kernel _ZN7rocprim17ROCPRIM_400000_NS6detail17trampoline_kernelINS0_14default_configENS1_20scan_config_selectorIdEEZZNS1_9scan_implILNS1_25lookback_scan_determinismE0ELb0ELb0ES3_PKdPddZZZN2at6native31launch_logcumsumexp_cuda_kernelERKNSB_10TensorBaseESF_lENKUlvE_clEvENKUlvE_clEvEUlddE_dEEDaPvRmT3_T4_T5_mT6_P12ihipStream_tbENKUlT_T0_E_clISt17integral_constantIbLb1EESV_IbLb0EEEEDaSR_SS_EUlSR_E_NS1_11comp_targetILNS1_3genE2ELNS1_11target_archE906ELNS1_3gpuE6ELNS1_3repE0EEENS1_30default_config_static_selectorELNS0_4arch9wavefront6targetE1EEEvT1_
		.amdhsa_group_segment_fixed_size 0
		.amdhsa_private_segment_fixed_size 0
		.amdhsa_kernarg_size 104
		.amdhsa_user_sgpr_count 2
		.amdhsa_user_sgpr_dispatch_ptr 0
		.amdhsa_user_sgpr_queue_ptr 0
		.amdhsa_user_sgpr_kernarg_segment_ptr 1
		.amdhsa_user_sgpr_dispatch_id 0
		.amdhsa_user_sgpr_kernarg_preload_length 0
		.amdhsa_user_sgpr_kernarg_preload_offset 0
		.amdhsa_user_sgpr_private_segment_size 0
		.amdhsa_uses_dynamic_stack 0
		.amdhsa_enable_private_segment 0
		.amdhsa_system_sgpr_workgroup_id_x 1
		.amdhsa_system_sgpr_workgroup_id_y 0
		.amdhsa_system_sgpr_workgroup_id_z 0
		.amdhsa_system_sgpr_workgroup_info 0
		.amdhsa_system_vgpr_workitem_id 0
		.amdhsa_next_free_vgpr 1
		.amdhsa_next_free_sgpr 0
		.amdhsa_accum_offset 4
		.amdhsa_reserve_vcc 0
		.amdhsa_float_round_mode_32 0
		.amdhsa_float_round_mode_16_64 0
		.amdhsa_float_denorm_mode_32 3
		.amdhsa_float_denorm_mode_16_64 3
		.amdhsa_dx10_clamp 1
		.amdhsa_ieee_mode 1
		.amdhsa_fp16_overflow 0
		.amdhsa_tg_split 0
		.amdhsa_exception_fp_ieee_invalid_op 0
		.amdhsa_exception_fp_denorm_src 0
		.amdhsa_exception_fp_ieee_div_zero 0
		.amdhsa_exception_fp_ieee_overflow 0
		.amdhsa_exception_fp_ieee_underflow 0
		.amdhsa_exception_fp_ieee_inexact 0
		.amdhsa_exception_int_div_zero 0
	.end_amdhsa_kernel
	.section	.text._ZN7rocprim17ROCPRIM_400000_NS6detail17trampoline_kernelINS0_14default_configENS1_20scan_config_selectorIdEEZZNS1_9scan_implILNS1_25lookback_scan_determinismE0ELb0ELb0ES3_PKdPddZZZN2at6native31launch_logcumsumexp_cuda_kernelERKNSB_10TensorBaseESF_lENKUlvE_clEvENKUlvE_clEvEUlddE_dEEDaPvRmT3_T4_T5_mT6_P12ihipStream_tbENKUlT_T0_E_clISt17integral_constantIbLb1EESV_IbLb0EEEEDaSR_SS_EUlSR_E_NS1_11comp_targetILNS1_3genE2ELNS1_11target_archE906ELNS1_3gpuE6ELNS1_3repE0EEENS1_30default_config_static_selectorELNS0_4arch9wavefront6targetE1EEEvT1_,"axG",@progbits,_ZN7rocprim17ROCPRIM_400000_NS6detail17trampoline_kernelINS0_14default_configENS1_20scan_config_selectorIdEEZZNS1_9scan_implILNS1_25lookback_scan_determinismE0ELb0ELb0ES3_PKdPddZZZN2at6native31launch_logcumsumexp_cuda_kernelERKNSB_10TensorBaseESF_lENKUlvE_clEvENKUlvE_clEvEUlddE_dEEDaPvRmT3_T4_T5_mT6_P12ihipStream_tbENKUlT_T0_E_clISt17integral_constantIbLb1EESV_IbLb0EEEEDaSR_SS_EUlSR_E_NS1_11comp_targetILNS1_3genE2ELNS1_11target_archE906ELNS1_3gpuE6ELNS1_3repE0EEENS1_30default_config_static_selectorELNS0_4arch9wavefront6targetE1EEEvT1_,comdat
.Lfunc_end51:
	.size	_ZN7rocprim17ROCPRIM_400000_NS6detail17trampoline_kernelINS0_14default_configENS1_20scan_config_selectorIdEEZZNS1_9scan_implILNS1_25lookback_scan_determinismE0ELb0ELb0ES3_PKdPddZZZN2at6native31launch_logcumsumexp_cuda_kernelERKNSB_10TensorBaseESF_lENKUlvE_clEvENKUlvE_clEvEUlddE_dEEDaPvRmT3_T4_T5_mT6_P12ihipStream_tbENKUlT_T0_E_clISt17integral_constantIbLb1EESV_IbLb0EEEEDaSR_SS_EUlSR_E_NS1_11comp_targetILNS1_3genE2ELNS1_11target_archE906ELNS1_3gpuE6ELNS1_3repE0EEENS1_30default_config_static_selectorELNS0_4arch9wavefront6targetE1EEEvT1_, .Lfunc_end51-_ZN7rocprim17ROCPRIM_400000_NS6detail17trampoline_kernelINS0_14default_configENS1_20scan_config_selectorIdEEZZNS1_9scan_implILNS1_25lookback_scan_determinismE0ELb0ELb0ES3_PKdPddZZZN2at6native31launch_logcumsumexp_cuda_kernelERKNSB_10TensorBaseESF_lENKUlvE_clEvENKUlvE_clEvEUlddE_dEEDaPvRmT3_T4_T5_mT6_P12ihipStream_tbENKUlT_T0_E_clISt17integral_constantIbLb1EESV_IbLb0EEEEDaSR_SS_EUlSR_E_NS1_11comp_targetILNS1_3genE2ELNS1_11target_archE906ELNS1_3gpuE6ELNS1_3repE0EEENS1_30default_config_static_selectorELNS0_4arch9wavefront6targetE1EEEvT1_
                                        ; -- End function
	.set _ZN7rocprim17ROCPRIM_400000_NS6detail17trampoline_kernelINS0_14default_configENS1_20scan_config_selectorIdEEZZNS1_9scan_implILNS1_25lookback_scan_determinismE0ELb0ELb0ES3_PKdPddZZZN2at6native31launch_logcumsumexp_cuda_kernelERKNSB_10TensorBaseESF_lENKUlvE_clEvENKUlvE_clEvEUlddE_dEEDaPvRmT3_T4_T5_mT6_P12ihipStream_tbENKUlT_T0_E_clISt17integral_constantIbLb1EESV_IbLb0EEEEDaSR_SS_EUlSR_E_NS1_11comp_targetILNS1_3genE2ELNS1_11target_archE906ELNS1_3gpuE6ELNS1_3repE0EEENS1_30default_config_static_selectorELNS0_4arch9wavefront6targetE1EEEvT1_.num_vgpr, 0
	.set _ZN7rocprim17ROCPRIM_400000_NS6detail17trampoline_kernelINS0_14default_configENS1_20scan_config_selectorIdEEZZNS1_9scan_implILNS1_25lookback_scan_determinismE0ELb0ELb0ES3_PKdPddZZZN2at6native31launch_logcumsumexp_cuda_kernelERKNSB_10TensorBaseESF_lENKUlvE_clEvENKUlvE_clEvEUlddE_dEEDaPvRmT3_T4_T5_mT6_P12ihipStream_tbENKUlT_T0_E_clISt17integral_constantIbLb1EESV_IbLb0EEEEDaSR_SS_EUlSR_E_NS1_11comp_targetILNS1_3genE2ELNS1_11target_archE906ELNS1_3gpuE6ELNS1_3repE0EEENS1_30default_config_static_selectorELNS0_4arch9wavefront6targetE1EEEvT1_.num_agpr, 0
	.set _ZN7rocprim17ROCPRIM_400000_NS6detail17trampoline_kernelINS0_14default_configENS1_20scan_config_selectorIdEEZZNS1_9scan_implILNS1_25lookback_scan_determinismE0ELb0ELb0ES3_PKdPddZZZN2at6native31launch_logcumsumexp_cuda_kernelERKNSB_10TensorBaseESF_lENKUlvE_clEvENKUlvE_clEvEUlddE_dEEDaPvRmT3_T4_T5_mT6_P12ihipStream_tbENKUlT_T0_E_clISt17integral_constantIbLb1EESV_IbLb0EEEEDaSR_SS_EUlSR_E_NS1_11comp_targetILNS1_3genE2ELNS1_11target_archE906ELNS1_3gpuE6ELNS1_3repE0EEENS1_30default_config_static_selectorELNS0_4arch9wavefront6targetE1EEEvT1_.numbered_sgpr, 0
	.set _ZN7rocprim17ROCPRIM_400000_NS6detail17trampoline_kernelINS0_14default_configENS1_20scan_config_selectorIdEEZZNS1_9scan_implILNS1_25lookback_scan_determinismE0ELb0ELb0ES3_PKdPddZZZN2at6native31launch_logcumsumexp_cuda_kernelERKNSB_10TensorBaseESF_lENKUlvE_clEvENKUlvE_clEvEUlddE_dEEDaPvRmT3_T4_T5_mT6_P12ihipStream_tbENKUlT_T0_E_clISt17integral_constantIbLb1EESV_IbLb0EEEEDaSR_SS_EUlSR_E_NS1_11comp_targetILNS1_3genE2ELNS1_11target_archE906ELNS1_3gpuE6ELNS1_3repE0EEENS1_30default_config_static_selectorELNS0_4arch9wavefront6targetE1EEEvT1_.num_named_barrier, 0
	.set _ZN7rocprim17ROCPRIM_400000_NS6detail17trampoline_kernelINS0_14default_configENS1_20scan_config_selectorIdEEZZNS1_9scan_implILNS1_25lookback_scan_determinismE0ELb0ELb0ES3_PKdPddZZZN2at6native31launch_logcumsumexp_cuda_kernelERKNSB_10TensorBaseESF_lENKUlvE_clEvENKUlvE_clEvEUlddE_dEEDaPvRmT3_T4_T5_mT6_P12ihipStream_tbENKUlT_T0_E_clISt17integral_constantIbLb1EESV_IbLb0EEEEDaSR_SS_EUlSR_E_NS1_11comp_targetILNS1_3genE2ELNS1_11target_archE906ELNS1_3gpuE6ELNS1_3repE0EEENS1_30default_config_static_selectorELNS0_4arch9wavefront6targetE1EEEvT1_.private_seg_size, 0
	.set _ZN7rocprim17ROCPRIM_400000_NS6detail17trampoline_kernelINS0_14default_configENS1_20scan_config_selectorIdEEZZNS1_9scan_implILNS1_25lookback_scan_determinismE0ELb0ELb0ES3_PKdPddZZZN2at6native31launch_logcumsumexp_cuda_kernelERKNSB_10TensorBaseESF_lENKUlvE_clEvENKUlvE_clEvEUlddE_dEEDaPvRmT3_T4_T5_mT6_P12ihipStream_tbENKUlT_T0_E_clISt17integral_constantIbLb1EESV_IbLb0EEEEDaSR_SS_EUlSR_E_NS1_11comp_targetILNS1_3genE2ELNS1_11target_archE906ELNS1_3gpuE6ELNS1_3repE0EEENS1_30default_config_static_selectorELNS0_4arch9wavefront6targetE1EEEvT1_.uses_vcc, 0
	.set _ZN7rocprim17ROCPRIM_400000_NS6detail17trampoline_kernelINS0_14default_configENS1_20scan_config_selectorIdEEZZNS1_9scan_implILNS1_25lookback_scan_determinismE0ELb0ELb0ES3_PKdPddZZZN2at6native31launch_logcumsumexp_cuda_kernelERKNSB_10TensorBaseESF_lENKUlvE_clEvENKUlvE_clEvEUlddE_dEEDaPvRmT3_T4_T5_mT6_P12ihipStream_tbENKUlT_T0_E_clISt17integral_constantIbLb1EESV_IbLb0EEEEDaSR_SS_EUlSR_E_NS1_11comp_targetILNS1_3genE2ELNS1_11target_archE906ELNS1_3gpuE6ELNS1_3repE0EEENS1_30default_config_static_selectorELNS0_4arch9wavefront6targetE1EEEvT1_.uses_flat_scratch, 0
	.set _ZN7rocprim17ROCPRIM_400000_NS6detail17trampoline_kernelINS0_14default_configENS1_20scan_config_selectorIdEEZZNS1_9scan_implILNS1_25lookback_scan_determinismE0ELb0ELb0ES3_PKdPddZZZN2at6native31launch_logcumsumexp_cuda_kernelERKNSB_10TensorBaseESF_lENKUlvE_clEvENKUlvE_clEvEUlddE_dEEDaPvRmT3_T4_T5_mT6_P12ihipStream_tbENKUlT_T0_E_clISt17integral_constantIbLb1EESV_IbLb0EEEEDaSR_SS_EUlSR_E_NS1_11comp_targetILNS1_3genE2ELNS1_11target_archE906ELNS1_3gpuE6ELNS1_3repE0EEENS1_30default_config_static_selectorELNS0_4arch9wavefront6targetE1EEEvT1_.has_dyn_sized_stack, 0
	.set _ZN7rocprim17ROCPRIM_400000_NS6detail17trampoline_kernelINS0_14default_configENS1_20scan_config_selectorIdEEZZNS1_9scan_implILNS1_25lookback_scan_determinismE0ELb0ELb0ES3_PKdPddZZZN2at6native31launch_logcumsumexp_cuda_kernelERKNSB_10TensorBaseESF_lENKUlvE_clEvENKUlvE_clEvEUlddE_dEEDaPvRmT3_T4_T5_mT6_P12ihipStream_tbENKUlT_T0_E_clISt17integral_constantIbLb1EESV_IbLb0EEEEDaSR_SS_EUlSR_E_NS1_11comp_targetILNS1_3genE2ELNS1_11target_archE906ELNS1_3gpuE6ELNS1_3repE0EEENS1_30default_config_static_selectorELNS0_4arch9wavefront6targetE1EEEvT1_.has_recursion, 0
	.set _ZN7rocprim17ROCPRIM_400000_NS6detail17trampoline_kernelINS0_14default_configENS1_20scan_config_selectorIdEEZZNS1_9scan_implILNS1_25lookback_scan_determinismE0ELb0ELb0ES3_PKdPddZZZN2at6native31launch_logcumsumexp_cuda_kernelERKNSB_10TensorBaseESF_lENKUlvE_clEvENKUlvE_clEvEUlddE_dEEDaPvRmT3_T4_T5_mT6_P12ihipStream_tbENKUlT_T0_E_clISt17integral_constantIbLb1EESV_IbLb0EEEEDaSR_SS_EUlSR_E_NS1_11comp_targetILNS1_3genE2ELNS1_11target_archE906ELNS1_3gpuE6ELNS1_3repE0EEENS1_30default_config_static_selectorELNS0_4arch9wavefront6targetE1EEEvT1_.has_indirect_call, 0
	.section	.AMDGPU.csdata,"",@progbits
; Kernel info:
; codeLenInByte = 0
; TotalNumSgprs: 6
; NumVgprs: 0
; NumAgprs: 0
; TotalNumVgprs: 0
; ScratchSize: 0
; MemoryBound: 0
; FloatMode: 240
; IeeeMode: 1
; LDSByteSize: 0 bytes/workgroup (compile time only)
; SGPRBlocks: 0
; VGPRBlocks: 0
; NumSGPRsForWavesPerEU: 6
; NumVGPRsForWavesPerEU: 1
; AccumOffset: 4
; Occupancy: 8
; WaveLimiterHint : 0
; COMPUTE_PGM_RSRC2:SCRATCH_EN: 0
; COMPUTE_PGM_RSRC2:USER_SGPR: 2
; COMPUTE_PGM_RSRC2:TRAP_HANDLER: 0
; COMPUTE_PGM_RSRC2:TGID_X_EN: 1
; COMPUTE_PGM_RSRC2:TGID_Y_EN: 0
; COMPUTE_PGM_RSRC2:TGID_Z_EN: 0
; COMPUTE_PGM_RSRC2:TIDIG_COMP_CNT: 0
; COMPUTE_PGM_RSRC3_GFX90A:ACCUM_OFFSET: 0
; COMPUTE_PGM_RSRC3_GFX90A:TG_SPLIT: 0
	.section	.text._ZN7rocprim17ROCPRIM_400000_NS6detail17trampoline_kernelINS0_14default_configENS1_20scan_config_selectorIdEEZZNS1_9scan_implILNS1_25lookback_scan_determinismE0ELb0ELb0ES3_PKdPddZZZN2at6native31launch_logcumsumexp_cuda_kernelERKNSB_10TensorBaseESF_lENKUlvE_clEvENKUlvE_clEvEUlddE_dEEDaPvRmT3_T4_T5_mT6_P12ihipStream_tbENKUlT_T0_E_clISt17integral_constantIbLb1EESV_IbLb0EEEEDaSR_SS_EUlSR_E_NS1_11comp_targetILNS1_3genE10ELNS1_11target_archE1201ELNS1_3gpuE5ELNS1_3repE0EEENS1_30default_config_static_selectorELNS0_4arch9wavefront6targetE1EEEvT1_,"axG",@progbits,_ZN7rocprim17ROCPRIM_400000_NS6detail17trampoline_kernelINS0_14default_configENS1_20scan_config_selectorIdEEZZNS1_9scan_implILNS1_25lookback_scan_determinismE0ELb0ELb0ES3_PKdPddZZZN2at6native31launch_logcumsumexp_cuda_kernelERKNSB_10TensorBaseESF_lENKUlvE_clEvENKUlvE_clEvEUlddE_dEEDaPvRmT3_T4_T5_mT6_P12ihipStream_tbENKUlT_T0_E_clISt17integral_constantIbLb1EESV_IbLb0EEEEDaSR_SS_EUlSR_E_NS1_11comp_targetILNS1_3genE10ELNS1_11target_archE1201ELNS1_3gpuE5ELNS1_3repE0EEENS1_30default_config_static_selectorELNS0_4arch9wavefront6targetE1EEEvT1_,comdat
	.globl	_ZN7rocprim17ROCPRIM_400000_NS6detail17trampoline_kernelINS0_14default_configENS1_20scan_config_selectorIdEEZZNS1_9scan_implILNS1_25lookback_scan_determinismE0ELb0ELb0ES3_PKdPddZZZN2at6native31launch_logcumsumexp_cuda_kernelERKNSB_10TensorBaseESF_lENKUlvE_clEvENKUlvE_clEvEUlddE_dEEDaPvRmT3_T4_T5_mT6_P12ihipStream_tbENKUlT_T0_E_clISt17integral_constantIbLb1EESV_IbLb0EEEEDaSR_SS_EUlSR_E_NS1_11comp_targetILNS1_3genE10ELNS1_11target_archE1201ELNS1_3gpuE5ELNS1_3repE0EEENS1_30default_config_static_selectorELNS0_4arch9wavefront6targetE1EEEvT1_ ; -- Begin function _ZN7rocprim17ROCPRIM_400000_NS6detail17trampoline_kernelINS0_14default_configENS1_20scan_config_selectorIdEEZZNS1_9scan_implILNS1_25lookback_scan_determinismE0ELb0ELb0ES3_PKdPddZZZN2at6native31launch_logcumsumexp_cuda_kernelERKNSB_10TensorBaseESF_lENKUlvE_clEvENKUlvE_clEvEUlddE_dEEDaPvRmT3_T4_T5_mT6_P12ihipStream_tbENKUlT_T0_E_clISt17integral_constantIbLb1EESV_IbLb0EEEEDaSR_SS_EUlSR_E_NS1_11comp_targetILNS1_3genE10ELNS1_11target_archE1201ELNS1_3gpuE5ELNS1_3repE0EEENS1_30default_config_static_selectorELNS0_4arch9wavefront6targetE1EEEvT1_
	.p2align	8
	.type	_ZN7rocprim17ROCPRIM_400000_NS6detail17trampoline_kernelINS0_14default_configENS1_20scan_config_selectorIdEEZZNS1_9scan_implILNS1_25lookback_scan_determinismE0ELb0ELb0ES3_PKdPddZZZN2at6native31launch_logcumsumexp_cuda_kernelERKNSB_10TensorBaseESF_lENKUlvE_clEvENKUlvE_clEvEUlddE_dEEDaPvRmT3_T4_T5_mT6_P12ihipStream_tbENKUlT_T0_E_clISt17integral_constantIbLb1EESV_IbLb0EEEEDaSR_SS_EUlSR_E_NS1_11comp_targetILNS1_3genE10ELNS1_11target_archE1201ELNS1_3gpuE5ELNS1_3repE0EEENS1_30default_config_static_selectorELNS0_4arch9wavefront6targetE1EEEvT1_,@function
_ZN7rocprim17ROCPRIM_400000_NS6detail17trampoline_kernelINS0_14default_configENS1_20scan_config_selectorIdEEZZNS1_9scan_implILNS1_25lookback_scan_determinismE0ELb0ELb0ES3_PKdPddZZZN2at6native31launch_logcumsumexp_cuda_kernelERKNSB_10TensorBaseESF_lENKUlvE_clEvENKUlvE_clEvEUlddE_dEEDaPvRmT3_T4_T5_mT6_P12ihipStream_tbENKUlT_T0_E_clISt17integral_constantIbLb1EESV_IbLb0EEEEDaSR_SS_EUlSR_E_NS1_11comp_targetILNS1_3genE10ELNS1_11target_archE1201ELNS1_3gpuE5ELNS1_3repE0EEENS1_30default_config_static_selectorELNS0_4arch9wavefront6targetE1EEEvT1_: ; @_ZN7rocprim17ROCPRIM_400000_NS6detail17trampoline_kernelINS0_14default_configENS1_20scan_config_selectorIdEEZZNS1_9scan_implILNS1_25lookback_scan_determinismE0ELb0ELb0ES3_PKdPddZZZN2at6native31launch_logcumsumexp_cuda_kernelERKNSB_10TensorBaseESF_lENKUlvE_clEvENKUlvE_clEvEUlddE_dEEDaPvRmT3_T4_T5_mT6_P12ihipStream_tbENKUlT_T0_E_clISt17integral_constantIbLb1EESV_IbLb0EEEEDaSR_SS_EUlSR_E_NS1_11comp_targetILNS1_3genE10ELNS1_11target_archE1201ELNS1_3gpuE5ELNS1_3repE0EEENS1_30default_config_static_selectorELNS0_4arch9wavefront6targetE1EEEvT1_
; %bb.0:
	.section	.rodata,"a",@progbits
	.p2align	6, 0x0
	.amdhsa_kernel _ZN7rocprim17ROCPRIM_400000_NS6detail17trampoline_kernelINS0_14default_configENS1_20scan_config_selectorIdEEZZNS1_9scan_implILNS1_25lookback_scan_determinismE0ELb0ELb0ES3_PKdPddZZZN2at6native31launch_logcumsumexp_cuda_kernelERKNSB_10TensorBaseESF_lENKUlvE_clEvENKUlvE_clEvEUlddE_dEEDaPvRmT3_T4_T5_mT6_P12ihipStream_tbENKUlT_T0_E_clISt17integral_constantIbLb1EESV_IbLb0EEEEDaSR_SS_EUlSR_E_NS1_11comp_targetILNS1_3genE10ELNS1_11target_archE1201ELNS1_3gpuE5ELNS1_3repE0EEENS1_30default_config_static_selectorELNS0_4arch9wavefront6targetE1EEEvT1_
		.amdhsa_group_segment_fixed_size 0
		.amdhsa_private_segment_fixed_size 0
		.amdhsa_kernarg_size 104
		.amdhsa_user_sgpr_count 2
		.amdhsa_user_sgpr_dispatch_ptr 0
		.amdhsa_user_sgpr_queue_ptr 0
		.amdhsa_user_sgpr_kernarg_segment_ptr 1
		.amdhsa_user_sgpr_dispatch_id 0
		.amdhsa_user_sgpr_kernarg_preload_length 0
		.amdhsa_user_sgpr_kernarg_preload_offset 0
		.amdhsa_user_sgpr_private_segment_size 0
		.amdhsa_uses_dynamic_stack 0
		.amdhsa_enable_private_segment 0
		.amdhsa_system_sgpr_workgroup_id_x 1
		.amdhsa_system_sgpr_workgroup_id_y 0
		.amdhsa_system_sgpr_workgroup_id_z 0
		.amdhsa_system_sgpr_workgroup_info 0
		.amdhsa_system_vgpr_workitem_id 0
		.amdhsa_next_free_vgpr 1
		.amdhsa_next_free_sgpr 0
		.amdhsa_accum_offset 4
		.amdhsa_reserve_vcc 0
		.amdhsa_float_round_mode_32 0
		.amdhsa_float_round_mode_16_64 0
		.amdhsa_float_denorm_mode_32 3
		.amdhsa_float_denorm_mode_16_64 3
		.amdhsa_dx10_clamp 1
		.amdhsa_ieee_mode 1
		.amdhsa_fp16_overflow 0
		.amdhsa_tg_split 0
		.amdhsa_exception_fp_ieee_invalid_op 0
		.amdhsa_exception_fp_denorm_src 0
		.amdhsa_exception_fp_ieee_div_zero 0
		.amdhsa_exception_fp_ieee_overflow 0
		.amdhsa_exception_fp_ieee_underflow 0
		.amdhsa_exception_fp_ieee_inexact 0
		.amdhsa_exception_int_div_zero 0
	.end_amdhsa_kernel
	.section	.text._ZN7rocprim17ROCPRIM_400000_NS6detail17trampoline_kernelINS0_14default_configENS1_20scan_config_selectorIdEEZZNS1_9scan_implILNS1_25lookback_scan_determinismE0ELb0ELb0ES3_PKdPddZZZN2at6native31launch_logcumsumexp_cuda_kernelERKNSB_10TensorBaseESF_lENKUlvE_clEvENKUlvE_clEvEUlddE_dEEDaPvRmT3_T4_T5_mT6_P12ihipStream_tbENKUlT_T0_E_clISt17integral_constantIbLb1EESV_IbLb0EEEEDaSR_SS_EUlSR_E_NS1_11comp_targetILNS1_3genE10ELNS1_11target_archE1201ELNS1_3gpuE5ELNS1_3repE0EEENS1_30default_config_static_selectorELNS0_4arch9wavefront6targetE1EEEvT1_,"axG",@progbits,_ZN7rocprim17ROCPRIM_400000_NS6detail17trampoline_kernelINS0_14default_configENS1_20scan_config_selectorIdEEZZNS1_9scan_implILNS1_25lookback_scan_determinismE0ELb0ELb0ES3_PKdPddZZZN2at6native31launch_logcumsumexp_cuda_kernelERKNSB_10TensorBaseESF_lENKUlvE_clEvENKUlvE_clEvEUlddE_dEEDaPvRmT3_T4_T5_mT6_P12ihipStream_tbENKUlT_T0_E_clISt17integral_constantIbLb1EESV_IbLb0EEEEDaSR_SS_EUlSR_E_NS1_11comp_targetILNS1_3genE10ELNS1_11target_archE1201ELNS1_3gpuE5ELNS1_3repE0EEENS1_30default_config_static_selectorELNS0_4arch9wavefront6targetE1EEEvT1_,comdat
.Lfunc_end52:
	.size	_ZN7rocprim17ROCPRIM_400000_NS6detail17trampoline_kernelINS0_14default_configENS1_20scan_config_selectorIdEEZZNS1_9scan_implILNS1_25lookback_scan_determinismE0ELb0ELb0ES3_PKdPddZZZN2at6native31launch_logcumsumexp_cuda_kernelERKNSB_10TensorBaseESF_lENKUlvE_clEvENKUlvE_clEvEUlddE_dEEDaPvRmT3_T4_T5_mT6_P12ihipStream_tbENKUlT_T0_E_clISt17integral_constantIbLb1EESV_IbLb0EEEEDaSR_SS_EUlSR_E_NS1_11comp_targetILNS1_3genE10ELNS1_11target_archE1201ELNS1_3gpuE5ELNS1_3repE0EEENS1_30default_config_static_selectorELNS0_4arch9wavefront6targetE1EEEvT1_, .Lfunc_end52-_ZN7rocprim17ROCPRIM_400000_NS6detail17trampoline_kernelINS0_14default_configENS1_20scan_config_selectorIdEEZZNS1_9scan_implILNS1_25lookback_scan_determinismE0ELb0ELb0ES3_PKdPddZZZN2at6native31launch_logcumsumexp_cuda_kernelERKNSB_10TensorBaseESF_lENKUlvE_clEvENKUlvE_clEvEUlddE_dEEDaPvRmT3_T4_T5_mT6_P12ihipStream_tbENKUlT_T0_E_clISt17integral_constantIbLb1EESV_IbLb0EEEEDaSR_SS_EUlSR_E_NS1_11comp_targetILNS1_3genE10ELNS1_11target_archE1201ELNS1_3gpuE5ELNS1_3repE0EEENS1_30default_config_static_selectorELNS0_4arch9wavefront6targetE1EEEvT1_
                                        ; -- End function
	.set _ZN7rocprim17ROCPRIM_400000_NS6detail17trampoline_kernelINS0_14default_configENS1_20scan_config_selectorIdEEZZNS1_9scan_implILNS1_25lookback_scan_determinismE0ELb0ELb0ES3_PKdPddZZZN2at6native31launch_logcumsumexp_cuda_kernelERKNSB_10TensorBaseESF_lENKUlvE_clEvENKUlvE_clEvEUlddE_dEEDaPvRmT3_T4_T5_mT6_P12ihipStream_tbENKUlT_T0_E_clISt17integral_constantIbLb1EESV_IbLb0EEEEDaSR_SS_EUlSR_E_NS1_11comp_targetILNS1_3genE10ELNS1_11target_archE1201ELNS1_3gpuE5ELNS1_3repE0EEENS1_30default_config_static_selectorELNS0_4arch9wavefront6targetE1EEEvT1_.num_vgpr, 0
	.set _ZN7rocprim17ROCPRIM_400000_NS6detail17trampoline_kernelINS0_14default_configENS1_20scan_config_selectorIdEEZZNS1_9scan_implILNS1_25lookback_scan_determinismE0ELb0ELb0ES3_PKdPddZZZN2at6native31launch_logcumsumexp_cuda_kernelERKNSB_10TensorBaseESF_lENKUlvE_clEvENKUlvE_clEvEUlddE_dEEDaPvRmT3_T4_T5_mT6_P12ihipStream_tbENKUlT_T0_E_clISt17integral_constantIbLb1EESV_IbLb0EEEEDaSR_SS_EUlSR_E_NS1_11comp_targetILNS1_3genE10ELNS1_11target_archE1201ELNS1_3gpuE5ELNS1_3repE0EEENS1_30default_config_static_selectorELNS0_4arch9wavefront6targetE1EEEvT1_.num_agpr, 0
	.set _ZN7rocprim17ROCPRIM_400000_NS6detail17trampoline_kernelINS0_14default_configENS1_20scan_config_selectorIdEEZZNS1_9scan_implILNS1_25lookback_scan_determinismE0ELb0ELb0ES3_PKdPddZZZN2at6native31launch_logcumsumexp_cuda_kernelERKNSB_10TensorBaseESF_lENKUlvE_clEvENKUlvE_clEvEUlddE_dEEDaPvRmT3_T4_T5_mT6_P12ihipStream_tbENKUlT_T0_E_clISt17integral_constantIbLb1EESV_IbLb0EEEEDaSR_SS_EUlSR_E_NS1_11comp_targetILNS1_3genE10ELNS1_11target_archE1201ELNS1_3gpuE5ELNS1_3repE0EEENS1_30default_config_static_selectorELNS0_4arch9wavefront6targetE1EEEvT1_.numbered_sgpr, 0
	.set _ZN7rocprim17ROCPRIM_400000_NS6detail17trampoline_kernelINS0_14default_configENS1_20scan_config_selectorIdEEZZNS1_9scan_implILNS1_25lookback_scan_determinismE0ELb0ELb0ES3_PKdPddZZZN2at6native31launch_logcumsumexp_cuda_kernelERKNSB_10TensorBaseESF_lENKUlvE_clEvENKUlvE_clEvEUlddE_dEEDaPvRmT3_T4_T5_mT6_P12ihipStream_tbENKUlT_T0_E_clISt17integral_constantIbLb1EESV_IbLb0EEEEDaSR_SS_EUlSR_E_NS1_11comp_targetILNS1_3genE10ELNS1_11target_archE1201ELNS1_3gpuE5ELNS1_3repE0EEENS1_30default_config_static_selectorELNS0_4arch9wavefront6targetE1EEEvT1_.num_named_barrier, 0
	.set _ZN7rocprim17ROCPRIM_400000_NS6detail17trampoline_kernelINS0_14default_configENS1_20scan_config_selectorIdEEZZNS1_9scan_implILNS1_25lookback_scan_determinismE0ELb0ELb0ES3_PKdPddZZZN2at6native31launch_logcumsumexp_cuda_kernelERKNSB_10TensorBaseESF_lENKUlvE_clEvENKUlvE_clEvEUlddE_dEEDaPvRmT3_T4_T5_mT6_P12ihipStream_tbENKUlT_T0_E_clISt17integral_constantIbLb1EESV_IbLb0EEEEDaSR_SS_EUlSR_E_NS1_11comp_targetILNS1_3genE10ELNS1_11target_archE1201ELNS1_3gpuE5ELNS1_3repE0EEENS1_30default_config_static_selectorELNS0_4arch9wavefront6targetE1EEEvT1_.private_seg_size, 0
	.set _ZN7rocprim17ROCPRIM_400000_NS6detail17trampoline_kernelINS0_14default_configENS1_20scan_config_selectorIdEEZZNS1_9scan_implILNS1_25lookback_scan_determinismE0ELb0ELb0ES3_PKdPddZZZN2at6native31launch_logcumsumexp_cuda_kernelERKNSB_10TensorBaseESF_lENKUlvE_clEvENKUlvE_clEvEUlddE_dEEDaPvRmT3_T4_T5_mT6_P12ihipStream_tbENKUlT_T0_E_clISt17integral_constantIbLb1EESV_IbLb0EEEEDaSR_SS_EUlSR_E_NS1_11comp_targetILNS1_3genE10ELNS1_11target_archE1201ELNS1_3gpuE5ELNS1_3repE0EEENS1_30default_config_static_selectorELNS0_4arch9wavefront6targetE1EEEvT1_.uses_vcc, 0
	.set _ZN7rocprim17ROCPRIM_400000_NS6detail17trampoline_kernelINS0_14default_configENS1_20scan_config_selectorIdEEZZNS1_9scan_implILNS1_25lookback_scan_determinismE0ELb0ELb0ES3_PKdPddZZZN2at6native31launch_logcumsumexp_cuda_kernelERKNSB_10TensorBaseESF_lENKUlvE_clEvENKUlvE_clEvEUlddE_dEEDaPvRmT3_T4_T5_mT6_P12ihipStream_tbENKUlT_T0_E_clISt17integral_constantIbLb1EESV_IbLb0EEEEDaSR_SS_EUlSR_E_NS1_11comp_targetILNS1_3genE10ELNS1_11target_archE1201ELNS1_3gpuE5ELNS1_3repE0EEENS1_30default_config_static_selectorELNS0_4arch9wavefront6targetE1EEEvT1_.uses_flat_scratch, 0
	.set _ZN7rocprim17ROCPRIM_400000_NS6detail17trampoline_kernelINS0_14default_configENS1_20scan_config_selectorIdEEZZNS1_9scan_implILNS1_25lookback_scan_determinismE0ELb0ELb0ES3_PKdPddZZZN2at6native31launch_logcumsumexp_cuda_kernelERKNSB_10TensorBaseESF_lENKUlvE_clEvENKUlvE_clEvEUlddE_dEEDaPvRmT3_T4_T5_mT6_P12ihipStream_tbENKUlT_T0_E_clISt17integral_constantIbLb1EESV_IbLb0EEEEDaSR_SS_EUlSR_E_NS1_11comp_targetILNS1_3genE10ELNS1_11target_archE1201ELNS1_3gpuE5ELNS1_3repE0EEENS1_30default_config_static_selectorELNS0_4arch9wavefront6targetE1EEEvT1_.has_dyn_sized_stack, 0
	.set _ZN7rocprim17ROCPRIM_400000_NS6detail17trampoline_kernelINS0_14default_configENS1_20scan_config_selectorIdEEZZNS1_9scan_implILNS1_25lookback_scan_determinismE0ELb0ELb0ES3_PKdPddZZZN2at6native31launch_logcumsumexp_cuda_kernelERKNSB_10TensorBaseESF_lENKUlvE_clEvENKUlvE_clEvEUlddE_dEEDaPvRmT3_T4_T5_mT6_P12ihipStream_tbENKUlT_T0_E_clISt17integral_constantIbLb1EESV_IbLb0EEEEDaSR_SS_EUlSR_E_NS1_11comp_targetILNS1_3genE10ELNS1_11target_archE1201ELNS1_3gpuE5ELNS1_3repE0EEENS1_30default_config_static_selectorELNS0_4arch9wavefront6targetE1EEEvT1_.has_recursion, 0
	.set _ZN7rocprim17ROCPRIM_400000_NS6detail17trampoline_kernelINS0_14default_configENS1_20scan_config_selectorIdEEZZNS1_9scan_implILNS1_25lookback_scan_determinismE0ELb0ELb0ES3_PKdPddZZZN2at6native31launch_logcumsumexp_cuda_kernelERKNSB_10TensorBaseESF_lENKUlvE_clEvENKUlvE_clEvEUlddE_dEEDaPvRmT3_T4_T5_mT6_P12ihipStream_tbENKUlT_T0_E_clISt17integral_constantIbLb1EESV_IbLb0EEEEDaSR_SS_EUlSR_E_NS1_11comp_targetILNS1_3genE10ELNS1_11target_archE1201ELNS1_3gpuE5ELNS1_3repE0EEENS1_30default_config_static_selectorELNS0_4arch9wavefront6targetE1EEEvT1_.has_indirect_call, 0
	.section	.AMDGPU.csdata,"",@progbits
; Kernel info:
; codeLenInByte = 0
; TotalNumSgprs: 6
; NumVgprs: 0
; NumAgprs: 0
; TotalNumVgprs: 0
; ScratchSize: 0
; MemoryBound: 0
; FloatMode: 240
; IeeeMode: 1
; LDSByteSize: 0 bytes/workgroup (compile time only)
; SGPRBlocks: 0
; VGPRBlocks: 0
; NumSGPRsForWavesPerEU: 6
; NumVGPRsForWavesPerEU: 1
; AccumOffset: 4
; Occupancy: 8
; WaveLimiterHint : 0
; COMPUTE_PGM_RSRC2:SCRATCH_EN: 0
; COMPUTE_PGM_RSRC2:USER_SGPR: 2
; COMPUTE_PGM_RSRC2:TRAP_HANDLER: 0
; COMPUTE_PGM_RSRC2:TGID_X_EN: 1
; COMPUTE_PGM_RSRC2:TGID_Y_EN: 0
; COMPUTE_PGM_RSRC2:TGID_Z_EN: 0
; COMPUTE_PGM_RSRC2:TIDIG_COMP_CNT: 0
; COMPUTE_PGM_RSRC3_GFX90A:ACCUM_OFFSET: 0
; COMPUTE_PGM_RSRC3_GFX90A:TG_SPLIT: 0
	.section	.text._ZN7rocprim17ROCPRIM_400000_NS6detail17trampoline_kernelINS0_14default_configENS1_20scan_config_selectorIdEEZZNS1_9scan_implILNS1_25lookback_scan_determinismE0ELb0ELb0ES3_PKdPddZZZN2at6native31launch_logcumsumexp_cuda_kernelERKNSB_10TensorBaseESF_lENKUlvE_clEvENKUlvE_clEvEUlddE_dEEDaPvRmT3_T4_T5_mT6_P12ihipStream_tbENKUlT_T0_E_clISt17integral_constantIbLb1EESV_IbLb0EEEEDaSR_SS_EUlSR_E_NS1_11comp_targetILNS1_3genE10ELNS1_11target_archE1200ELNS1_3gpuE4ELNS1_3repE0EEENS1_30default_config_static_selectorELNS0_4arch9wavefront6targetE1EEEvT1_,"axG",@progbits,_ZN7rocprim17ROCPRIM_400000_NS6detail17trampoline_kernelINS0_14default_configENS1_20scan_config_selectorIdEEZZNS1_9scan_implILNS1_25lookback_scan_determinismE0ELb0ELb0ES3_PKdPddZZZN2at6native31launch_logcumsumexp_cuda_kernelERKNSB_10TensorBaseESF_lENKUlvE_clEvENKUlvE_clEvEUlddE_dEEDaPvRmT3_T4_T5_mT6_P12ihipStream_tbENKUlT_T0_E_clISt17integral_constantIbLb1EESV_IbLb0EEEEDaSR_SS_EUlSR_E_NS1_11comp_targetILNS1_3genE10ELNS1_11target_archE1200ELNS1_3gpuE4ELNS1_3repE0EEENS1_30default_config_static_selectorELNS0_4arch9wavefront6targetE1EEEvT1_,comdat
	.globl	_ZN7rocprim17ROCPRIM_400000_NS6detail17trampoline_kernelINS0_14default_configENS1_20scan_config_selectorIdEEZZNS1_9scan_implILNS1_25lookback_scan_determinismE0ELb0ELb0ES3_PKdPddZZZN2at6native31launch_logcumsumexp_cuda_kernelERKNSB_10TensorBaseESF_lENKUlvE_clEvENKUlvE_clEvEUlddE_dEEDaPvRmT3_T4_T5_mT6_P12ihipStream_tbENKUlT_T0_E_clISt17integral_constantIbLb1EESV_IbLb0EEEEDaSR_SS_EUlSR_E_NS1_11comp_targetILNS1_3genE10ELNS1_11target_archE1200ELNS1_3gpuE4ELNS1_3repE0EEENS1_30default_config_static_selectorELNS0_4arch9wavefront6targetE1EEEvT1_ ; -- Begin function _ZN7rocprim17ROCPRIM_400000_NS6detail17trampoline_kernelINS0_14default_configENS1_20scan_config_selectorIdEEZZNS1_9scan_implILNS1_25lookback_scan_determinismE0ELb0ELb0ES3_PKdPddZZZN2at6native31launch_logcumsumexp_cuda_kernelERKNSB_10TensorBaseESF_lENKUlvE_clEvENKUlvE_clEvEUlddE_dEEDaPvRmT3_T4_T5_mT6_P12ihipStream_tbENKUlT_T0_E_clISt17integral_constantIbLb1EESV_IbLb0EEEEDaSR_SS_EUlSR_E_NS1_11comp_targetILNS1_3genE10ELNS1_11target_archE1200ELNS1_3gpuE4ELNS1_3repE0EEENS1_30default_config_static_selectorELNS0_4arch9wavefront6targetE1EEEvT1_
	.p2align	8
	.type	_ZN7rocprim17ROCPRIM_400000_NS6detail17trampoline_kernelINS0_14default_configENS1_20scan_config_selectorIdEEZZNS1_9scan_implILNS1_25lookback_scan_determinismE0ELb0ELb0ES3_PKdPddZZZN2at6native31launch_logcumsumexp_cuda_kernelERKNSB_10TensorBaseESF_lENKUlvE_clEvENKUlvE_clEvEUlddE_dEEDaPvRmT3_T4_T5_mT6_P12ihipStream_tbENKUlT_T0_E_clISt17integral_constantIbLb1EESV_IbLb0EEEEDaSR_SS_EUlSR_E_NS1_11comp_targetILNS1_3genE10ELNS1_11target_archE1200ELNS1_3gpuE4ELNS1_3repE0EEENS1_30default_config_static_selectorELNS0_4arch9wavefront6targetE1EEEvT1_,@function
_ZN7rocprim17ROCPRIM_400000_NS6detail17trampoline_kernelINS0_14default_configENS1_20scan_config_selectorIdEEZZNS1_9scan_implILNS1_25lookback_scan_determinismE0ELb0ELb0ES3_PKdPddZZZN2at6native31launch_logcumsumexp_cuda_kernelERKNSB_10TensorBaseESF_lENKUlvE_clEvENKUlvE_clEvEUlddE_dEEDaPvRmT3_T4_T5_mT6_P12ihipStream_tbENKUlT_T0_E_clISt17integral_constantIbLb1EESV_IbLb0EEEEDaSR_SS_EUlSR_E_NS1_11comp_targetILNS1_3genE10ELNS1_11target_archE1200ELNS1_3gpuE4ELNS1_3repE0EEENS1_30default_config_static_selectorELNS0_4arch9wavefront6targetE1EEEvT1_: ; @_ZN7rocprim17ROCPRIM_400000_NS6detail17trampoline_kernelINS0_14default_configENS1_20scan_config_selectorIdEEZZNS1_9scan_implILNS1_25lookback_scan_determinismE0ELb0ELb0ES3_PKdPddZZZN2at6native31launch_logcumsumexp_cuda_kernelERKNSB_10TensorBaseESF_lENKUlvE_clEvENKUlvE_clEvEUlddE_dEEDaPvRmT3_T4_T5_mT6_P12ihipStream_tbENKUlT_T0_E_clISt17integral_constantIbLb1EESV_IbLb0EEEEDaSR_SS_EUlSR_E_NS1_11comp_targetILNS1_3genE10ELNS1_11target_archE1200ELNS1_3gpuE4ELNS1_3repE0EEENS1_30default_config_static_selectorELNS0_4arch9wavefront6targetE1EEEvT1_
; %bb.0:
	.section	.rodata,"a",@progbits
	.p2align	6, 0x0
	.amdhsa_kernel _ZN7rocprim17ROCPRIM_400000_NS6detail17trampoline_kernelINS0_14default_configENS1_20scan_config_selectorIdEEZZNS1_9scan_implILNS1_25lookback_scan_determinismE0ELb0ELb0ES3_PKdPddZZZN2at6native31launch_logcumsumexp_cuda_kernelERKNSB_10TensorBaseESF_lENKUlvE_clEvENKUlvE_clEvEUlddE_dEEDaPvRmT3_T4_T5_mT6_P12ihipStream_tbENKUlT_T0_E_clISt17integral_constantIbLb1EESV_IbLb0EEEEDaSR_SS_EUlSR_E_NS1_11comp_targetILNS1_3genE10ELNS1_11target_archE1200ELNS1_3gpuE4ELNS1_3repE0EEENS1_30default_config_static_selectorELNS0_4arch9wavefront6targetE1EEEvT1_
		.amdhsa_group_segment_fixed_size 0
		.amdhsa_private_segment_fixed_size 0
		.amdhsa_kernarg_size 104
		.amdhsa_user_sgpr_count 2
		.amdhsa_user_sgpr_dispatch_ptr 0
		.amdhsa_user_sgpr_queue_ptr 0
		.amdhsa_user_sgpr_kernarg_segment_ptr 1
		.amdhsa_user_sgpr_dispatch_id 0
		.amdhsa_user_sgpr_kernarg_preload_length 0
		.amdhsa_user_sgpr_kernarg_preload_offset 0
		.amdhsa_user_sgpr_private_segment_size 0
		.amdhsa_uses_dynamic_stack 0
		.amdhsa_enable_private_segment 0
		.amdhsa_system_sgpr_workgroup_id_x 1
		.amdhsa_system_sgpr_workgroup_id_y 0
		.amdhsa_system_sgpr_workgroup_id_z 0
		.amdhsa_system_sgpr_workgroup_info 0
		.amdhsa_system_vgpr_workitem_id 0
		.amdhsa_next_free_vgpr 1
		.amdhsa_next_free_sgpr 0
		.amdhsa_accum_offset 4
		.amdhsa_reserve_vcc 0
		.amdhsa_float_round_mode_32 0
		.amdhsa_float_round_mode_16_64 0
		.amdhsa_float_denorm_mode_32 3
		.amdhsa_float_denorm_mode_16_64 3
		.amdhsa_dx10_clamp 1
		.amdhsa_ieee_mode 1
		.amdhsa_fp16_overflow 0
		.amdhsa_tg_split 0
		.amdhsa_exception_fp_ieee_invalid_op 0
		.amdhsa_exception_fp_denorm_src 0
		.amdhsa_exception_fp_ieee_div_zero 0
		.amdhsa_exception_fp_ieee_overflow 0
		.amdhsa_exception_fp_ieee_underflow 0
		.amdhsa_exception_fp_ieee_inexact 0
		.amdhsa_exception_int_div_zero 0
	.end_amdhsa_kernel
	.section	.text._ZN7rocprim17ROCPRIM_400000_NS6detail17trampoline_kernelINS0_14default_configENS1_20scan_config_selectorIdEEZZNS1_9scan_implILNS1_25lookback_scan_determinismE0ELb0ELb0ES3_PKdPddZZZN2at6native31launch_logcumsumexp_cuda_kernelERKNSB_10TensorBaseESF_lENKUlvE_clEvENKUlvE_clEvEUlddE_dEEDaPvRmT3_T4_T5_mT6_P12ihipStream_tbENKUlT_T0_E_clISt17integral_constantIbLb1EESV_IbLb0EEEEDaSR_SS_EUlSR_E_NS1_11comp_targetILNS1_3genE10ELNS1_11target_archE1200ELNS1_3gpuE4ELNS1_3repE0EEENS1_30default_config_static_selectorELNS0_4arch9wavefront6targetE1EEEvT1_,"axG",@progbits,_ZN7rocprim17ROCPRIM_400000_NS6detail17trampoline_kernelINS0_14default_configENS1_20scan_config_selectorIdEEZZNS1_9scan_implILNS1_25lookback_scan_determinismE0ELb0ELb0ES3_PKdPddZZZN2at6native31launch_logcumsumexp_cuda_kernelERKNSB_10TensorBaseESF_lENKUlvE_clEvENKUlvE_clEvEUlddE_dEEDaPvRmT3_T4_T5_mT6_P12ihipStream_tbENKUlT_T0_E_clISt17integral_constantIbLb1EESV_IbLb0EEEEDaSR_SS_EUlSR_E_NS1_11comp_targetILNS1_3genE10ELNS1_11target_archE1200ELNS1_3gpuE4ELNS1_3repE0EEENS1_30default_config_static_selectorELNS0_4arch9wavefront6targetE1EEEvT1_,comdat
.Lfunc_end53:
	.size	_ZN7rocprim17ROCPRIM_400000_NS6detail17trampoline_kernelINS0_14default_configENS1_20scan_config_selectorIdEEZZNS1_9scan_implILNS1_25lookback_scan_determinismE0ELb0ELb0ES3_PKdPddZZZN2at6native31launch_logcumsumexp_cuda_kernelERKNSB_10TensorBaseESF_lENKUlvE_clEvENKUlvE_clEvEUlddE_dEEDaPvRmT3_T4_T5_mT6_P12ihipStream_tbENKUlT_T0_E_clISt17integral_constantIbLb1EESV_IbLb0EEEEDaSR_SS_EUlSR_E_NS1_11comp_targetILNS1_3genE10ELNS1_11target_archE1200ELNS1_3gpuE4ELNS1_3repE0EEENS1_30default_config_static_selectorELNS0_4arch9wavefront6targetE1EEEvT1_, .Lfunc_end53-_ZN7rocprim17ROCPRIM_400000_NS6detail17trampoline_kernelINS0_14default_configENS1_20scan_config_selectorIdEEZZNS1_9scan_implILNS1_25lookback_scan_determinismE0ELb0ELb0ES3_PKdPddZZZN2at6native31launch_logcumsumexp_cuda_kernelERKNSB_10TensorBaseESF_lENKUlvE_clEvENKUlvE_clEvEUlddE_dEEDaPvRmT3_T4_T5_mT6_P12ihipStream_tbENKUlT_T0_E_clISt17integral_constantIbLb1EESV_IbLb0EEEEDaSR_SS_EUlSR_E_NS1_11comp_targetILNS1_3genE10ELNS1_11target_archE1200ELNS1_3gpuE4ELNS1_3repE0EEENS1_30default_config_static_selectorELNS0_4arch9wavefront6targetE1EEEvT1_
                                        ; -- End function
	.set _ZN7rocprim17ROCPRIM_400000_NS6detail17trampoline_kernelINS0_14default_configENS1_20scan_config_selectorIdEEZZNS1_9scan_implILNS1_25lookback_scan_determinismE0ELb0ELb0ES3_PKdPddZZZN2at6native31launch_logcumsumexp_cuda_kernelERKNSB_10TensorBaseESF_lENKUlvE_clEvENKUlvE_clEvEUlddE_dEEDaPvRmT3_T4_T5_mT6_P12ihipStream_tbENKUlT_T0_E_clISt17integral_constantIbLb1EESV_IbLb0EEEEDaSR_SS_EUlSR_E_NS1_11comp_targetILNS1_3genE10ELNS1_11target_archE1200ELNS1_3gpuE4ELNS1_3repE0EEENS1_30default_config_static_selectorELNS0_4arch9wavefront6targetE1EEEvT1_.num_vgpr, 0
	.set _ZN7rocprim17ROCPRIM_400000_NS6detail17trampoline_kernelINS0_14default_configENS1_20scan_config_selectorIdEEZZNS1_9scan_implILNS1_25lookback_scan_determinismE0ELb0ELb0ES3_PKdPddZZZN2at6native31launch_logcumsumexp_cuda_kernelERKNSB_10TensorBaseESF_lENKUlvE_clEvENKUlvE_clEvEUlddE_dEEDaPvRmT3_T4_T5_mT6_P12ihipStream_tbENKUlT_T0_E_clISt17integral_constantIbLb1EESV_IbLb0EEEEDaSR_SS_EUlSR_E_NS1_11comp_targetILNS1_3genE10ELNS1_11target_archE1200ELNS1_3gpuE4ELNS1_3repE0EEENS1_30default_config_static_selectorELNS0_4arch9wavefront6targetE1EEEvT1_.num_agpr, 0
	.set _ZN7rocprim17ROCPRIM_400000_NS6detail17trampoline_kernelINS0_14default_configENS1_20scan_config_selectorIdEEZZNS1_9scan_implILNS1_25lookback_scan_determinismE0ELb0ELb0ES3_PKdPddZZZN2at6native31launch_logcumsumexp_cuda_kernelERKNSB_10TensorBaseESF_lENKUlvE_clEvENKUlvE_clEvEUlddE_dEEDaPvRmT3_T4_T5_mT6_P12ihipStream_tbENKUlT_T0_E_clISt17integral_constantIbLb1EESV_IbLb0EEEEDaSR_SS_EUlSR_E_NS1_11comp_targetILNS1_3genE10ELNS1_11target_archE1200ELNS1_3gpuE4ELNS1_3repE0EEENS1_30default_config_static_selectorELNS0_4arch9wavefront6targetE1EEEvT1_.numbered_sgpr, 0
	.set _ZN7rocprim17ROCPRIM_400000_NS6detail17trampoline_kernelINS0_14default_configENS1_20scan_config_selectorIdEEZZNS1_9scan_implILNS1_25lookback_scan_determinismE0ELb0ELb0ES3_PKdPddZZZN2at6native31launch_logcumsumexp_cuda_kernelERKNSB_10TensorBaseESF_lENKUlvE_clEvENKUlvE_clEvEUlddE_dEEDaPvRmT3_T4_T5_mT6_P12ihipStream_tbENKUlT_T0_E_clISt17integral_constantIbLb1EESV_IbLb0EEEEDaSR_SS_EUlSR_E_NS1_11comp_targetILNS1_3genE10ELNS1_11target_archE1200ELNS1_3gpuE4ELNS1_3repE0EEENS1_30default_config_static_selectorELNS0_4arch9wavefront6targetE1EEEvT1_.num_named_barrier, 0
	.set _ZN7rocprim17ROCPRIM_400000_NS6detail17trampoline_kernelINS0_14default_configENS1_20scan_config_selectorIdEEZZNS1_9scan_implILNS1_25lookback_scan_determinismE0ELb0ELb0ES3_PKdPddZZZN2at6native31launch_logcumsumexp_cuda_kernelERKNSB_10TensorBaseESF_lENKUlvE_clEvENKUlvE_clEvEUlddE_dEEDaPvRmT3_T4_T5_mT6_P12ihipStream_tbENKUlT_T0_E_clISt17integral_constantIbLb1EESV_IbLb0EEEEDaSR_SS_EUlSR_E_NS1_11comp_targetILNS1_3genE10ELNS1_11target_archE1200ELNS1_3gpuE4ELNS1_3repE0EEENS1_30default_config_static_selectorELNS0_4arch9wavefront6targetE1EEEvT1_.private_seg_size, 0
	.set _ZN7rocprim17ROCPRIM_400000_NS6detail17trampoline_kernelINS0_14default_configENS1_20scan_config_selectorIdEEZZNS1_9scan_implILNS1_25lookback_scan_determinismE0ELb0ELb0ES3_PKdPddZZZN2at6native31launch_logcumsumexp_cuda_kernelERKNSB_10TensorBaseESF_lENKUlvE_clEvENKUlvE_clEvEUlddE_dEEDaPvRmT3_T4_T5_mT6_P12ihipStream_tbENKUlT_T0_E_clISt17integral_constantIbLb1EESV_IbLb0EEEEDaSR_SS_EUlSR_E_NS1_11comp_targetILNS1_3genE10ELNS1_11target_archE1200ELNS1_3gpuE4ELNS1_3repE0EEENS1_30default_config_static_selectorELNS0_4arch9wavefront6targetE1EEEvT1_.uses_vcc, 0
	.set _ZN7rocprim17ROCPRIM_400000_NS6detail17trampoline_kernelINS0_14default_configENS1_20scan_config_selectorIdEEZZNS1_9scan_implILNS1_25lookback_scan_determinismE0ELb0ELb0ES3_PKdPddZZZN2at6native31launch_logcumsumexp_cuda_kernelERKNSB_10TensorBaseESF_lENKUlvE_clEvENKUlvE_clEvEUlddE_dEEDaPvRmT3_T4_T5_mT6_P12ihipStream_tbENKUlT_T0_E_clISt17integral_constantIbLb1EESV_IbLb0EEEEDaSR_SS_EUlSR_E_NS1_11comp_targetILNS1_3genE10ELNS1_11target_archE1200ELNS1_3gpuE4ELNS1_3repE0EEENS1_30default_config_static_selectorELNS0_4arch9wavefront6targetE1EEEvT1_.uses_flat_scratch, 0
	.set _ZN7rocprim17ROCPRIM_400000_NS6detail17trampoline_kernelINS0_14default_configENS1_20scan_config_selectorIdEEZZNS1_9scan_implILNS1_25lookback_scan_determinismE0ELb0ELb0ES3_PKdPddZZZN2at6native31launch_logcumsumexp_cuda_kernelERKNSB_10TensorBaseESF_lENKUlvE_clEvENKUlvE_clEvEUlddE_dEEDaPvRmT3_T4_T5_mT6_P12ihipStream_tbENKUlT_T0_E_clISt17integral_constantIbLb1EESV_IbLb0EEEEDaSR_SS_EUlSR_E_NS1_11comp_targetILNS1_3genE10ELNS1_11target_archE1200ELNS1_3gpuE4ELNS1_3repE0EEENS1_30default_config_static_selectorELNS0_4arch9wavefront6targetE1EEEvT1_.has_dyn_sized_stack, 0
	.set _ZN7rocprim17ROCPRIM_400000_NS6detail17trampoline_kernelINS0_14default_configENS1_20scan_config_selectorIdEEZZNS1_9scan_implILNS1_25lookback_scan_determinismE0ELb0ELb0ES3_PKdPddZZZN2at6native31launch_logcumsumexp_cuda_kernelERKNSB_10TensorBaseESF_lENKUlvE_clEvENKUlvE_clEvEUlddE_dEEDaPvRmT3_T4_T5_mT6_P12ihipStream_tbENKUlT_T0_E_clISt17integral_constantIbLb1EESV_IbLb0EEEEDaSR_SS_EUlSR_E_NS1_11comp_targetILNS1_3genE10ELNS1_11target_archE1200ELNS1_3gpuE4ELNS1_3repE0EEENS1_30default_config_static_selectorELNS0_4arch9wavefront6targetE1EEEvT1_.has_recursion, 0
	.set _ZN7rocprim17ROCPRIM_400000_NS6detail17trampoline_kernelINS0_14default_configENS1_20scan_config_selectorIdEEZZNS1_9scan_implILNS1_25lookback_scan_determinismE0ELb0ELb0ES3_PKdPddZZZN2at6native31launch_logcumsumexp_cuda_kernelERKNSB_10TensorBaseESF_lENKUlvE_clEvENKUlvE_clEvEUlddE_dEEDaPvRmT3_T4_T5_mT6_P12ihipStream_tbENKUlT_T0_E_clISt17integral_constantIbLb1EESV_IbLb0EEEEDaSR_SS_EUlSR_E_NS1_11comp_targetILNS1_3genE10ELNS1_11target_archE1200ELNS1_3gpuE4ELNS1_3repE0EEENS1_30default_config_static_selectorELNS0_4arch9wavefront6targetE1EEEvT1_.has_indirect_call, 0
	.section	.AMDGPU.csdata,"",@progbits
; Kernel info:
; codeLenInByte = 0
; TotalNumSgprs: 6
; NumVgprs: 0
; NumAgprs: 0
; TotalNumVgprs: 0
; ScratchSize: 0
; MemoryBound: 0
; FloatMode: 240
; IeeeMode: 1
; LDSByteSize: 0 bytes/workgroup (compile time only)
; SGPRBlocks: 0
; VGPRBlocks: 0
; NumSGPRsForWavesPerEU: 6
; NumVGPRsForWavesPerEU: 1
; AccumOffset: 4
; Occupancy: 8
; WaveLimiterHint : 0
; COMPUTE_PGM_RSRC2:SCRATCH_EN: 0
; COMPUTE_PGM_RSRC2:USER_SGPR: 2
; COMPUTE_PGM_RSRC2:TRAP_HANDLER: 0
; COMPUTE_PGM_RSRC2:TGID_X_EN: 1
; COMPUTE_PGM_RSRC2:TGID_Y_EN: 0
; COMPUTE_PGM_RSRC2:TGID_Z_EN: 0
; COMPUTE_PGM_RSRC2:TIDIG_COMP_CNT: 0
; COMPUTE_PGM_RSRC3_GFX90A:ACCUM_OFFSET: 0
; COMPUTE_PGM_RSRC3_GFX90A:TG_SPLIT: 0
	.section	.text._ZN7rocprim17ROCPRIM_400000_NS6detail17trampoline_kernelINS0_14default_configENS1_20scan_config_selectorIdEEZZNS1_9scan_implILNS1_25lookback_scan_determinismE0ELb0ELb0ES3_PKdPddZZZN2at6native31launch_logcumsumexp_cuda_kernelERKNSB_10TensorBaseESF_lENKUlvE_clEvENKUlvE_clEvEUlddE_dEEDaPvRmT3_T4_T5_mT6_P12ihipStream_tbENKUlT_T0_E_clISt17integral_constantIbLb1EESV_IbLb0EEEEDaSR_SS_EUlSR_E_NS1_11comp_targetILNS1_3genE9ELNS1_11target_archE1100ELNS1_3gpuE3ELNS1_3repE0EEENS1_30default_config_static_selectorELNS0_4arch9wavefront6targetE1EEEvT1_,"axG",@progbits,_ZN7rocprim17ROCPRIM_400000_NS6detail17trampoline_kernelINS0_14default_configENS1_20scan_config_selectorIdEEZZNS1_9scan_implILNS1_25lookback_scan_determinismE0ELb0ELb0ES3_PKdPddZZZN2at6native31launch_logcumsumexp_cuda_kernelERKNSB_10TensorBaseESF_lENKUlvE_clEvENKUlvE_clEvEUlddE_dEEDaPvRmT3_T4_T5_mT6_P12ihipStream_tbENKUlT_T0_E_clISt17integral_constantIbLb1EESV_IbLb0EEEEDaSR_SS_EUlSR_E_NS1_11comp_targetILNS1_3genE9ELNS1_11target_archE1100ELNS1_3gpuE3ELNS1_3repE0EEENS1_30default_config_static_selectorELNS0_4arch9wavefront6targetE1EEEvT1_,comdat
	.globl	_ZN7rocprim17ROCPRIM_400000_NS6detail17trampoline_kernelINS0_14default_configENS1_20scan_config_selectorIdEEZZNS1_9scan_implILNS1_25lookback_scan_determinismE0ELb0ELb0ES3_PKdPddZZZN2at6native31launch_logcumsumexp_cuda_kernelERKNSB_10TensorBaseESF_lENKUlvE_clEvENKUlvE_clEvEUlddE_dEEDaPvRmT3_T4_T5_mT6_P12ihipStream_tbENKUlT_T0_E_clISt17integral_constantIbLb1EESV_IbLb0EEEEDaSR_SS_EUlSR_E_NS1_11comp_targetILNS1_3genE9ELNS1_11target_archE1100ELNS1_3gpuE3ELNS1_3repE0EEENS1_30default_config_static_selectorELNS0_4arch9wavefront6targetE1EEEvT1_ ; -- Begin function _ZN7rocprim17ROCPRIM_400000_NS6detail17trampoline_kernelINS0_14default_configENS1_20scan_config_selectorIdEEZZNS1_9scan_implILNS1_25lookback_scan_determinismE0ELb0ELb0ES3_PKdPddZZZN2at6native31launch_logcumsumexp_cuda_kernelERKNSB_10TensorBaseESF_lENKUlvE_clEvENKUlvE_clEvEUlddE_dEEDaPvRmT3_T4_T5_mT6_P12ihipStream_tbENKUlT_T0_E_clISt17integral_constantIbLb1EESV_IbLb0EEEEDaSR_SS_EUlSR_E_NS1_11comp_targetILNS1_3genE9ELNS1_11target_archE1100ELNS1_3gpuE3ELNS1_3repE0EEENS1_30default_config_static_selectorELNS0_4arch9wavefront6targetE1EEEvT1_
	.p2align	8
	.type	_ZN7rocprim17ROCPRIM_400000_NS6detail17trampoline_kernelINS0_14default_configENS1_20scan_config_selectorIdEEZZNS1_9scan_implILNS1_25lookback_scan_determinismE0ELb0ELb0ES3_PKdPddZZZN2at6native31launch_logcumsumexp_cuda_kernelERKNSB_10TensorBaseESF_lENKUlvE_clEvENKUlvE_clEvEUlddE_dEEDaPvRmT3_T4_T5_mT6_P12ihipStream_tbENKUlT_T0_E_clISt17integral_constantIbLb1EESV_IbLb0EEEEDaSR_SS_EUlSR_E_NS1_11comp_targetILNS1_3genE9ELNS1_11target_archE1100ELNS1_3gpuE3ELNS1_3repE0EEENS1_30default_config_static_selectorELNS0_4arch9wavefront6targetE1EEEvT1_,@function
_ZN7rocprim17ROCPRIM_400000_NS6detail17trampoline_kernelINS0_14default_configENS1_20scan_config_selectorIdEEZZNS1_9scan_implILNS1_25lookback_scan_determinismE0ELb0ELb0ES3_PKdPddZZZN2at6native31launch_logcumsumexp_cuda_kernelERKNSB_10TensorBaseESF_lENKUlvE_clEvENKUlvE_clEvEUlddE_dEEDaPvRmT3_T4_T5_mT6_P12ihipStream_tbENKUlT_T0_E_clISt17integral_constantIbLb1EESV_IbLb0EEEEDaSR_SS_EUlSR_E_NS1_11comp_targetILNS1_3genE9ELNS1_11target_archE1100ELNS1_3gpuE3ELNS1_3repE0EEENS1_30default_config_static_selectorELNS0_4arch9wavefront6targetE1EEEvT1_: ; @_ZN7rocprim17ROCPRIM_400000_NS6detail17trampoline_kernelINS0_14default_configENS1_20scan_config_selectorIdEEZZNS1_9scan_implILNS1_25lookback_scan_determinismE0ELb0ELb0ES3_PKdPddZZZN2at6native31launch_logcumsumexp_cuda_kernelERKNSB_10TensorBaseESF_lENKUlvE_clEvENKUlvE_clEvEUlddE_dEEDaPvRmT3_T4_T5_mT6_P12ihipStream_tbENKUlT_T0_E_clISt17integral_constantIbLb1EESV_IbLb0EEEEDaSR_SS_EUlSR_E_NS1_11comp_targetILNS1_3genE9ELNS1_11target_archE1100ELNS1_3gpuE3ELNS1_3repE0EEENS1_30default_config_static_selectorELNS0_4arch9wavefront6targetE1EEEvT1_
; %bb.0:
	.section	.rodata,"a",@progbits
	.p2align	6, 0x0
	.amdhsa_kernel _ZN7rocprim17ROCPRIM_400000_NS6detail17trampoline_kernelINS0_14default_configENS1_20scan_config_selectorIdEEZZNS1_9scan_implILNS1_25lookback_scan_determinismE0ELb0ELb0ES3_PKdPddZZZN2at6native31launch_logcumsumexp_cuda_kernelERKNSB_10TensorBaseESF_lENKUlvE_clEvENKUlvE_clEvEUlddE_dEEDaPvRmT3_T4_T5_mT6_P12ihipStream_tbENKUlT_T0_E_clISt17integral_constantIbLb1EESV_IbLb0EEEEDaSR_SS_EUlSR_E_NS1_11comp_targetILNS1_3genE9ELNS1_11target_archE1100ELNS1_3gpuE3ELNS1_3repE0EEENS1_30default_config_static_selectorELNS0_4arch9wavefront6targetE1EEEvT1_
		.amdhsa_group_segment_fixed_size 0
		.amdhsa_private_segment_fixed_size 0
		.amdhsa_kernarg_size 104
		.amdhsa_user_sgpr_count 2
		.amdhsa_user_sgpr_dispatch_ptr 0
		.amdhsa_user_sgpr_queue_ptr 0
		.amdhsa_user_sgpr_kernarg_segment_ptr 1
		.amdhsa_user_sgpr_dispatch_id 0
		.amdhsa_user_sgpr_kernarg_preload_length 0
		.amdhsa_user_sgpr_kernarg_preload_offset 0
		.amdhsa_user_sgpr_private_segment_size 0
		.amdhsa_uses_dynamic_stack 0
		.amdhsa_enable_private_segment 0
		.amdhsa_system_sgpr_workgroup_id_x 1
		.amdhsa_system_sgpr_workgroup_id_y 0
		.amdhsa_system_sgpr_workgroup_id_z 0
		.amdhsa_system_sgpr_workgroup_info 0
		.amdhsa_system_vgpr_workitem_id 0
		.amdhsa_next_free_vgpr 1
		.amdhsa_next_free_sgpr 0
		.amdhsa_accum_offset 4
		.amdhsa_reserve_vcc 0
		.amdhsa_float_round_mode_32 0
		.amdhsa_float_round_mode_16_64 0
		.amdhsa_float_denorm_mode_32 3
		.amdhsa_float_denorm_mode_16_64 3
		.amdhsa_dx10_clamp 1
		.amdhsa_ieee_mode 1
		.amdhsa_fp16_overflow 0
		.amdhsa_tg_split 0
		.amdhsa_exception_fp_ieee_invalid_op 0
		.amdhsa_exception_fp_denorm_src 0
		.amdhsa_exception_fp_ieee_div_zero 0
		.amdhsa_exception_fp_ieee_overflow 0
		.amdhsa_exception_fp_ieee_underflow 0
		.amdhsa_exception_fp_ieee_inexact 0
		.amdhsa_exception_int_div_zero 0
	.end_amdhsa_kernel
	.section	.text._ZN7rocprim17ROCPRIM_400000_NS6detail17trampoline_kernelINS0_14default_configENS1_20scan_config_selectorIdEEZZNS1_9scan_implILNS1_25lookback_scan_determinismE0ELb0ELb0ES3_PKdPddZZZN2at6native31launch_logcumsumexp_cuda_kernelERKNSB_10TensorBaseESF_lENKUlvE_clEvENKUlvE_clEvEUlddE_dEEDaPvRmT3_T4_T5_mT6_P12ihipStream_tbENKUlT_T0_E_clISt17integral_constantIbLb1EESV_IbLb0EEEEDaSR_SS_EUlSR_E_NS1_11comp_targetILNS1_3genE9ELNS1_11target_archE1100ELNS1_3gpuE3ELNS1_3repE0EEENS1_30default_config_static_selectorELNS0_4arch9wavefront6targetE1EEEvT1_,"axG",@progbits,_ZN7rocprim17ROCPRIM_400000_NS6detail17trampoline_kernelINS0_14default_configENS1_20scan_config_selectorIdEEZZNS1_9scan_implILNS1_25lookback_scan_determinismE0ELb0ELb0ES3_PKdPddZZZN2at6native31launch_logcumsumexp_cuda_kernelERKNSB_10TensorBaseESF_lENKUlvE_clEvENKUlvE_clEvEUlddE_dEEDaPvRmT3_T4_T5_mT6_P12ihipStream_tbENKUlT_T0_E_clISt17integral_constantIbLb1EESV_IbLb0EEEEDaSR_SS_EUlSR_E_NS1_11comp_targetILNS1_3genE9ELNS1_11target_archE1100ELNS1_3gpuE3ELNS1_3repE0EEENS1_30default_config_static_selectorELNS0_4arch9wavefront6targetE1EEEvT1_,comdat
.Lfunc_end54:
	.size	_ZN7rocprim17ROCPRIM_400000_NS6detail17trampoline_kernelINS0_14default_configENS1_20scan_config_selectorIdEEZZNS1_9scan_implILNS1_25lookback_scan_determinismE0ELb0ELb0ES3_PKdPddZZZN2at6native31launch_logcumsumexp_cuda_kernelERKNSB_10TensorBaseESF_lENKUlvE_clEvENKUlvE_clEvEUlddE_dEEDaPvRmT3_T4_T5_mT6_P12ihipStream_tbENKUlT_T0_E_clISt17integral_constantIbLb1EESV_IbLb0EEEEDaSR_SS_EUlSR_E_NS1_11comp_targetILNS1_3genE9ELNS1_11target_archE1100ELNS1_3gpuE3ELNS1_3repE0EEENS1_30default_config_static_selectorELNS0_4arch9wavefront6targetE1EEEvT1_, .Lfunc_end54-_ZN7rocprim17ROCPRIM_400000_NS6detail17trampoline_kernelINS0_14default_configENS1_20scan_config_selectorIdEEZZNS1_9scan_implILNS1_25lookback_scan_determinismE0ELb0ELb0ES3_PKdPddZZZN2at6native31launch_logcumsumexp_cuda_kernelERKNSB_10TensorBaseESF_lENKUlvE_clEvENKUlvE_clEvEUlddE_dEEDaPvRmT3_T4_T5_mT6_P12ihipStream_tbENKUlT_T0_E_clISt17integral_constantIbLb1EESV_IbLb0EEEEDaSR_SS_EUlSR_E_NS1_11comp_targetILNS1_3genE9ELNS1_11target_archE1100ELNS1_3gpuE3ELNS1_3repE0EEENS1_30default_config_static_selectorELNS0_4arch9wavefront6targetE1EEEvT1_
                                        ; -- End function
	.set _ZN7rocprim17ROCPRIM_400000_NS6detail17trampoline_kernelINS0_14default_configENS1_20scan_config_selectorIdEEZZNS1_9scan_implILNS1_25lookback_scan_determinismE0ELb0ELb0ES3_PKdPddZZZN2at6native31launch_logcumsumexp_cuda_kernelERKNSB_10TensorBaseESF_lENKUlvE_clEvENKUlvE_clEvEUlddE_dEEDaPvRmT3_T4_T5_mT6_P12ihipStream_tbENKUlT_T0_E_clISt17integral_constantIbLb1EESV_IbLb0EEEEDaSR_SS_EUlSR_E_NS1_11comp_targetILNS1_3genE9ELNS1_11target_archE1100ELNS1_3gpuE3ELNS1_3repE0EEENS1_30default_config_static_selectorELNS0_4arch9wavefront6targetE1EEEvT1_.num_vgpr, 0
	.set _ZN7rocprim17ROCPRIM_400000_NS6detail17trampoline_kernelINS0_14default_configENS1_20scan_config_selectorIdEEZZNS1_9scan_implILNS1_25lookback_scan_determinismE0ELb0ELb0ES3_PKdPddZZZN2at6native31launch_logcumsumexp_cuda_kernelERKNSB_10TensorBaseESF_lENKUlvE_clEvENKUlvE_clEvEUlddE_dEEDaPvRmT3_T4_T5_mT6_P12ihipStream_tbENKUlT_T0_E_clISt17integral_constantIbLb1EESV_IbLb0EEEEDaSR_SS_EUlSR_E_NS1_11comp_targetILNS1_3genE9ELNS1_11target_archE1100ELNS1_3gpuE3ELNS1_3repE0EEENS1_30default_config_static_selectorELNS0_4arch9wavefront6targetE1EEEvT1_.num_agpr, 0
	.set _ZN7rocprim17ROCPRIM_400000_NS6detail17trampoline_kernelINS0_14default_configENS1_20scan_config_selectorIdEEZZNS1_9scan_implILNS1_25lookback_scan_determinismE0ELb0ELb0ES3_PKdPddZZZN2at6native31launch_logcumsumexp_cuda_kernelERKNSB_10TensorBaseESF_lENKUlvE_clEvENKUlvE_clEvEUlddE_dEEDaPvRmT3_T4_T5_mT6_P12ihipStream_tbENKUlT_T0_E_clISt17integral_constantIbLb1EESV_IbLb0EEEEDaSR_SS_EUlSR_E_NS1_11comp_targetILNS1_3genE9ELNS1_11target_archE1100ELNS1_3gpuE3ELNS1_3repE0EEENS1_30default_config_static_selectorELNS0_4arch9wavefront6targetE1EEEvT1_.numbered_sgpr, 0
	.set _ZN7rocprim17ROCPRIM_400000_NS6detail17trampoline_kernelINS0_14default_configENS1_20scan_config_selectorIdEEZZNS1_9scan_implILNS1_25lookback_scan_determinismE0ELb0ELb0ES3_PKdPddZZZN2at6native31launch_logcumsumexp_cuda_kernelERKNSB_10TensorBaseESF_lENKUlvE_clEvENKUlvE_clEvEUlddE_dEEDaPvRmT3_T4_T5_mT6_P12ihipStream_tbENKUlT_T0_E_clISt17integral_constantIbLb1EESV_IbLb0EEEEDaSR_SS_EUlSR_E_NS1_11comp_targetILNS1_3genE9ELNS1_11target_archE1100ELNS1_3gpuE3ELNS1_3repE0EEENS1_30default_config_static_selectorELNS0_4arch9wavefront6targetE1EEEvT1_.num_named_barrier, 0
	.set _ZN7rocprim17ROCPRIM_400000_NS6detail17trampoline_kernelINS0_14default_configENS1_20scan_config_selectorIdEEZZNS1_9scan_implILNS1_25lookback_scan_determinismE0ELb0ELb0ES3_PKdPddZZZN2at6native31launch_logcumsumexp_cuda_kernelERKNSB_10TensorBaseESF_lENKUlvE_clEvENKUlvE_clEvEUlddE_dEEDaPvRmT3_T4_T5_mT6_P12ihipStream_tbENKUlT_T0_E_clISt17integral_constantIbLb1EESV_IbLb0EEEEDaSR_SS_EUlSR_E_NS1_11comp_targetILNS1_3genE9ELNS1_11target_archE1100ELNS1_3gpuE3ELNS1_3repE0EEENS1_30default_config_static_selectorELNS0_4arch9wavefront6targetE1EEEvT1_.private_seg_size, 0
	.set _ZN7rocprim17ROCPRIM_400000_NS6detail17trampoline_kernelINS0_14default_configENS1_20scan_config_selectorIdEEZZNS1_9scan_implILNS1_25lookback_scan_determinismE0ELb0ELb0ES3_PKdPddZZZN2at6native31launch_logcumsumexp_cuda_kernelERKNSB_10TensorBaseESF_lENKUlvE_clEvENKUlvE_clEvEUlddE_dEEDaPvRmT3_T4_T5_mT6_P12ihipStream_tbENKUlT_T0_E_clISt17integral_constantIbLb1EESV_IbLb0EEEEDaSR_SS_EUlSR_E_NS1_11comp_targetILNS1_3genE9ELNS1_11target_archE1100ELNS1_3gpuE3ELNS1_3repE0EEENS1_30default_config_static_selectorELNS0_4arch9wavefront6targetE1EEEvT1_.uses_vcc, 0
	.set _ZN7rocprim17ROCPRIM_400000_NS6detail17trampoline_kernelINS0_14default_configENS1_20scan_config_selectorIdEEZZNS1_9scan_implILNS1_25lookback_scan_determinismE0ELb0ELb0ES3_PKdPddZZZN2at6native31launch_logcumsumexp_cuda_kernelERKNSB_10TensorBaseESF_lENKUlvE_clEvENKUlvE_clEvEUlddE_dEEDaPvRmT3_T4_T5_mT6_P12ihipStream_tbENKUlT_T0_E_clISt17integral_constantIbLb1EESV_IbLb0EEEEDaSR_SS_EUlSR_E_NS1_11comp_targetILNS1_3genE9ELNS1_11target_archE1100ELNS1_3gpuE3ELNS1_3repE0EEENS1_30default_config_static_selectorELNS0_4arch9wavefront6targetE1EEEvT1_.uses_flat_scratch, 0
	.set _ZN7rocprim17ROCPRIM_400000_NS6detail17trampoline_kernelINS0_14default_configENS1_20scan_config_selectorIdEEZZNS1_9scan_implILNS1_25lookback_scan_determinismE0ELb0ELb0ES3_PKdPddZZZN2at6native31launch_logcumsumexp_cuda_kernelERKNSB_10TensorBaseESF_lENKUlvE_clEvENKUlvE_clEvEUlddE_dEEDaPvRmT3_T4_T5_mT6_P12ihipStream_tbENKUlT_T0_E_clISt17integral_constantIbLb1EESV_IbLb0EEEEDaSR_SS_EUlSR_E_NS1_11comp_targetILNS1_3genE9ELNS1_11target_archE1100ELNS1_3gpuE3ELNS1_3repE0EEENS1_30default_config_static_selectorELNS0_4arch9wavefront6targetE1EEEvT1_.has_dyn_sized_stack, 0
	.set _ZN7rocprim17ROCPRIM_400000_NS6detail17trampoline_kernelINS0_14default_configENS1_20scan_config_selectorIdEEZZNS1_9scan_implILNS1_25lookback_scan_determinismE0ELb0ELb0ES3_PKdPddZZZN2at6native31launch_logcumsumexp_cuda_kernelERKNSB_10TensorBaseESF_lENKUlvE_clEvENKUlvE_clEvEUlddE_dEEDaPvRmT3_T4_T5_mT6_P12ihipStream_tbENKUlT_T0_E_clISt17integral_constantIbLb1EESV_IbLb0EEEEDaSR_SS_EUlSR_E_NS1_11comp_targetILNS1_3genE9ELNS1_11target_archE1100ELNS1_3gpuE3ELNS1_3repE0EEENS1_30default_config_static_selectorELNS0_4arch9wavefront6targetE1EEEvT1_.has_recursion, 0
	.set _ZN7rocprim17ROCPRIM_400000_NS6detail17trampoline_kernelINS0_14default_configENS1_20scan_config_selectorIdEEZZNS1_9scan_implILNS1_25lookback_scan_determinismE0ELb0ELb0ES3_PKdPddZZZN2at6native31launch_logcumsumexp_cuda_kernelERKNSB_10TensorBaseESF_lENKUlvE_clEvENKUlvE_clEvEUlddE_dEEDaPvRmT3_T4_T5_mT6_P12ihipStream_tbENKUlT_T0_E_clISt17integral_constantIbLb1EESV_IbLb0EEEEDaSR_SS_EUlSR_E_NS1_11comp_targetILNS1_3genE9ELNS1_11target_archE1100ELNS1_3gpuE3ELNS1_3repE0EEENS1_30default_config_static_selectorELNS0_4arch9wavefront6targetE1EEEvT1_.has_indirect_call, 0
	.section	.AMDGPU.csdata,"",@progbits
; Kernel info:
; codeLenInByte = 0
; TotalNumSgprs: 6
; NumVgprs: 0
; NumAgprs: 0
; TotalNumVgprs: 0
; ScratchSize: 0
; MemoryBound: 0
; FloatMode: 240
; IeeeMode: 1
; LDSByteSize: 0 bytes/workgroup (compile time only)
; SGPRBlocks: 0
; VGPRBlocks: 0
; NumSGPRsForWavesPerEU: 6
; NumVGPRsForWavesPerEU: 1
; AccumOffset: 4
; Occupancy: 8
; WaveLimiterHint : 0
; COMPUTE_PGM_RSRC2:SCRATCH_EN: 0
; COMPUTE_PGM_RSRC2:USER_SGPR: 2
; COMPUTE_PGM_RSRC2:TRAP_HANDLER: 0
; COMPUTE_PGM_RSRC2:TGID_X_EN: 1
; COMPUTE_PGM_RSRC2:TGID_Y_EN: 0
; COMPUTE_PGM_RSRC2:TGID_Z_EN: 0
; COMPUTE_PGM_RSRC2:TIDIG_COMP_CNT: 0
; COMPUTE_PGM_RSRC3_GFX90A:ACCUM_OFFSET: 0
; COMPUTE_PGM_RSRC3_GFX90A:TG_SPLIT: 0
	.section	.text._ZN7rocprim17ROCPRIM_400000_NS6detail17trampoline_kernelINS0_14default_configENS1_20scan_config_selectorIdEEZZNS1_9scan_implILNS1_25lookback_scan_determinismE0ELb0ELb0ES3_PKdPddZZZN2at6native31launch_logcumsumexp_cuda_kernelERKNSB_10TensorBaseESF_lENKUlvE_clEvENKUlvE_clEvEUlddE_dEEDaPvRmT3_T4_T5_mT6_P12ihipStream_tbENKUlT_T0_E_clISt17integral_constantIbLb1EESV_IbLb0EEEEDaSR_SS_EUlSR_E_NS1_11comp_targetILNS1_3genE8ELNS1_11target_archE1030ELNS1_3gpuE2ELNS1_3repE0EEENS1_30default_config_static_selectorELNS0_4arch9wavefront6targetE1EEEvT1_,"axG",@progbits,_ZN7rocprim17ROCPRIM_400000_NS6detail17trampoline_kernelINS0_14default_configENS1_20scan_config_selectorIdEEZZNS1_9scan_implILNS1_25lookback_scan_determinismE0ELb0ELb0ES3_PKdPddZZZN2at6native31launch_logcumsumexp_cuda_kernelERKNSB_10TensorBaseESF_lENKUlvE_clEvENKUlvE_clEvEUlddE_dEEDaPvRmT3_T4_T5_mT6_P12ihipStream_tbENKUlT_T0_E_clISt17integral_constantIbLb1EESV_IbLb0EEEEDaSR_SS_EUlSR_E_NS1_11comp_targetILNS1_3genE8ELNS1_11target_archE1030ELNS1_3gpuE2ELNS1_3repE0EEENS1_30default_config_static_selectorELNS0_4arch9wavefront6targetE1EEEvT1_,comdat
	.globl	_ZN7rocprim17ROCPRIM_400000_NS6detail17trampoline_kernelINS0_14default_configENS1_20scan_config_selectorIdEEZZNS1_9scan_implILNS1_25lookback_scan_determinismE0ELb0ELb0ES3_PKdPddZZZN2at6native31launch_logcumsumexp_cuda_kernelERKNSB_10TensorBaseESF_lENKUlvE_clEvENKUlvE_clEvEUlddE_dEEDaPvRmT3_T4_T5_mT6_P12ihipStream_tbENKUlT_T0_E_clISt17integral_constantIbLb1EESV_IbLb0EEEEDaSR_SS_EUlSR_E_NS1_11comp_targetILNS1_3genE8ELNS1_11target_archE1030ELNS1_3gpuE2ELNS1_3repE0EEENS1_30default_config_static_selectorELNS0_4arch9wavefront6targetE1EEEvT1_ ; -- Begin function _ZN7rocprim17ROCPRIM_400000_NS6detail17trampoline_kernelINS0_14default_configENS1_20scan_config_selectorIdEEZZNS1_9scan_implILNS1_25lookback_scan_determinismE0ELb0ELb0ES3_PKdPddZZZN2at6native31launch_logcumsumexp_cuda_kernelERKNSB_10TensorBaseESF_lENKUlvE_clEvENKUlvE_clEvEUlddE_dEEDaPvRmT3_T4_T5_mT6_P12ihipStream_tbENKUlT_T0_E_clISt17integral_constantIbLb1EESV_IbLb0EEEEDaSR_SS_EUlSR_E_NS1_11comp_targetILNS1_3genE8ELNS1_11target_archE1030ELNS1_3gpuE2ELNS1_3repE0EEENS1_30default_config_static_selectorELNS0_4arch9wavefront6targetE1EEEvT1_
	.p2align	8
	.type	_ZN7rocprim17ROCPRIM_400000_NS6detail17trampoline_kernelINS0_14default_configENS1_20scan_config_selectorIdEEZZNS1_9scan_implILNS1_25lookback_scan_determinismE0ELb0ELb0ES3_PKdPddZZZN2at6native31launch_logcumsumexp_cuda_kernelERKNSB_10TensorBaseESF_lENKUlvE_clEvENKUlvE_clEvEUlddE_dEEDaPvRmT3_T4_T5_mT6_P12ihipStream_tbENKUlT_T0_E_clISt17integral_constantIbLb1EESV_IbLb0EEEEDaSR_SS_EUlSR_E_NS1_11comp_targetILNS1_3genE8ELNS1_11target_archE1030ELNS1_3gpuE2ELNS1_3repE0EEENS1_30default_config_static_selectorELNS0_4arch9wavefront6targetE1EEEvT1_,@function
_ZN7rocprim17ROCPRIM_400000_NS6detail17trampoline_kernelINS0_14default_configENS1_20scan_config_selectorIdEEZZNS1_9scan_implILNS1_25lookback_scan_determinismE0ELb0ELb0ES3_PKdPddZZZN2at6native31launch_logcumsumexp_cuda_kernelERKNSB_10TensorBaseESF_lENKUlvE_clEvENKUlvE_clEvEUlddE_dEEDaPvRmT3_T4_T5_mT6_P12ihipStream_tbENKUlT_T0_E_clISt17integral_constantIbLb1EESV_IbLb0EEEEDaSR_SS_EUlSR_E_NS1_11comp_targetILNS1_3genE8ELNS1_11target_archE1030ELNS1_3gpuE2ELNS1_3repE0EEENS1_30default_config_static_selectorELNS0_4arch9wavefront6targetE1EEEvT1_: ; @_ZN7rocprim17ROCPRIM_400000_NS6detail17trampoline_kernelINS0_14default_configENS1_20scan_config_selectorIdEEZZNS1_9scan_implILNS1_25lookback_scan_determinismE0ELb0ELb0ES3_PKdPddZZZN2at6native31launch_logcumsumexp_cuda_kernelERKNSB_10TensorBaseESF_lENKUlvE_clEvENKUlvE_clEvEUlddE_dEEDaPvRmT3_T4_T5_mT6_P12ihipStream_tbENKUlT_T0_E_clISt17integral_constantIbLb1EESV_IbLb0EEEEDaSR_SS_EUlSR_E_NS1_11comp_targetILNS1_3genE8ELNS1_11target_archE1030ELNS1_3gpuE2ELNS1_3repE0EEENS1_30default_config_static_selectorELNS0_4arch9wavefront6targetE1EEEvT1_
; %bb.0:
	.section	.rodata,"a",@progbits
	.p2align	6, 0x0
	.amdhsa_kernel _ZN7rocprim17ROCPRIM_400000_NS6detail17trampoline_kernelINS0_14default_configENS1_20scan_config_selectorIdEEZZNS1_9scan_implILNS1_25lookback_scan_determinismE0ELb0ELb0ES3_PKdPddZZZN2at6native31launch_logcumsumexp_cuda_kernelERKNSB_10TensorBaseESF_lENKUlvE_clEvENKUlvE_clEvEUlddE_dEEDaPvRmT3_T4_T5_mT6_P12ihipStream_tbENKUlT_T0_E_clISt17integral_constantIbLb1EESV_IbLb0EEEEDaSR_SS_EUlSR_E_NS1_11comp_targetILNS1_3genE8ELNS1_11target_archE1030ELNS1_3gpuE2ELNS1_3repE0EEENS1_30default_config_static_selectorELNS0_4arch9wavefront6targetE1EEEvT1_
		.amdhsa_group_segment_fixed_size 0
		.amdhsa_private_segment_fixed_size 0
		.amdhsa_kernarg_size 104
		.amdhsa_user_sgpr_count 2
		.amdhsa_user_sgpr_dispatch_ptr 0
		.amdhsa_user_sgpr_queue_ptr 0
		.amdhsa_user_sgpr_kernarg_segment_ptr 1
		.amdhsa_user_sgpr_dispatch_id 0
		.amdhsa_user_sgpr_kernarg_preload_length 0
		.amdhsa_user_sgpr_kernarg_preload_offset 0
		.amdhsa_user_sgpr_private_segment_size 0
		.amdhsa_uses_dynamic_stack 0
		.amdhsa_enable_private_segment 0
		.amdhsa_system_sgpr_workgroup_id_x 1
		.amdhsa_system_sgpr_workgroup_id_y 0
		.amdhsa_system_sgpr_workgroup_id_z 0
		.amdhsa_system_sgpr_workgroup_info 0
		.amdhsa_system_vgpr_workitem_id 0
		.amdhsa_next_free_vgpr 1
		.amdhsa_next_free_sgpr 0
		.amdhsa_accum_offset 4
		.amdhsa_reserve_vcc 0
		.amdhsa_float_round_mode_32 0
		.amdhsa_float_round_mode_16_64 0
		.amdhsa_float_denorm_mode_32 3
		.amdhsa_float_denorm_mode_16_64 3
		.amdhsa_dx10_clamp 1
		.amdhsa_ieee_mode 1
		.amdhsa_fp16_overflow 0
		.amdhsa_tg_split 0
		.amdhsa_exception_fp_ieee_invalid_op 0
		.amdhsa_exception_fp_denorm_src 0
		.amdhsa_exception_fp_ieee_div_zero 0
		.amdhsa_exception_fp_ieee_overflow 0
		.amdhsa_exception_fp_ieee_underflow 0
		.amdhsa_exception_fp_ieee_inexact 0
		.amdhsa_exception_int_div_zero 0
	.end_amdhsa_kernel
	.section	.text._ZN7rocprim17ROCPRIM_400000_NS6detail17trampoline_kernelINS0_14default_configENS1_20scan_config_selectorIdEEZZNS1_9scan_implILNS1_25lookback_scan_determinismE0ELb0ELb0ES3_PKdPddZZZN2at6native31launch_logcumsumexp_cuda_kernelERKNSB_10TensorBaseESF_lENKUlvE_clEvENKUlvE_clEvEUlddE_dEEDaPvRmT3_T4_T5_mT6_P12ihipStream_tbENKUlT_T0_E_clISt17integral_constantIbLb1EESV_IbLb0EEEEDaSR_SS_EUlSR_E_NS1_11comp_targetILNS1_3genE8ELNS1_11target_archE1030ELNS1_3gpuE2ELNS1_3repE0EEENS1_30default_config_static_selectorELNS0_4arch9wavefront6targetE1EEEvT1_,"axG",@progbits,_ZN7rocprim17ROCPRIM_400000_NS6detail17trampoline_kernelINS0_14default_configENS1_20scan_config_selectorIdEEZZNS1_9scan_implILNS1_25lookback_scan_determinismE0ELb0ELb0ES3_PKdPddZZZN2at6native31launch_logcumsumexp_cuda_kernelERKNSB_10TensorBaseESF_lENKUlvE_clEvENKUlvE_clEvEUlddE_dEEDaPvRmT3_T4_T5_mT6_P12ihipStream_tbENKUlT_T0_E_clISt17integral_constantIbLb1EESV_IbLb0EEEEDaSR_SS_EUlSR_E_NS1_11comp_targetILNS1_3genE8ELNS1_11target_archE1030ELNS1_3gpuE2ELNS1_3repE0EEENS1_30default_config_static_selectorELNS0_4arch9wavefront6targetE1EEEvT1_,comdat
.Lfunc_end55:
	.size	_ZN7rocprim17ROCPRIM_400000_NS6detail17trampoline_kernelINS0_14default_configENS1_20scan_config_selectorIdEEZZNS1_9scan_implILNS1_25lookback_scan_determinismE0ELb0ELb0ES3_PKdPddZZZN2at6native31launch_logcumsumexp_cuda_kernelERKNSB_10TensorBaseESF_lENKUlvE_clEvENKUlvE_clEvEUlddE_dEEDaPvRmT3_T4_T5_mT6_P12ihipStream_tbENKUlT_T0_E_clISt17integral_constantIbLb1EESV_IbLb0EEEEDaSR_SS_EUlSR_E_NS1_11comp_targetILNS1_3genE8ELNS1_11target_archE1030ELNS1_3gpuE2ELNS1_3repE0EEENS1_30default_config_static_selectorELNS0_4arch9wavefront6targetE1EEEvT1_, .Lfunc_end55-_ZN7rocprim17ROCPRIM_400000_NS6detail17trampoline_kernelINS0_14default_configENS1_20scan_config_selectorIdEEZZNS1_9scan_implILNS1_25lookback_scan_determinismE0ELb0ELb0ES3_PKdPddZZZN2at6native31launch_logcumsumexp_cuda_kernelERKNSB_10TensorBaseESF_lENKUlvE_clEvENKUlvE_clEvEUlddE_dEEDaPvRmT3_T4_T5_mT6_P12ihipStream_tbENKUlT_T0_E_clISt17integral_constantIbLb1EESV_IbLb0EEEEDaSR_SS_EUlSR_E_NS1_11comp_targetILNS1_3genE8ELNS1_11target_archE1030ELNS1_3gpuE2ELNS1_3repE0EEENS1_30default_config_static_selectorELNS0_4arch9wavefront6targetE1EEEvT1_
                                        ; -- End function
	.set _ZN7rocprim17ROCPRIM_400000_NS6detail17trampoline_kernelINS0_14default_configENS1_20scan_config_selectorIdEEZZNS1_9scan_implILNS1_25lookback_scan_determinismE0ELb0ELb0ES3_PKdPddZZZN2at6native31launch_logcumsumexp_cuda_kernelERKNSB_10TensorBaseESF_lENKUlvE_clEvENKUlvE_clEvEUlddE_dEEDaPvRmT3_T4_T5_mT6_P12ihipStream_tbENKUlT_T0_E_clISt17integral_constantIbLb1EESV_IbLb0EEEEDaSR_SS_EUlSR_E_NS1_11comp_targetILNS1_3genE8ELNS1_11target_archE1030ELNS1_3gpuE2ELNS1_3repE0EEENS1_30default_config_static_selectorELNS0_4arch9wavefront6targetE1EEEvT1_.num_vgpr, 0
	.set _ZN7rocprim17ROCPRIM_400000_NS6detail17trampoline_kernelINS0_14default_configENS1_20scan_config_selectorIdEEZZNS1_9scan_implILNS1_25lookback_scan_determinismE0ELb0ELb0ES3_PKdPddZZZN2at6native31launch_logcumsumexp_cuda_kernelERKNSB_10TensorBaseESF_lENKUlvE_clEvENKUlvE_clEvEUlddE_dEEDaPvRmT3_T4_T5_mT6_P12ihipStream_tbENKUlT_T0_E_clISt17integral_constantIbLb1EESV_IbLb0EEEEDaSR_SS_EUlSR_E_NS1_11comp_targetILNS1_3genE8ELNS1_11target_archE1030ELNS1_3gpuE2ELNS1_3repE0EEENS1_30default_config_static_selectorELNS0_4arch9wavefront6targetE1EEEvT1_.num_agpr, 0
	.set _ZN7rocprim17ROCPRIM_400000_NS6detail17trampoline_kernelINS0_14default_configENS1_20scan_config_selectorIdEEZZNS1_9scan_implILNS1_25lookback_scan_determinismE0ELb0ELb0ES3_PKdPddZZZN2at6native31launch_logcumsumexp_cuda_kernelERKNSB_10TensorBaseESF_lENKUlvE_clEvENKUlvE_clEvEUlddE_dEEDaPvRmT3_T4_T5_mT6_P12ihipStream_tbENKUlT_T0_E_clISt17integral_constantIbLb1EESV_IbLb0EEEEDaSR_SS_EUlSR_E_NS1_11comp_targetILNS1_3genE8ELNS1_11target_archE1030ELNS1_3gpuE2ELNS1_3repE0EEENS1_30default_config_static_selectorELNS0_4arch9wavefront6targetE1EEEvT1_.numbered_sgpr, 0
	.set _ZN7rocprim17ROCPRIM_400000_NS6detail17trampoline_kernelINS0_14default_configENS1_20scan_config_selectorIdEEZZNS1_9scan_implILNS1_25lookback_scan_determinismE0ELb0ELb0ES3_PKdPddZZZN2at6native31launch_logcumsumexp_cuda_kernelERKNSB_10TensorBaseESF_lENKUlvE_clEvENKUlvE_clEvEUlddE_dEEDaPvRmT3_T4_T5_mT6_P12ihipStream_tbENKUlT_T0_E_clISt17integral_constantIbLb1EESV_IbLb0EEEEDaSR_SS_EUlSR_E_NS1_11comp_targetILNS1_3genE8ELNS1_11target_archE1030ELNS1_3gpuE2ELNS1_3repE0EEENS1_30default_config_static_selectorELNS0_4arch9wavefront6targetE1EEEvT1_.num_named_barrier, 0
	.set _ZN7rocprim17ROCPRIM_400000_NS6detail17trampoline_kernelINS0_14default_configENS1_20scan_config_selectorIdEEZZNS1_9scan_implILNS1_25lookback_scan_determinismE0ELb0ELb0ES3_PKdPddZZZN2at6native31launch_logcumsumexp_cuda_kernelERKNSB_10TensorBaseESF_lENKUlvE_clEvENKUlvE_clEvEUlddE_dEEDaPvRmT3_T4_T5_mT6_P12ihipStream_tbENKUlT_T0_E_clISt17integral_constantIbLb1EESV_IbLb0EEEEDaSR_SS_EUlSR_E_NS1_11comp_targetILNS1_3genE8ELNS1_11target_archE1030ELNS1_3gpuE2ELNS1_3repE0EEENS1_30default_config_static_selectorELNS0_4arch9wavefront6targetE1EEEvT1_.private_seg_size, 0
	.set _ZN7rocprim17ROCPRIM_400000_NS6detail17trampoline_kernelINS0_14default_configENS1_20scan_config_selectorIdEEZZNS1_9scan_implILNS1_25lookback_scan_determinismE0ELb0ELb0ES3_PKdPddZZZN2at6native31launch_logcumsumexp_cuda_kernelERKNSB_10TensorBaseESF_lENKUlvE_clEvENKUlvE_clEvEUlddE_dEEDaPvRmT3_T4_T5_mT6_P12ihipStream_tbENKUlT_T0_E_clISt17integral_constantIbLb1EESV_IbLb0EEEEDaSR_SS_EUlSR_E_NS1_11comp_targetILNS1_3genE8ELNS1_11target_archE1030ELNS1_3gpuE2ELNS1_3repE0EEENS1_30default_config_static_selectorELNS0_4arch9wavefront6targetE1EEEvT1_.uses_vcc, 0
	.set _ZN7rocprim17ROCPRIM_400000_NS6detail17trampoline_kernelINS0_14default_configENS1_20scan_config_selectorIdEEZZNS1_9scan_implILNS1_25lookback_scan_determinismE0ELb0ELb0ES3_PKdPddZZZN2at6native31launch_logcumsumexp_cuda_kernelERKNSB_10TensorBaseESF_lENKUlvE_clEvENKUlvE_clEvEUlddE_dEEDaPvRmT3_T4_T5_mT6_P12ihipStream_tbENKUlT_T0_E_clISt17integral_constantIbLb1EESV_IbLb0EEEEDaSR_SS_EUlSR_E_NS1_11comp_targetILNS1_3genE8ELNS1_11target_archE1030ELNS1_3gpuE2ELNS1_3repE0EEENS1_30default_config_static_selectorELNS0_4arch9wavefront6targetE1EEEvT1_.uses_flat_scratch, 0
	.set _ZN7rocprim17ROCPRIM_400000_NS6detail17trampoline_kernelINS0_14default_configENS1_20scan_config_selectorIdEEZZNS1_9scan_implILNS1_25lookback_scan_determinismE0ELb0ELb0ES3_PKdPddZZZN2at6native31launch_logcumsumexp_cuda_kernelERKNSB_10TensorBaseESF_lENKUlvE_clEvENKUlvE_clEvEUlddE_dEEDaPvRmT3_T4_T5_mT6_P12ihipStream_tbENKUlT_T0_E_clISt17integral_constantIbLb1EESV_IbLb0EEEEDaSR_SS_EUlSR_E_NS1_11comp_targetILNS1_3genE8ELNS1_11target_archE1030ELNS1_3gpuE2ELNS1_3repE0EEENS1_30default_config_static_selectorELNS0_4arch9wavefront6targetE1EEEvT1_.has_dyn_sized_stack, 0
	.set _ZN7rocprim17ROCPRIM_400000_NS6detail17trampoline_kernelINS0_14default_configENS1_20scan_config_selectorIdEEZZNS1_9scan_implILNS1_25lookback_scan_determinismE0ELb0ELb0ES3_PKdPddZZZN2at6native31launch_logcumsumexp_cuda_kernelERKNSB_10TensorBaseESF_lENKUlvE_clEvENKUlvE_clEvEUlddE_dEEDaPvRmT3_T4_T5_mT6_P12ihipStream_tbENKUlT_T0_E_clISt17integral_constantIbLb1EESV_IbLb0EEEEDaSR_SS_EUlSR_E_NS1_11comp_targetILNS1_3genE8ELNS1_11target_archE1030ELNS1_3gpuE2ELNS1_3repE0EEENS1_30default_config_static_selectorELNS0_4arch9wavefront6targetE1EEEvT1_.has_recursion, 0
	.set _ZN7rocprim17ROCPRIM_400000_NS6detail17trampoline_kernelINS0_14default_configENS1_20scan_config_selectorIdEEZZNS1_9scan_implILNS1_25lookback_scan_determinismE0ELb0ELb0ES3_PKdPddZZZN2at6native31launch_logcumsumexp_cuda_kernelERKNSB_10TensorBaseESF_lENKUlvE_clEvENKUlvE_clEvEUlddE_dEEDaPvRmT3_T4_T5_mT6_P12ihipStream_tbENKUlT_T0_E_clISt17integral_constantIbLb1EESV_IbLb0EEEEDaSR_SS_EUlSR_E_NS1_11comp_targetILNS1_3genE8ELNS1_11target_archE1030ELNS1_3gpuE2ELNS1_3repE0EEENS1_30default_config_static_selectorELNS0_4arch9wavefront6targetE1EEEvT1_.has_indirect_call, 0
	.section	.AMDGPU.csdata,"",@progbits
; Kernel info:
; codeLenInByte = 0
; TotalNumSgprs: 6
; NumVgprs: 0
; NumAgprs: 0
; TotalNumVgprs: 0
; ScratchSize: 0
; MemoryBound: 0
; FloatMode: 240
; IeeeMode: 1
; LDSByteSize: 0 bytes/workgroup (compile time only)
; SGPRBlocks: 0
; VGPRBlocks: 0
; NumSGPRsForWavesPerEU: 6
; NumVGPRsForWavesPerEU: 1
; AccumOffset: 4
; Occupancy: 8
; WaveLimiterHint : 0
; COMPUTE_PGM_RSRC2:SCRATCH_EN: 0
; COMPUTE_PGM_RSRC2:USER_SGPR: 2
; COMPUTE_PGM_RSRC2:TRAP_HANDLER: 0
; COMPUTE_PGM_RSRC2:TGID_X_EN: 1
; COMPUTE_PGM_RSRC2:TGID_Y_EN: 0
; COMPUTE_PGM_RSRC2:TGID_Z_EN: 0
; COMPUTE_PGM_RSRC2:TIDIG_COMP_CNT: 0
; COMPUTE_PGM_RSRC3_GFX90A:ACCUM_OFFSET: 0
; COMPUTE_PGM_RSRC3_GFX90A:TG_SPLIT: 0
	.section	.text._ZN7rocprim17ROCPRIM_400000_NS6detail17trampoline_kernelINS0_14default_configENS1_20scan_config_selectorIdEEZZNS1_9scan_implILNS1_25lookback_scan_determinismE0ELb0ELb0ES3_PKdPddZZZN2at6native31launch_logcumsumexp_cuda_kernelERKNSB_10TensorBaseESF_lENKUlvE_clEvENKUlvE_clEvEUlddE_dEEDaPvRmT3_T4_T5_mT6_P12ihipStream_tbENKUlT_T0_E_clISt17integral_constantIbLb1EESV_IbLb0EEEEDaSR_SS_EUlSR_E0_NS1_11comp_targetILNS1_3genE0ELNS1_11target_archE4294967295ELNS1_3gpuE0ELNS1_3repE0EEENS1_30default_config_static_selectorELNS0_4arch9wavefront6targetE1EEEvT1_,"axG",@progbits,_ZN7rocprim17ROCPRIM_400000_NS6detail17trampoline_kernelINS0_14default_configENS1_20scan_config_selectorIdEEZZNS1_9scan_implILNS1_25lookback_scan_determinismE0ELb0ELb0ES3_PKdPddZZZN2at6native31launch_logcumsumexp_cuda_kernelERKNSB_10TensorBaseESF_lENKUlvE_clEvENKUlvE_clEvEUlddE_dEEDaPvRmT3_T4_T5_mT6_P12ihipStream_tbENKUlT_T0_E_clISt17integral_constantIbLb1EESV_IbLb0EEEEDaSR_SS_EUlSR_E0_NS1_11comp_targetILNS1_3genE0ELNS1_11target_archE4294967295ELNS1_3gpuE0ELNS1_3repE0EEENS1_30default_config_static_selectorELNS0_4arch9wavefront6targetE1EEEvT1_,comdat
	.globl	_ZN7rocprim17ROCPRIM_400000_NS6detail17trampoline_kernelINS0_14default_configENS1_20scan_config_selectorIdEEZZNS1_9scan_implILNS1_25lookback_scan_determinismE0ELb0ELb0ES3_PKdPddZZZN2at6native31launch_logcumsumexp_cuda_kernelERKNSB_10TensorBaseESF_lENKUlvE_clEvENKUlvE_clEvEUlddE_dEEDaPvRmT3_T4_T5_mT6_P12ihipStream_tbENKUlT_T0_E_clISt17integral_constantIbLb1EESV_IbLb0EEEEDaSR_SS_EUlSR_E0_NS1_11comp_targetILNS1_3genE0ELNS1_11target_archE4294967295ELNS1_3gpuE0ELNS1_3repE0EEENS1_30default_config_static_selectorELNS0_4arch9wavefront6targetE1EEEvT1_ ; -- Begin function _ZN7rocprim17ROCPRIM_400000_NS6detail17trampoline_kernelINS0_14default_configENS1_20scan_config_selectorIdEEZZNS1_9scan_implILNS1_25lookback_scan_determinismE0ELb0ELb0ES3_PKdPddZZZN2at6native31launch_logcumsumexp_cuda_kernelERKNSB_10TensorBaseESF_lENKUlvE_clEvENKUlvE_clEvEUlddE_dEEDaPvRmT3_T4_T5_mT6_P12ihipStream_tbENKUlT_T0_E_clISt17integral_constantIbLb1EESV_IbLb0EEEEDaSR_SS_EUlSR_E0_NS1_11comp_targetILNS1_3genE0ELNS1_11target_archE4294967295ELNS1_3gpuE0ELNS1_3repE0EEENS1_30default_config_static_selectorELNS0_4arch9wavefront6targetE1EEEvT1_
	.p2align	8
	.type	_ZN7rocprim17ROCPRIM_400000_NS6detail17trampoline_kernelINS0_14default_configENS1_20scan_config_selectorIdEEZZNS1_9scan_implILNS1_25lookback_scan_determinismE0ELb0ELb0ES3_PKdPddZZZN2at6native31launch_logcumsumexp_cuda_kernelERKNSB_10TensorBaseESF_lENKUlvE_clEvENKUlvE_clEvEUlddE_dEEDaPvRmT3_T4_T5_mT6_P12ihipStream_tbENKUlT_T0_E_clISt17integral_constantIbLb1EESV_IbLb0EEEEDaSR_SS_EUlSR_E0_NS1_11comp_targetILNS1_3genE0ELNS1_11target_archE4294967295ELNS1_3gpuE0ELNS1_3repE0EEENS1_30default_config_static_selectorELNS0_4arch9wavefront6targetE1EEEvT1_,@function
_ZN7rocprim17ROCPRIM_400000_NS6detail17trampoline_kernelINS0_14default_configENS1_20scan_config_selectorIdEEZZNS1_9scan_implILNS1_25lookback_scan_determinismE0ELb0ELb0ES3_PKdPddZZZN2at6native31launch_logcumsumexp_cuda_kernelERKNSB_10TensorBaseESF_lENKUlvE_clEvENKUlvE_clEvEUlddE_dEEDaPvRmT3_T4_T5_mT6_P12ihipStream_tbENKUlT_T0_E_clISt17integral_constantIbLb1EESV_IbLb0EEEEDaSR_SS_EUlSR_E0_NS1_11comp_targetILNS1_3genE0ELNS1_11target_archE4294967295ELNS1_3gpuE0ELNS1_3repE0EEENS1_30default_config_static_selectorELNS0_4arch9wavefront6targetE1EEEvT1_: ; @_ZN7rocprim17ROCPRIM_400000_NS6detail17trampoline_kernelINS0_14default_configENS1_20scan_config_selectorIdEEZZNS1_9scan_implILNS1_25lookback_scan_determinismE0ELb0ELb0ES3_PKdPddZZZN2at6native31launch_logcumsumexp_cuda_kernelERKNSB_10TensorBaseESF_lENKUlvE_clEvENKUlvE_clEvEUlddE_dEEDaPvRmT3_T4_T5_mT6_P12ihipStream_tbENKUlT_T0_E_clISt17integral_constantIbLb1EESV_IbLb0EEEEDaSR_SS_EUlSR_E0_NS1_11comp_targetILNS1_3genE0ELNS1_11target_archE4294967295ELNS1_3gpuE0ELNS1_3repE0EEENS1_30default_config_static_selectorELNS0_4arch9wavefront6targetE1EEEvT1_
; %bb.0:
	s_load_dwordx4 s[12:15], s[0:1], 0x0
	v_lshlrev_b32_e32 v18, 3, v0
	s_waitcnt lgkmcnt(0)
	s_load_dwordx2 s[10:11], s[12:13], 0x0
	v_cmp_gt_u32_e32 vcc, s14, v0
	s_waitcnt lgkmcnt(0)
	v_mov_b64_e32 v[2:3], s[10:11]
	s_and_saveexec_b64 s[2:3], vcc
	s_cbranch_execz .LBB56_2
; %bb.1:
	global_load_dwordx2 v[2:3], v18, s[12:13]
.LBB56_2:
	s_or_b64 exec, exec, s[2:3]
	v_or_b32_e32 v1, 0x100, v0
	v_cmp_gt_u32_e64 s[20:21], s14, v1
	v_mov_b64_e32 v[4:5], s[10:11]
	s_and_saveexec_b64 s[2:3], s[20:21]
	s_cbranch_execz .LBB56_4
; %bb.3:
	global_load_dwordx2 v[4:5], v18, s[12:13] offset:2048
.LBB56_4:
	s_or_b64 exec, exec, s[2:3]
	v_or_b32_e32 v1, 0x200, v0
	v_cmp_gt_u32_e64 s[2:3], s14, v1
	v_mov_b64_e32 v[6:7], s[10:11]
	s_and_saveexec_b64 s[4:5], s[2:3]
	s_cbranch_execz .LBB56_6
; %bb.5:
	v_lshlrev_b32_e32 v1, 3, v1
	global_load_dwordx2 v[6:7], v1, s[12:13]
.LBB56_6:
	s_or_b64 exec, exec, s[4:5]
	v_or_b32_e32 v1, 0x300, v0
	v_cmp_gt_u32_e64 s[4:5], s14, v1
	v_mov_b64_e32 v[8:9], s[10:11]
	s_and_saveexec_b64 s[6:7], s[4:5]
	s_cbranch_execz .LBB56_8
; %bb.7:
	v_lshlrev_b32_e32 v1, 3, v1
	global_load_dwordx2 v[8:9], v1, s[12:13]
.LBB56_8:
	;; [unrolled: 10-line block ×4, first 2 shown]
	s_or_b64 exec, exec, s[10:11]
	v_mad_u32_u24 v1, v0, 40, v18
	s_waitcnt vmcnt(0)
	ds_write2st64_b64 v18, v[2:3], v[4:5] offset1:4
	ds_write2st64_b64 v18, v[6:7], v[8:9] offset0:8 offset1:12
	ds_write2st64_b64 v18, v[10:11], v[12:13] offset0:16 offset1:20
	s_waitcnt lgkmcnt(0)
	s_barrier
	ds_read_b128 v[2:5], v1
	ds_read_b128 v[10:13], v1 offset:16
	ds_read_b128 v[6:9], v1 offset:32
	s_movk_i32 s26, 0x1f8
	s_waitcnt lgkmcnt(0)
	v_max_f64 v[28:29], v[4:5], v[4:5]
	v_max_f64 v[30:31], v[2:3], v[2:3]
	v_min_f64 v[32:33], v[30:31], v[28:29]
	v_cmp_u_f64_e64 s[22:23], v[2:3], v[2:3]
	v_cmp_u_f64_e64 s[10:11], v[4:5], v[4:5]
	v_max_f64 v[34:35], v[30:31], v[28:29]
	v_cndmask_b32_e64 v1, v32, v2, s[22:23]
	v_cndmask_b32_e64 v14, v33, v3, s[22:23]
	;; [unrolled: 1-line block ×8, first 2 shown]
	v_cmp_neq_f64_e64 s[12:13], v[16:17], v[14:15]
	v_cmp_class_f64_e64 s[14:15], v[16:17], s26
	s_or_b64 s[12:13], s[12:13], s[14:15]
	v_mov_b64_e32 v[36:37], v[2:3]
	s_barrier
	s_and_saveexec_b64 s[16:17], s[12:13]
	s_cbranch_execz .LBB56_14
; %bb.13:
	s_mov_b32 s12, 0x652b82fe
	v_add_f64 v[16:17], v[16:17], -v[14:15]
	s_mov_b32 s13, 0x3ff71547
	v_mul_f64 v[20:21], v[16:17], s[12:13]
	v_rndne_f64_e32 v[20:21], v[20:21]
	s_mov_b32 s19, 0xbfe62e42
	s_mov_b32 s18, 0xfefa39ef
	v_fma_f64 v[22:23], s[18:19], v[20:21], v[16:17]
	s_mov_b32 s25, 0xbc7abc9e
	s_mov_b32 s24, 0x3b39803f
	s_mov_b32 s12, 0x6a5dcb37
	v_fmac_f64_e32 v[22:23], s[24:25], v[20:21]
	v_mov_b32_e32 v24, 0xfca7ab0c
	v_mov_b32_e32 v25, 0x3e928af3
	s_mov_b32 s13, 0x3e5ade15
	v_fmac_f64_e32 v[24:25], s[12:13], v[22:23]
	v_mov_b32_e32 v26, 0x623fde64
	v_mov_b32_e32 v27, 0x3ec71dee
	v_fmac_f64_e32 v[26:27], v[22:23], v[24:25]
	v_mov_b32_e32 v24, 0x7c89e6b0
	v_mov_b32_e32 v25, 0x3efa0199
	;; [unrolled: 3-line block ×8, first 2 shown]
	v_fmac_f64_e32 v[24:25], v[22:23], v[26:27]
	v_fma_f64 v[24:25], v[22:23], v[24:25], 1.0
	s_mov_b32 s12, 0
	s_mov_b32 s14, 0
	v_fma_f64 v[22:23], v[22:23], v[24:25], 1.0
	v_cvt_i32_f64_e32 v1, v[20:21]
	s_mov_b32 s13, 0x40900000
	s_mov_b32 s15, 0xc090cc00
	v_ldexp_f64 v[20:21], v[22:23], v1
	v_mov_b32_e32 v1, 0x7ff00000
	v_cmp_nlt_f64_e64 s[12:13], s[12:13], v[16:17]
	v_cmp_ngt_f64_e64 s[14:15], s[14:15], v[16:17]
	s_mov_b32 s19, 0x3fe62e42
	v_cndmask_b32_e64 v19, v1, v21, s[12:13]
	s_and_b64 s[12:13], s[14:15], s[12:13]
	v_cndmask_b32_e64 v17, 0, v19, s[14:15]
	v_cndmask_b32_e64 v16, 0, v20, s[12:13]
	v_add_f64 v[20:21], v[16:17], 1.0
	v_add_f64 v[22:23], v[20:21], -1.0
	v_add_f64 v[24:25], v[22:23], -v[20:21]
	v_add_f64 v[24:25], v[24:25], 1.0
	v_add_f64 v[22:23], v[16:17], -v[22:23]
	s_mov_b32 s12, 0x55555555
	v_add_f64 v[22:23], v[22:23], v[24:25]
	v_frexp_mant_f64_e32 v[24:25], v[20:21]
	s_mov_b32 s13, 0x3fe55555
	v_frexp_exp_i32_f64_e32 v19, v[20:21]
	v_cmp_gt_f64_e64 s[12:13], s[12:13], v[24:25]
	s_mov_b32 s25, 0x3c7abc9e
	v_cmp_ngt_f64_e64 s[14:15], -1.0, v[16:17]
	v_subbrev_co_u32_e64 v19, s[12:13], 0, v19, s[12:13]
	v_sub_u32_e32 v24, 0, v19
	v_ldexp_f64 v[20:21], v[20:21], v24
	v_ldexp_f64 v[22:23], v[22:23], v24
	v_add_f64 v[24:25], v[20:21], -1.0
	v_add_f64 v[38:39], v[20:21], 1.0
	v_add_f64 v[26:27], v[24:25], 1.0
	v_add_f64 v[40:41], v[38:39], -1.0
	v_add_f64 v[26:27], v[20:21], -v[26:27]
	v_add_f64 v[20:21], v[20:21], -v[40:41]
	v_add_f64 v[20:21], v[22:23], v[20:21]
	v_add_f64 v[26:27], v[22:23], v[26:27]
	;; [unrolled: 1-line block ×3, first 2 shown]
	v_rcp_f64_e32 v[40:41], v[22:23]
	v_add_f64 v[36:37], v[24:25], v[26:27]
	v_add_f64 v[24:25], v[36:37], -v[24:25]
	v_add_f64 v[24:25], v[26:27], -v[24:25]
	;; [unrolled: 1-line block ×4, first 2 shown]
	v_fma_f64 v[26:27], -v[22:23], v[40:41], 1.0
	v_fmac_f64_e32 v[40:41], v[26:27], v[40:41]
	v_fma_f64 v[26:27], -v[22:23], v[40:41], 1.0
	v_fmac_f64_e32 v[40:41], v[26:27], v[40:41]
	v_mul_f64 v[26:27], v[36:37], v[40:41]
	v_mul_f64 v[38:39], v[22:23], v[26:27]
	v_fma_f64 v[42:43], v[26:27], v[22:23], -v[38:39]
	v_fmac_f64_e32 v[42:43], v[26:27], v[20:21]
	v_add_f64 v[44:45], v[38:39], v[42:43]
	v_add_f64 v[46:47], v[36:37], -v[44:45]
	v_add_f64 v[36:37], v[36:37], -v[46:47]
	;; [unrolled: 1-line block ×4, first 2 shown]
	v_add_f64 v[24:25], v[24:25], v[36:37]
	v_add_f64 v[36:37], v[38:39], -v[42:43]
	v_add_f64 v[24:25], v[36:37], v[24:25]
	v_add_f64 v[36:37], v[46:47], v[24:25]
	v_add_f64 v[38:39], v[46:47], -v[36:37]
	v_add_f64 v[24:25], v[24:25], v[38:39]
	v_mul_f64 v[38:39], v[40:41], v[36:37]
	v_mul_f64 v[42:43], v[22:23], v[38:39]
	v_fma_f64 v[22:23], v[38:39], v[22:23], -v[42:43]
	v_fmac_f64_e32 v[22:23], v[38:39], v[20:21]
	v_add_f64 v[20:21], v[42:43], v[22:23]
	v_add_f64 v[44:45], v[36:37], -v[20:21]
	v_add_f64 v[36:37], v[36:37], -v[44:45]
	;; [unrolled: 1-line block ×4, first 2 shown]
	v_add_f64 v[20:21], v[24:25], v[20:21]
	v_add_f64 v[22:23], v[42:43], -v[22:23]
	v_add_f64 v[20:21], v[22:23], v[20:21]
	v_add_f64 v[22:23], v[26:27], v[38:39]
	;; [unrolled: 1-line block ×3, first 2 shown]
	v_add_f64 v[24:25], v[22:23], -v[26:27]
	v_mul_f64 v[20:21], v[40:41], v[20:21]
	v_add_f64 v[24:25], v[38:39], -v[24:25]
	v_add_f64 v[20:21], v[24:25], v[20:21]
	v_add_f64 v[24:25], v[22:23], v[20:21]
	v_add_f64 v[22:23], v[24:25], -v[22:23]
	s_mov_b32 s12, 0xbf559e2b
	v_add_f64 v[20:21], v[20:21], -v[22:23]
	v_mul_f64 v[22:23], v[24:25], v[24:25]
	v_mov_b32_e32 v26, 0x6b47b09a
	v_mov_b32_e32 v27, 0x3fc38538
	s_mov_b32 s13, 0x3fc3ab76
	v_fmac_f64_e32 v[26:27], s[12:13], v[22:23]
	v_mov_b32_e32 v36, 0xd7f4df2e
	v_mov_b32_e32 v37, 0x3fc7474d
	v_fmac_f64_e32 v[36:37], v[22:23], v[26:27]
	v_mov_b32_e32 v26, 0x16291751
	v_mov_b32_e32 v27, 0x3fcc71c0
	;; [unrolled: 3-line block ×5, first 2 shown]
	v_fmac_f64_e32 v[36:37], v[22:23], v[26:27]
	v_cvt_f64_i32_e32 v[26:27], v19
	v_mul_f64 v[38:39], v[26:27], s[18:19]
	v_fma_f64 v[40:41], v[26:27], s[18:19], -v[38:39]
	v_fmac_f64_e32 v[40:41], s[24:25], v[26:27]
	v_add_f64 v[26:27], v[38:39], v[40:41]
	v_add_f64 v[38:39], v[26:27], -v[38:39]
	v_mul_f64 v[22:23], v[24:25], v[22:23]
	v_add_f64 v[38:39], v[40:41], -v[38:39]
	v_ldexp_f64 v[40:41], v[24:25], 1
	v_mul_f64 v[22:23], v[22:23], v[36:37]
	v_add_f64 v[24:25], v[40:41], v[22:23]
	v_add_f64 v[36:37], v[24:25], -v[40:41]
	v_ldexp_f64 v[20:21], v[20:21], 1
	v_add_f64 v[22:23], v[22:23], -v[36:37]
	v_add_f64 v[20:21], v[20:21], v[22:23]
	v_add_f64 v[22:23], v[24:25], v[20:21]
	v_add_f64 v[24:25], v[22:23], -v[24:25]
	v_add_f64 v[20:21], v[20:21], -v[24:25]
	v_add_f64 v[24:25], v[26:27], v[22:23]
	v_add_f64 v[36:37], v[24:25], -v[26:27]
	v_add_f64 v[40:41], v[24:25], -v[36:37]
	;; [unrolled: 1-line block ×4, first 2 shown]
	v_add_f64 v[22:23], v[22:23], v[26:27]
	v_add_f64 v[26:27], v[38:39], v[20:21]
	v_add_f64 v[36:37], v[26:27], -v[38:39]
	v_add_f64 v[22:23], v[26:27], v[22:23]
	v_add_f64 v[40:41], v[26:27], -v[36:37]
	;; [unrolled: 2-line block ×3, first 2 shown]
	v_add_f64 v[20:21], v[20:21], -v[36:37]
	v_add_f64 v[24:25], v[26:27], -v[24:25]
	v_add_f64 v[20:21], v[20:21], v[38:39]
	v_add_f64 v[22:23], v[22:23], -v[24:25]
	s_mov_b32 s12, 0
	v_add_f64 v[20:21], v[20:21], v[22:23]
	s_mov_b32 s13, 0x7ff00000
	v_add_f64 v[20:21], v[26:27], v[20:21]
	v_cmp_neq_f64_e64 s[12:13], s[12:13], v[16:17]
	v_mov_b32_e32 v19, 0x7ff80000
	s_nop 0
	v_cndmask_b32_e64 v1, v1, v21, s[12:13]
	v_cndmask_b32_e64 v1, v19, v1, s[14:15]
	v_cmp_nge_f64_e64 s[14:15], -1.0, v[16:17]
	s_and_b64 s[12:13], s[14:15], s[12:13]
	v_cndmask_b32_e64 v20, 0, v20, s[12:13]
	v_mov_b32_e32 v19, 0xfff00000
	v_cmp_neq_f64_e64 s[12:13], -1.0, v[16:17]
	s_nop 1
	v_cndmask_b32_e64 v21, v19, v1, s[12:13]
	v_add_f64 v[36:37], v[14:15], v[20:21]
.LBB56_14:
	s_or_b64 exec, exec, s[16:17]
	v_max_f64 v[20:21], v[10:11], v[10:11]
	v_max_f64 v[14:15], v[36:37], v[36:37]
	v_min_f64 v[16:17], v[14:15], v[20:21]
	v_cmp_u_f64_e64 s[14:15], v[36:37], v[36:37]
	v_cmp_u_f64_e64 s[12:13], v[10:11], v[10:11]
	v_max_f64 v[14:15], v[14:15], v[20:21]
	v_cndmask_b32_e64 v1, v16, v36, s[14:15]
	v_cndmask_b32_e64 v16, v17, v37, s[14:15]
	;; [unrolled: 1-line block ×8, first 2 shown]
	v_cmp_neq_f64_e64 s[14:15], v[16:17], v[14:15]
	v_cmp_class_f64_e64 s[16:17], v[16:17], s26
	s_or_b64 s[14:15], s[14:15], s[16:17]
	s_and_saveexec_b64 s[18:19], s[14:15]
	s_cbranch_execz .LBB56_16
; %bb.15:
	s_mov_b32 s14, 0x652b82fe
	v_add_f64 v[16:17], v[16:17], -v[14:15]
	s_mov_b32 s15, 0x3ff71547
	v_mul_f64 v[22:23], v[16:17], s[14:15]
	v_rndne_f64_e32 v[22:23], v[22:23]
	s_mov_b32 s25, 0xbfe62e42
	s_mov_b32 s24, 0xfefa39ef
	v_fma_f64 v[24:25], s[24:25], v[22:23], v[16:17]
	s_mov_b32 s27, 0xbc7abc9e
	s_mov_b32 s26, 0x3b39803f
	;; [unrolled: 1-line block ×3, first 2 shown]
	v_fmac_f64_e32 v[24:25], s[26:27], v[22:23]
	v_mov_b32_e32 v26, 0xfca7ab0c
	v_mov_b32_e32 v27, 0x3e928af3
	s_mov_b32 s15, 0x3e5ade15
	v_fmac_f64_e32 v[26:27], s[14:15], v[24:25]
	v_mov_b32_e32 v36, 0x623fde64
	v_mov_b32_e32 v37, 0x3ec71dee
	v_fmac_f64_e32 v[36:37], v[24:25], v[26:27]
	v_mov_b32_e32 v26, 0x7c89e6b0
	v_mov_b32_e32 v27, 0x3efa0199
	;; [unrolled: 3-line block ×8, first 2 shown]
	v_fmac_f64_e32 v[26:27], v[24:25], v[36:37]
	v_fma_f64 v[26:27], v[24:25], v[26:27], 1.0
	s_mov_b32 s14, 0
	s_mov_b32 s16, 0
	v_fma_f64 v[24:25], v[24:25], v[26:27], 1.0
	v_cvt_i32_f64_e32 v1, v[22:23]
	s_mov_b32 s15, 0x40900000
	s_mov_b32 s17, 0xc090cc00
	v_ldexp_f64 v[22:23], v[24:25], v1
	v_mov_b32_e32 v1, 0x7ff00000
	v_cmp_nlt_f64_e64 s[14:15], s[14:15], v[16:17]
	v_cmp_ngt_f64_e64 s[16:17], s[16:17], v[16:17]
	s_mov_b32 s25, 0x3fe62e42
	v_cndmask_b32_e64 v19, v1, v23, s[14:15]
	s_and_b64 s[14:15], s[16:17], s[14:15]
	v_cndmask_b32_e64 v17, 0, v19, s[16:17]
	v_cndmask_b32_e64 v16, 0, v22, s[14:15]
	v_add_f64 v[22:23], v[16:17], 1.0
	v_add_f64 v[24:25], v[22:23], -1.0
	v_add_f64 v[26:27], v[24:25], -v[22:23]
	v_add_f64 v[26:27], v[26:27], 1.0
	v_add_f64 v[24:25], v[16:17], -v[24:25]
	s_mov_b32 s14, 0x55555555
	v_add_f64 v[24:25], v[24:25], v[26:27]
	v_frexp_mant_f64_e32 v[26:27], v[22:23]
	s_mov_b32 s15, 0x3fe55555
	v_frexp_exp_i32_f64_e32 v19, v[22:23]
	v_cmp_gt_f64_e64 s[14:15], s[14:15], v[26:27]
	s_mov_b32 s27, 0x3c7abc9e
	v_cmp_ngt_f64_e64 s[16:17], -1.0, v[16:17]
	v_subbrev_co_u32_e64 v19, s[14:15], 0, v19, s[14:15]
	v_sub_u32_e32 v26, 0, v19
	v_ldexp_f64 v[22:23], v[22:23], v26
	v_ldexp_f64 v[24:25], v[24:25], v26
	v_add_f64 v[26:27], v[22:23], -1.0
	v_add_f64 v[40:41], v[22:23], 1.0
	v_add_f64 v[36:37], v[26:27], 1.0
	v_add_f64 v[42:43], v[40:41], -1.0
	v_add_f64 v[36:37], v[22:23], -v[36:37]
	v_add_f64 v[22:23], v[22:23], -v[42:43]
	v_add_f64 v[22:23], v[24:25], v[22:23]
	v_add_f64 v[36:37], v[24:25], v[36:37]
	;; [unrolled: 1-line block ×3, first 2 shown]
	v_rcp_f64_e32 v[42:43], v[24:25]
	v_add_f64 v[38:39], v[26:27], v[36:37]
	v_add_f64 v[26:27], v[38:39], -v[26:27]
	v_add_f64 v[26:27], v[36:37], -v[26:27]
	;; [unrolled: 1-line block ×4, first 2 shown]
	v_fma_f64 v[36:37], -v[24:25], v[42:43], 1.0
	v_fmac_f64_e32 v[42:43], v[36:37], v[42:43]
	v_fma_f64 v[36:37], -v[24:25], v[42:43], 1.0
	v_fmac_f64_e32 v[42:43], v[36:37], v[42:43]
	v_mul_f64 v[36:37], v[38:39], v[42:43]
	v_mul_f64 v[40:41], v[24:25], v[36:37]
	v_fma_f64 v[44:45], v[36:37], v[24:25], -v[40:41]
	v_fmac_f64_e32 v[44:45], v[36:37], v[22:23]
	v_add_f64 v[46:47], v[40:41], v[44:45]
	v_add_f64 v[48:49], v[38:39], -v[46:47]
	v_add_f64 v[38:39], v[38:39], -v[48:49]
	;; [unrolled: 1-line block ×4, first 2 shown]
	v_add_f64 v[26:27], v[26:27], v[38:39]
	v_add_f64 v[38:39], v[40:41], -v[44:45]
	v_add_f64 v[26:27], v[38:39], v[26:27]
	v_add_f64 v[38:39], v[48:49], v[26:27]
	v_add_f64 v[40:41], v[48:49], -v[38:39]
	v_add_f64 v[26:27], v[26:27], v[40:41]
	v_mul_f64 v[40:41], v[42:43], v[38:39]
	v_mul_f64 v[44:45], v[24:25], v[40:41]
	v_fma_f64 v[24:25], v[40:41], v[24:25], -v[44:45]
	v_fmac_f64_e32 v[24:25], v[40:41], v[22:23]
	v_add_f64 v[22:23], v[44:45], v[24:25]
	v_add_f64 v[46:47], v[38:39], -v[22:23]
	v_add_f64 v[38:39], v[38:39], -v[46:47]
	v_add_f64 v[44:45], v[22:23], -v[44:45]
	v_add_f64 v[22:23], v[38:39], -v[22:23]
	v_add_f64 v[22:23], v[26:27], v[22:23]
	v_add_f64 v[24:25], v[44:45], -v[24:25]
	v_add_f64 v[22:23], v[24:25], v[22:23]
	v_add_f64 v[24:25], v[36:37], v[40:41]
	v_add_f64 v[22:23], v[46:47], v[22:23]
	v_add_f64 v[26:27], v[24:25], -v[36:37]
	v_mul_f64 v[22:23], v[42:43], v[22:23]
	v_add_f64 v[26:27], v[40:41], -v[26:27]
	v_add_f64 v[22:23], v[26:27], v[22:23]
	v_add_f64 v[26:27], v[24:25], v[22:23]
	v_add_f64 v[24:25], v[26:27], -v[24:25]
	s_mov_b32 s14, 0xbf559e2b
	v_add_f64 v[22:23], v[22:23], -v[24:25]
	v_mul_f64 v[24:25], v[26:27], v[26:27]
	v_mov_b32_e32 v36, 0x6b47b09a
	v_mov_b32_e32 v37, 0x3fc38538
	s_mov_b32 s15, 0x3fc3ab76
	v_fmac_f64_e32 v[36:37], s[14:15], v[24:25]
	v_mov_b32_e32 v38, 0xd7f4df2e
	v_mov_b32_e32 v39, 0x3fc7474d
	v_fmac_f64_e32 v[38:39], v[24:25], v[36:37]
	v_mov_b32_e32 v36, 0x16291751
	v_mov_b32_e32 v37, 0x3fcc71c0
	;; [unrolled: 3-line block ×5, first 2 shown]
	v_fmac_f64_e32 v[38:39], v[24:25], v[36:37]
	v_cvt_f64_i32_e32 v[36:37], v19
	v_mul_f64 v[40:41], v[36:37], s[24:25]
	v_fma_f64 v[42:43], v[36:37], s[24:25], -v[40:41]
	v_fmac_f64_e32 v[42:43], s[26:27], v[36:37]
	v_add_f64 v[36:37], v[40:41], v[42:43]
	v_add_f64 v[40:41], v[36:37], -v[40:41]
	v_mul_f64 v[24:25], v[26:27], v[24:25]
	v_add_f64 v[40:41], v[42:43], -v[40:41]
	v_ldexp_f64 v[42:43], v[26:27], 1
	v_mul_f64 v[24:25], v[24:25], v[38:39]
	v_add_f64 v[26:27], v[42:43], v[24:25]
	v_add_f64 v[38:39], v[26:27], -v[42:43]
	v_ldexp_f64 v[22:23], v[22:23], 1
	v_add_f64 v[24:25], v[24:25], -v[38:39]
	v_add_f64 v[22:23], v[22:23], v[24:25]
	v_add_f64 v[24:25], v[26:27], v[22:23]
	v_add_f64 v[26:27], v[24:25], -v[26:27]
	v_add_f64 v[22:23], v[22:23], -v[26:27]
	v_add_f64 v[26:27], v[36:37], v[24:25]
	v_add_f64 v[38:39], v[26:27], -v[36:37]
	v_add_f64 v[42:43], v[26:27], -v[38:39]
	;; [unrolled: 1-line block ×4, first 2 shown]
	v_add_f64 v[24:25], v[24:25], v[36:37]
	v_add_f64 v[36:37], v[40:41], v[22:23]
	v_add_f64 v[38:39], v[36:37], -v[40:41]
	v_add_f64 v[24:25], v[36:37], v[24:25]
	v_add_f64 v[42:43], v[36:37], -v[38:39]
	v_add_f64 v[36:37], v[26:27], v[24:25]
	v_add_f64 v[40:41], v[40:41], -v[42:43]
	v_add_f64 v[22:23], v[22:23], -v[38:39]
	v_add_f64 v[26:27], v[36:37], -v[26:27]
	v_add_f64 v[22:23], v[22:23], v[40:41]
	v_add_f64 v[24:25], v[24:25], -v[26:27]
	s_mov_b32 s14, 0
	v_add_f64 v[22:23], v[22:23], v[24:25]
	s_mov_b32 s15, 0x7ff00000
	v_add_f64 v[22:23], v[36:37], v[22:23]
	v_cmp_neq_f64_e64 s[14:15], s[14:15], v[16:17]
	v_mov_b32_e32 v19, 0x7ff80000
	s_nop 0
	v_cndmask_b32_e64 v1, v1, v23, s[14:15]
	v_cndmask_b32_e64 v1, v19, v1, s[16:17]
	v_cmp_nge_f64_e64 s[16:17], -1.0, v[16:17]
	s_and_b64 s[14:15], s[16:17], s[14:15]
	v_cndmask_b32_e64 v22, 0, v22, s[14:15]
	v_mov_b32_e32 v19, 0xfff00000
	v_cmp_neq_f64_e64 s[14:15], -1.0, v[16:17]
	s_nop 1
	v_cndmask_b32_e64 v23, v19, v1, s[14:15]
	v_add_f64 v[36:37], v[14:15], v[22:23]
.LBB56_16:
	s_or_b64 exec, exec, s[18:19]
	v_max_f64 v[22:23], v[12:13], v[12:13]
	v_max_f64 v[14:15], v[36:37], v[36:37]
	v_min_f64 v[16:17], v[14:15], v[22:23]
	v_cmp_u_f64_e64 s[16:17], v[36:37], v[36:37]
	v_cmp_u_f64_e64 s[14:15], v[12:13], v[12:13]
	v_max_f64 v[14:15], v[14:15], v[22:23]
	v_cndmask_b32_e64 v1, v16, v36, s[16:17]
	v_cndmask_b32_e64 v16, v17, v37, s[16:17]
	;; [unrolled: 1-line block ×8, first 2 shown]
	s_movk_i32 s30, 0x1f8
	v_cmp_neq_f64_e64 s[16:17], v[16:17], v[14:15]
	v_cmp_class_f64_e64 s[18:19], v[16:17], s30
	s_or_b64 s[16:17], s[16:17], s[18:19]
	s_and_saveexec_b64 s[24:25], s[16:17]
	s_cbranch_execz .LBB56_18
; %bb.17:
	s_mov_b32 s16, 0x652b82fe
	v_add_f64 v[16:17], v[16:17], -v[14:15]
	s_mov_b32 s17, 0x3ff71547
	v_mul_f64 v[24:25], v[16:17], s[16:17]
	v_rndne_f64_e32 v[24:25], v[24:25]
	s_mov_b32 s27, 0xbfe62e42
	s_mov_b32 s26, 0xfefa39ef
	v_fma_f64 v[26:27], s[26:27], v[24:25], v[16:17]
	s_mov_b32 s29, 0xbc7abc9e
	s_mov_b32 s28, 0x3b39803f
	;; [unrolled: 1-line block ×3, first 2 shown]
	v_fmac_f64_e32 v[26:27], s[28:29], v[24:25]
	v_mov_b32_e32 v36, 0xfca7ab0c
	v_mov_b32_e32 v37, 0x3e928af3
	s_mov_b32 s17, 0x3e5ade15
	v_fmac_f64_e32 v[36:37], s[16:17], v[26:27]
	v_mov_b32_e32 v38, 0x623fde64
	v_mov_b32_e32 v39, 0x3ec71dee
	v_fmac_f64_e32 v[38:39], v[26:27], v[36:37]
	v_mov_b32_e32 v36, 0x7c89e6b0
	v_mov_b32_e32 v37, 0x3efa0199
	;; [unrolled: 3-line block ×8, first 2 shown]
	v_fmac_f64_e32 v[36:37], v[26:27], v[38:39]
	v_fma_f64 v[36:37], v[26:27], v[36:37], 1.0
	s_mov_b32 s16, 0
	s_mov_b32 s18, 0
	v_fma_f64 v[26:27], v[26:27], v[36:37], 1.0
	v_cvt_i32_f64_e32 v1, v[24:25]
	s_mov_b32 s17, 0x40900000
	s_mov_b32 s19, 0xc090cc00
	v_ldexp_f64 v[24:25], v[26:27], v1
	v_mov_b32_e32 v1, 0x7ff00000
	v_cmp_nlt_f64_e64 s[16:17], s[16:17], v[16:17]
	v_cmp_ngt_f64_e64 s[18:19], s[18:19], v[16:17]
	s_mov_b32 s27, 0x3fe62e42
	v_cndmask_b32_e64 v19, v1, v25, s[16:17]
	s_and_b64 s[16:17], s[18:19], s[16:17]
	v_cndmask_b32_e64 v17, 0, v19, s[18:19]
	v_cndmask_b32_e64 v16, 0, v24, s[16:17]
	v_add_f64 v[24:25], v[16:17], 1.0
	v_add_f64 v[26:27], v[24:25], -1.0
	v_add_f64 v[36:37], v[26:27], -v[24:25]
	v_add_f64 v[36:37], v[36:37], 1.0
	v_add_f64 v[26:27], v[16:17], -v[26:27]
	s_mov_b32 s16, 0x55555555
	v_add_f64 v[26:27], v[26:27], v[36:37]
	v_frexp_mant_f64_e32 v[36:37], v[24:25]
	s_mov_b32 s17, 0x3fe55555
	v_frexp_exp_i32_f64_e32 v19, v[24:25]
	v_cmp_gt_f64_e64 s[16:17], s[16:17], v[36:37]
	s_mov_b32 s29, 0x3c7abc9e
	v_cmp_ngt_f64_e64 s[18:19], -1.0, v[16:17]
	v_subbrev_co_u32_e64 v19, s[16:17], 0, v19, s[16:17]
	v_sub_u32_e32 v36, 0, v19
	v_ldexp_f64 v[24:25], v[24:25], v36
	v_ldexp_f64 v[26:27], v[26:27], v36
	v_add_f64 v[36:37], v[24:25], -1.0
	v_add_f64 v[42:43], v[24:25], 1.0
	v_add_f64 v[38:39], v[36:37], 1.0
	v_add_f64 v[44:45], v[42:43], -1.0
	v_add_f64 v[38:39], v[24:25], -v[38:39]
	v_add_f64 v[24:25], v[24:25], -v[44:45]
	v_add_f64 v[24:25], v[26:27], v[24:25]
	v_add_f64 v[38:39], v[26:27], v[38:39]
	;; [unrolled: 1-line block ×3, first 2 shown]
	v_rcp_f64_e32 v[44:45], v[26:27]
	v_add_f64 v[40:41], v[36:37], v[38:39]
	v_add_f64 v[36:37], v[40:41], -v[36:37]
	v_add_f64 v[36:37], v[38:39], -v[36:37]
	;; [unrolled: 1-line block ×4, first 2 shown]
	v_fma_f64 v[38:39], -v[26:27], v[44:45], 1.0
	v_fmac_f64_e32 v[44:45], v[38:39], v[44:45]
	v_fma_f64 v[38:39], -v[26:27], v[44:45], 1.0
	v_fmac_f64_e32 v[44:45], v[38:39], v[44:45]
	v_mul_f64 v[38:39], v[40:41], v[44:45]
	v_mul_f64 v[42:43], v[26:27], v[38:39]
	v_fma_f64 v[46:47], v[38:39], v[26:27], -v[42:43]
	v_fmac_f64_e32 v[46:47], v[38:39], v[24:25]
	v_add_f64 v[48:49], v[42:43], v[46:47]
	v_add_f64 v[50:51], v[40:41], -v[48:49]
	v_add_f64 v[40:41], v[40:41], -v[50:51]
	;; [unrolled: 1-line block ×4, first 2 shown]
	v_add_f64 v[36:37], v[36:37], v[40:41]
	v_add_f64 v[40:41], v[42:43], -v[46:47]
	v_add_f64 v[36:37], v[40:41], v[36:37]
	v_add_f64 v[40:41], v[50:51], v[36:37]
	v_add_f64 v[42:43], v[50:51], -v[40:41]
	v_add_f64 v[36:37], v[36:37], v[42:43]
	v_mul_f64 v[42:43], v[44:45], v[40:41]
	v_mul_f64 v[46:47], v[26:27], v[42:43]
	v_fma_f64 v[26:27], v[42:43], v[26:27], -v[46:47]
	v_fmac_f64_e32 v[26:27], v[42:43], v[24:25]
	v_add_f64 v[24:25], v[46:47], v[26:27]
	v_add_f64 v[48:49], v[40:41], -v[24:25]
	v_add_f64 v[40:41], v[40:41], -v[48:49]
	;; [unrolled: 1-line block ×4, first 2 shown]
	v_add_f64 v[24:25], v[36:37], v[24:25]
	v_add_f64 v[26:27], v[46:47], -v[26:27]
	v_add_f64 v[24:25], v[26:27], v[24:25]
	v_add_f64 v[26:27], v[38:39], v[42:43]
	;; [unrolled: 1-line block ×3, first 2 shown]
	v_add_f64 v[36:37], v[26:27], -v[38:39]
	v_mul_f64 v[24:25], v[44:45], v[24:25]
	v_add_f64 v[36:37], v[42:43], -v[36:37]
	v_add_f64 v[24:25], v[36:37], v[24:25]
	v_add_f64 v[36:37], v[26:27], v[24:25]
	v_add_f64 v[26:27], v[36:37], -v[26:27]
	s_mov_b32 s16, 0xbf559e2b
	v_add_f64 v[24:25], v[24:25], -v[26:27]
	v_mul_f64 v[26:27], v[36:37], v[36:37]
	v_mov_b32_e32 v38, 0x6b47b09a
	v_mov_b32_e32 v39, 0x3fc38538
	s_mov_b32 s17, 0x3fc3ab76
	v_fmac_f64_e32 v[38:39], s[16:17], v[26:27]
	v_mov_b32_e32 v40, 0xd7f4df2e
	v_mov_b32_e32 v41, 0x3fc7474d
	v_fmac_f64_e32 v[40:41], v[26:27], v[38:39]
	v_mov_b32_e32 v38, 0x16291751
	v_mov_b32_e32 v39, 0x3fcc71c0
	;; [unrolled: 3-line block ×5, first 2 shown]
	v_fmac_f64_e32 v[40:41], v[26:27], v[38:39]
	v_cvt_f64_i32_e32 v[38:39], v19
	v_mul_f64 v[42:43], v[38:39], s[26:27]
	v_fma_f64 v[44:45], v[38:39], s[26:27], -v[42:43]
	v_fmac_f64_e32 v[44:45], s[28:29], v[38:39]
	v_add_f64 v[38:39], v[42:43], v[44:45]
	v_add_f64 v[42:43], v[38:39], -v[42:43]
	v_mul_f64 v[26:27], v[36:37], v[26:27]
	v_add_f64 v[42:43], v[44:45], -v[42:43]
	v_ldexp_f64 v[44:45], v[36:37], 1
	v_mul_f64 v[26:27], v[26:27], v[40:41]
	v_add_f64 v[36:37], v[44:45], v[26:27]
	v_add_f64 v[40:41], v[36:37], -v[44:45]
	v_ldexp_f64 v[24:25], v[24:25], 1
	v_add_f64 v[26:27], v[26:27], -v[40:41]
	v_add_f64 v[24:25], v[24:25], v[26:27]
	v_add_f64 v[26:27], v[36:37], v[24:25]
	v_add_f64 v[36:37], v[26:27], -v[36:37]
	v_add_f64 v[24:25], v[24:25], -v[36:37]
	v_add_f64 v[36:37], v[38:39], v[26:27]
	v_add_f64 v[40:41], v[36:37], -v[38:39]
	v_add_f64 v[44:45], v[36:37], -v[40:41]
	;; [unrolled: 1-line block ×4, first 2 shown]
	v_add_f64 v[26:27], v[26:27], v[38:39]
	v_add_f64 v[38:39], v[42:43], v[24:25]
	v_add_f64 v[40:41], v[38:39], -v[42:43]
	v_add_f64 v[26:27], v[38:39], v[26:27]
	v_add_f64 v[44:45], v[38:39], -v[40:41]
	;; [unrolled: 2-line block ×3, first 2 shown]
	v_add_f64 v[24:25], v[24:25], -v[40:41]
	v_add_f64 v[36:37], v[38:39], -v[36:37]
	v_add_f64 v[24:25], v[24:25], v[42:43]
	v_add_f64 v[26:27], v[26:27], -v[36:37]
	s_mov_b32 s16, 0
	v_add_f64 v[24:25], v[24:25], v[26:27]
	s_mov_b32 s17, 0x7ff00000
	v_add_f64 v[24:25], v[38:39], v[24:25]
	v_cmp_neq_f64_e64 s[16:17], s[16:17], v[16:17]
	v_mov_b32_e32 v19, 0x7ff80000
	s_nop 0
	v_cndmask_b32_e64 v1, v1, v25, s[16:17]
	v_cndmask_b32_e64 v1, v19, v1, s[18:19]
	v_cmp_nge_f64_e64 s[18:19], -1.0, v[16:17]
	s_and_b64 s[16:17], s[18:19], s[16:17]
	v_cndmask_b32_e64 v24, 0, v24, s[16:17]
	v_mov_b32_e32 v19, 0xfff00000
	v_cmp_neq_f64_e64 s[16:17], -1.0, v[16:17]
	s_nop 1
	v_cndmask_b32_e64 v25, v19, v1, s[16:17]
	v_add_f64 v[36:37], v[14:15], v[24:25]
.LBB56_18:
	s_or_b64 exec, exec, s[24:25]
	v_max_f64 v[24:25], v[6:7], v[6:7]
	v_max_f64 v[14:15], v[36:37], v[36:37]
	v_min_f64 v[16:17], v[14:15], v[24:25]
	v_cmp_u_f64_e64 s[18:19], v[36:37], v[36:37]
	v_cmp_u_f64_e64 s[16:17], v[6:7], v[6:7]
	v_max_f64 v[14:15], v[14:15], v[24:25]
	v_cndmask_b32_e64 v1, v16, v36, s[18:19]
	v_cndmask_b32_e64 v16, v17, v37, s[18:19]
	;; [unrolled: 1-line block ×8, first 2 shown]
	v_cmp_neq_f64_e64 s[18:19], v[16:17], v[14:15]
	v_cmp_class_f64_e64 s[24:25], v[16:17], s30
	s_or_b64 s[18:19], s[18:19], s[24:25]
	s_and_saveexec_b64 s[26:27], s[18:19]
	s_cbranch_execz .LBB56_20
; %bb.19:
	s_mov_b32 s18, 0x652b82fe
	v_add_f64 v[16:17], v[16:17], -v[14:15]
	s_mov_b32 s19, 0x3ff71547
	v_mul_f64 v[26:27], v[16:17], s[18:19]
	v_rndne_f64_e32 v[26:27], v[26:27]
	s_mov_b32 s29, 0xbfe62e42
	s_mov_b32 s28, 0xfefa39ef
	v_fma_f64 v[36:37], s[28:29], v[26:27], v[16:17]
	s_mov_b32 s31, 0xbc7abc9e
	s_mov_b32 s30, 0x3b39803f
	s_mov_b32 s18, 0x6a5dcb37
	v_fmac_f64_e32 v[36:37], s[30:31], v[26:27]
	v_mov_b32_e32 v38, 0xfca7ab0c
	v_mov_b32_e32 v39, 0x3e928af3
	s_mov_b32 s19, 0x3e5ade15
	v_fmac_f64_e32 v[38:39], s[18:19], v[36:37]
	v_mov_b32_e32 v40, 0x623fde64
	v_mov_b32_e32 v41, 0x3ec71dee
	v_fmac_f64_e32 v[40:41], v[36:37], v[38:39]
	v_mov_b32_e32 v38, 0x7c89e6b0
	v_mov_b32_e32 v39, 0x3efa0199
	;; [unrolled: 3-line block ×8, first 2 shown]
	v_fmac_f64_e32 v[38:39], v[36:37], v[40:41]
	v_fma_f64 v[38:39], v[36:37], v[38:39], 1.0
	s_mov_b32 s18, 0
	s_mov_b32 s24, 0
	v_fma_f64 v[36:37], v[36:37], v[38:39], 1.0
	v_cvt_i32_f64_e32 v1, v[26:27]
	s_mov_b32 s19, 0x40900000
	s_mov_b32 s25, 0xc090cc00
	v_ldexp_f64 v[26:27], v[36:37], v1
	v_mov_b32_e32 v1, 0x7ff00000
	v_cmp_nlt_f64_e64 s[18:19], s[18:19], v[16:17]
	v_cmp_ngt_f64_e64 s[24:25], s[24:25], v[16:17]
	s_mov_b32 s29, 0x3fe62e42
	v_cndmask_b32_e64 v19, v1, v27, s[18:19]
	s_and_b64 s[18:19], s[24:25], s[18:19]
	v_cndmask_b32_e64 v17, 0, v19, s[24:25]
	v_cndmask_b32_e64 v16, 0, v26, s[18:19]
	v_add_f64 v[26:27], v[16:17], 1.0
	v_add_f64 v[36:37], v[26:27], -1.0
	v_add_f64 v[38:39], v[36:37], -v[26:27]
	v_add_f64 v[38:39], v[38:39], 1.0
	v_add_f64 v[36:37], v[16:17], -v[36:37]
	s_mov_b32 s18, 0x55555555
	v_add_f64 v[36:37], v[36:37], v[38:39]
	v_frexp_mant_f64_e32 v[38:39], v[26:27]
	s_mov_b32 s19, 0x3fe55555
	v_frexp_exp_i32_f64_e32 v19, v[26:27]
	v_cmp_gt_f64_e64 s[18:19], s[18:19], v[38:39]
	s_mov_b32 s31, 0x3c7abc9e
	v_cmp_ngt_f64_e64 s[24:25], -1.0, v[16:17]
	v_subbrev_co_u32_e64 v19, s[18:19], 0, v19, s[18:19]
	v_sub_u32_e32 v38, 0, v19
	v_ldexp_f64 v[26:27], v[26:27], v38
	v_ldexp_f64 v[36:37], v[36:37], v38
	v_add_f64 v[38:39], v[26:27], -1.0
	v_add_f64 v[44:45], v[26:27], 1.0
	v_add_f64 v[40:41], v[38:39], 1.0
	v_add_f64 v[46:47], v[44:45], -1.0
	v_add_f64 v[40:41], v[26:27], -v[40:41]
	v_add_f64 v[26:27], v[26:27], -v[46:47]
	v_add_f64 v[26:27], v[36:37], v[26:27]
	v_add_f64 v[40:41], v[36:37], v[40:41]
	v_add_f64 v[36:37], v[44:45], v[26:27]
	v_rcp_f64_e32 v[46:47], v[36:37]
	v_add_f64 v[42:43], v[38:39], v[40:41]
	v_add_f64 v[38:39], v[42:43], -v[38:39]
	v_add_f64 v[38:39], v[40:41], -v[38:39]
	;; [unrolled: 1-line block ×4, first 2 shown]
	v_fma_f64 v[40:41], -v[36:37], v[46:47], 1.0
	v_fmac_f64_e32 v[46:47], v[40:41], v[46:47]
	v_fma_f64 v[40:41], -v[36:37], v[46:47], 1.0
	v_fmac_f64_e32 v[46:47], v[40:41], v[46:47]
	v_mul_f64 v[40:41], v[42:43], v[46:47]
	v_mul_f64 v[44:45], v[36:37], v[40:41]
	v_fma_f64 v[48:49], v[40:41], v[36:37], -v[44:45]
	v_fmac_f64_e32 v[48:49], v[40:41], v[26:27]
	v_add_f64 v[50:51], v[44:45], v[48:49]
	v_add_f64 v[52:53], v[42:43], -v[50:51]
	v_add_f64 v[42:43], v[42:43], -v[52:53]
	;; [unrolled: 1-line block ×4, first 2 shown]
	v_add_f64 v[38:39], v[38:39], v[42:43]
	v_add_f64 v[42:43], v[44:45], -v[48:49]
	v_add_f64 v[38:39], v[42:43], v[38:39]
	v_add_f64 v[42:43], v[52:53], v[38:39]
	v_add_f64 v[44:45], v[52:53], -v[42:43]
	v_add_f64 v[38:39], v[38:39], v[44:45]
	v_mul_f64 v[44:45], v[46:47], v[42:43]
	v_mul_f64 v[48:49], v[36:37], v[44:45]
	v_fma_f64 v[36:37], v[44:45], v[36:37], -v[48:49]
	v_fmac_f64_e32 v[36:37], v[44:45], v[26:27]
	v_add_f64 v[26:27], v[48:49], v[36:37]
	v_add_f64 v[50:51], v[42:43], -v[26:27]
	v_add_f64 v[42:43], v[42:43], -v[50:51]
	;; [unrolled: 1-line block ×4, first 2 shown]
	v_add_f64 v[26:27], v[38:39], v[26:27]
	v_add_f64 v[36:37], v[48:49], -v[36:37]
	v_add_f64 v[26:27], v[36:37], v[26:27]
	v_add_f64 v[36:37], v[40:41], v[44:45]
	;; [unrolled: 1-line block ×3, first 2 shown]
	v_add_f64 v[38:39], v[36:37], -v[40:41]
	v_mul_f64 v[26:27], v[46:47], v[26:27]
	v_add_f64 v[38:39], v[44:45], -v[38:39]
	v_add_f64 v[26:27], v[38:39], v[26:27]
	v_add_f64 v[38:39], v[36:37], v[26:27]
	v_add_f64 v[36:37], v[38:39], -v[36:37]
	s_mov_b32 s18, 0xbf559e2b
	v_add_f64 v[26:27], v[26:27], -v[36:37]
	v_mul_f64 v[36:37], v[38:39], v[38:39]
	v_mov_b32_e32 v40, 0x6b47b09a
	v_mov_b32_e32 v41, 0x3fc38538
	s_mov_b32 s19, 0x3fc3ab76
	v_fmac_f64_e32 v[40:41], s[18:19], v[36:37]
	v_mov_b32_e32 v42, 0xd7f4df2e
	v_mov_b32_e32 v43, 0x3fc7474d
	v_fmac_f64_e32 v[42:43], v[36:37], v[40:41]
	v_mov_b32_e32 v40, 0x16291751
	v_mov_b32_e32 v41, 0x3fcc71c0
	;; [unrolled: 3-line block ×5, first 2 shown]
	v_fmac_f64_e32 v[42:43], v[36:37], v[40:41]
	v_cvt_f64_i32_e32 v[40:41], v19
	v_mul_f64 v[44:45], v[40:41], s[28:29]
	v_fma_f64 v[46:47], v[40:41], s[28:29], -v[44:45]
	v_fmac_f64_e32 v[46:47], s[30:31], v[40:41]
	v_add_f64 v[40:41], v[44:45], v[46:47]
	v_add_f64 v[44:45], v[40:41], -v[44:45]
	v_mul_f64 v[36:37], v[38:39], v[36:37]
	v_add_f64 v[44:45], v[46:47], -v[44:45]
	v_ldexp_f64 v[46:47], v[38:39], 1
	v_mul_f64 v[36:37], v[36:37], v[42:43]
	v_add_f64 v[38:39], v[46:47], v[36:37]
	v_add_f64 v[42:43], v[38:39], -v[46:47]
	v_ldexp_f64 v[26:27], v[26:27], 1
	v_add_f64 v[36:37], v[36:37], -v[42:43]
	v_add_f64 v[26:27], v[26:27], v[36:37]
	v_add_f64 v[36:37], v[38:39], v[26:27]
	v_add_f64 v[38:39], v[36:37], -v[38:39]
	v_add_f64 v[26:27], v[26:27], -v[38:39]
	v_add_f64 v[38:39], v[40:41], v[36:37]
	v_add_f64 v[42:43], v[38:39], -v[40:41]
	v_add_f64 v[46:47], v[38:39], -v[42:43]
	;; [unrolled: 1-line block ×4, first 2 shown]
	v_add_f64 v[36:37], v[36:37], v[40:41]
	v_add_f64 v[40:41], v[44:45], v[26:27]
	v_add_f64 v[42:43], v[40:41], -v[44:45]
	v_add_f64 v[36:37], v[40:41], v[36:37]
	v_add_f64 v[46:47], v[40:41], -v[42:43]
	;; [unrolled: 2-line block ×3, first 2 shown]
	v_add_f64 v[26:27], v[26:27], -v[42:43]
	v_add_f64 v[38:39], v[40:41], -v[38:39]
	v_add_f64 v[26:27], v[26:27], v[44:45]
	v_add_f64 v[36:37], v[36:37], -v[38:39]
	s_mov_b32 s18, 0
	v_add_f64 v[26:27], v[26:27], v[36:37]
	s_mov_b32 s19, 0x7ff00000
	v_add_f64 v[26:27], v[40:41], v[26:27]
	v_cmp_neq_f64_e64 s[18:19], s[18:19], v[16:17]
	v_mov_b32_e32 v19, 0x7ff80000
	s_nop 0
	v_cndmask_b32_e64 v1, v1, v27, s[18:19]
	v_cndmask_b32_e64 v1, v19, v1, s[24:25]
	v_cmp_nge_f64_e64 s[24:25], -1.0, v[16:17]
	s_and_b64 s[18:19], s[24:25], s[18:19]
	v_cndmask_b32_e64 v26, 0, v26, s[18:19]
	v_mov_b32_e32 v19, 0xfff00000
	v_cmp_neq_f64_e64 s[18:19], -1.0, v[16:17]
	s_nop 1
	v_cndmask_b32_e64 v27, v19, v1, s[18:19]
	v_add_f64 v[36:37], v[14:15], v[26:27]
.LBB56_20:
	s_or_b64 exec, exec, s[26:27]
	v_max_f64 v[26:27], v[8:9], v[8:9]
	v_max_f64 v[14:15], v[36:37], v[36:37]
	v_min_f64 v[16:17], v[14:15], v[26:27]
	v_cmp_u_f64_e64 s[24:25], v[36:37], v[36:37]
	v_cmp_u_f64_e64 s[18:19], v[8:9], v[8:9]
	v_max_f64 v[14:15], v[14:15], v[26:27]
	v_cndmask_b32_e64 v1, v16, v36, s[24:25]
	v_cndmask_b32_e64 v16, v17, v37, s[24:25]
	;; [unrolled: 1-line block ×8, first 2 shown]
	s_movk_i32 s26, 0x1f8
	v_cmp_neq_f64_e64 s[24:25], v[16:17], v[14:15]
	v_cmp_class_f64_e64 s[26:27], v[16:17], s26
	s_or_b64 s[24:25], s[24:25], s[26:27]
	s_and_saveexec_b64 s[28:29], s[24:25]
	s_cbranch_execz .LBB56_22
; %bb.21:
	s_mov_b32 s24, 0x652b82fe
	v_add_f64 v[16:17], v[16:17], -v[14:15]
	s_mov_b32 s25, 0x3ff71547
	v_mul_f64 v[36:37], v[16:17], s[24:25]
	v_rndne_f64_e32 v[36:37], v[36:37]
	s_mov_b32 s31, 0xbfe62e42
	s_mov_b32 s30, 0xfefa39ef
	v_fma_f64 v[38:39], s[30:31], v[36:37], v[16:17]
	s_mov_b32 s35, 0xbc7abc9e
	s_mov_b32 s34, 0x3b39803f
	;; [unrolled: 1-line block ×3, first 2 shown]
	v_fmac_f64_e32 v[38:39], s[34:35], v[36:37]
	v_mov_b32_e32 v40, 0xfca7ab0c
	v_mov_b32_e32 v41, 0x3e928af3
	s_mov_b32 s25, 0x3e5ade15
	v_fmac_f64_e32 v[40:41], s[24:25], v[38:39]
	v_mov_b32_e32 v42, 0x623fde64
	v_mov_b32_e32 v43, 0x3ec71dee
	v_fmac_f64_e32 v[42:43], v[38:39], v[40:41]
	v_mov_b32_e32 v40, 0x7c89e6b0
	v_mov_b32_e32 v41, 0x3efa0199
	;; [unrolled: 3-line block ×8, first 2 shown]
	v_fmac_f64_e32 v[40:41], v[38:39], v[42:43]
	v_fma_f64 v[40:41], v[38:39], v[40:41], 1.0
	s_mov_b32 s24, 0
	s_mov_b32 s26, 0
	v_fma_f64 v[38:39], v[38:39], v[40:41], 1.0
	v_cvt_i32_f64_e32 v1, v[36:37]
	s_mov_b32 s25, 0x40900000
	s_mov_b32 s27, 0xc090cc00
	v_ldexp_f64 v[36:37], v[38:39], v1
	v_mov_b32_e32 v1, 0x7ff00000
	v_cmp_nlt_f64_e64 s[24:25], s[24:25], v[16:17]
	v_cmp_ngt_f64_e64 s[26:27], s[26:27], v[16:17]
	s_mov_b32 s31, 0x3fe62e42
	v_cndmask_b32_e64 v19, v1, v37, s[24:25]
	s_and_b64 s[24:25], s[26:27], s[24:25]
	v_cndmask_b32_e64 v17, 0, v19, s[26:27]
	v_cndmask_b32_e64 v16, 0, v36, s[24:25]
	v_add_f64 v[36:37], v[16:17], 1.0
	v_add_f64 v[38:39], v[36:37], -1.0
	v_add_f64 v[40:41], v[38:39], -v[36:37]
	v_add_f64 v[40:41], v[40:41], 1.0
	v_add_f64 v[38:39], v[16:17], -v[38:39]
	s_mov_b32 s24, 0x55555555
	v_add_f64 v[38:39], v[38:39], v[40:41]
	v_frexp_mant_f64_e32 v[40:41], v[36:37]
	s_mov_b32 s25, 0x3fe55555
	v_frexp_exp_i32_f64_e32 v19, v[36:37]
	v_cmp_gt_f64_e64 s[24:25], s[24:25], v[40:41]
	s_mov_b32 s35, 0x3c7abc9e
	v_cmp_ngt_f64_e64 s[26:27], -1.0, v[16:17]
	v_subbrev_co_u32_e64 v19, s[24:25], 0, v19, s[24:25]
	v_sub_u32_e32 v40, 0, v19
	v_ldexp_f64 v[36:37], v[36:37], v40
	v_ldexp_f64 v[38:39], v[38:39], v40
	v_add_f64 v[40:41], v[36:37], -1.0
	v_add_f64 v[46:47], v[36:37], 1.0
	v_add_f64 v[42:43], v[40:41], 1.0
	v_add_f64 v[48:49], v[46:47], -1.0
	v_add_f64 v[42:43], v[36:37], -v[42:43]
	v_add_f64 v[36:37], v[36:37], -v[48:49]
	v_add_f64 v[36:37], v[38:39], v[36:37]
	v_add_f64 v[42:43], v[38:39], v[42:43]
	;; [unrolled: 1-line block ×3, first 2 shown]
	v_rcp_f64_e32 v[48:49], v[38:39]
	v_add_f64 v[44:45], v[40:41], v[42:43]
	v_add_f64 v[40:41], v[44:45], -v[40:41]
	v_add_f64 v[40:41], v[42:43], -v[40:41]
	;; [unrolled: 1-line block ×4, first 2 shown]
	v_fma_f64 v[42:43], -v[38:39], v[48:49], 1.0
	v_fmac_f64_e32 v[48:49], v[42:43], v[48:49]
	v_fma_f64 v[42:43], -v[38:39], v[48:49], 1.0
	v_fmac_f64_e32 v[48:49], v[42:43], v[48:49]
	v_mul_f64 v[42:43], v[44:45], v[48:49]
	v_mul_f64 v[46:47], v[38:39], v[42:43]
	v_fma_f64 v[50:51], v[42:43], v[38:39], -v[46:47]
	v_fmac_f64_e32 v[50:51], v[42:43], v[36:37]
	v_add_f64 v[52:53], v[46:47], v[50:51]
	v_add_f64 v[54:55], v[44:45], -v[52:53]
	v_add_f64 v[44:45], v[44:45], -v[54:55]
	;; [unrolled: 1-line block ×4, first 2 shown]
	v_add_f64 v[40:41], v[40:41], v[44:45]
	v_add_f64 v[44:45], v[46:47], -v[50:51]
	v_add_f64 v[40:41], v[44:45], v[40:41]
	v_add_f64 v[44:45], v[54:55], v[40:41]
	v_add_f64 v[46:47], v[54:55], -v[44:45]
	v_add_f64 v[40:41], v[40:41], v[46:47]
	v_mul_f64 v[46:47], v[48:49], v[44:45]
	v_mul_f64 v[50:51], v[38:39], v[46:47]
	v_fma_f64 v[38:39], v[46:47], v[38:39], -v[50:51]
	v_fmac_f64_e32 v[38:39], v[46:47], v[36:37]
	v_add_f64 v[36:37], v[50:51], v[38:39]
	v_add_f64 v[52:53], v[44:45], -v[36:37]
	v_add_f64 v[44:45], v[44:45], -v[52:53]
	;; [unrolled: 1-line block ×4, first 2 shown]
	v_add_f64 v[36:37], v[40:41], v[36:37]
	v_add_f64 v[38:39], v[50:51], -v[38:39]
	v_add_f64 v[36:37], v[38:39], v[36:37]
	v_add_f64 v[38:39], v[42:43], v[46:47]
	;; [unrolled: 1-line block ×3, first 2 shown]
	v_add_f64 v[40:41], v[38:39], -v[42:43]
	v_mul_f64 v[36:37], v[48:49], v[36:37]
	v_add_f64 v[40:41], v[46:47], -v[40:41]
	v_add_f64 v[36:37], v[40:41], v[36:37]
	v_add_f64 v[40:41], v[38:39], v[36:37]
	v_add_f64 v[38:39], v[40:41], -v[38:39]
	s_mov_b32 s24, 0xbf559e2b
	v_add_f64 v[36:37], v[36:37], -v[38:39]
	v_mul_f64 v[38:39], v[40:41], v[40:41]
	v_mov_b32_e32 v42, 0x6b47b09a
	v_mov_b32_e32 v43, 0x3fc38538
	s_mov_b32 s25, 0x3fc3ab76
	v_fmac_f64_e32 v[42:43], s[24:25], v[38:39]
	v_mov_b32_e32 v44, 0xd7f4df2e
	v_mov_b32_e32 v45, 0x3fc7474d
	v_fmac_f64_e32 v[44:45], v[38:39], v[42:43]
	v_mov_b32_e32 v42, 0x16291751
	v_mov_b32_e32 v43, 0x3fcc71c0
	v_fmac_f64_e32 v[42:43], v[38:39], v[44:45]
	v_mov_b32_e32 v44, 0x9b27acf1
	v_mov_b32_e32 v45, 0x3fd24924
	v_fmac_f64_e32 v[44:45], v[38:39], v[42:43]
	v_mov_b32_e32 v42, 0x998ef7b6
	v_mov_b32_e32 v43, 0x3fd99999
	v_fmac_f64_e32 v[42:43], v[38:39], v[44:45]
	v_mov_b32_e32 v44, 0x55555780
	v_mov_b32_e32 v45, 0x3fe55555
	v_fmac_f64_e32 v[44:45], v[38:39], v[42:43]
	v_cvt_f64_i32_e32 v[42:43], v19
	v_mul_f64 v[46:47], v[42:43], s[30:31]
	v_fma_f64 v[48:49], v[42:43], s[30:31], -v[46:47]
	v_fmac_f64_e32 v[48:49], s[34:35], v[42:43]
	v_add_f64 v[42:43], v[46:47], v[48:49]
	v_add_f64 v[46:47], v[42:43], -v[46:47]
	v_mul_f64 v[38:39], v[40:41], v[38:39]
	v_add_f64 v[46:47], v[48:49], -v[46:47]
	v_ldexp_f64 v[48:49], v[40:41], 1
	v_mul_f64 v[38:39], v[38:39], v[44:45]
	v_add_f64 v[40:41], v[48:49], v[38:39]
	v_add_f64 v[44:45], v[40:41], -v[48:49]
	v_ldexp_f64 v[36:37], v[36:37], 1
	v_add_f64 v[38:39], v[38:39], -v[44:45]
	v_add_f64 v[36:37], v[36:37], v[38:39]
	v_add_f64 v[38:39], v[40:41], v[36:37]
	v_add_f64 v[40:41], v[38:39], -v[40:41]
	v_add_f64 v[36:37], v[36:37], -v[40:41]
	v_add_f64 v[40:41], v[42:43], v[38:39]
	v_add_f64 v[44:45], v[40:41], -v[42:43]
	v_add_f64 v[48:49], v[40:41], -v[44:45]
	;; [unrolled: 1-line block ×4, first 2 shown]
	v_add_f64 v[38:39], v[38:39], v[42:43]
	v_add_f64 v[42:43], v[46:47], v[36:37]
	v_add_f64 v[44:45], v[42:43], -v[46:47]
	v_add_f64 v[38:39], v[42:43], v[38:39]
	v_add_f64 v[48:49], v[42:43], -v[44:45]
	;; [unrolled: 2-line block ×3, first 2 shown]
	v_add_f64 v[36:37], v[36:37], -v[44:45]
	v_add_f64 v[40:41], v[42:43], -v[40:41]
	v_add_f64 v[36:37], v[36:37], v[46:47]
	v_add_f64 v[38:39], v[38:39], -v[40:41]
	s_mov_b32 s24, 0
	v_add_f64 v[36:37], v[36:37], v[38:39]
	s_mov_b32 s25, 0x7ff00000
	v_add_f64 v[36:37], v[42:43], v[36:37]
	v_cmp_neq_f64_e64 s[24:25], s[24:25], v[16:17]
	v_mov_b32_e32 v19, 0x7ff80000
	s_nop 0
	v_cndmask_b32_e64 v1, v1, v37, s[24:25]
	v_cndmask_b32_e64 v1, v19, v1, s[26:27]
	v_cmp_nge_f64_e64 s[26:27], -1.0, v[16:17]
	s_and_b64 s[24:25], s[26:27], s[24:25]
	v_cndmask_b32_e64 v36, 0, v36, s[24:25]
	v_mov_b32_e32 v19, 0xfff00000
	v_cmp_neq_f64_e64 s[24:25], -1.0, v[16:17]
	s_nop 1
	v_cndmask_b32_e64 v37, v19, v1, s[24:25]
	v_add_f64 v[36:37], v[14:15], v[36:37]
.LBB56_22:
	s_or_b64 exec, exec, s[28:29]
	v_lshrrev_b32_e32 v1, 2, v0
	v_and_b32_e32 v1, 56, v1
	v_lshl_add_u32 v1, v0, 3, v1
	v_cmp_gt_u32_e64 s[24:25], 64, v0
	ds_write_b64 v1, v[36:37]
	s_waitcnt lgkmcnt(0)
	s_barrier
	s_and_saveexec_b64 s[30:31], s[24:25]
	s_cbranch_execz .LBB56_62
; %bb.23:
	v_and_b32_e32 v1, 0xf8, v0
	v_lshlrev_b32_e32 v14, 5, v0
	v_add_u32_e32 v1, v1, v14
	ds_read2_b64 v[14:17], v1 offset1:1
	s_movk_i32 s33, 0x1f8
	s_waitcnt lgkmcnt(0)
	v_max_f64 v[40:41], v[16:17], v[16:17]
	v_max_f64 v[38:39], v[14:15], v[14:15]
	v_min_f64 v[42:43], v[38:39], v[40:41]
	v_cmp_u_f64_e64 s[24:25], v[14:15], v[14:15]
	v_cmp_u_f64_e64 s[26:27], v[16:17], v[16:17]
	v_max_f64 v[40:41], v[38:39], v[40:41]
	v_cndmask_b32_e64 v19, v42, v14, s[24:25]
	v_cndmask_b32_e64 v42, v43, v15, s[24:25]
	;; [unrolled: 1-line block ×8, first 2 shown]
	v_cmp_neq_f64_e64 s[26:27], v[42:43], v[40:41]
	v_cmp_class_f64_e64 s[28:29], v[42:43], s33
	s_or_b64 s[26:27], s[26:27], s[28:29]
	v_mov_b64_e32 v[16:17], v[14:15]
	s_and_saveexec_b64 s[34:35], s[26:27]
	s_cbranch_execz .LBB56_25
; %bb.24:
	s_mov_b32 s26, 0x652b82fe
	v_add_f64 v[16:17], v[42:43], -v[40:41]
	s_mov_b32 s27, 0x3ff71547
	v_mul_f64 v[42:43], v[16:17], s[26:27]
	v_rndne_f64_e32 v[42:43], v[42:43]
	s_mov_b32 s37, 0xbfe62e42
	s_mov_b32 s36, 0xfefa39ef
	v_fma_f64 v[44:45], s[36:37], v[42:43], v[16:17]
	s_mov_b32 s39, 0xbc7abc9e
	s_mov_b32 s38, 0x3b39803f
	;; [unrolled: 1-line block ×3, first 2 shown]
	v_fmac_f64_e32 v[44:45], s[38:39], v[42:43]
	v_mov_b32_e32 v46, 0xfca7ab0c
	v_mov_b32_e32 v47, 0x3e928af3
	s_mov_b32 s27, 0x3e5ade15
	v_fmac_f64_e32 v[46:47], s[26:27], v[44:45]
	v_mov_b32_e32 v48, 0x623fde64
	v_mov_b32_e32 v49, 0x3ec71dee
	v_fmac_f64_e32 v[48:49], v[44:45], v[46:47]
	v_mov_b32_e32 v46, 0x7c89e6b0
	v_mov_b32_e32 v47, 0x3efa0199
	;; [unrolled: 3-line block ×8, first 2 shown]
	v_fmac_f64_e32 v[46:47], v[44:45], v[48:49]
	v_fma_f64 v[46:47], v[44:45], v[46:47], 1.0
	s_mov_b32 s26, 0
	s_mov_b32 s28, 0
	v_fma_f64 v[44:45], v[44:45], v[46:47], 1.0
	v_cvt_i32_f64_e32 v19, v[42:43]
	s_mov_b32 s27, 0x40900000
	s_mov_b32 s29, 0xc090cc00
	v_ldexp_f64 v[42:43], v[44:45], v19
	v_mov_b32_e32 v19, 0x7ff00000
	v_cmp_nlt_f64_e64 s[26:27], s[26:27], v[16:17]
	v_cmp_ngt_f64_e64 s[28:29], s[28:29], v[16:17]
	s_mov_b32 s37, 0x3fe62e42
	v_cndmask_b32_e64 v43, v19, v43, s[26:27]
	s_and_b64 s[26:27], s[28:29], s[26:27]
	v_cndmask_b32_e64 v17, 0, v43, s[28:29]
	v_cndmask_b32_e64 v16, 0, v42, s[26:27]
	v_add_f64 v[42:43], v[16:17], 1.0
	v_add_f64 v[44:45], v[42:43], -1.0
	v_add_f64 v[46:47], v[44:45], -v[42:43]
	v_add_f64 v[46:47], v[46:47], 1.0
	v_add_f64 v[44:45], v[16:17], -v[44:45]
	s_mov_b32 s26, 0x55555555
	v_add_f64 v[44:45], v[44:45], v[46:47]
	v_frexp_mant_f64_e32 v[46:47], v[42:43]
	s_mov_b32 s27, 0x3fe55555
	v_frexp_exp_i32_f64_e32 v48, v[42:43]
	v_cmp_gt_f64_e64 s[26:27], s[26:27], v[46:47]
	s_mov_b32 s39, 0x3c7abc9e
	v_cmp_ngt_f64_e64 s[28:29], -1.0, v[16:17]
	v_subbrev_co_u32_e64 v62, s[26:27], 0, v48, s[26:27]
	v_sub_u32_e32 v46, 0, v62
	v_ldexp_f64 v[42:43], v[42:43], v46
	v_ldexp_f64 v[44:45], v[44:45], v46
	v_add_f64 v[46:47], v[42:43], -1.0
	v_add_f64 v[52:53], v[42:43], 1.0
	v_add_f64 v[48:49], v[46:47], 1.0
	v_add_f64 v[54:55], v[52:53], -1.0
	v_add_f64 v[48:49], v[42:43], -v[48:49]
	v_add_f64 v[42:43], v[42:43], -v[54:55]
	v_add_f64 v[42:43], v[44:45], v[42:43]
	v_add_f64 v[48:49], v[44:45], v[48:49]
	;; [unrolled: 1-line block ×3, first 2 shown]
	v_rcp_f64_e32 v[54:55], v[44:45]
	v_add_f64 v[50:51], v[46:47], v[48:49]
	v_add_f64 v[46:47], v[50:51], -v[46:47]
	v_add_f64 v[46:47], v[48:49], -v[46:47]
	;; [unrolled: 1-line block ×4, first 2 shown]
	v_fma_f64 v[48:49], -v[44:45], v[54:55], 1.0
	v_fmac_f64_e32 v[54:55], v[48:49], v[54:55]
	v_fma_f64 v[48:49], -v[44:45], v[54:55], 1.0
	v_fmac_f64_e32 v[54:55], v[48:49], v[54:55]
	v_mul_f64 v[48:49], v[50:51], v[54:55]
	v_mul_f64 v[52:53], v[44:45], v[48:49]
	v_fma_f64 v[56:57], v[48:49], v[44:45], -v[52:53]
	v_fmac_f64_e32 v[56:57], v[48:49], v[42:43]
	v_add_f64 v[58:59], v[52:53], v[56:57]
	v_add_f64 v[60:61], v[50:51], -v[58:59]
	v_add_f64 v[50:51], v[50:51], -v[60:61]
	;; [unrolled: 1-line block ×4, first 2 shown]
	v_add_f64 v[46:47], v[46:47], v[50:51]
	v_add_f64 v[50:51], v[52:53], -v[56:57]
	v_add_f64 v[46:47], v[50:51], v[46:47]
	v_add_f64 v[50:51], v[60:61], v[46:47]
	v_add_f64 v[52:53], v[60:61], -v[50:51]
	v_add_f64 v[46:47], v[46:47], v[52:53]
	v_mul_f64 v[52:53], v[54:55], v[50:51]
	v_mul_f64 v[56:57], v[44:45], v[52:53]
	v_fma_f64 v[44:45], v[52:53], v[44:45], -v[56:57]
	v_fmac_f64_e32 v[44:45], v[52:53], v[42:43]
	v_add_f64 v[42:43], v[56:57], v[44:45]
	v_add_f64 v[58:59], v[50:51], -v[42:43]
	v_add_f64 v[50:51], v[50:51], -v[58:59]
	v_add_f64 v[56:57], v[42:43], -v[56:57]
	v_add_f64 v[42:43], v[50:51], -v[42:43]
	v_add_f64 v[42:43], v[46:47], v[42:43]
	v_add_f64 v[44:45], v[56:57], -v[44:45]
	v_add_f64 v[42:43], v[44:45], v[42:43]
	v_add_f64 v[44:45], v[48:49], v[52:53]
	v_add_f64 v[42:43], v[58:59], v[42:43]
	v_add_f64 v[46:47], v[44:45], -v[48:49]
	v_mul_f64 v[42:43], v[54:55], v[42:43]
	v_add_f64 v[46:47], v[52:53], -v[46:47]
	v_add_f64 v[42:43], v[46:47], v[42:43]
	v_add_f64 v[46:47], v[44:45], v[42:43]
	v_add_f64 v[44:45], v[46:47], -v[44:45]
	s_mov_b32 s26, 0xbf559e2b
	v_add_f64 v[42:43], v[42:43], -v[44:45]
	v_mul_f64 v[44:45], v[46:47], v[46:47]
	v_mov_b32_e32 v48, 0x6b47b09a
	v_mov_b32_e32 v49, 0x3fc38538
	s_mov_b32 s27, 0x3fc3ab76
	v_fmac_f64_e32 v[48:49], s[26:27], v[44:45]
	v_mov_b32_e32 v50, 0xd7f4df2e
	v_mov_b32_e32 v51, 0x3fc7474d
	v_fmac_f64_e32 v[50:51], v[44:45], v[48:49]
	v_mov_b32_e32 v48, 0x16291751
	v_mov_b32_e32 v49, 0x3fcc71c0
	;; [unrolled: 3-line block ×5, first 2 shown]
	v_fmac_f64_e32 v[50:51], v[44:45], v[48:49]
	v_cvt_f64_i32_e32 v[48:49], v62
	v_mul_f64 v[52:53], v[48:49], s[36:37]
	v_fma_f64 v[54:55], v[48:49], s[36:37], -v[52:53]
	v_fmac_f64_e32 v[54:55], s[38:39], v[48:49]
	v_add_f64 v[48:49], v[52:53], v[54:55]
	v_add_f64 v[52:53], v[48:49], -v[52:53]
	v_mul_f64 v[44:45], v[46:47], v[44:45]
	v_add_f64 v[52:53], v[54:55], -v[52:53]
	v_ldexp_f64 v[54:55], v[46:47], 1
	v_mul_f64 v[44:45], v[44:45], v[50:51]
	v_add_f64 v[46:47], v[54:55], v[44:45]
	v_add_f64 v[50:51], v[46:47], -v[54:55]
	v_ldexp_f64 v[42:43], v[42:43], 1
	v_add_f64 v[44:45], v[44:45], -v[50:51]
	v_add_f64 v[42:43], v[42:43], v[44:45]
	v_add_f64 v[44:45], v[46:47], v[42:43]
	v_add_f64 v[46:47], v[44:45], -v[46:47]
	v_add_f64 v[42:43], v[42:43], -v[46:47]
	v_add_f64 v[46:47], v[48:49], v[44:45]
	v_add_f64 v[50:51], v[46:47], -v[48:49]
	v_add_f64 v[54:55], v[46:47], -v[50:51]
	;; [unrolled: 1-line block ×4, first 2 shown]
	v_add_f64 v[44:45], v[44:45], v[48:49]
	v_add_f64 v[48:49], v[52:53], v[42:43]
	v_add_f64 v[50:51], v[48:49], -v[52:53]
	v_add_f64 v[44:45], v[48:49], v[44:45]
	v_add_f64 v[54:55], v[48:49], -v[50:51]
	;; [unrolled: 2-line block ×3, first 2 shown]
	v_add_f64 v[42:43], v[42:43], -v[50:51]
	v_add_f64 v[46:47], v[48:49], -v[46:47]
	v_add_f64 v[42:43], v[42:43], v[52:53]
	v_add_f64 v[44:45], v[44:45], -v[46:47]
	s_mov_b32 s26, 0
	v_add_f64 v[42:43], v[42:43], v[44:45]
	s_mov_b32 s27, 0x7ff00000
	v_add_f64 v[42:43], v[48:49], v[42:43]
	v_cmp_neq_f64_e64 s[26:27], s[26:27], v[16:17]
	s_nop 1
	v_cndmask_b32_e64 v19, v19, v43, s[26:27]
	v_mov_b32_e32 v43, 0x7ff80000
	v_cndmask_b32_e64 v19, v43, v19, s[28:29]
	v_cmp_nge_f64_e64 s[28:29], -1.0, v[16:17]
	s_and_b64 s[26:27], s[28:29], s[26:27]
	v_cndmask_b32_e64 v42, 0, v42, s[26:27]
	v_mov_b32_e32 v43, 0xfff00000
	v_cmp_neq_f64_e64 s[26:27], -1.0, v[16:17]
	s_nop 1
	v_cndmask_b32_e64 v43, v43, v19, s[26:27]
	v_add_f64 v[16:17], v[40:41], v[42:43]
.LBB56_25:
	s_or_b64 exec, exec, s[34:35]
	ds_read_b64 v[40:41], v1 offset:16
	v_max_f64 v[44:45], v[16:17], v[16:17]
	v_cmp_u_f64_e64 s[26:27], v[16:17], v[16:17]
	s_waitcnt lgkmcnt(0)
	v_max_f64 v[46:47], v[40:41], v[40:41]
	v_min_f64 v[42:43], v[44:45], v[46:47]
	v_cndmask_b32_e64 v19, v42, v16, s[26:27]
	v_cndmask_b32_e64 v42, v43, v17, s[26:27]
	v_cmp_u_f64_e64 s[28:29], v[40:41], v[40:41]
	v_max_f64 v[44:45], v[44:45], v[46:47]
	s_nop 0
	v_cndmask_b32_e64 v43, v42, v41, s[28:29]
	v_cndmask_b32_e64 v42, v19, v40, s[28:29]
	;; [unrolled: 1-line block ×6, first 2 shown]
	v_cmp_neq_f64_e64 s[26:27], v[42:43], v[40:41]
	v_cmp_class_f64_e64 s[28:29], v[42:43], s33
	s_or_b64 s[26:27], s[26:27], s[28:29]
	s_and_saveexec_b64 s[34:35], s[26:27]
	s_cbranch_execz .LBB56_27
; %bb.26:
	s_mov_b32 s26, 0x652b82fe
	v_add_f64 v[16:17], v[42:43], -v[40:41]
	s_mov_b32 s27, 0x3ff71547
	v_mul_f64 v[42:43], v[16:17], s[26:27]
	v_rndne_f64_e32 v[42:43], v[42:43]
	s_mov_b32 s37, 0xbfe62e42
	s_mov_b32 s36, 0xfefa39ef
	v_fma_f64 v[44:45], s[36:37], v[42:43], v[16:17]
	s_mov_b32 s39, 0xbc7abc9e
	s_mov_b32 s38, 0x3b39803f
	;; [unrolled: 1-line block ×3, first 2 shown]
	v_fmac_f64_e32 v[44:45], s[38:39], v[42:43]
	v_mov_b32_e32 v46, 0xfca7ab0c
	v_mov_b32_e32 v47, 0x3e928af3
	s_mov_b32 s27, 0x3e5ade15
	v_fmac_f64_e32 v[46:47], s[26:27], v[44:45]
	v_mov_b32_e32 v48, 0x623fde64
	v_mov_b32_e32 v49, 0x3ec71dee
	v_fmac_f64_e32 v[48:49], v[44:45], v[46:47]
	v_mov_b32_e32 v46, 0x7c89e6b0
	v_mov_b32_e32 v47, 0x3efa0199
	;; [unrolled: 3-line block ×8, first 2 shown]
	v_fmac_f64_e32 v[46:47], v[44:45], v[48:49]
	v_fma_f64 v[46:47], v[44:45], v[46:47], 1.0
	s_mov_b32 s26, 0
	s_mov_b32 s28, 0
	v_fma_f64 v[44:45], v[44:45], v[46:47], 1.0
	v_cvt_i32_f64_e32 v19, v[42:43]
	s_mov_b32 s27, 0x40900000
	s_mov_b32 s29, 0xc090cc00
	v_ldexp_f64 v[42:43], v[44:45], v19
	v_mov_b32_e32 v19, 0x7ff00000
	v_cmp_nlt_f64_e64 s[26:27], s[26:27], v[16:17]
	v_cmp_ngt_f64_e64 s[28:29], s[28:29], v[16:17]
	s_mov_b32 s37, 0x3fe62e42
	v_cndmask_b32_e64 v43, v19, v43, s[26:27]
	s_and_b64 s[26:27], s[28:29], s[26:27]
	v_cndmask_b32_e64 v17, 0, v43, s[28:29]
	v_cndmask_b32_e64 v16, 0, v42, s[26:27]
	v_add_f64 v[42:43], v[16:17], 1.0
	v_add_f64 v[44:45], v[42:43], -1.0
	v_add_f64 v[46:47], v[44:45], -v[42:43]
	v_add_f64 v[46:47], v[46:47], 1.0
	v_add_f64 v[44:45], v[16:17], -v[44:45]
	s_mov_b32 s26, 0x55555555
	v_add_f64 v[44:45], v[44:45], v[46:47]
	v_frexp_mant_f64_e32 v[46:47], v[42:43]
	s_mov_b32 s27, 0x3fe55555
	v_frexp_exp_i32_f64_e32 v48, v[42:43]
	v_cmp_gt_f64_e64 s[26:27], s[26:27], v[46:47]
	s_mov_b32 s39, 0x3c7abc9e
	v_cmp_ngt_f64_e64 s[28:29], -1.0, v[16:17]
	v_subbrev_co_u32_e64 v62, s[26:27], 0, v48, s[26:27]
	v_sub_u32_e32 v46, 0, v62
	v_ldexp_f64 v[42:43], v[42:43], v46
	v_ldexp_f64 v[44:45], v[44:45], v46
	v_add_f64 v[46:47], v[42:43], -1.0
	v_add_f64 v[52:53], v[42:43], 1.0
	v_add_f64 v[48:49], v[46:47], 1.0
	v_add_f64 v[54:55], v[52:53], -1.0
	v_add_f64 v[48:49], v[42:43], -v[48:49]
	v_add_f64 v[42:43], v[42:43], -v[54:55]
	v_add_f64 v[42:43], v[44:45], v[42:43]
	v_add_f64 v[48:49], v[44:45], v[48:49]
	;; [unrolled: 1-line block ×3, first 2 shown]
	v_rcp_f64_e32 v[54:55], v[44:45]
	v_add_f64 v[50:51], v[46:47], v[48:49]
	v_add_f64 v[46:47], v[50:51], -v[46:47]
	v_add_f64 v[46:47], v[48:49], -v[46:47]
	;; [unrolled: 1-line block ×4, first 2 shown]
	v_fma_f64 v[48:49], -v[44:45], v[54:55], 1.0
	v_fmac_f64_e32 v[54:55], v[48:49], v[54:55]
	v_fma_f64 v[48:49], -v[44:45], v[54:55], 1.0
	v_fmac_f64_e32 v[54:55], v[48:49], v[54:55]
	v_mul_f64 v[48:49], v[50:51], v[54:55]
	v_mul_f64 v[52:53], v[44:45], v[48:49]
	v_fma_f64 v[56:57], v[48:49], v[44:45], -v[52:53]
	v_fmac_f64_e32 v[56:57], v[48:49], v[42:43]
	v_add_f64 v[58:59], v[52:53], v[56:57]
	v_add_f64 v[60:61], v[50:51], -v[58:59]
	v_add_f64 v[50:51], v[50:51], -v[60:61]
	;; [unrolled: 1-line block ×4, first 2 shown]
	v_add_f64 v[46:47], v[46:47], v[50:51]
	v_add_f64 v[50:51], v[52:53], -v[56:57]
	v_add_f64 v[46:47], v[50:51], v[46:47]
	v_add_f64 v[50:51], v[60:61], v[46:47]
	v_add_f64 v[52:53], v[60:61], -v[50:51]
	v_add_f64 v[46:47], v[46:47], v[52:53]
	v_mul_f64 v[52:53], v[54:55], v[50:51]
	v_mul_f64 v[56:57], v[44:45], v[52:53]
	v_fma_f64 v[44:45], v[52:53], v[44:45], -v[56:57]
	v_fmac_f64_e32 v[44:45], v[52:53], v[42:43]
	v_add_f64 v[42:43], v[56:57], v[44:45]
	v_add_f64 v[58:59], v[50:51], -v[42:43]
	v_add_f64 v[50:51], v[50:51], -v[58:59]
	;; [unrolled: 1-line block ×4, first 2 shown]
	v_add_f64 v[42:43], v[46:47], v[42:43]
	v_add_f64 v[44:45], v[56:57], -v[44:45]
	v_add_f64 v[42:43], v[44:45], v[42:43]
	v_add_f64 v[44:45], v[48:49], v[52:53]
	;; [unrolled: 1-line block ×3, first 2 shown]
	v_add_f64 v[46:47], v[44:45], -v[48:49]
	v_mul_f64 v[42:43], v[54:55], v[42:43]
	v_add_f64 v[46:47], v[52:53], -v[46:47]
	v_add_f64 v[42:43], v[46:47], v[42:43]
	v_add_f64 v[46:47], v[44:45], v[42:43]
	v_add_f64 v[44:45], v[46:47], -v[44:45]
	s_mov_b32 s26, 0xbf559e2b
	v_add_f64 v[42:43], v[42:43], -v[44:45]
	v_mul_f64 v[44:45], v[46:47], v[46:47]
	v_mov_b32_e32 v48, 0x6b47b09a
	v_mov_b32_e32 v49, 0x3fc38538
	s_mov_b32 s27, 0x3fc3ab76
	v_fmac_f64_e32 v[48:49], s[26:27], v[44:45]
	v_mov_b32_e32 v50, 0xd7f4df2e
	v_mov_b32_e32 v51, 0x3fc7474d
	v_fmac_f64_e32 v[50:51], v[44:45], v[48:49]
	v_mov_b32_e32 v48, 0x16291751
	v_mov_b32_e32 v49, 0x3fcc71c0
	;; [unrolled: 3-line block ×5, first 2 shown]
	v_fmac_f64_e32 v[50:51], v[44:45], v[48:49]
	v_cvt_f64_i32_e32 v[48:49], v62
	v_mul_f64 v[52:53], v[48:49], s[36:37]
	v_fma_f64 v[54:55], v[48:49], s[36:37], -v[52:53]
	v_fmac_f64_e32 v[54:55], s[38:39], v[48:49]
	v_add_f64 v[48:49], v[52:53], v[54:55]
	v_add_f64 v[52:53], v[48:49], -v[52:53]
	v_mul_f64 v[44:45], v[46:47], v[44:45]
	v_add_f64 v[52:53], v[54:55], -v[52:53]
	v_ldexp_f64 v[54:55], v[46:47], 1
	v_mul_f64 v[44:45], v[44:45], v[50:51]
	v_add_f64 v[46:47], v[54:55], v[44:45]
	v_add_f64 v[50:51], v[46:47], -v[54:55]
	v_ldexp_f64 v[42:43], v[42:43], 1
	v_add_f64 v[44:45], v[44:45], -v[50:51]
	v_add_f64 v[42:43], v[42:43], v[44:45]
	v_add_f64 v[44:45], v[46:47], v[42:43]
	v_add_f64 v[46:47], v[44:45], -v[46:47]
	v_add_f64 v[42:43], v[42:43], -v[46:47]
	v_add_f64 v[46:47], v[48:49], v[44:45]
	v_add_f64 v[50:51], v[46:47], -v[48:49]
	v_add_f64 v[54:55], v[46:47], -v[50:51]
	;; [unrolled: 1-line block ×4, first 2 shown]
	v_add_f64 v[44:45], v[44:45], v[48:49]
	v_add_f64 v[48:49], v[52:53], v[42:43]
	v_add_f64 v[50:51], v[48:49], -v[52:53]
	v_add_f64 v[44:45], v[48:49], v[44:45]
	v_add_f64 v[54:55], v[48:49], -v[50:51]
	;; [unrolled: 2-line block ×3, first 2 shown]
	v_add_f64 v[42:43], v[42:43], -v[50:51]
	v_add_f64 v[46:47], v[48:49], -v[46:47]
	v_add_f64 v[42:43], v[42:43], v[52:53]
	v_add_f64 v[44:45], v[44:45], -v[46:47]
	s_mov_b32 s26, 0
	v_add_f64 v[42:43], v[42:43], v[44:45]
	s_mov_b32 s27, 0x7ff00000
	v_add_f64 v[42:43], v[48:49], v[42:43]
	v_cmp_neq_f64_e64 s[26:27], s[26:27], v[16:17]
	s_nop 1
	v_cndmask_b32_e64 v19, v19, v43, s[26:27]
	v_mov_b32_e32 v43, 0x7ff80000
	v_cndmask_b32_e64 v19, v43, v19, s[28:29]
	v_cmp_nge_f64_e64 s[28:29], -1.0, v[16:17]
	s_and_b64 s[26:27], s[28:29], s[26:27]
	v_cndmask_b32_e64 v42, 0, v42, s[26:27]
	v_mov_b32_e32 v43, 0xfff00000
	v_cmp_neq_f64_e64 s[26:27], -1.0, v[16:17]
	s_nop 1
	v_cndmask_b32_e64 v43, v43, v19, s[26:27]
	v_add_f64 v[16:17], v[40:41], v[42:43]
.LBB56_27:
	s_or_b64 exec, exec, s[34:35]
	ds_read_b64 v[40:41], v1 offset:24
	v_max_f64 v[44:45], v[16:17], v[16:17]
	v_cmp_u_f64_e64 s[26:27], v[16:17], v[16:17]
	s_waitcnt lgkmcnt(0)
	v_max_f64 v[46:47], v[40:41], v[40:41]
	v_min_f64 v[42:43], v[44:45], v[46:47]
	v_cndmask_b32_e64 v19, v42, v16, s[26:27]
	v_cndmask_b32_e64 v42, v43, v17, s[26:27]
	v_cmp_u_f64_e64 s[28:29], v[40:41], v[40:41]
	v_max_f64 v[44:45], v[44:45], v[46:47]
	s_nop 0
	v_cndmask_b32_e64 v43, v42, v41, s[28:29]
	v_cndmask_b32_e64 v42, v19, v40, s[28:29]
	;; [unrolled: 1-line block ×6, first 2 shown]
	s_movk_i32 s28, 0x1f8
	v_cmp_neq_f64_e64 s[26:27], v[42:43], v[40:41]
	v_cmp_class_f64_e64 s[28:29], v[42:43], s28
	s_or_b64 s[26:27], s[26:27], s[28:29]
	s_and_saveexec_b64 s[34:35], s[26:27]
	s_cbranch_execz .LBB56_29
; %bb.28:
	s_mov_b32 s26, 0x652b82fe
	v_add_f64 v[16:17], v[42:43], -v[40:41]
	s_mov_b32 s27, 0x3ff71547
	v_mul_f64 v[42:43], v[16:17], s[26:27]
	v_rndne_f64_e32 v[42:43], v[42:43]
	s_mov_b32 s37, 0xbfe62e42
	s_mov_b32 s36, 0xfefa39ef
	v_fma_f64 v[44:45], s[36:37], v[42:43], v[16:17]
	s_mov_b32 s39, 0xbc7abc9e
	s_mov_b32 s38, 0x3b39803f
	s_mov_b32 s26, 0x6a5dcb37
	v_fmac_f64_e32 v[44:45], s[38:39], v[42:43]
	v_mov_b32_e32 v46, 0xfca7ab0c
	v_mov_b32_e32 v47, 0x3e928af3
	s_mov_b32 s27, 0x3e5ade15
	v_fmac_f64_e32 v[46:47], s[26:27], v[44:45]
	v_mov_b32_e32 v48, 0x623fde64
	v_mov_b32_e32 v49, 0x3ec71dee
	v_fmac_f64_e32 v[48:49], v[44:45], v[46:47]
	v_mov_b32_e32 v46, 0x7c89e6b0
	v_mov_b32_e32 v47, 0x3efa0199
	;; [unrolled: 3-line block ×8, first 2 shown]
	v_fmac_f64_e32 v[46:47], v[44:45], v[48:49]
	v_fma_f64 v[46:47], v[44:45], v[46:47], 1.0
	s_mov_b32 s26, 0
	s_mov_b32 s28, 0
	v_fma_f64 v[44:45], v[44:45], v[46:47], 1.0
	v_cvt_i32_f64_e32 v19, v[42:43]
	s_mov_b32 s27, 0x40900000
	s_mov_b32 s29, 0xc090cc00
	v_ldexp_f64 v[42:43], v[44:45], v19
	v_mov_b32_e32 v19, 0x7ff00000
	v_cmp_nlt_f64_e64 s[26:27], s[26:27], v[16:17]
	v_cmp_ngt_f64_e64 s[28:29], s[28:29], v[16:17]
	s_mov_b32 s37, 0x3fe62e42
	v_cndmask_b32_e64 v43, v19, v43, s[26:27]
	s_and_b64 s[26:27], s[28:29], s[26:27]
	v_cndmask_b32_e64 v17, 0, v43, s[28:29]
	v_cndmask_b32_e64 v16, 0, v42, s[26:27]
	v_add_f64 v[42:43], v[16:17], 1.0
	v_add_f64 v[44:45], v[42:43], -1.0
	v_add_f64 v[46:47], v[44:45], -v[42:43]
	v_add_f64 v[46:47], v[46:47], 1.0
	v_add_f64 v[44:45], v[16:17], -v[44:45]
	s_mov_b32 s26, 0x55555555
	v_add_f64 v[44:45], v[44:45], v[46:47]
	v_frexp_mant_f64_e32 v[46:47], v[42:43]
	s_mov_b32 s27, 0x3fe55555
	v_frexp_exp_i32_f64_e32 v48, v[42:43]
	v_cmp_gt_f64_e64 s[26:27], s[26:27], v[46:47]
	s_mov_b32 s39, 0x3c7abc9e
	v_cmp_ngt_f64_e64 s[28:29], -1.0, v[16:17]
	v_subbrev_co_u32_e64 v62, s[26:27], 0, v48, s[26:27]
	v_sub_u32_e32 v46, 0, v62
	v_ldexp_f64 v[42:43], v[42:43], v46
	v_ldexp_f64 v[44:45], v[44:45], v46
	v_add_f64 v[46:47], v[42:43], -1.0
	v_add_f64 v[52:53], v[42:43], 1.0
	v_add_f64 v[48:49], v[46:47], 1.0
	v_add_f64 v[54:55], v[52:53], -1.0
	v_add_f64 v[48:49], v[42:43], -v[48:49]
	v_add_f64 v[42:43], v[42:43], -v[54:55]
	v_add_f64 v[42:43], v[44:45], v[42:43]
	v_add_f64 v[48:49], v[44:45], v[48:49]
	;; [unrolled: 1-line block ×3, first 2 shown]
	v_rcp_f64_e32 v[54:55], v[44:45]
	v_add_f64 v[50:51], v[46:47], v[48:49]
	v_add_f64 v[46:47], v[50:51], -v[46:47]
	v_add_f64 v[46:47], v[48:49], -v[46:47]
	;; [unrolled: 1-line block ×4, first 2 shown]
	v_fma_f64 v[48:49], -v[44:45], v[54:55], 1.0
	v_fmac_f64_e32 v[54:55], v[48:49], v[54:55]
	v_fma_f64 v[48:49], -v[44:45], v[54:55], 1.0
	v_fmac_f64_e32 v[54:55], v[48:49], v[54:55]
	v_mul_f64 v[48:49], v[50:51], v[54:55]
	v_mul_f64 v[52:53], v[44:45], v[48:49]
	v_fma_f64 v[56:57], v[48:49], v[44:45], -v[52:53]
	v_fmac_f64_e32 v[56:57], v[48:49], v[42:43]
	v_add_f64 v[58:59], v[52:53], v[56:57]
	v_add_f64 v[60:61], v[50:51], -v[58:59]
	v_add_f64 v[50:51], v[50:51], -v[60:61]
	;; [unrolled: 1-line block ×4, first 2 shown]
	v_add_f64 v[46:47], v[46:47], v[50:51]
	v_add_f64 v[50:51], v[52:53], -v[56:57]
	v_add_f64 v[46:47], v[50:51], v[46:47]
	v_add_f64 v[50:51], v[60:61], v[46:47]
	v_add_f64 v[52:53], v[60:61], -v[50:51]
	v_add_f64 v[46:47], v[46:47], v[52:53]
	v_mul_f64 v[52:53], v[54:55], v[50:51]
	v_mul_f64 v[56:57], v[44:45], v[52:53]
	v_fma_f64 v[44:45], v[52:53], v[44:45], -v[56:57]
	v_fmac_f64_e32 v[44:45], v[52:53], v[42:43]
	v_add_f64 v[42:43], v[56:57], v[44:45]
	v_add_f64 v[58:59], v[50:51], -v[42:43]
	v_add_f64 v[50:51], v[50:51], -v[58:59]
	;; [unrolled: 1-line block ×4, first 2 shown]
	v_add_f64 v[42:43], v[46:47], v[42:43]
	v_add_f64 v[44:45], v[56:57], -v[44:45]
	v_add_f64 v[42:43], v[44:45], v[42:43]
	v_add_f64 v[44:45], v[48:49], v[52:53]
	;; [unrolled: 1-line block ×3, first 2 shown]
	v_add_f64 v[46:47], v[44:45], -v[48:49]
	v_mul_f64 v[42:43], v[54:55], v[42:43]
	v_add_f64 v[46:47], v[52:53], -v[46:47]
	v_add_f64 v[42:43], v[46:47], v[42:43]
	v_add_f64 v[46:47], v[44:45], v[42:43]
	v_add_f64 v[44:45], v[46:47], -v[44:45]
	s_mov_b32 s26, 0xbf559e2b
	v_add_f64 v[42:43], v[42:43], -v[44:45]
	v_mul_f64 v[44:45], v[46:47], v[46:47]
	v_mov_b32_e32 v48, 0x6b47b09a
	v_mov_b32_e32 v49, 0x3fc38538
	s_mov_b32 s27, 0x3fc3ab76
	v_fmac_f64_e32 v[48:49], s[26:27], v[44:45]
	v_mov_b32_e32 v50, 0xd7f4df2e
	v_mov_b32_e32 v51, 0x3fc7474d
	v_fmac_f64_e32 v[50:51], v[44:45], v[48:49]
	v_mov_b32_e32 v48, 0x16291751
	v_mov_b32_e32 v49, 0x3fcc71c0
	;; [unrolled: 3-line block ×5, first 2 shown]
	v_fmac_f64_e32 v[50:51], v[44:45], v[48:49]
	v_cvt_f64_i32_e32 v[48:49], v62
	v_mul_f64 v[52:53], v[48:49], s[36:37]
	v_fma_f64 v[54:55], v[48:49], s[36:37], -v[52:53]
	v_fmac_f64_e32 v[54:55], s[38:39], v[48:49]
	v_add_f64 v[48:49], v[52:53], v[54:55]
	v_add_f64 v[52:53], v[48:49], -v[52:53]
	v_mul_f64 v[44:45], v[46:47], v[44:45]
	v_add_f64 v[52:53], v[54:55], -v[52:53]
	v_ldexp_f64 v[54:55], v[46:47], 1
	v_mul_f64 v[44:45], v[44:45], v[50:51]
	v_add_f64 v[46:47], v[54:55], v[44:45]
	v_add_f64 v[50:51], v[46:47], -v[54:55]
	v_ldexp_f64 v[42:43], v[42:43], 1
	v_add_f64 v[44:45], v[44:45], -v[50:51]
	v_add_f64 v[42:43], v[42:43], v[44:45]
	v_add_f64 v[44:45], v[46:47], v[42:43]
	v_add_f64 v[46:47], v[44:45], -v[46:47]
	v_add_f64 v[42:43], v[42:43], -v[46:47]
	v_add_f64 v[46:47], v[48:49], v[44:45]
	v_add_f64 v[50:51], v[46:47], -v[48:49]
	v_add_f64 v[54:55], v[46:47], -v[50:51]
	;; [unrolled: 1-line block ×4, first 2 shown]
	v_add_f64 v[44:45], v[44:45], v[48:49]
	v_add_f64 v[48:49], v[52:53], v[42:43]
	v_add_f64 v[50:51], v[48:49], -v[52:53]
	v_add_f64 v[44:45], v[48:49], v[44:45]
	v_add_f64 v[54:55], v[48:49], -v[50:51]
	v_add_f64 v[48:49], v[46:47], v[44:45]
	v_add_f64 v[52:53], v[52:53], -v[54:55]
	v_add_f64 v[42:43], v[42:43], -v[50:51]
	v_add_f64 v[46:47], v[48:49], -v[46:47]
	v_add_f64 v[42:43], v[42:43], v[52:53]
	v_add_f64 v[44:45], v[44:45], -v[46:47]
	s_mov_b32 s26, 0
	v_add_f64 v[42:43], v[42:43], v[44:45]
	s_mov_b32 s27, 0x7ff00000
	v_add_f64 v[42:43], v[48:49], v[42:43]
	v_cmp_neq_f64_e64 s[26:27], s[26:27], v[16:17]
	s_nop 1
	v_cndmask_b32_e64 v19, v19, v43, s[26:27]
	v_mov_b32_e32 v43, 0x7ff80000
	v_cndmask_b32_e64 v19, v43, v19, s[28:29]
	v_cmp_nge_f64_e64 s[28:29], -1.0, v[16:17]
	s_and_b64 s[26:27], s[28:29], s[26:27]
	v_cndmask_b32_e64 v42, 0, v42, s[26:27]
	v_mov_b32_e32 v43, 0xfff00000
	v_cmp_neq_f64_e64 s[26:27], -1.0, v[16:17]
	s_nop 1
	v_cndmask_b32_e64 v43, v43, v19, s[26:27]
	v_add_f64 v[16:17], v[40:41], v[42:43]
.LBB56_29:
	s_or_b64 exec, exec, s[34:35]
	v_mbcnt_lo_u32_b32 v19, -1, 0
	v_mbcnt_hi_u32_b32 v19, -1, v19
	v_and_b32_e32 v44, 15, v19
	v_mov_b32_dpp v40, v16 row_shr:1 row_mask:0xf bank_mask:0xf
	v_mov_b32_dpp v41, v17 row_shr:1 row_mask:0xf bank_mask:0xf
	v_cmp_ne_u32_e64 s[26:27], 0, v44
	v_mov_b32_e32 v42, v16
	v_mov_b32_e32 v43, v17
	s_and_saveexec_b64 s[28:29], s[26:27]
	s_xor_b64 s[34:35], exec, s[28:29]
	s_cbranch_execz .LBB56_33
; %bb.30:
	v_max_f64 v[46:47], v[40:41], v[40:41]
	v_max_f64 v[48:49], v[16:17], v[16:17]
	v_min_f64 v[42:43], v[46:47], v[48:49]
	v_cmp_u_f64_e64 s[26:27], v[40:41], v[40:41]
	v_max_f64 v[46:47], v[46:47], v[48:49]
	v_cmp_u_f64_e64 s[28:29], v[16:17], v[16:17]
	v_cndmask_b32_e64 v43, v43, v41, s[26:27]
	v_cndmask_b32_e64 v42, v42, v40, s[26:27]
	;; [unrolled: 1-line block ×8, first 2 shown]
	s_movk_i32 s28, 0x1f8
	v_cmp_neq_f64_e64 s[26:27], v[42:43], v[16:17]
	v_cmp_class_f64_e64 s[28:29], v[42:43], s28
	s_or_b64 s[26:27], s[26:27], s[28:29]
	s_and_saveexec_b64 s[36:37], s[26:27]
	s_cbranch_execz .LBB56_32
; %bb.31:
	s_mov_b32 s26, 0x652b82fe
	v_add_f64 v[40:41], v[42:43], -v[16:17]
	s_mov_b32 s27, 0x3ff71547
	v_mul_f64 v[42:43], v[40:41], s[26:27]
	v_rndne_f64_e32 v[42:43], v[42:43]
	s_mov_b32 s39, 0xbfe62e42
	s_mov_b32 s38, 0xfefa39ef
	v_fma_f64 v[46:47], s[38:39], v[42:43], v[40:41]
	s_mov_b32 s41, 0xbc7abc9e
	s_mov_b32 s40, 0x3b39803f
	;; [unrolled: 1-line block ×3, first 2 shown]
	v_fmac_f64_e32 v[46:47], s[40:41], v[42:43]
	v_mov_b32_e32 v48, 0xfca7ab0c
	v_mov_b32_e32 v49, 0x3e928af3
	s_mov_b32 s27, 0x3e5ade15
	v_fmac_f64_e32 v[48:49], s[26:27], v[46:47]
	v_mov_b32_e32 v50, 0x623fde64
	v_mov_b32_e32 v51, 0x3ec71dee
	v_fmac_f64_e32 v[50:51], v[46:47], v[48:49]
	v_mov_b32_e32 v48, 0x7c89e6b0
	v_mov_b32_e32 v49, 0x3efa0199
	;; [unrolled: 3-line block ×8, first 2 shown]
	v_fmac_f64_e32 v[48:49], v[46:47], v[50:51]
	v_fma_f64 v[48:49], v[46:47], v[48:49], 1.0
	s_mov_b32 s26, 0
	s_mov_b32 s28, 0
	v_fma_f64 v[46:47], v[46:47], v[48:49], 1.0
	v_cvt_i32_f64_e32 v42, v[42:43]
	s_mov_b32 s27, 0x40900000
	s_mov_b32 s29, 0xc090cc00
	v_ldexp_f64 v[42:43], v[46:47], v42
	v_mov_b32_e32 v45, 0x7ff00000
	v_cmp_nlt_f64_e64 s[26:27], s[26:27], v[40:41]
	v_cmp_ngt_f64_e64 s[28:29], s[28:29], v[40:41]
	s_mov_b32 s39, 0x3fe62e42
	v_cndmask_b32_e64 v43, v45, v43, s[26:27]
	s_and_b64 s[26:27], s[28:29], s[26:27]
	v_cndmask_b32_e64 v41, 0, v43, s[28:29]
	v_cndmask_b32_e64 v40, 0, v42, s[26:27]
	v_add_f64 v[42:43], v[40:41], 1.0
	v_add_f64 v[46:47], v[42:43], -1.0
	v_add_f64 v[48:49], v[46:47], -v[42:43]
	v_add_f64 v[48:49], v[48:49], 1.0
	v_add_f64 v[46:47], v[40:41], -v[46:47]
	s_mov_b32 s26, 0x55555555
	v_add_f64 v[46:47], v[46:47], v[48:49]
	v_frexp_mant_f64_e32 v[48:49], v[42:43]
	s_mov_b32 s27, 0x3fe55555
	v_frexp_exp_i32_f64_e32 v50, v[42:43]
	v_cmp_gt_f64_e64 s[26:27], s[26:27], v[48:49]
	s_mov_b32 s41, 0x3c7abc9e
	v_cmp_ngt_f64_e64 s[28:29], -1.0, v[40:41]
	v_subbrev_co_u32_e64 v64, s[26:27], 0, v50, s[26:27]
	v_sub_u32_e32 v48, 0, v64
	v_ldexp_f64 v[42:43], v[42:43], v48
	v_ldexp_f64 v[46:47], v[46:47], v48
	v_add_f64 v[48:49], v[42:43], -1.0
	v_add_f64 v[54:55], v[42:43], 1.0
	v_add_f64 v[50:51], v[48:49], 1.0
	v_add_f64 v[56:57], v[54:55], -1.0
	v_add_f64 v[50:51], v[42:43], -v[50:51]
	v_add_f64 v[42:43], v[42:43], -v[56:57]
	v_add_f64 v[42:43], v[46:47], v[42:43]
	v_add_f64 v[50:51], v[46:47], v[50:51]
	;; [unrolled: 1-line block ×3, first 2 shown]
	v_rcp_f64_e32 v[56:57], v[46:47]
	v_add_f64 v[52:53], v[48:49], v[50:51]
	v_add_f64 v[48:49], v[52:53], -v[48:49]
	v_add_f64 v[48:49], v[50:51], -v[48:49]
	;; [unrolled: 1-line block ×4, first 2 shown]
	v_fma_f64 v[50:51], -v[46:47], v[56:57], 1.0
	v_fmac_f64_e32 v[56:57], v[50:51], v[56:57]
	v_fma_f64 v[50:51], -v[46:47], v[56:57], 1.0
	v_fmac_f64_e32 v[56:57], v[50:51], v[56:57]
	v_mul_f64 v[50:51], v[52:53], v[56:57]
	v_mul_f64 v[54:55], v[46:47], v[50:51]
	v_fma_f64 v[58:59], v[50:51], v[46:47], -v[54:55]
	v_fmac_f64_e32 v[58:59], v[50:51], v[42:43]
	v_add_f64 v[60:61], v[54:55], v[58:59]
	v_add_f64 v[62:63], v[52:53], -v[60:61]
	v_add_f64 v[52:53], v[52:53], -v[62:63]
	;; [unrolled: 1-line block ×4, first 2 shown]
	v_add_f64 v[48:49], v[48:49], v[52:53]
	v_add_f64 v[52:53], v[54:55], -v[58:59]
	v_add_f64 v[48:49], v[52:53], v[48:49]
	v_add_f64 v[52:53], v[62:63], v[48:49]
	v_add_f64 v[54:55], v[62:63], -v[52:53]
	v_add_f64 v[48:49], v[48:49], v[54:55]
	v_mul_f64 v[54:55], v[56:57], v[52:53]
	v_mul_f64 v[58:59], v[46:47], v[54:55]
	v_fma_f64 v[46:47], v[54:55], v[46:47], -v[58:59]
	v_fmac_f64_e32 v[46:47], v[54:55], v[42:43]
	v_add_f64 v[42:43], v[58:59], v[46:47]
	v_add_f64 v[60:61], v[52:53], -v[42:43]
	v_add_f64 v[52:53], v[52:53], -v[60:61]
	;; [unrolled: 1-line block ×4, first 2 shown]
	v_add_f64 v[42:43], v[48:49], v[42:43]
	v_add_f64 v[46:47], v[58:59], -v[46:47]
	v_add_f64 v[42:43], v[46:47], v[42:43]
	v_add_f64 v[46:47], v[50:51], v[54:55]
	;; [unrolled: 1-line block ×3, first 2 shown]
	v_add_f64 v[48:49], v[46:47], -v[50:51]
	v_mul_f64 v[42:43], v[56:57], v[42:43]
	v_add_f64 v[48:49], v[54:55], -v[48:49]
	v_add_f64 v[42:43], v[48:49], v[42:43]
	v_add_f64 v[48:49], v[46:47], v[42:43]
	v_add_f64 v[46:47], v[48:49], -v[46:47]
	s_mov_b32 s26, 0xbf559e2b
	v_add_f64 v[42:43], v[42:43], -v[46:47]
	v_mul_f64 v[46:47], v[48:49], v[48:49]
	v_mov_b32_e32 v50, 0x6b47b09a
	v_mov_b32_e32 v51, 0x3fc38538
	s_mov_b32 s27, 0x3fc3ab76
	v_fmac_f64_e32 v[50:51], s[26:27], v[46:47]
	v_mov_b32_e32 v52, 0xd7f4df2e
	v_mov_b32_e32 v53, 0x3fc7474d
	v_fmac_f64_e32 v[52:53], v[46:47], v[50:51]
	v_mov_b32_e32 v50, 0x16291751
	v_mov_b32_e32 v51, 0x3fcc71c0
	;; [unrolled: 3-line block ×5, first 2 shown]
	v_fmac_f64_e32 v[52:53], v[46:47], v[50:51]
	v_cvt_f64_i32_e32 v[50:51], v64
	v_mul_f64 v[54:55], v[50:51], s[38:39]
	v_fma_f64 v[56:57], v[50:51], s[38:39], -v[54:55]
	v_fmac_f64_e32 v[56:57], s[40:41], v[50:51]
	v_add_f64 v[50:51], v[54:55], v[56:57]
	v_add_f64 v[54:55], v[50:51], -v[54:55]
	v_mul_f64 v[46:47], v[48:49], v[46:47]
	v_add_f64 v[54:55], v[56:57], -v[54:55]
	v_ldexp_f64 v[56:57], v[48:49], 1
	v_mul_f64 v[46:47], v[46:47], v[52:53]
	v_add_f64 v[48:49], v[56:57], v[46:47]
	v_add_f64 v[52:53], v[48:49], -v[56:57]
	v_ldexp_f64 v[42:43], v[42:43], 1
	v_add_f64 v[46:47], v[46:47], -v[52:53]
	v_add_f64 v[42:43], v[42:43], v[46:47]
	v_add_f64 v[46:47], v[48:49], v[42:43]
	v_add_f64 v[48:49], v[46:47], -v[48:49]
	v_add_f64 v[42:43], v[42:43], -v[48:49]
	v_add_f64 v[48:49], v[50:51], v[46:47]
	v_add_f64 v[52:53], v[48:49], -v[50:51]
	v_add_f64 v[56:57], v[48:49], -v[52:53]
	;; [unrolled: 1-line block ×4, first 2 shown]
	v_add_f64 v[46:47], v[46:47], v[50:51]
	v_add_f64 v[50:51], v[54:55], v[42:43]
	v_add_f64 v[52:53], v[50:51], -v[54:55]
	v_add_f64 v[46:47], v[50:51], v[46:47]
	v_add_f64 v[56:57], v[50:51], -v[52:53]
	;; [unrolled: 2-line block ×3, first 2 shown]
	v_add_f64 v[42:43], v[42:43], -v[52:53]
	v_add_f64 v[48:49], v[50:51], -v[48:49]
	v_add_f64 v[42:43], v[42:43], v[54:55]
	v_add_f64 v[46:47], v[46:47], -v[48:49]
	s_mov_b32 s26, 0
	v_add_f64 v[42:43], v[42:43], v[46:47]
	s_mov_b32 s27, 0x7ff00000
	v_add_f64 v[42:43], v[50:51], v[42:43]
	v_cmp_neq_f64_e64 s[26:27], s[26:27], v[40:41]
	s_nop 1
	v_cndmask_b32_e64 v43, v45, v43, s[26:27]
	v_mov_b32_e32 v45, 0x7ff80000
	v_cndmask_b32_e64 v43, v45, v43, s[28:29]
	v_cmp_nge_f64_e64 s[28:29], -1.0, v[40:41]
	s_and_b64 s[26:27], s[28:29], s[26:27]
	v_cndmask_b32_e64 v42, 0, v42, s[26:27]
	v_mov_b32_e32 v45, 0xfff00000
	v_cmp_neq_f64_e64 s[26:27], -1.0, v[40:41]
	s_nop 1
	v_cndmask_b32_e64 v43, v45, v43, s[26:27]
	v_add_f64 v[40:41], v[16:17], v[42:43]
.LBB56_32:
	s_or_b64 exec, exec, s[36:37]
	v_mov_b32_e32 v42, v40
	v_mov_b32_e32 v43, v41
	v_mov_b64_e32 v[16:17], v[40:41]
.LBB56_33:
	s_or_b64 exec, exec, s[34:35]
	v_mov_b32_dpp v40, v42 row_shr:2 row_mask:0xf bank_mask:0xf
	v_mov_b32_dpp v41, v43 row_shr:2 row_mask:0xf bank_mask:0xf
	v_cmp_lt_u32_e64 s[26:27], 1, v44
	s_and_saveexec_b64 s[34:35], s[26:27]
	s_cbranch_execz .LBB56_37
; %bb.34:
	v_max_f64 v[46:47], v[40:41], v[40:41]
	v_max_f64 v[48:49], v[16:17], v[16:17]
	v_min_f64 v[42:43], v[46:47], v[48:49]
	v_cmp_u_f64_e64 s[26:27], v[40:41], v[40:41]
	v_max_f64 v[46:47], v[46:47], v[48:49]
	v_cmp_u_f64_e64 s[28:29], v[16:17], v[16:17]
	v_cndmask_b32_e64 v43, v43, v41, s[26:27]
	v_cndmask_b32_e64 v42, v42, v40, s[26:27]
	v_cndmask_b32_e64 v45, v47, v41, s[26:27]
	v_cndmask_b32_e64 v46, v46, v40, s[26:27]
	v_cndmask_b32_e64 v43, v43, v17, s[28:29]
	v_cndmask_b32_e64 v42, v42, v16, s[28:29]
	v_cndmask_b32_e64 v17, v45, v17, s[28:29]
	v_cndmask_b32_e64 v16, v46, v16, s[28:29]
	s_movk_i32 s28, 0x1f8
	v_cmp_neq_f64_e64 s[26:27], v[42:43], v[16:17]
	v_cmp_class_f64_e64 s[28:29], v[42:43], s28
	s_or_b64 s[26:27], s[26:27], s[28:29]
	s_and_saveexec_b64 s[36:37], s[26:27]
	s_cbranch_execz .LBB56_36
; %bb.35:
	s_mov_b32 s26, 0x652b82fe
	v_add_f64 v[40:41], v[42:43], -v[16:17]
	s_mov_b32 s27, 0x3ff71547
	v_mul_f64 v[42:43], v[40:41], s[26:27]
	v_rndne_f64_e32 v[42:43], v[42:43]
	s_mov_b32 s39, 0xbfe62e42
	s_mov_b32 s38, 0xfefa39ef
	v_fma_f64 v[46:47], s[38:39], v[42:43], v[40:41]
	s_mov_b32 s41, 0xbc7abc9e
	s_mov_b32 s40, 0x3b39803f
	;; [unrolled: 1-line block ×3, first 2 shown]
	v_fmac_f64_e32 v[46:47], s[40:41], v[42:43]
	v_mov_b32_e32 v48, 0xfca7ab0c
	v_mov_b32_e32 v49, 0x3e928af3
	s_mov_b32 s27, 0x3e5ade15
	v_fmac_f64_e32 v[48:49], s[26:27], v[46:47]
	v_mov_b32_e32 v50, 0x623fde64
	v_mov_b32_e32 v51, 0x3ec71dee
	v_fmac_f64_e32 v[50:51], v[46:47], v[48:49]
	v_mov_b32_e32 v48, 0x7c89e6b0
	v_mov_b32_e32 v49, 0x3efa0199
	;; [unrolled: 3-line block ×8, first 2 shown]
	v_fmac_f64_e32 v[48:49], v[46:47], v[50:51]
	v_fma_f64 v[48:49], v[46:47], v[48:49], 1.0
	s_mov_b32 s26, 0
	s_mov_b32 s28, 0
	v_fma_f64 v[46:47], v[46:47], v[48:49], 1.0
	v_cvt_i32_f64_e32 v42, v[42:43]
	s_mov_b32 s27, 0x40900000
	s_mov_b32 s29, 0xc090cc00
	v_ldexp_f64 v[42:43], v[46:47], v42
	v_mov_b32_e32 v45, 0x7ff00000
	v_cmp_nlt_f64_e64 s[26:27], s[26:27], v[40:41]
	v_cmp_ngt_f64_e64 s[28:29], s[28:29], v[40:41]
	s_mov_b32 s39, 0x3fe62e42
	v_cndmask_b32_e64 v43, v45, v43, s[26:27]
	s_and_b64 s[26:27], s[28:29], s[26:27]
	v_cndmask_b32_e64 v41, 0, v43, s[28:29]
	v_cndmask_b32_e64 v40, 0, v42, s[26:27]
	v_add_f64 v[42:43], v[40:41], 1.0
	v_add_f64 v[46:47], v[42:43], -1.0
	v_add_f64 v[48:49], v[46:47], -v[42:43]
	v_add_f64 v[48:49], v[48:49], 1.0
	v_add_f64 v[46:47], v[40:41], -v[46:47]
	s_mov_b32 s26, 0x55555555
	v_add_f64 v[46:47], v[46:47], v[48:49]
	v_frexp_mant_f64_e32 v[48:49], v[42:43]
	s_mov_b32 s27, 0x3fe55555
	v_frexp_exp_i32_f64_e32 v50, v[42:43]
	v_cmp_gt_f64_e64 s[26:27], s[26:27], v[48:49]
	s_mov_b32 s41, 0x3c7abc9e
	v_cmp_ngt_f64_e64 s[28:29], -1.0, v[40:41]
	v_subbrev_co_u32_e64 v64, s[26:27], 0, v50, s[26:27]
	v_sub_u32_e32 v48, 0, v64
	v_ldexp_f64 v[42:43], v[42:43], v48
	v_ldexp_f64 v[46:47], v[46:47], v48
	v_add_f64 v[48:49], v[42:43], -1.0
	v_add_f64 v[54:55], v[42:43], 1.0
	v_add_f64 v[50:51], v[48:49], 1.0
	v_add_f64 v[56:57], v[54:55], -1.0
	v_add_f64 v[50:51], v[42:43], -v[50:51]
	v_add_f64 v[42:43], v[42:43], -v[56:57]
	v_add_f64 v[42:43], v[46:47], v[42:43]
	v_add_f64 v[50:51], v[46:47], v[50:51]
	;; [unrolled: 1-line block ×3, first 2 shown]
	v_rcp_f64_e32 v[56:57], v[46:47]
	v_add_f64 v[52:53], v[48:49], v[50:51]
	v_add_f64 v[48:49], v[52:53], -v[48:49]
	v_add_f64 v[48:49], v[50:51], -v[48:49]
	;; [unrolled: 1-line block ×4, first 2 shown]
	v_fma_f64 v[50:51], -v[46:47], v[56:57], 1.0
	v_fmac_f64_e32 v[56:57], v[50:51], v[56:57]
	v_fma_f64 v[50:51], -v[46:47], v[56:57], 1.0
	v_fmac_f64_e32 v[56:57], v[50:51], v[56:57]
	v_mul_f64 v[50:51], v[52:53], v[56:57]
	v_mul_f64 v[54:55], v[46:47], v[50:51]
	v_fma_f64 v[58:59], v[50:51], v[46:47], -v[54:55]
	v_fmac_f64_e32 v[58:59], v[50:51], v[42:43]
	v_add_f64 v[60:61], v[54:55], v[58:59]
	v_add_f64 v[62:63], v[52:53], -v[60:61]
	v_add_f64 v[52:53], v[52:53], -v[62:63]
	;; [unrolled: 1-line block ×4, first 2 shown]
	v_add_f64 v[48:49], v[48:49], v[52:53]
	v_add_f64 v[52:53], v[54:55], -v[58:59]
	v_add_f64 v[48:49], v[52:53], v[48:49]
	v_add_f64 v[52:53], v[62:63], v[48:49]
	v_add_f64 v[54:55], v[62:63], -v[52:53]
	v_add_f64 v[48:49], v[48:49], v[54:55]
	v_mul_f64 v[54:55], v[56:57], v[52:53]
	v_mul_f64 v[58:59], v[46:47], v[54:55]
	v_fma_f64 v[46:47], v[54:55], v[46:47], -v[58:59]
	v_fmac_f64_e32 v[46:47], v[54:55], v[42:43]
	v_add_f64 v[42:43], v[58:59], v[46:47]
	v_add_f64 v[60:61], v[52:53], -v[42:43]
	v_add_f64 v[52:53], v[52:53], -v[60:61]
	;; [unrolled: 1-line block ×4, first 2 shown]
	v_add_f64 v[42:43], v[48:49], v[42:43]
	v_add_f64 v[46:47], v[58:59], -v[46:47]
	v_add_f64 v[42:43], v[46:47], v[42:43]
	v_add_f64 v[46:47], v[50:51], v[54:55]
	;; [unrolled: 1-line block ×3, first 2 shown]
	v_add_f64 v[48:49], v[46:47], -v[50:51]
	v_mul_f64 v[42:43], v[56:57], v[42:43]
	v_add_f64 v[48:49], v[54:55], -v[48:49]
	v_add_f64 v[42:43], v[48:49], v[42:43]
	v_add_f64 v[48:49], v[46:47], v[42:43]
	v_add_f64 v[46:47], v[48:49], -v[46:47]
	s_mov_b32 s26, 0xbf559e2b
	v_add_f64 v[42:43], v[42:43], -v[46:47]
	v_mul_f64 v[46:47], v[48:49], v[48:49]
	v_mov_b32_e32 v50, 0x6b47b09a
	v_mov_b32_e32 v51, 0x3fc38538
	s_mov_b32 s27, 0x3fc3ab76
	v_fmac_f64_e32 v[50:51], s[26:27], v[46:47]
	v_mov_b32_e32 v52, 0xd7f4df2e
	v_mov_b32_e32 v53, 0x3fc7474d
	v_fmac_f64_e32 v[52:53], v[46:47], v[50:51]
	v_mov_b32_e32 v50, 0x16291751
	v_mov_b32_e32 v51, 0x3fcc71c0
	;; [unrolled: 3-line block ×5, first 2 shown]
	v_fmac_f64_e32 v[52:53], v[46:47], v[50:51]
	v_cvt_f64_i32_e32 v[50:51], v64
	v_mul_f64 v[54:55], v[50:51], s[38:39]
	v_fma_f64 v[56:57], v[50:51], s[38:39], -v[54:55]
	v_fmac_f64_e32 v[56:57], s[40:41], v[50:51]
	v_add_f64 v[50:51], v[54:55], v[56:57]
	v_add_f64 v[54:55], v[50:51], -v[54:55]
	v_mul_f64 v[46:47], v[48:49], v[46:47]
	v_add_f64 v[54:55], v[56:57], -v[54:55]
	v_ldexp_f64 v[56:57], v[48:49], 1
	v_mul_f64 v[46:47], v[46:47], v[52:53]
	v_add_f64 v[48:49], v[56:57], v[46:47]
	v_add_f64 v[52:53], v[48:49], -v[56:57]
	v_ldexp_f64 v[42:43], v[42:43], 1
	v_add_f64 v[46:47], v[46:47], -v[52:53]
	v_add_f64 v[42:43], v[42:43], v[46:47]
	v_add_f64 v[46:47], v[48:49], v[42:43]
	v_add_f64 v[48:49], v[46:47], -v[48:49]
	v_add_f64 v[42:43], v[42:43], -v[48:49]
	v_add_f64 v[48:49], v[50:51], v[46:47]
	v_add_f64 v[52:53], v[48:49], -v[50:51]
	v_add_f64 v[56:57], v[48:49], -v[52:53]
	;; [unrolled: 1-line block ×4, first 2 shown]
	v_add_f64 v[46:47], v[46:47], v[50:51]
	v_add_f64 v[50:51], v[54:55], v[42:43]
	v_add_f64 v[52:53], v[50:51], -v[54:55]
	v_add_f64 v[46:47], v[50:51], v[46:47]
	v_add_f64 v[56:57], v[50:51], -v[52:53]
	;; [unrolled: 2-line block ×3, first 2 shown]
	v_add_f64 v[42:43], v[42:43], -v[52:53]
	v_add_f64 v[48:49], v[50:51], -v[48:49]
	v_add_f64 v[42:43], v[42:43], v[54:55]
	v_add_f64 v[46:47], v[46:47], -v[48:49]
	s_mov_b32 s26, 0
	v_add_f64 v[42:43], v[42:43], v[46:47]
	s_mov_b32 s27, 0x7ff00000
	v_add_f64 v[42:43], v[50:51], v[42:43]
	v_cmp_neq_f64_e64 s[26:27], s[26:27], v[40:41]
	s_nop 1
	v_cndmask_b32_e64 v43, v45, v43, s[26:27]
	v_mov_b32_e32 v45, 0x7ff80000
	v_cndmask_b32_e64 v43, v45, v43, s[28:29]
	v_cmp_nge_f64_e64 s[28:29], -1.0, v[40:41]
	s_and_b64 s[26:27], s[28:29], s[26:27]
	v_cndmask_b32_e64 v42, 0, v42, s[26:27]
	v_mov_b32_e32 v45, 0xfff00000
	v_cmp_neq_f64_e64 s[26:27], -1.0, v[40:41]
	s_nop 1
	v_cndmask_b32_e64 v43, v45, v43, s[26:27]
	v_add_f64 v[40:41], v[16:17], v[42:43]
.LBB56_36:
	s_or_b64 exec, exec, s[36:37]
	v_mov_b64_e32 v[16:17], v[40:41]
	v_mov_b32_e32 v42, v40
	v_mov_b32_e32 v43, v41
.LBB56_37:
	s_or_b64 exec, exec, s[34:35]
	v_mov_b32_dpp v40, v42 row_shr:4 row_mask:0xf bank_mask:0xf
	v_mov_b32_dpp v41, v43 row_shr:4 row_mask:0xf bank_mask:0xf
	v_cmp_lt_u32_e64 s[26:27], 3, v44
	s_and_saveexec_b64 s[34:35], s[26:27]
	s_cbranch_execz .LBB56_41
; %bb.38:
	v_max_f64 v[46:47], v[40:41], v[40:41]
	v_max_f64 v[48:49], v[16:17], v[16:17]
	v_min_f64 v[42:43], v[46:47], v[48:49]
	v_cmp_u_f64_e64 s[26:27], v[40:41], v[40:41]
	v_max_f64 v[46:47], v[46:47], v[48:49]
	v_cmp_u_f64_e64 s[28:29], v[16:17], v[16:17]
	v_cndmask_b32_e64 v43, v43, v41, s[26:27]
	v_cndmask_b32_e64 v42, v42, v40, s[26:27]
	;; [unrolled: 1-line block ×8, first 2 shown]
	s_movk_i32 s28, 0x1f8
	v_cmp_neq_f64_e64 s[26:27], v[42:43], v[16:17]
	v_cmp_class_f64_e64 s[28:29], v[42:43], s28
	s_or_b64 s[26:27], s[26:27], s[28:29]
	s_and_saveexec_b64 s[36:37], s[26:27]
	s_cbranch_execz .LBB56_40
; %bb.39:
	s_mov_b32 s26, 0x652b82fe
	v_add_f64 v[40:41], v[42:43], -v[16:17]
	s_mov_b32 s27, 0x3ff71547
	v_mul_f64 v[42:43], v[40:41], s[26:27]
	v_rndne_f64_e32 v[42:43], v[42:43]
	s_mov_b32 s39, 0xbfe62e42
	s_mov_b32 s38, 0xfefa39ef
	v_fma_f64 v[46:47], s[38:39], v[42:43], v[40:41]
	s_mov_b32 s41, 0xbc7abc9e
	s_mov_b32 s40, 0x3b39803f
	;; [unrolled: 1-line block ×3, first 2 shown]
	v_fmac_f64_e32 v[46:47], s[40:41], v[42:43]
	v_mov_b32_e32 v48, 0xfca7ab0c
	v_mov_b32_e32 v49, 0x3e928af3
	s_mov_b32 s27, 0x3e5ade15
	v_fmac_f64_e32 v[48:49], s[26:27], v[46:47]
	v_mov_b32_e32 v50, 0x623fde64
	v_mov_b32_e32 v51, 0x3ec71dee
	v_fmac_f64_e32 v[50:51], v[46:47], v[48:49]
	v_mov_b32_e32 v48, 0x7c89e6b0
	v_mov_b32_e32 v49, 0x3efa0199
	;; [unrolled: 3-line block ×8, first 2 shown]
	v_fmac_f64_e32 v[48:49], v[46:47], v[50:51]
	v_fma_f64 v[48:49], v[46:47], v[48:49], 1.0
	s_mov_b32 s26, 0
	s_mov_b32 s28, 0
	v_fma_f64 v[46:47], v[46:47], v[48:49], 1.0
	v_cvt_i32_f64_e32 v42, v[42:43]
	s_mov_b32 s27, 0x40900000
	s_mov_b32 s29, 0xc090cc00
	v_ldexp_f64 v[42:43], v[46:47], v42
	v_mov_b32_e32 v45, 0x7ff00000
	v_cmp_nlt_f64_e64 s[26:27], s[26:27], v[40:41]
	v_cmp_ngt_f64_e64 s[28:29], s[28:29], v[40:41]
	s_mov_b32 s39, 0x3fe62e42
	v_cndmask_b32_e64 v43, v45, v43, s[26:27]
	s_and_b64 s[26:27], s[28:29], s[26:27]
	v_cndmask_b32_e64 v41, 0, v43, s[28:29]
	v_cndmask_b32_e64 v40, 0, v42, s[26:27]
	v_add_f64 v[42:43], v[40:41], 1.0
	v_add_f64 v[46:47], v[42:43], -1.0
	v_add_f64 v[48:49], v[46:47], -v[42:43]
	v_add_f64 v[48:49], v[48:49], 1.0
	v_add_f64 v[46:47], v[40:41], -v[46:47]
	s_mov_b32 s26, 0x55555555
	v_add_f64 v[46:47], v[46:47], v[48:49]
	v_frexp_mant_f64_e32 v[48:49], v[42:43]
	s_mov_b32 s27, 0x3fe55555
	v_frexp_exp_i32_f64_e32 v50, v[42:43]
	v_cmp_gt_f64_e64 s[26:27], s[26:27], v[48:49]
	s_mov_b32 s41, 0x3c7abc9e
	v_cmp_ngt_f64_e64 s[28:29], -1.0, v[40:41]
	v_subbrev_co_u32_e64 v64, s[26:27], 0, v50, s[26:27]
	v_sub_u32_e32 v48, 0, v64
	v_ldexp_f64 v[42:43], v[42:43], v48
	v_ldexp_f64 v[46:47], v[46:47], v48
	v_add_f64 v[48:49], v[42:43], -1.0
	v_add_f64 v[54:55], v[42:43], 1.0
	v_add_f64 v[50:51], v[48:49], 1.0
	v_add_f64 v[56:57], v[54:55], -1.0
	v_add_f64 v[50:51], v[42:43], -v[50:51]
	v_add_f64 v[42:43], v[42:43], -v[56:57]
	v_add_f64 v[42:43], v[46:47], v[42:43]
	v_add_f64 v[50:51], v[46:47], v[50:51]
	;; [unrolled: 1-line block ×3, first 2 shown]
	v_rcp_f64_e32 v[56:57], v[46:47]
	v_add_f64 v[52:53], v[48:49], v[50:51]
	v_add_f64 v[48:49], v[52:53], -v[48:49]
	v_add_f64 v[48:49], v[50:51], -v[48:49]
	;; [unrolled: 1-line block ×4, first 2 shown]
	v_fma_f64 v[50:51], -v[46:47], v[56:57], 1.0
	v_fmac_f64_e32 v[56:57], v[50:51], v[56:57]
	v_fma_f64 v[50:51], -v[46:47], v[56:57], 1.0
	v_fmac_f64_e32 v[56:57], v[50:51], v[56:57]
	v_mul_f64 v[50:51], v[52:53], v[56:57]
	v_mul_f64 v[54:55], v[46:47], v[50:51]
	v_fma_f64 v[58:59], v[50:51], v[46:47], -v[54:55]
	v_fmac_f64_e32 v[58:59], v[50:51], v[42:43]
	v_add_f64 v[60:61], v[54:55], v[58:59]
	v_add_f64 v[62:63], v[52:53], -v[60:61]
	v_add_f64 v[52:53], v[52:53], -v[62:63]
	;; [unrolled: 1-line block ×4, first 2 shown]
	v_add_f64 v[48:49], v[48:49], v[52:53]
	v_add_f64 v[52:53], v[54:55], -v[58:59]
	v_add_f64 v[48:49], v[52:53], v[48:49]
	v_add_f64 v[52:53], v[62:63], v[48:49]
	v_add_f64 v[54:55], v[62:63], -v[52:53]
	v_add_f64 v[48:49], v[48:49], v[54:55]
	v_mul_f64 v[54:55], v[56:57], v[52:53]
	v_mul_f64 v[58:59], v[46:47], v[54:55]
	v_fma_f64 v[46:47], v[54:55], v[46:47], -v[58:59]
	v_fmac_f64_e32 v[46:47], v[54:55], v[42:43]
	v_add_f64 v[42:43], v[58:59], v[46:47]
	v_add_f64 v[60:61], v[52:53], -v[42:43]
	v_add_f64 v[52:53], v[52:53], -v[60:61]
	;; [unrolled: 1-line block ×4, first 2 shown]
	v_add_f64 v[42:43], v[48:49], v[42:43]
	v_add_f64 v[46:47], v[58:59], -v[46:47]
	v_add_f64 v[42:43], v[46:47], v[42:43]
	v_add_f64 v[46:47], v[50:51], v[54:55]
	;; [unrolled: 1-line block ×3, first 2 shown]
	v_add_f64 v[48:49], v[46:47], -v[50:51]
	v_mul_f64 v[42:43], v[56:57], v[42:43]
	v_add_f64 v[48:49], v[54:55], -v[48:49]
	v_add_f64 v[42:43], v[48:49], v[42:43]
	v_add_f64 v[48:49], v[46:47], v[42:43]
	v_add_f64 v[46:47], v[48:49], -v[46:47]
	s_mov_b32 s26, 0xbf559e2b
	v_add_f64 v[42:43], v[42:43], -v[46:47]
	v_mul_f64 v[46:47], v[48:49], v[48:49]
	v_mov_b32_e32 v50, 0x6b47b09a
	v_mov_b32_e32 v51, 0x3fc38538
	s_mov_b32 s27, 0x3fc3ab76
	v_fmac_f64_e32 v[50:51], s[26:27], v[46:47]
	v_mov_b32_e32 v52, 0xd7f4df2e
	v_mov_b32_e32 v53, 0x3fc7474d
	v_fmac_f64_e32 v[52:53], v[46:47], v[50:51]
	v_mov_b32_e32 v50, 0x16291751
	v_mov_b32_e32 v51, 0x3fcc71c0
	;; [unrolled: 3-line block ×5, first 2 shown]
	v_fmac_f64_e32 v[52:53], v[46:47], v[50:51]
	v_cvt_f64_i32_e32 v[50:51], v64
	v_mul_f64 v[54:55], v[50:51], s[38:39]
	v_fma_f64 v[56:57], v[50:51], s[38:39], -v[54:55]
	v_fmac_f64_e32 v[56:57], s[40:41], v[50:51]
	v_add_f64 v[50:51], v[54:55], v[56:57]
	v_add_f64 v[54:55], v[50:51], -v[54:55]
	v_mul_f64 v[46:47], v[48:49], v[46:47]
	v_add_f64 v[54:55], v[56:57], -v[54:55]
	v_ldexp_f64 v[56:57], v[48:49], 1
	v_mul_f64 v[46:47], v[46:47], v[52:53]
	v_add_f64 v[48:49], v[56:57], v[46:47]
	v_add_f64 v[52:53], v[48:49], -v[56:57]
	v_ldexp_f64 v[42:43], v[42:43], 1
	v_add_f64 v[46:47], v[46:47], -v[52:53]
	v_add_f64 v[42:43], v[42:43], v[46:47]
	v_add_f64 v[46:47], v[48:49], v[42:43]
	v_add_f64 v[48:49], v[46:47], -v[48:49]
	v_add_f64 v[42:43], v[42:43], -v[48:49]
	v_add_f64 v[48:49], v[50:51], v[46:47]
	v_add_f64 v[52:53], v[48:49], -v[50:51]
	v_add_f64 v[56:57], v[48:49], -v[52:53]
	;; [unrolled: 1-line block ×4, first 2 shown]
	v_add_f64 v[46:47], v[46:47], v[50:51]
	v_add_f64 v[50:51], v[54:55], v[42:43]
	v_add_f64 v[52:53], v[50:51], -v[54:55]
	v_add_f64 v[46:47], v[50:51], v[46:47]
	v_add_f64 v[56:57], v[50:51], -v[52:53]
	;; [unrolled: 2-line block ×3, first 2 shown]
	v_add_f64 v[42:43], v[42:43], -v[52:53]
	v_add_f64 v[48:49], v[50:51], -v[48:49]
	v_add_f64 v[42:43], v[42:43], v[54:55]
	v_add_f64 v[46:47], v[46:47], -v[48:49]
	s_mov_b32 s26, 0
	v_add_f64 v[42:43], v[42:43], v[46:47]
	s_mov_b32 s27, 0x7ff00000
	v_add_f64 v[42:43], v[50:51], v[42:43]
	v_cmp_neq_f64_e64 s[26:27], s[26:27], v[40:41]
	s_nop 1
	v_cndmask_b32_e64 v43, v45, v43, s[26:27]
	v_mov_b32_e32 v45, 0x7ff80000
	v_cndmask_b32_e64 v43, v45, v43, s[28:29]
	v_cmp_nge_f64_e64 s[28:29], -1.0, v[40:41]
	s_and_b64 s[26:27], s[28:29], s[26:27]
	v_cndmask_b32_e64 v42, 0, v42, s[26:27]
	v_mov_b32_e32 v45, 0xfff00000
	v_cmp_neq_f64_e64 s[26:27], -1.0, v[40:41]
	s_nop 1
	v_cndmask_b32_e64 v43, v45, v43, s[26:27]
	v_add_f64 v[40:41], v[16:17], v[42:43]
.LBB56_40:
	s_or_b64 exec, exec, s[36:37]
	v_mov_b64_e32 v[16:17], v[40:41]
	v_mov_b32_e32 v42, v40
	v_mov_b32_e32 v43, v41
.LBB56_41:
	s_or_b64 exec, exec, s[34:35]
	v_mov_b32_dpp v40, v42 row_shr:8 row_mask:0xf bank_mask:0xf
	v_mov_b32_dpp v41, v43 row_shr:8 row_mask:0xf bank_mask:0xf
	v_cmp_lt_u32_e64 s[26:27], 7, v44
	s_and_saveexec_b64 s[34:35], s[26:27]
	s_cbranch_execz .LBB56_45
; %bb.42:
	v_max_f64 v[44:45], v[40:41], v[40:41]
	v_max_f64 v[46:47], v[16:17], v[16:17]
	v_min_f64 v[42:43], v[44:45], v[46:47]
	v_cmp_u_f64_e64 s[26:27], v[40:41], v[40:41]
	v_max_f64 v[44:45], v[44:45], v[46:47]
	v_cmp_u_f64_e64 s[28:29], v[16:17], v[16:17]
	v_cndmask_b32_e64 v43, v43, v41, s[26:27]
	v_cndmask_b32_e64 v42, v42, v40, s[26:27]
	;; [unrolled: 1-line block ×8, first 2 shown]
	s_movk_i32 s28, 0x1f8
	v_cmp_neq_f64_e64 s[26:27], v[42:43], v[16:17]
	v_cmp_class_f64_e64 s[28:29], v[42:43], s28
	s_or_b64 s[26:27], s[26:27], s[28:29]
	s_and_saveexec_b64 s[36:37], s[26:27]
	s_cbranch_execz .LBB56_44
; %bb.43:
	s_mov_b32 s26, 0x652b82fe
	v_add_f64 v[40:41], v[42:43], -v[16:17]
	s_mov_b32 s27, 0x3ff71547
	v_mul_f64 v[42:43], v[40:41], s[26:27]
	v_rndne_f64_e32 v[42:43], v[42:43]
	s_mov_b32 s39, 0xbfe62e42
	s_mov_b32 s38, 0xfefa39ef
	v_fma_f64 v[44:45], s[38:39], v[42:43], v[40:41]
	s_mov_b32 s41, 0xbc7abc9e
	s_mov_b32 s40, 0x3b39803f
	;; [unrolled: 1-line block ×3, first 2 shown]
	v_fmac_f64_e32 v[44:45], s[40:41], v[42:43]
	v_mov_b32_e32 v46, 0xfca7ab0c
	v_mov_b32_e32 v47, 0x3e928af3
	s_mov_b32 s27, 0x3e5ade15
	v_fmac_f64_e32 v[46:47], s[26:27], v[44:45]
	v_mov_b32_e32 v48, 0x623fde64
	v_mov_b32_e32 v49, 0x3ec71dee
	v_fmac_f64_e32 v[48:49], v[44:45], v[46:47]
	v_mov_b32_e32 v46, 0x7c89e6b0
	v_mov_b32_e32 v47, 0x3efa0199
	;; [unrolled: 3-line block ×8, first 2 shown]
	v_fmac_f64_e32 v[46:47], v[44:45], v[48:49]
	v_fma_f64 v[46:47], v[44:45], v[46:47], 1.0
	s_mov_b32 s26, 0
	s_mov_b32 s28, 0
	v_fma_f64 v[44:45], v[44:45], v[46:47], 1.0
	v_cvt_i32_f64_e32 v42, v[42:43]
	s_mov_b32 s27, 0x40900000
	s_mov_b32 s29, 0xc090cc00
	v_ldexp_f64 v[42:43], v[44:45], v42
	v_mov_b32_e32 v62, 0x7ff00000
	v_cmp_nlt_f64_e64 s[26:27], s[26:27], v[40:41]
	v_cmp_ngt_f64_e64 s[28:29], s[28:29], v[40:41]
	s_mov_b32 s39, 0x3fe62e42
	v_cndmask_b32_e64 v43, v62, v43, s[26:27]
	s_and_b64 s[26:27], s[28:29], s[26:27]
	v_cndmask_b32_e64 v41, 0, v43, s[28:29]
	v_cndmask_b32_e64 v40, 0, v42, s[26:27]
	v_add_f64 v[42:43], v[40:41], 1.0
	v_add_f64 v[44:45], v[42:43], -1.0
	v_add_f64 v[46:47], v[44:45], -v[42:43]
	v_add_f64 v[46:47], v[46:47], 1.0
	v_add_f64 v[44:45], v[40:41], -v[44:45]
	s_mov_b32 s26, 0x55555555
	v_add_f64 v[44:45], v[44:45], v[46:47]
	v_frexp_mant_f64_e32 v[46:47], v[42:43]
	s_mov_b32 s27, 0x3fe55555
	v_frexp_exp_i32_f64_e32 v48, v[42:43]
	v_cmp_gt_f64_e64 s[26:27], s[26:27], v[46:47]
	s_mov_b32 s41, 0x3c7abc9e
	v_cmp_ngt_f64_e64 s[28:29], -1.0, v[40:41]
	v_subbrev_co_u32_e64 v63, s[26:27], 0, v48, s[26:27]
	v_sub_u32_e32 v46, 0, v63
	v_ldexp_f64 v[42:43], v[42:43], v46
	v_ldexp_f64 v[44:45], v[44:45], v46
	v_add_f64 v[46:47], v[42:43], -1.0
	v_add_f64 v[52:53], v[42:43], 1.0
	v_add_f64 v[48:49], v[46:47], 1.0
	v_add_f64 v[54:55], v[52:53], -1.0
	v_add_f64 v[48:49], v[42:43], -v[48:49]
	v_add_f64 v[42:43], v[42:43], -v[54:55]
	v_add_f64 v[42:43], v[44:45], v[42:43]
	v_add_f64 v[48:49], v[44:45], v[48:49]
	;; [unrolled: 1-line block ×3, first 2 shown]
	v_rcp_f64_e32 v[54:55], v[44:45]
	v_add_f64 v[50:51], v[46:47], v[48:49]
	v_add_f64 v[46:47], v[50:51], -v[46:47]
	v_add_f64 v[46:47], v[48:49], -v[46:47]
	;; [unrolled: 1-line block ×4, first 2 shown]
	v_fma_f64 v[48:49], -v[44:45], v[54:55], 1.0
	v_fmac_f64_e32 v[54:55], v[48:49], v[54:55]
	v_fma_f64 v[48:49], -v[44:45], v[54:55], 1.0
	v_fmac_f64_e32 v[54:55], v[48:49], v[54:55]
	v_mul_f64 v[48:49], v[50:51], v[54:55]
	v_mul_f64 v[52:53], v[44:45], v[48:49]
	v_fma_f64 v[56:57], v[48:49], v[44:45], -v[52:53]
	v_fmac_f64_e32 v[56:57], v[48:49], v[42:43]
	v_add_f64 v[58:59], v[52:53], v[56:57]
	v_add_f64 v[60:61], v[50:51], -v[58:59]
	v_add_f64 v[50:51], v[50:51], -v[60:61]
	;; [unrolled: 1-line block ×4, first 2 shown]
	v_add_f64 v[46:47], v[46:47], v[50:51]
	v_add_f64 v[50:51], v[52:53], -v[56:57]
	v_add_f64 v[46:47], v[50:51], v[46:47]
	v_add_f64 v[50:51], v[60:61], v[46:47]
	v_add_f64 v[52:53], v[60:61], -v[50:51]
	v_add_f64 v[46:47], v[46:47], v[52:53]
	v_mul_f64 v[52:53], v[54:55], v[50:51]
	v_mul_f64 v[56:57], v[44:45], v[52:53]
	v_fma_f64 v[44:45], v[52:53], v[44:45], -v[56:57]
	v_fmac_f64_e32 v[44:45], v[52:53], v[42:43]
	v_add_f64 v[42:43], v[56:57], v[44:45]
	v_add_f64 v[58:59], v[50:51], -v[42:43]
	v_add_f64 v[50:51], v[50:51], -v[58:59]
	;; [unrolled: 1-line block ×4, first 2 shown]
	v_add_f64 v[42:43], v[46:47], v[42:43]
	v_add_f64 v[44:45], v[56:57], -v[44:45]
	v_add_f64 v[42:43], v[44:45], v[42:43]
	v_add_f64 v[44:45], v[48:49], v[52:53]
	;; [unrolled: 1-line block ×3, first 2 shown]
	v_add_f64 v[46:47], v[44:45], -v[48:49]
	v_mul_f64 v[42:43], v[54:55], v[42:43]
	v_add_f64 v[46:47], v[52:53], -v[46:47]
	v_add_f64 v[42:43], v[46:47], v[42:43]
	v_add_f64 v[46:47], v[44:45], v[42:43]
	v_add_f64 v[44:45], v[46:47], -v[44:45]
	s_mov_b32 s26, 0xbf559e2b
	v_add_f64 v[42:43], v[42:43], -v[44:45]
	v_mul_f64 v[44:45], v[46:47], v[46:47]
	v_mov_b32_e32 v48, 0x6b47b09a
	v_mov_b32_e32 v49, 0x3fc38538
	s_mov_b32 s27, 0x3fc3ab76
	v_fmac_f64_e32 v[48:49], s[26:27], v[44:45]
	v_mov_b32_e32 v50, 0xd7f4df2e
	v_mov_b32_e32 v51, 0x3fc7474d
	v_fmac_f64_e32 v[50:51], v[44:45], v[48:49]
	v_mov_b32_e32 v48, 0x16291751
	v_mov_b32_e32 v49, 0x3fcc71c0
	;; [unrolled: 3-line block ×5, first 2 shown]
	v_fmac_f64_e32 v[50:51], v[44:45], v[48:49]
	v_cvt_f64_i32_e32 v[48:49], v63
	v_mul_f64 v[52:53], v[48:49], s[38:39]
	v_fma_f64 v[54:55], v[48:49], s[38:39], -v[52:53]
	v_fmac_f64_e32 v[54:55], s[40:41], v[48:49]
	v_add_f64 v[48:49], v[52:53], v[54:55]
	v_add_f64 v[52:53], v[48:49], -v[52:53]
	v_mul_f64 v[44:45], v[46:47], v[44:45]
	v_add_f64 v[52:53], v[54:55], -v[52:53]
	v_ldexp_f64 v[54:55], v[46:47], 1
	v_mul_f64 v[44:45], v[44:45], v[50:51]
	v_add_f64 v[46:47], v[54:55], v[44:45]
	v_add_f64 v[50:51], v[46:47], -v[54:55]
	v_ldexp_f64 v[42:43], v[42:43], 1
	v_add_f64 v[44:45], v[44:45], -v[50:51]
	v_add_f64 v[42:43], v[42:43], v[44:45]
	v_add_f64 v[44:45], v[46:47], v[42:43]
	v_add_f64 v[46:47], v[44:45], -v[46:47]
	v_add_f64 v[42:43], v[42:43], -v[46:47]
	v_add_f64 v[46:47], v[48:49], v[44:45]
	v_add_f64 v[50:51], v[46:47], -v[48:49]
	v_add_f64 v[54:55], v[46:47], -v[50:51]
	;; [unrolled: 1-line block ×4, first 2 shown]
	v_add_f64 v[44:45], v[44:45], v[48:49]
	v_add_f64 v[48:49], v[52:53], v[42:43]
	v_add_f64 v[50:51], v[48:49], -v[52:53]
	v_add_f64 v[44:45], v[48:49], v[44:45]
	v_add_f64 v[54:55], v[48:49], -v[50:51]
	;; [unrolled: 2-line block ×3, first 2 shown]
	v_add_f64 v[42:43], v[42:43], -v[50:51]
	v_add_f64 v[46:47], v[48:49], -v[46:47]
	v_add_f64 v[42:43], v[42:43], v[52:53]
	v_add_f64 v[44:45], v[44:45], -v[46:47]
	s_mov_b32 s26, 0
	v_add_f64 v[42:43], v[42:43], v[44:45]
	s_mov_b32 s27, 0x7ff00000
	v_add_f64 v[42:43], v[48:49], v[42:43]
	v_cmp_neq_f64_e64 s[26:27], s[26:27], v[40:41]
	v_mov_b32_e32 v44, 0x7ff80000
	s_nop 0
	v_cndmask_b32_e64 v43, v62, v43, s[26:27]
	v_cndmask_b32_e64 v43, v44, v43, s[28:29]
	v_cmp_nge_f64_e64 s[28:29], -1.0, v[40:41]
	s_and_b64 s[26:27], s[28:29], s[26:27]
	v_cndmask_b32_e64 v42, 0, v42, s[26:27]
	v_mov_b32_e32 v44, 0xfff00000
	v_cmp_neq_f64_e64 s[26:27], -1.0, v[40:41]
	s_nop 1
	v_cndmask_b32_e64 v43, v44, v43, s[26:27]
	v_add_f64 v[40:41], v[16:17], v[42:43]
.LBB56_44:
	s_or_b64 exec, exec, s[36:37]
	v_mov_b64_e32 v[16:17], v[40:41]
	v_mov_b32_e32 v42, v40
	v_mov_b32_e32 v43, v41
.LBB56_45:
	s_or_b64 exec, exec, s[34:35]
	v_and_b32_e32 v44, 16, v19
	v_mov_b32_dpp v40, v42 row_bcast:15 row_mask:0xf bank_mask:0xf
	v_mov_b32_dpp v41, v43 row_bcast:15 row_mask:0xf bank_mask:0xf
	v_cmp_ne_u32_e64 s[26:27], 0, v44
	s_and_saveexec_b64 s[34:35], s[26:27]
	s_cbranch_execz .LBB56_49
; %bb.46:
	v_max_f64 v[44:45], v[40:41], v[40:41]
	v_max_f64 v[46:47], v[16:17], v[16:17]
	v_min_f64 v[42:43], v[44:45], v[46:47]
	v_cmp_u_f64_e64 s[26:27], v[40:41], v[40:41]
	v_max_f64 v[44:45], v[44:45], v[46:47]
	v_cmp_u_f64_e64 s[28:29], v[16:17], v[16:17]
	v_cndmask_b32_e64 v43, v43, v41, s[26:27]
	v_cndmask_b32_e64 v42, v42, v40, s[26:27]
	;; [unrolled: 1-line block ×8, first 2 shown]
	s_movk_i32 s28, 0x1f8
	v_cmp_neq_f64_e64 s[26:27], v[42:43], v[16:17]
	v_cmp_class_f64_e64 s[28:29], v[42:43], s28
	s_or_b64 s[26:27], s[26:27], s[28:29]
	s_and_saveexec_b64 s[36:37], s[26:27]
	s_cbranch_execz .LBB56_48
; %bb.47:
	s_mov_b32 s26, 0x652b82fe
	v_add_f64 v[40:41], v[42:43], -v[16:17]
	s_mov_b32 s27, 0x3ff71547
	v_mul_f64 v[42:43], v[40:41], s[26:27]
	v_rndne_f64_e32 v[42:43], v[42:43]
	s_mov_b32 s39, 0xbfe62e42
	s_mov_b32 s38, 0xfefa39ef
	v_fma_f64 v[44:45], s[38:39], v[42:43], v[40:41]
	s_mov_b32 s41, 0xbc7abc9e
	s_mov_b32 s40, 0x3b39803f
	;; [unrolled: 1-line block ×3, first 2 shown]
	v_fmac_f64_e32 v[44:45], s[40:41], v[42:43]
	v_mov_b32_e32 v46, 0xfca7ab0c
	v_mov_b32_e32 v47, 0x3e928af3
	s_mov_b32 s27, 0x3e5ade15
	v_fmac_f64_e32 v[46:47], s[26:27], v[44:45]
	v_mov_b32_e32 v48, 0x623fde64
	v_mov_b32_e32 v49, 0x3ec71dee
	v_fmac_f64_e32 v[48:49], v[44:45], v[46:47]
	v_mov_b32_e32 v46, 0x7c89e6b0
	v_mov_b32_e32 v47, 0x3efa0199
	;; [unrolled: 3-line block ×8, first 2 shown]
	v_fmac_f64_e32 v[46:47], v[44:45], v[48:49]
	v_fma_f64 v[46:47], v[44:45], v[46:47], 1.0
	s_mov_b32 s26, 0
	s_mov_b32 s28, 0
	v_fma_f64 v[44:45], v[44:45], v[46:47], 1.0
	v_cvt_i32_f64_e32 v42, v[42:43]
	s_mov_b32 s27, 0x40900000
	s_mov_b32 s29, 0xc090cc00
	v_ldexp_f64 v[42:43], v[44:45], v42
	v_mov_b32_e32 v62, 0x7ff00000
	v_cmp_nlt_f64_e64 s[26:27], s[26:27], v[40:41]
	v_cmp_ngt_f64_e64 s[28:29], s[28:29], v[40:41]
	s_mov_b32 s39, 0x3fe62e42
	v_cndmask_b32_e64 v43, v62, v43, s[26:27]
	s_and_b64 s[26:27], s[28:29], s[26:27]
	v_cndmask_b32_e64 v41, 0, v43, s[28:29]
	v_cndmask_b32_e64 v40, 0, v42, s[26:27]
	v_add_f64 v[42:43], v[40:41], 1.0
	v_add_f64 v[44:45], v[42:43], -1.0
	v_add_f64 v[46:47], v[44:45], -v[42:43]
	v_add_f64 v[46:47], v[46:47], 1.0
	v_add_f64 v[44:45], v[40:41], -v[44:45]
	s_mov_b32 s26, 0x55555555
	v_add_f64 v[44:45], v[44:45], v[46:47]
	v_frexp_mant_f64_e32 v[46:47], v[42:43]
	s_mov_b32 s27, 0x3fe55555
	v_frexp_exp_i32_f64_e32 v48, v[42:43]
	v_cmp_gt_f64_e64 s[26:27], s[26:27], v[46:47]
	s_mov_b32 s41, 0x3c7abc9e
	v_cmp_ngt_f64_e64 s[28:29], -1.0, v[40:41]
	v_subbrev_co_u32_e64 v63, s[26:27], 0, v48, s[26:27]
	v_sub_u32_e32 v46, 0, v63
	v_ldexp_f64 v[42:43], v[42:43], v46
	v_ldexp_f64 v[44:45], v[44:45], v46
	v_add_f64 v[46:47], v[42:43], -1.0
	v_add_f64 v[52:53], v[42:43], 1.0
	v_add_f64 v[48:49], v[46:47], 1.0
	v_add_f64 v[54:55], v[52:53], -1.0
	v_add_f64 v[48:49], v[42:43], -v[48:49]
	v_add_f64 v[42:43], v[42:43], -v[54:55]
	v_add_f64 v[42:43], v[44:45], v[42:43]
	v_add_f64 v[48:49], v[44:45], v[48:49]
	;; [unrolled: 1-line block ×3, first 2 shown]
	v_rcp_f64_e32 v[54:55], v[44:45]
	v_add_f64 v[50:51], v[46:47], v[48:49]
	v_add_f64 v[46:47], v[50:51], -v[46:47]
	v_add_f64 v[46:47], v[48:49], -v[46:47]
	;; [unrolled: 1-line block ×4, first 2 shown]
	v_fma_f64 v[48:49], -v[44:45], v[54:55], 1.0
	v_fmac_f64_e32 v[54:55], v[48:49], v[54:55]
	v_fma_f64 v[48:49], -v[44:45], v[54:55], 1.0
	v_fmac_f64_e32 v[54:55], v[48:49], v[54:55]
	v_mul_f64 v[48:49], v[50:51], v[54:55]
	v_mul_f64 v[52:53], v[44:45], v[48:49]
	v_fma_f64 v[56:57], v[48:49], v[44:45], -v[52:53]
	v_fmac_f64_e32 v[56:57], v[48:49], v[42:43]
	v_add_f64 v[58:59], v[52:53], v[56:57]
	v_add_f64 v[60:61], v[50:51], -v[58:59]
	v_add_f64 v[50:51], v[50:51], -v[60:61]
	v_add_f64 v[52:53], v[58:59], -v[52:53]
	v_add_f64 v[50:51], v[50:51], -v[58:59]
	v_add_f64 v[46:47], v[46:47], v[50:51]
	v_add_f64 v[50:51], v[52:53], -v[56:57]
	v_add_f64 v[46:47], v[50:51], v[46:47]
	v_add_f64 v[50:51], v[60:61], v[46:47]
	v_add_f64 v[52:53], v[60:61], -v[50:51]
	v_add_f64 v[46:47], v[46:47], v[52:53]
	v_mul_f64 v[52:53], v[54:55], v[50:51]
	v_mul_f64 v[56:57], v[44:45], v[52:53]
	v_fma_f64 v[44:45], v[52:53], v[44:45], -v[56:57]
	v_fmac_f64_e32 v[44:45], v[52:53], v[42:43]
	v_add_f64 v[42:43], v[56:57], v[44:45]
	v_add_f64 v[58:59], v[50:51], -v[42:43]
	v_add_f64 v[50:51], v[50:51], -v[58:59]
	;; [unrolled: 1-line block ×4, first 2 shown]
	v_add_f64 v[42:43], v[46:47], v[42:43]
	v_add_f64 v[44:45], v[56:57], -v[44:45]
	v_add_f64 v[42:43], v[44:45], v[42:43]
	v_add_f64 v[44:45], v[48:49], v[52:53]
	;; [unrolled: 1-line block ×3, first 2 shown]
	v_add_f64 v[46:47], v[44:45], -v[48:49]
	v_mul_f64 v[42:43], v[54:55], v[42:43]
	v_add_f64 v[46:47], v[52:53], -v[46:47]
	v_add_f64 v[42:43], v[46:47], v[42:43]
	v_add_f64 v[46:47], v[44:45], v[42:43]
	v_add_f64 v[44:45], v[46:47], -v[44:45]
	s_mov_b32 s26, 0xbf559e2b
	v_add_f64 v[42:43], v[42:43], -v[44:45]
	v_mul_f64 v[44:45], v[46:47], v[46:47]
	v_mov_b32_e32 v48, 0x6b47b09a
	v_mov_b32_e32 v49, 0x3fc38538
	s_mov_b32 s27, 0x3fc3ab76
	v_fmac_f64_e32 v[48:49], s[26:27], v[44:45]
	v_mov_b32_e32 v50, 0xd7f4df2e
	v_mov_b32_e32 v51, 0x3fc7474d
	v_fmac_f64_e32 v[50:51], v[44:45], v[48:49]
	v_mov_b32_e32 v48, 0x16291751
	v_mov_b32_e32 v49, 0x3fcc71c0
	;; [unrolled: 3-line block ×5, first 2 shown]
	v_fmac_f64_e32 v[50:51], v[44:45], v[48:49]
	v_cvt_f64_i32_e32 v[48:49], v63
	v_mul_f64 v[52:53], v[48:49], s[38:39]
	v_fma_f64 v[54:55], v[48:49], s[38:39], -v[52:53]
	v_fmac_f64_e32 v[54:55], s[40:41], v[48:49]
	v_add_f64 v[48:49], v[52:53], v[54:55]
	v_add_f64 v[52:53], v[48:49], -v[52:53]
	v_mul_f64 v[44:45], v[46:47], v[44:45]
	v_add_f64 v[52:53], v[54:55], -v[52:53]
	v_ldexp_f64 v[54:55], v[46:47], 1
	v_mul_f64 v[44:45], v[44:45], v[50:51]
	v_add_f64 v[46:47], v[54:55], v[44:45]
	v_add_f64 v[50:51], v[46:47], -v[54:55]
	v_ldexp_f64 v[42:43], v[42:43], 1
	v_add_f64 v[44:45], v[44:45], -v[50:51]
	v_add_f64 v[42:43], v[42:43], v[44:45]
	v_add_f64 v[44:45], v[46:47], v[42:43]
	v_add_f64 v[46:47], v[44:45], -v[46:47]
	v_add_f64 v[42:43], v[42:43], -v[46:47]
	v_add_f64 v[46:47], v[48:49], v[44:45]
	v_add_f64 v[50:51], v[46:47], -v[48:49]
	v_add_f64 v[54:55], v[46:47], -v[50:51]
	;; [unrolled: 1-line block ×4, first 2 shown]
	v_add_f64 v[44:45], v[44:45], v[48:49]
	v_add_f64 v[48:49], v[52:53], v[42:43]
	v_add_f64 v[50:51], v[48:49], -v[52:53]
	v_add_f64 v[44:45], v[48:49], v[44:45]
	v_add_f64 v[54:55], v[48:49], -v[50:51]
	;; [unrolled: 2-line block ×3, first 2 shown]
	v_add_f64 v[42:43], v[42:43], -v[50:51]
	v_add_f64 v[46:47], v[48:49], -v[46:47]
	v_add_f64 v[42:43], v[42:43], v[52:53]
	v_add_f64 v[44:45], v[44:45], -v[46:47]
	s_mov_b32 s26, 0
	v_add_f64 v[42:43], v[42:43], v[44:45]
	s_mov_b32 s27, 0x7ff00000
	v_add_f64 v[42:43], v[48:49], v[42:43]
	v_cmp_neq_f64_e64 s[26:27], s[26:27], v[40:41]
	v_mov_b32_e32 v44, 0x7ff80000
	s_nop 0
	v_cndmask_b32_e64 v43, v62, v43, s[26:27]
	v_cndmask_b32_e64 v43, v44, v43, s[28:29]
	v_cmp_nge_f64_e64 s[28:29], -1.0, v[40:41]
	s_and_b64 s[26:27], s[28:29], s[26:27]
	v_cndmask_b32_e64 v42, 0, v42, s[26:27]
	v_mov_b32_e32 v44, 0xfff00000
	v_cmp_neq_f64_e64 s[26:27], -1.0, v[40:41]
	s_nop 1
	v_cndmask_b32_e64 v43, v44, v43, s[26:27]
	v_add_f64 v[40:41], v[16:17], v[42:43]
.LBB56_48:
	s_or_b64 exec, exec, s[36:37]
	v_mov_b32_e32 v42, v40
	v_mov_b32_e32 v43, v41
	v_mov_b64_e32 v[16:17], v[40:41]
.LBB56_49:
	s_or_b64 exec, exec, s[34:35]
	v_mov_b32_dpp v40, v42 row_bcast:31 row_mask:0xf bank_mask:0xf
	v_mov_b32_dpp v41, v43 row_bcast:31 row_mask:0xf bank_mask:0xf
	v_cmp_lt_u32_e64 s[26:27], 31, v19
	s_and_saveexec_b64 s[34:35], s[26:27]
	s_cbranch_execz .LBB56_53
; %bb.50:
	v_max_f64 v[44:45], v[40:41], v[40:41]
	v_max_f64 v[46:47], v[16:17], v[16:17]
	v_min_f64 v[42:43], v[44:45], v[46:47]
	v_cmp_u_f64_e64 s[26:27], v[40:41], v[40:41]
	v_max_f64 v[44:45], v[44:45], v[46:47]
	v_cmp_u_f64_e64 s[28:29], v[16:17], v[16:17]
	v_cndmask_b32_e64 v43, v43, v41, s[26:27]
	v_cndmask_b32_e64 v42, v42, v40, s[26:27]
	;; [unrolled: 1-line block ×8, first 2 shown]
	s_movk_i32 s28, 0x1f8
	v_cmp_neq_f64_e64 s[26:27], v[42:43], v[16:17]
	v_cmp_class_f64_e64 s[28:29], v[42:43], s28
	s_or_b64 s[26:27], s[26:27], s[28:29]
	s_and_saveexec_b64 s[36:37], s[26:27]
	s_cbranch_execz .LBB56_52
; %bb.51:
	s_mov_b32 s26, 0x652b82fe
	v_add_f64 v[40:41], v[42:43], -v[16:17]
	s_mov_b32 s27, 0x3ff71547
	v_mul_f64 v[42:43], v[40:41], s[26:27]
	v_rndne_f64_e32 v[42:43], v[42:43]
	s_mov_b32 s39, 0xbfe62e42
	s_mov_b32 s38, 0xfefa39ef
	v_fma_f64 v[44:45], s[38:39], v[42:43], v[40:41]
	s_mov_b32 s41, 0xbc7abc9e
	s_mov_b32 s40, 0x3b39803f
	s_mov_b32 s26, 0x6a5dcb37
	v_fmac_f64_e32 v[44:45], s[40:41], v[42:43]
	v_mov_b32_e32 v46, 0xfca7ab0c
	v_mov_b32_e32 v47, 0x3e928af3
	s_mov_b32 s27, 0x3e5ade15
	v_fmac_f64_e32 v[46:47], s[26:27], v[44:45]
	v_mov_b32_e32 v48, 0x623fde64
	v_mov_b32_e32 v49, 0x3ec71dee
	v_fmac_f64_e32 v[48:49], v[44:45], v[46:47]
	v_mov_b32_e32 v46, 0x7c89e6b0
	v_mov_b32_e32 v47, 0x3efa0199
	;; [unrolled: 3-line block ×8, first 2 shown]
	v_fmac_f64_e32 v[46:47], v[44:45], v[48:49]
	v_fma_f64 v[46:47], v[44:45], v[46:47], 1.0
	s_mov_b32 s26, 0
	s_mov_b32 s28, 0
	v_fma_f64 v[44:45], v[44:45], v[46:47], 1.0
	v_cvt_i32_f64_e32 v42, v[42:43]
	s_mov_b32 s27, 0x40900000
	s_mov_b32 s29, 0xc090cc00
	v_ldexp_f64 v[42:43], v[44:45], v42
	v_mov_b32_e32 v62, 0x7ff00000
	v_cmp_nlt_f64_e64 s[26:27], s[26:27], v[40:41]
	v_cmp_ngt_f64_e64 s[28:29], s[28:29], v[40:41]
	s_mov_b32 s39, 0x3fe62e42
	v_cndmask_b32_e64 v43, v62, v43, s[26:27]
	s_and_b64 s[26:27], s[28:29], s[26:27]
	v_cndmask_b32_e64 v41, 0, v43, s[28:29]
	v_cndmask_b32_e64 v40, 0, v42, s[26:27]
	v_add_f64 v[42:43], v[40:41], 1.0
	v_add_f64 v[44:45], v[42:43], -1.0
	v_add_f64 v[46:47], v[44:45], -v[42:43]
	v_add_f64 v[46:47], v[46:47], 1.0
	v_add_f64 v[44:45], v[40:41], -v[44:45]
	s_mov_b32 s26, 0x55555555
	v_add_f64 v[44:45], v[44:45], v[46:47]
	v_frexp_mant_f64_e32 v[46:47], v[42:43]
	s_mov_b32 s27, 0x3fe55555
	v_frexp_exp_i32_f64_e32 v48, v[42:43]
	v_cmp_gt_f64_e64 s[26:27], s[26:27], v[46:47]
	s_mov_b32 s41, 0x3c7abc9e
	v_cmp_ngt_f64_e64 s[28:29], -1.0, v[40:41]
	v_subbrev_co_u32_e64 v63, s[26:27], 0, v48, s[26:27]
	v_sub_u32_e32 v46, 0, v63
	v_ldexp_f64 v[42:43], v[42:43], v46
	v_ldexp_f64 v[44:45], v[44:45], v46
	v_add_f64 v[46:47], v[42:43], -1.0
	v_add_f64 v[52:53], v[42:43], 1.0
	v_add_f64 v[48:49], v[46:47], 1.0
	v_add_f64 v[54:55], v[52:53], -1.0
	v_add_f64 v[48:49], v[42:43], -v[48:49]
	v_add_f64 v[42:43], v[42:43], -v[54:55]
	v_add_f64 v[42:43], v[44:45], v[42:43]
	v_add_f64 v[48:49], v[44:45], v[48:49]
	;; [unrolled: 1-line block ×3, first 2 shown]
	v_rcp_f64_e32 v[54:55], v[44:45]
	v_add_f64 v[50:51], v[46:47], v[48:49]
	v_add_f64 v[46:47], v[50:51], -v[46:47]
	v_add_f64 v[46:47], v[48:49], -v[46:47]
	;; [unrolled: 1-line block ×4, first 2 shown]
	v_fma_f64 v[48:49], -v[44:45], v[54:55], 1.0
	v_fmac_f64_e32 v[54:55], v[48:49], v[54:55]
	v_fma_f64 v[48:49], -v[44:45], v[54:55], 1.0
	v_fmac_f64_e32 v[54:55], v[48:49], v[54:55]
	v_mul_f64 v[48:49], v[50:51], v[54:55]
	v_mul_f64 v[52:53], v[44:45], v[48:49]
	v_fma_f64 v[56:57], v[48:49], v[44:45], -v[52:53]
	v_fmac_f64_e32 v[56:57], v[48:49], v[42:43]
	v_add_f64 v[58:59], v[52:53], v[56:57]
	v_add_f64 v[60:61], v[50:51], -v[58:59]
	v_add_f64 v[50:51], v[50:51], -v[60:61]
	;; [unrolled: 1-line block ×4, first 2 shown]
	v_add_f64 v[46:47], v[46:47], v[50:51]
	v_add_f64 v[50:51], v[52:53], -v[56:57]
	v_add_f64 v[46:47], v[50:51], v[46:47]
	v_add_f64 v[50:51], v[60:61], v[46:47]
	v_add_f64 v[52:53], v[60:61], -v[50:51]
	v_add_f64 v[46:47], v[46:47], v[52:53]
	v_mul_f64 v[52:53], v[54:55], v[50:51]
	v_mul_f64 v[56:57], v[44:45], v[52:53]
	v_fma_f64 v[44:45], v[52:53], v[44:45], -v[56:57]
	v_fmac_f64_e32 v[44:45], v[52:53], v[42:43]
	v_add_f64 v[42:43], v[56:57], v[44:45]
	v_add_f64 v[58:59], v[50:51], -v[42:43]
	v_add_f64 v[50:51], v[50:51], -v[58:59]
	;; [unrolled: 1-line block ×4, first 2 shown]
	v_add_f64 v[42:43], v[46:47], v[42:43]
	v_add_f64 v[44:45], v[56:57], -v[44:45]
	v_add_f64 v[42:43], v[44:45], v[42:43]
	v_add_f64 v[44:45], v[48:49], v[52:53]
	;; [unrolled: 1-line block ×3, first 2 shown]
	v_add_f64 v[46:47], v[44:45], -v[48:49]
	v_mul_f64 v[42:43], v[54:55], v[42:43]
	v_add_f64 v[46:47], v[52:53], -v[46:47]
	v_add_f64 v[42:43], v[46:47], v[42:43]
	v_add_f64 v[46:47], v[44:45], v[42:43]
	v_add_f64 v[44:45], v[46:47], -v[44:45]
	s_mov_b32 s26, 0xbf559e2b
	v_add_f64 v[42:43], v[42:43], -v[44:45]
	v_mul_f64 v[44:45], v[46:47], v[46:47]
	v_mov_b32_e32 v48, 0x6b47b09a
	v_mov_b32_e32 v49, 0x3fc38538
	s_mov_b32 s27, 0x3fc3ab76
	v_fmac_f64_e32 v[48:49], s[26:27], v[44:45]
	v_mov_b32_e32 v50, 0xd7f4df2e
	v_mov_b32_e32 v51, 0x3fc7474d
	v_fmac_f64_e32 v[50:51], v[44:45], v[48:49]
	v_mov_b32_e32 v48, 0x16291751
	v_mov_b32_e32 v49, 0x3fcc71c0
	;; [unrolled: 3-line block ×5, first 2 shown]
	v_fmac_f64_e32 v[50:51], v[44:45], v[48:49]
	v_cvt_f64_i32_e32 v[48:49], v63
	v_mul_f64 v[52:53], v[48:49], s[38:39]
	v_fma_f64 v[54:55], v[48:49], s[38:39], -v[52:53]
	v_fmac_f64_e32 v[54:55], s[40:41], v[48:49]
	v_add_f64 v[48:49], v[52:53], v[54:55]
	v_add_f64 v[52:53], v[48:49], -v[52:53]
	v_mul_f64 v[44:45], v[46:47], v[44:45]
	v_add_f64 v[52:53], v[54:55], -v[52:53]
	v_ldexp_f64 v[54:55], v[46:47], 1
	v_mul_f64 v[44:45], v[44:45], v[50:51]
	v_add_f64 v[46:47], v[54:55], v[44:45]
	v_add_f64 v[50:51], v[46:47], -v[54:55]
	v_ldexp_f64 v[42:43], v[42:43], 1
	v_add_f64 v[44:45], v[44:45], -v[50:51]
	v_add_f64 v[42:43], v[42:43], v[44:45]
	v_add_f64 v[44:45], v[46:47], v[42:43]
	v_add_f64 v[46:47], v[44:45], -v[46:47]
	v_add_f64 v[42:43], v[42:43], -v[46:47]
	v_add_f64 v[46:47], v[48:49], v[44:45]
	v_add_f64 v[50:51], v[46:47], -v[48:49]
	v_add_f64 v[54:55], v[46:47], -v[50:51]
	;; [unrolled: 1-line block ×4, first 2 shown]
	v_add_f64 v[44:45], v[44:45], v[48:49]
	v_add_f64 v[48:49], v[52:53], v[42:43]
	v_add_f64 v[50:51], v[48:49], -v[52:53]
	v_add_f64 v[44:45], v[48:49], v[44:45]
	v_add_f64 v[54:55], v[48:49], -v[50:51]
	;; [unrolled: 2-line block ×3, first 2 shown]
	v_add_f64 v[42:43], v[42:43], -v[50:51]
	v_add_f64 v[46:47], v[48:49], -v[46:47]
	v_add_f64 v[42:43], v[42:43], v[52:53]
	v_add_f64 v[44:45], v[44:45], -v[46:47]
	s_mov_b32 s26, 0
	v_add_f64 v[42:43], v[42:43], v[44:45]
	s_mov_b32 s27, 0x7ff00000
	v_add_f64 v[42:43], v[48:49], v[42:43]
	v_cmp_neq_f64_e64 s[26:27], s[26:27], v[40:41]
	v_mov_b32_e32 v44, 0x7ff80000
	s_nop 0
	v_cndmask_b32_e64 v43, v62, v43, s[26:27]
	v_cndmask_b32_e64 v43, v44, v43, s[28:29]
	v_cmp_nge_f64_e64 s[28:29], -1.0, v[40:41]
	s_and_b64 s[26:27], s[28:29], s[26:27]
	v_cndmask_b32_e64 v42, 0, v42, s[26:27]
	v_mov_b32_e32 v44, 0xfff00000
	v_cmp_neq_f64_e64 s[26:27], -1.0, v[40:41]
	s_nop 1
	v_cndmask_b32_e64 v43, v44, v43, s[26:27]
	v_add_f64 v[40:41], v[16:17], v[42:43]
.LBB56_52:
	s_or_b64 exec, exec, s[36:37]
	v_mov_b64_e32 v[16:17], v[40:41]
.LBB56_53:
	s_or_b64 exec, exec, s[34:35]
	v_add_u32_e32 v40, -1, v19
	v_and_b32_e32 v41, 64, v19
	v_cmp_lt_i32_e64 s[26:27], v40, v41
	s_nop 1
	v_cndmask_b32_e64 v19, v40, v19, s[26:27]
	v_lshlrev_b32_e32 v19, 2, v19
	ds_bpermute_b32 v16, v19, v16
	ds_bpermute_b32 v17, v19, v17
	s_waitcnt lgkmcnt(0)
	v_max_f64 v[42:43], v[16:17], v[16:17]
	v_min_f64 v[40:41], v[42:43], v[38:39]
	v_cmp_u_f64_e64 s[26:27], v[16:17], v[16:17]
	v_max_f64 v[38:39], v[42:43], v[38:39]
	s_nop 0
	v_cndmask_b32_e64 v19, v40, v16, s[26:27]
	v_cndmask_b32_e64 v40, v41, v17, s[26:27]
	;; [unrolled: 1-line block ×8, first 2 shown]
	v_cmp_neq_f64_e64 s[24:25], v[40:41], v[14:15]
	v_cmp_class_f64_e64 s[26:27], v[40:41], s33
	s_or_b64 s[24:25], s[24:25], s[26:27]
	s_and_saveexec_b64 s[28:29], s[24:25]
	s_cbranch_execz .LBB56_55
; %bb.54:
	s_mov_b32 s24, 0x652b82fe
	v_add_f64 v[16:17], v[40:41], -v[14:15]
	s_mov_b32 s25, 0x3ff71547
	v_mul_f64 v[38:39], v[16:17], s[24:25]
	v_rndne_f64_e32 v[38:39], v[38:39]
	s_mov_b32 s35, 0xbfe62e42
	s_mov_b32 s34, 0xfefa39ef
	v_fma_f64 v[40:41], s[34:35], v[38:39], v[16:17]
	s_mov_b32 s37, 0xbc7abc9e
	s_mov_b32 s36, 0x3b39803f
	;; [unrolled: 1-line block ×3, first 2 shown]
	v_fmac_f64_e32 v[40:41], s[36:37], v[38:39]
	v_mov_b32_e32 v42, 0xfca7ab0c
	v_mov_b32_e32 v43, 0x3e928af3
	s_mov_b32 s25, 0x3e5ade15
	v_fmac_f64_e32 v[42:43], s[24:25], v[40:41]
	v_mov_b32_e32 v44, 0x623fde64
	v_mov_b32_e32 v45, 0x3ec71dee
	v_fmac_f64_e32 v[44:45], v[40:41], v[42:43]
	v_mov_b32_e32 v42, 0x7c89e6b0
	v_mov_b32_e32 v43, 0x3efa0199
	;; [unrolled: 3-line block ×8, first 2 shown]
	v_fmac_f64_e32 v[42:43], v[40:41], v[44:45]
	v_fma_f64 v[42:43], v[40:41], v[42:43], 1.0
	s_mov_b32 s24, 0
	s_mov_b32 s26, 0
	v_fma_f64 v[40:41], v[40:41], v[42:43], 1.0
	v_cvt_i32_f64_e32 v19, v[38:39]
	s_mov_b32 s25, 0x40900000
	s_mov_b32 s27, 0xc090cc00
	v_ldexp_f64 v[38:39], v[40:41], v19
	v_mov_b32_e32 v19, 0x7ff00000
	v_cmp_nlt_f64_e64 s[24:25], s[24:25], v[16:17]
	v_cmp_ngt_f64_e64 s[26:27], s[26:27], v[16:17]
	s_mov_b32 s35, 0x3fe62e42
	v_cndmask_b32_e64 v39, v19, v39, s[24:25]
	s_and_b64 s[24:25], s[26:27], s[24:25]
	v_cndmask_b32_e64 v17, 0, v39, s[26:27]
	v_cndmask_b32_e64 v16, 0, v38, s[24:25]
	v_add_f64 v[38:39], v[16:17], 1.0
	v_add_f64 v[40:41], v[38:39], -1.0
	v_add_f64 v[42:43], v[40:41], -v[38:39]
	v_add_f64 v[42:43], v[42:43], 1.0
	v_add_f64 v[40:41], v[16:17], -v[40:41]
	s_mov_b32 s24, 0x55555555
	v_add_f64 v[40:41], v[40:41], v[42:43]
	v_frexp_mant_f64_e32 v[42:43], v[38:39]
	s_mov_b32 s25, 0x3fe55555
	v_frexp_exp_i32_f64_e32 v44, v[38:39]
	v_cmp_gt_f64_e64 s[24:25], s[24:25], v[42:43]
	s_mov_b32 s37, 0x3c7abc9e
	v_cmp_ngt_f64_e64 s[26:27], -1.0, v[16:17]
	v_subbrev_co_u32_e64 v58, s[24:25], 0, v44, s[24:25]
	v_sub_u32_e32 v42, 0, v58
	v_ldexp_f64 v[38:39], v[38:39], v42
	v_ldexp_f64 v[40:41], v[40:41], v42
	v_add_f64 v[42:43], v[38:39], -1.0
	v_add_f64 v[48:49], v[38:39], 1.0
	v_add_f64 v[44:45], v[42:43], 1.0
	v_add_f64 v[50:51], v[48:49], -1.0
	v_add_f64 v[44:45], v[38:39], -v[44:45]
	v_add_f64 v[38:39], v[38:39], -v[50:51]
	v_add_f64 v[38:39], v[40:41], v[38:39]
	v_add_f64 v[44:45], v[40:41], v[44:45]
	;; [unrolled: 1-line block ×3, first 2 shown]
	v_rcp_f64_e32 v[50:51], v[40:41]
	v_add_f64 v[46:47], v[42:43], v[44:45]
	v_add_f64 v[42:43], v[46:47], -v[42:43]
	v_add_f64 v[42:43], v[44:45], -v[42:43]
	;; [unrolled: 1-line block ×4, first 2 shown]
	v_fma_f64 v[44:45], -v[40:41], v[50:51], 1.0
	v_fmac_f64_e32 v[50:51], v[44:45], v[50:51]
	v_fma_f64 v[44:45], -v[40:41], v[50:51], 1.0
	v_fmac_f64_e32 v[50:51], v[44:45], v[50:51]
	v_mul_f64 v[44:45], v[46:47], v[50:51]
	v_mul_f64 v[48:49], v[40:41], v[44:45]
	v_fma_f64 v[52:53], v[44:45], v[40:41], -v[48:49]
	v_fmac_f64_e32 v[52:53], v[44:45], v[38:39]
	v_add_f64 v[54:55], v[48:49], v[52:53]
	v_add_f64 v[56:57], v[46:47], -v[54:55]
	v_add_f64 v[46:47], v[46:47], -v[56:57]
	;; [unrolled: 1-line block ×4, first 2 shown]
	v_add_f64 v[42:43], v[42:43], v[46:47]
	v_add_f64 v[46:47], v[48:49], -v[52:53]
	v_add_f64 v[42:43], v[46:47], v[42:43]
	v_add_f64 v[46:47], v[56:57], v[42:43]
	v_add_f64 v[48:49], v[56:57], -v[46:47]
	v_add_f64 v[42:43], v[42:43], v[48:49]
	v_mul_f64 v[48:49], v[50:51], v[46:47]
	v_mul_f64 v[52:53], v[40:41], v[48:49]
	v_fma_f64 v[40:41], v[48:49], v[40:41], -v[52:53]
	v_fmac_f64_e32 v[40:41], v[48:49], v[38:39]
	v_add_f64 v[38:39], v[52:53], v[40:41]
	v_add_f64 v[54:55], v[46:47], -v[38:39]
	v_add_f64 v[46:47], v[46:47], -v[54:55]
	;; [unrolled: 1-line block ×4, first 2 shown]
	v_add_f64 v[38:39], v[42:43], v[38:39]
	v_add_f64 v[40:41], v[52:53], -v[40:41]
	v_add_f64 v[38:39], v[40:41], v[38:39]
	v_add_f64 v[40:41], v[44:45], v[48:49]
	;; [unrolled: 1-line block ×3, first 2 shown]
	v_add_f64 v[42:43], v[40:41], -v[44:45]
	v_mul_f64 v[38:39], v[50:51], v[38:39]
	v_add_f64 v[42:43], v[48:49], -v[42:43]
	v_add_f64 v[38:39], v[42:43], v[38:39]
	v_add_f64 v[42:43], v[40:41], v[38:39]
	v_add_f64 v[40:41], v[42:43], -v[40:41]
	s_mov_b32 s24, 0xbf559e2b
	v_add_f64 v[38:39], v[38:39], -v[40:41]
	v_mul_f64 v[40:41], v[42:43], v[42:43]
	v_mov_b32_e32 v44, 0x6b47b09a
	v_mov_b32_e32 v45, 0x3fc38538
	s_mov_b32 s25, 0x3fc3ab76
	v_fmac_f64_e32 v[44:45], s[24:25], v[40:41]
	v_mov_b32_e32 v46, 0xd7f4df2e
	v_mov_b32_e32 v47, 0x3fc7474d
	v_fmac_f64_e32 v[46:47], v[40:41], v[44:45]
	v_mov_b32_e32 v44, 0x16291751
	v_mov_b32_e32 v45, 0x3fcc71c0
	;; [unrolled: 3-line block ×5, first 2 shown]
	v_fmac_f64_e32 v[46:47], v[40:41], v[44:45]
	v_cvt_f64_i32_e32 v[44:45], v58
	v_mul_f64 v[48:49], v[44:45], s[34:35]
	v_fma_f64 v[50:51], v[44:45], s[34:35], -v[48:49]
	v_fmac_f64_e32 v[50:51], s[36:37], v[44:45]
	v_add_f64 v[44:45], v[48:49], v[50:51]
	v_add_f64 v[48:49], v[44:45], -v[48:49]
	v_mul_f64 v[40:41], v[42:43], v[40:41]
	v_add_f64 v[48:49], v[50:51], -v[48:49]
	v_ldexp_f64 v[50:51], v[42:43], 1
	v_mul_f64 v[40:41], v[40:41], v[46:47]
	v_add_f64 v[42:43], v[50:51], v[40:41]
	v_add_f64 v[46:47], v[42:43], -v[50:51]
	v_ldexp_f64 v[38:39], v[38:39], 1
	v_add_f64 v[40:41], v[40:41], -v[46:47]
	v_add_f64 v[38:39], v[38:39], v[40:41]
	v_add_f64 v[40:41], v[42:43], v[38:39]
	v_add_f64 v[42:43], v[40:41], -v[42:43]
	v_add_f64 v[38:39], v[38:39], -v[42:43]
	v_add_f64 v[42:43], v[44:45], v[40:41]
	v_add_f64 v[46:47], v[42:43], -v[44:45]
	v_add_f64 v[50:51], v[42:43], -v[46:47]
	;; [unrolled: 1-line block ×4, first 2 shown]
	v_add_f64 v[40:41], v[40:41], v[44:45]
	v_add_f64 v[44:45], v[48:49], v[38:39]
	v_add_f64 v[46:47], v[44:45], -v[48:49]
	v_add_f64 v[40:41], v[44:45], v[40:41]
	v_add_f64 v[50:51], v[44:45], -v[46:47]
	v_add_f64 v[44:45], v[42:43], v[40:41]
	v_add_f64 v[48:49], v[48:49], -v[50:51]
	v_add_f64 v[38:39], v[38:39], -v[46:47]
	v_add_f64 v[42:43], v[44:45], -v[42:43]
	v_add_f64 v[38:39], v[38:39], v[48:49]
	v_add_f64 v[40:41], v[40:41], -v[42:43]
	s_mov_b32 s24, 0
	v_add_f64 v[38:39], v[38:39], v[40:41]
	s_mov_b32 s25, 0x7ff00000
	v_add_f64 v[38:39], v[44:45], v[38:39]
	v_cmp_neq_f64_e64 s[24:25], s[24:25], v[16:17]
	s_nop 1
	v_cndmask_b32_e64 v19, v19, v39, s[24:25]
	v_mov_b32_e32 v39, 0x7ff80000
	v_cndmask_b32_e64 v19, v39, v19, s[26:27]
	v_cmp_nge_f64_e64 s[26:27], -1.0, v[16:17]
	s_and_b64 s[24:25], s[26:27], s[24:25]
	v_cndmask_b32_e64 v38, 0, v38, s[24:25]
	v_mov_b32_e32 v39, 0xfff00000
	v_cmp_neq_f64_e64 s[24:25], -1.0, v[16:17]
	s_nop 1
	v_cndmask_b32_e64 v39, v39, v19, s[24:25]
	v_add_f64 v[16:17], v[14:15], v[38:39]
.LBB56_55:
	s_or_b64 exec, exec, s[28:29]
	v_cmp_eq_u32_e64 s[24:25], 0, v0
	; wave barrier
	s_nop 1
	v_cndmask_b32_e64 v17, v17, v37, s[24:25]
	v_cndmask_b32_e64 v16, v16, v36, s[24:25]
	ds_write_b64 v1, v[16:17]
	; wave barrier
	ds_read_b64 v[14:15], v1 offset:8
	v_max_f64 v[38:39], v[16:17], v[16:17]
	v_cmp_u_f64_e64 s[24:25], v[16:17], v[16:17]
	s_waitcnt lgkmcnt(0)
	v_max_f64 v[40:41], v[14:15], v[14:15]
	v_min_f64 v[36:37], v[38:39], v[40:41]
	v_cndmask_b32_e64 v19, v36, v16, s[24:25]
	v_cndmask_b32_e64 v36, v37, v17, s[24:25]
	v_cmp_u_f64_e64 s[26:27], v[14:15], v[14:15]
	v_max_f64 v[38:39], v[38:39], v[40:41]
	s_nop 0
	v_cndmask_b32_e64 v37, v36, v15, s[26:27]
	v_cndmask_b32_e64 v36, v19, v14, s[26:27]
	;; [unrolled: 1-line block ×6, first 2 shown]
	v_cmp_neq_f64_e64 s[24:25], v[36:37], v[14:15]
	v_cmp_class_f64_e64 s[26:27], v[36:37], s33
	s_or_b64 s[24:25], s[24:25], s[26:27]
	s_and_saveexec_b64 s[28:29], s[24:25]
	s_cbranch_execz .LBB56_57
; %bb.56:
	s_mov_b32 s24, 0x652b82fe
	v_add_f64 v[16:17], v[36:37], -v[14:15]
	s_mov_b32 s25, 0x3ff71547
	v_mul_f64 v[36:37], v[16:17], s[24:25]
	v_rndne_f64_e32 v[36:37], v[36:37]
	s_mov_b32 s35, 0xbfe62e42
	s_mov_b32 s34, 0xfefa39ef
	v_fma_f64 v[38:39], s[34:35], v[36:37], v[16:17]
	s_mov_b32 s37, 0xbc7abc9e
	s_mov_b32 s36, 0x3b39803f
	;; [unrolled: 1-line block ×3, first 2 shown]
	v_fmac_f64_e32 v[38:39], s[36:37], v[36:37]
	v_mov_b32_e32 v40, 0xfca7ab0c
	v_mov_b32_e32 v41, 0x3e928af3
	s_mov_b32 s25, 0x3e5ade15
	v_fmac_f64_e32 v[40:41], s[24:25], v[38:39]
	v_mov_b32_e32 v42, 0x623fde64
	v_mov_b32_e32 v43, 0x3ec71dee
	v_fmac_f64_e32 v[42:43], v[38:39], v[40:41]
	v_mov_b32_e32 v40, 0x7c89e6b0
	v_mov_b32_e32 v41, 0x3efa0199
	;; [unrolled: 3-line block ×8, first 2 shown]
	v_fmac_f64_e32 v[40:41], v[38:39], v[42:43]
	v_fma_f64 v[40:41], v[38:39], v[40:41], 1.0
	s_mov_b32 s24, 0
	s_mov_b32 s26, 0
	v_fma_f64 v[38:39], v[38:39], v[40:41], 1.0
	v_cvt_i32_f64_e32 v19, v[36:37]
	s_mov_b32 s25, 0x40900000
	s_mov_b32 s27, 0xc090cc00
	v_ldexp_f64 v[36:37], v[38:39], v19
	v_mov_b32_e32 v19, 0x7ff00000
	v_cmp_nlt_f64_e64 s[24:25], s[24:25], v[16:17]
	v_cmp_ngt_f64_e64 s[26:27], s[26:27], v[16:17]
	s_mov_b32 s35, 0x3fe62e42
	v_cndmask_b32_e64 v37, v19, v37, s[24:25]
	s_and_b64 s[24:25], s[26:27], s[24:25]
	v_cndmask_b32_e64 v17, 0, v37, s[26:27]
	v_cndmask_b32_e64 v16, 0, v36, s[24:25]
	v_add_f64 v[36:37], v[16:17], 1.0
	v_add_f64 v[38:39], v[36:37], -1.0
	v_add_f64 v[40:41], v[38:39], -v[36:37]
	v_add_f64 v[40:41], v[40:41], 1.0
	v_add_f64 v[38:39], v[16:17], -v[38:39]
	s_mov_b32 s24, 0x55555555
	v_add_f64 v[38:39], v[38:39], v[40:41]
	v_frexp_mant_f64_e32 v[40:41], v[36:37]
	s_mov_b32 s25, 0x3fe55555
	v_frexp_exp_i32_f64_e32 v42, v[36:37]
	v_cmp_gt_f64_e64 s[24:25], s[24:25], v[40:41]
	s_mov_b32 s37, 0x3c7abc9e
	v_cmp_ngt_f64_e64 s[26:27], -1.0, v[16:17]
	v_subbrev_co_u32_e64 v56, s[24:25], 0, v42, s[24:25]
	v_sub_u32_e32 v40, 0, v56
	v_ldexp_f64 v[36:37], v[36:37], v40
	v_ldexp_f64 v[38:39], v[38:39], v40
	v_add_f64 v[40:41], v[36:37], -1.0
	v_add_f64 v[46:47], v[36:37], 1.0
	v_add_f64 v[42:43], v[40:41], 1.0
	v_add_f64 v[48:49], v[46:47], -1.0
	v_add_f64 v[42:43], v[36:37], -v[42:43]
	v_add_f64 v[36:37], v[36:37], -v[48:49]
	v_add_f64 v[36:37], v[38:39], v[36:37]
	v_add_f64 v[42:43], v[38:39], v[42:43]
	;; [unrolled: 1-line block ×3, first 2 shown]
	v_rcp_f64_e32 v[48:49], v[38:39]
	v_add_f64 v[44:45], v[40:41], v[42:43]
	v_add_f64 v[40:41], v[44:45], -v[40:41]
	v_add_f64 v[40:41], v[42:43], -v[40:41]
	;; [unrolled: 1-line block ×4, first 2 shown]
	v_fma_f64 v[42:43], -v[38:39], v[48:49], 1.0
	v_fmac_f64_e32 v[48:49], v[42:43], v[48:49]
	v_fma_f64 v[42:43], -v[38:39], v[48:49], 1.0
	v_fmac_f64_e32 v[48:49], v[42:43], v[48:49]
	v_mul_f64 v[42:43], v[44:45], v[48:49]
	v_mul_f64 v[46:47], v[38:39], v[42:43]
	v_fma_f64 v[50:51], v[42:43], v[38:39], -v[46:47]
	v_fmac_f64_e32 v[50:51], v[42:43], v[36:37]
	v_add_f64 v[52:53], v[46:47], v[50:51]
	v_add_f64 v[54:55], v[44:45], -v[52:53]
	v_add_f64 v[44:45], v[44:45], -v[54:55]
	;; [unrolled: 1-line block ×4, first 2 shown]
	v_add_f64 v[40:41], v[40:41], v[44:45]
	v_add_f64 v[44:45], v[46:47], -v[50:51]
	v_add_f64 v[40:41], v[44:45], v[40:41]
	v_add_f64 v[44:45], v[54:55], v[40:41]
	v_add_f64 v[46:47], v[54:55], -v[44:45]
	v_add_f64 v[40:41], v[40:41], v[46:47]
	v_mul_f64 v[46:47], v[48:49], v[44:45]
	v_mul_f64 v[50:51], v[38:39], v[46:47]
	v_fma_f64 v[38:39], v[46:47], v[38:39], -v[50:51]
	v_fmac_f64_e32 v[38:39], v[46:47], v[36:37]
	v_add_f64 v[36:37], v[50:51], v[38:39]
	v_add_f64 v[52:53], v[44:45], -v[36:37]
	v_add_f64 v[44:45], v[44:45], -v[52:53]
	;; [unrolled: 1-line block ×4, first 2 shown]
	v_add_f64 v[36:37], v[40:41], v[36:37]
	v_add_f64 v[38:39], v[50:51], -v[38:39]
	v_add_f64 v[36:37], v[38:39], v[36:37]
	v_add_f64 v[38:39], v[42:43], v[46:47]
	;; [unrolled: 1-line block ×3, first 2 shown]
	v_add_f64 v[40:41], v[38:39], -v[42:43]
	v_mul_f64 v[36:37], v[48:49], v[36:37]
	v_add_f64 v[40:41], v[46:47], -v[40:41]
	v_add_f64 v[36:37], v[40:41], v[36:37]
	v_add_f64 v[40:41], v[38:39], v[36:37]
	v_add_f64 v[38:39], v[40:41], -v[38:39]
	s_mov_b32 s24, 0xbf559e2b
	v_add_f64 v[36:37], v[36:37], -v[38:39]
	v_mul_f64 v[38:39], v[40:41], v[40:41]
	v_mov_b32_e32 v42, 0x6b47b09a
	v_mov_b32_e32 v43, 0x3fc38538
	s_mov_b32 s25, 0x3fc3ab76
	v_fmac_f64_e32 v[42:43], s[24:25], v[38:39]
	v_mov_b32_e32 v44, 0xd7f4df2e
	v_mov_b32_e32 v45, 0x3fc7474d
	v_fmac_f64_e32 v[44:45], v[38:39], v[42:43]
	v_mov_b32_e32 v42, 0x16291751
	v_mov_b32_e32 v43, 0x3fcc71c0
	;; [unrolled: 3-line block ×5, first 2 shown]
	v_fmac_f64_e32 v[44:45], v[38:39], v[42:43]
	v_cvt_f64_i32_e32 v[42:43], v56
	v_mul_f64 v[46:47], v[42:43], s[34:35]
	v_fma_f64 v[48:49], v[42:43], s[34:35], -v[46:47]
	v_fmac_f64_e32 v[48:49], s[36:37], v[42:43]
	v_add_f64 v[42:43], v[46:47], v[48:49]
	v_add_f64 v[46:47], v[42:43], -v[46:47]
	v_mul_f64 v[38:39], v[40:41], v[38:39]
	v_add_f64 v[46:47], v[48:49], -v[46:47]
	v_ldexp_f64 v[48:49], v[40:41], 1
	v_mul_f64 v[38:39], v[38:39], v[44:45]
	v_add_f64 v[40:41], v[48:49], v[38:39]
	v_add_f64 v[44:45], v[40:41], -v[48:49]
	v_ldexp_f64 v[36:37], v[36:37], 1
	v_add_f64 v[38:39], v[38:39], -v[44:45]
	v_add_f64 v[36:37], v[36:37], v[38:39]
	v_add_f64 v[38:39], v[40:41], v[36:37]
	v_add_f64 v[40:41], v[38:39], -v[40:41]
	v_add_f64 v[36:37], v[36:37], -v[40:41]
	v_add_f64 v[40:41], v[42:43], v[38:39]
	v_add_f64 v[44:45], v[40:41], -v[42:43]
	v_add_f64 v[48:49], v[40:41], -v[44:45]
	;; [unrolled: 1-line block ×4, first 2 shown]
	v_add_f64 v[38:39], v[38:39], v[42:43]
	v_add_f64 v[42:43], v[46:47], v[36:37]
	v_add_f64 v[44:45], v[42:43], -v[46:47]
	v_add_f64 v[38:39], v[42:43], v[38:39]
	v_add_f64 v[48:49], v[42:43], -v[44:45]
	;; [unrolled: 2-line block ×3, first 2 shown]
	v_add_f64 v[36:37], v[36:37], -v[44:45]
	v_add_f64 v[40:41], v[42:43], -v[40:41]
	v_add_f64 v[36:37], v[36:37], v[46:47]
	v_add_f64 v[38:39], v[38:39], -v[40:41]
	s_mov_b32 s24, 0
	v_add_f64 v[36:37], v[36:37], v[38:39]
	s_mov_b32 s25, 0x7ff00000
	v_add_f64 v[36:37], v[42:43], v[36:37]
	v_cmp_neq_f64_e64 s[24:25], s[24:25], v[16:17]
	s_nop 1
	v_cndmask_b32_e64 v19, v19, v37, s[24:25]
	v_mov_b32_e32 v37, 0x7ff80000
	v_cndmask_b32_e64 v19, v37, v19, s[26:27]
	v_cmp_nge_f64_e64 s[26:27], -1.0, v[16:17]
	s_and_b64 s[24:25], s[26:27], s[24:25]
	v_cndmask_b32_e64 v36, 0, v36, s[24:25]
	v_mov_b32_e32 v37, 0xfff00000
	v_cmp_neq_f64_e64 s[24:25], -1.0, v[16:17]
	s_nop 1
	v_cndmask_b32_e64 v37, v37, v19, s[24:25]
	v_add_f64 v[16:17], v[14:15], v[36:37]
.LBB56_57:
	s_or_b64 exec, exec, s[28:29]
	ds_read_b64 v[14:15], v1 offset:16
	v_max_f64 v[38:39], v[16:17], v[16:17]
	v_cmp_u_f64_e64 s[24:25], v[16:17], v[16:17]
	ds_write_b64 v1, v[16:17] offset:8
	s_waitcnt lgkmcnt(1)
	v_max_f64 v[40:41], v[14:15], v[14:15]
	v_min_f64 v[36:37], v[38:39], v[40:41]
	v_cndmask_b32_e64 v19, v36, v16, s[24:25]
	v_cndmask_b32_e64 v36, v37, v17, s[24:25]
	v_cmp_u_f64_e64 s[26:27], v[14:15], v[14:15]
	v_max_f64 v[38:39], v[38:39], v[40:41]
	s_nop 0
	v_cndmask_b32_e64 v37, v36, v15, s[26:27]
	v_cndmask_b32_e64 v36, v19, v14, s[26:27]
	;; [unrolled: 1-line block ×6, first 2 shown]
	v_cmp_neq_f64_e64 s[24:25], v[36:37], v[14:15]
	v_cmp_class_f64_e64 s[26:27], v[36:37], s33
	s_or_b64 s[24:25], s[24:25], s[26:27]
	s_and_saveexec_b64 s[28:29], s[24:25]
	s_cbranch_execz .LBB56_59
; %bb.58:
	s_mov_b32 s24, 0x652b82fe
	v_add_f64 v[16:17], v[36:37], -v[14:15]
	s_mov_b32 s25, 0x3ff71547
	v_mul_f64 v[36:37], v[16:17], s[24:25]
	v_rndne_f64_e32 v[36:37], v[36:37]
	s_mov_b32 s35, 0xbfe62e42
	s_mov_b32 s34, 0xfefa39ef
	v_fma_f64 v[38:39], s[34:35], v[36:37], v[16:17]
	s_mov_b32 s37, 0xbc7abc9e
	s_mov_b32 s36, 0x3b39803f
	;; [unrolled: 1-line block ×3, first 2 shown]
	v_fmac_f64_e32 v[38:39], s[36:37], v[36:37]
	v_mov_b32_e32 v40, 0xfca7ab0c
	v_mov_b32_e32 v41, 0x3e928af3
	s_mov_b32 s25, 0x3e5ade15
	v_fmac_f64_e32 v[40:41], s[24:25], v[38:39]
	v_mov_b32_e32 v42, 0x623fde64
	v_mov_b32_e32 v43, 0x3ec71dee
	v_fmac_f64_e32 v[42:43], v[38:39], v[40:41]
	v_mov_b32_e32 v40, 0x7c89e6b0
	v_mov_b32_e32 v41, 0x3efa0199
	;; [unrolled: 3-line block ×8, first 2 shown]
	v_fmac_f64_e32 v[40:41], v[38:39], v[42:43]
	v_fma_f64 v[40:41], v[38:39], v[40:41], 1.0
	s_mov_b32 s24, 0
	s_mov_b32 s26, 0
	v_fma_f64 v[38:39], v[38:39], v[40:41], 1.0
	v_cvt_i32_f64_e32 v19, v[36:37]
	s_mov_b32 s25, 0x40900000
	s_mov_b32 s27, 0xc090cc00
	v_ldexp_f64 v[36:37], v[38:39], v19
	v_mov_b32_e32 v19, 0x7ff00000
	v_cmp_nlt_f64_e64 s[24:25], s[24:25], v[16:17]
	v_cmp_ngt_f64_e64 s[26:27], s[26:27], v[16:17]
	s_mov_b32 s35, 0x3fe62e42
	v_cndmask_b32_e64 v37, v19, v37, s[24:25]
	s_and_b64 s[24:25], s[26:27], s[24:25]
	v_cndmask_b32_e64 v17, 0, v37, s[26:27]
	v_cndmask_b32_e64 v16, 0, v36, s[24:25]
	v_add_f64 v[36:37], v[16:17], 1.0
	v_add_f64 v[38:39], v[36:37], -1.0
	v_add_f64 v[40:41], v[38:39], -v[36:37]
	v_add_f64 v[40:41], v[40:41], 1.0
	v_add_f64 v[38:39], v[16:17], -v[38:39]
	s_mov_b32 s24, 0x55555555
	v_add_f64 v[38:39], v[38:39], v[40:41]
	v_frexp_mant_f64_e32 v[40:41], v[36:37]
	s_mov_b32 s25, 0x3fe55555
	v_frexp_exp_i32_f64_e32 v42, v[36:37]
	v_cmp_gt_f64_e64 s[24:25], s[24:25], v[40:41]
	s_mov_b32 s37, 0x3c7abc9e
	v_cmp_ngt_f64_e64 s[26:27], -1.0, v[16:17]
	v_subbrev_co_u32_e64 v56, s[24:25], 0, v42, s[24:25]
	v_sub_u32_e32 v40, 0, v56
	v_ldexp_f64 v[36:37], v[36:37], v40
	v_ldexp_f64 v[38:39], v[38:39], v40
	v_add_f64 v[40:41], v[36:37], -1.0
	v_add_f64 v[46:47], v[36:37], 1.0
	v_add_f64 v[42:43], v[40:41], 1.0
	v_add_f64 v[48:49], v[46:47], -1.0
	v_add_f64 v[42:43], v[36:37], -v[42:43]
	v_add_f64 v[36:37], v[36:37], -v[48:49]
	v_add_f64 v[36:37], v[38:39], v[36:37]
	v_add_f64 v[42:43], v[38:39], v[42:43]
	;; [unrolled: 1-line block ×3, first 2 shown]
	v_rcp_f64_e32 v[48:49], v[38:39]
	v_add_f64 v[44:45], v[40:41], v[42:43]
	v_add_f64 v[40:41], v[44:45], -v[40:41]
	v_add_f64 v[40:41], v[42:43], -v[40:41]
	;; [unrolled: 1-line block ×4, first 2 shown]
	v_fma_f64 v[42:43], -v[38:39], v[48:49], 1.0
	v_fmac_f64_e32 v[48:49], v[42:43], v[48:49]
	v_fma_f64 v[42:43], -v[38:39], v[48:49], 1.0
	v_fmac_f64_e32 v[48:49], v[42:43], v[48:49]
	v_mul_f64 v[42:43], v[44:45], v[48:49]
	v_mul_f64 v[46:47], v[38:39], v[42:43]
	v_fma_f64 v[50:51], v[42:43], v[38:39], -v[46:47]
	v_fmac_f64_e32 v[50:51], v[42:43], v[36:37]
	v_add_f64 v[52:53], v[46:47], v[50:51]
	v_add_f64 v[54:55], v[44:45], -v[52:53]
	v_add_f64 v[44:45], v[44:45], -v[54:55]
	;; [unrolled: 1-line block ×4, first 2 shown]
	v_add_f64 v[40:41], v[40:41], v[44:45]
	v_add_f64 v[44:45], v[46:47], -v[50:51]
	v_add_f64 v[40:41], v[44:45], v[40:41]
	v_add_f64 v[44:45], v[54:55], v[40:41]
	v_add_f64 v[46:47], v[54:55], -v[44:45]
	v_add_f64 v[40:41], v[40:41], v[46:47]
	v_mul_f64 v[46:47], v[48:49], v[44:45]
	v_mul_f64 v[50:51], v[38:39], v[46:47]
	v_fma_f64 v[38:39], v[46:47], v[38:39], -v[50:51]
	v_fmac_f64_e32 v[38:39], v[46:47], v[36:37]
	v_add_f64 v[36:37], v[50:51], v[38:39]
	v_add_f64 v[52:53], v[44:45], -v[36:37]
	v_add_f64 v[44:45], v[44:45], -v[52:53]
	;; [unrolled: 1-line block ×4, first 2 shown]
	v_add_f64 v[36:37], v[40:41], v[36:37]
	v_add_f64 v[38:39], v[50:51], -v[38:39]
	v_add_f64 v[36:37], v[38:39], v[36:37]
	v_add_f64 v[38:39], v[42:43], v[46:47]
	;; [unrolled: 1-line block ×3, first 2 shown]
	v_add_f64 v[40:41], v[38:39], -v[42:43]
	v_mul_f64 v[36:37], v[48:49], v[36:37]
	v_add_f64 v[40:41], v[46:47], -v[40:41]
	v_add_f64 v[36:37], v[40:41], v[36:37]
	v_add_f64 v[40:41], v[38:39], v[36:37]
	v_add_f64 v[38:39], v[40:41], -v[38:39]
	s_mov_b32 s24, 0xbf559e2b
	v_add_f64 v[36:37], v[36:37], -v[38:39]
	v_mul_f64 v[38:39], v[40:41], v[40:41]
	v_mov_b32_e32 v42, 0x6b47b09a
	v_mov_b32_e32 v43, 0x3fc38538
	s_mov_b32 s25, 0x3fc3ab76
	v_fmac_f64_e32 v[42:43], s[24:25], v[38:39]
	v_mov_b32_e32 v44, 0xd7f4df2e
	v_mov_b32_e32 v45, 0x3fc7474d
	v_fmac_f64_e32 v[44:45], v[38:39], v[42:43]
	v_mov_b32_e32 v42, 0x16291751
	v_mov_b32_e32 v43, 0x3fcc71c0
	;; [unrolled: 3-line block ×5, first 2 shown]
	v_fmac_f64_e32 v[44:45], v[38:39], v[42:43]
	v_cvt_f64_i32_e32 v[42:43], v56
	v_mul_f64 v[46:47], v[42:43], s[34:35]
	v_fma_f64 v[48:49], v[42:43], s[34:35], -v[46:47]
	v_fmac_f64_e32 v[48:49], s[36:37], v[42:43]
	v_add_f64 v[42:43], v[46:47], v[48:49]
	v_add_f64 v[46:47], v[42:43], -v[46:47]
	v_mul_f64 v[38:39], v[40:41], v[38:39]
	v_add_f64 v[46:47], v[48:49], -v[46:47]
	v_ldexp_f64 v[48:49], v[40:41], 1
	v_mul_f64 v[38:39], v[38:39], v[44:45]
	v_add_f64 v[40:41], v[48:49], v[38:39]
	v_add_f64 v[44:45], v[40:41], -v[48:49]
	v_ldexp_f64 v[36:37], v[36:37], 1
	v_add_f64 v[38:39], v[38:39], -v[44:45]
	v_add_f64 v[36:37], v[36:37], v[38:39]
	v_add_f64 v[38:39], v[40:41], v[36:37]
	v_add_f64 v[40:41], v[38:39], -v[40:41]
	v_add_f64 v[36:37], v[36:37], -v[40:41]
	v_add_f64 v[40:41], v[42:43], v[38:39]
	v_add_f64 v[44:45], v[40:41], -v[42:43]
	v_add_f64 v[48:49], v[40:41], -v[44:45]
	;; [unrolled: 1-line block ×4, first 2 shown]
	v_add_f64 v[38:39], v[38:39], v[42:43]
	v_add_f64 v[42:43], v[46:47], v[36:37]
	v_add_f64 v[44:45], v[42:43], -v[46:47]
	v_add_f64 v[38:39], v[42:43], v[38:39]
	v_add_f64 v[48:49], v[42:43], -v[44:45]
	;; [unrolled: 2-line block ×3, first 2 shown]
	v_add_f64 v[36:37], v[36:37], -v[44:45]
	v_add_f64 v[40:41], v[42:43], -v[40:41]
	v_add_f64 v[36:37], v[36:37], v[46:47]
	v_add_f64 v[38:39], v[38:39], -v[40:41]
	s_mov_b32 s24, 0
	v_add_f64 v[36:37], v[36:37], v[38:39]
	s_mov_b32 s25, 0x7ff00000
	v_add_f64 v[36:37], v[42:43], v[36:37]
	v_cmp_neq_f64_e64 s[24:25], s[24:25], v[16:17]
	s_nop 1
	v_cndmask_b32_e64 v19, v19, v37, s[24:25]
	v_mov_b32_e32 v37, 0x7ff80000
	v_cndmask_b32_e64 v19, v37, v19, s[26:27]
	v_cmp_nge_f64_e64 s[26:27], -1.0, v[16:17]
	s_and_b64 s[24:25], s[26:27], s[24:25]
	v_cndmask_b32_e64 v36, 0, v36, s[24:25]
	v_mov_b32_e32 v37, 0xfff00000
	v_cmp_neq_f64_e64 s[24:25], -1.0, v[16:17]
	s_nop 1
	v_cndmask_b32_e64 v37, v37, v19, s[24:25]
	v_add_f64 v[16:17], v[14:15], v[36:37]
.LBB56_59:
	s_or_b64 exec, exec, s[28:29]
	ds_read_b64 v[14:15], v1 offset:24
	v_max_f64 v[38:39], v[16:17], v[16:17]
	v_cmp_u_f64_e64 s[24:25], v[16:17], v[16:17]
	ds_write_b64 v1, v[16:17] offset:16
	s_waitcnt lgkmcnt(1)
	v_max_f64 v[40:41], v[14:15], v[14:15]
	v_min_f64 v[36:37], v[38:39], v[40:41]
	v_cndmask_b32_e64 v19, v36, v16, s[24:25]
	v_cndmask_b32_e64 v36, v37, v17, s[24:25]
	v_cmp_u_f64_e64 s[26:27], v[14:15], v[14:15]
	v_max_f64 v[38:39], v[38:39], v[40:41]
	s_nop 0
	v_cndmask_b32_e64 v37, v36, v15, s[26:27]
	v_cndmask_b32_e64 v36, v19, v14, s[26:27]
	v_cndmask_b32_e64 v19, v38, v16, s[24:25]
	v_cndmask_b32_e64 v38, v39, v17, s[24:25]
	v_cndmask_b32_e64 v15, v38, v15, s[26:27]
	v_cndmask_b32_e64 v14, v19, v14, s[26:27]
	v_cmp_neq_f64_e64 s[24:25], v[36:37], v[14:15]
	v_cmp_class_f64_e64 s[26:27], v[36:37], s33
	s_or_b64 s[24:25], s[24:25], s[26:27]
	s_and_saveexec_b64 s[28:29], s[24:25]
	s_cbranch_execz .LBB56_61
; %bb.60:
	s_mov_b32 s24, 0x652b82fe
	v_add_f64 v[16:17], v[36:37], -v[14:15]
	s_mov_b32 s25, 0x3ff71547
	v_mul_f64 v[36:37], v[16:17], s[24:25]
	v_rndne_f64_e32 v[36:37], v[36:37]
	s_mov_b32 s35, 0xbfe62e42
	s_mov_b32 s34, 0xfefa39ef
	v_fma_f64 v[38:39], s[34:35], v[36:37], v[16:17]
	s_mov_b32 s37, 0xbc7abc9e
	s_mov_b32 s36, 0x3b39803f
	;; [unrolled: 1-line block ×3, first 2 shown]
	v_fmac_f64_e32 v[38:39], s[36:37], v[36:37]
	v_mov_b32_e32 v40, 0xfca7ab0c
	v_mov_b32_e32 v41, 0x3e928af3
	s_mov_b32 s25, 0x3e5ade15
	v_fmac_f64_e32 v[40:41], s[24:25], v[38:39]
	v_mov_b32_e32 v42, 0x623fde64
	v_mov_b32_e32 v43, 0x3ec71dee
	v_fmac_f64_e32 v[42:43], v[38:39], v[40:41]
	v_mov_b32_e32 v40, 0x7c89e6b0
	v_mov_b32_e32 v41, 0x3efa0199
	;; [unrolled: 3-line block ×8, first 2 shown]
	v_fmac_f64_e32 v[40:41], v[38:39], v[42:43]
	v_fma_f64 v[40:41], v[38:39], v[40:41], 1.0
	s_mov_b32 s24, 0
	s_mov_b32 s26, 0
	v_fma_f64 v[38:39], v[38:39], v[40:41], 1.0
	v_cvt_i32_f64_e32 v19, v[36:37]
	s_mov_b32 s25, 0x40900000
	s_mov_b32 s27, 0xc090cc00
	v_ldexp_f64 v[36:37], v[38:39], v19
	v_mov_b32_e32 v19, 0x7ff00000
	v_cmp_nlt_f64_e64 s[24:25], s[24:25], v[16:17]
	v_cmp_ngt_f64_e64 s[26:27], s[26:27], v[16:17]
	s_mov_b32 s35, 0x3fe62e42
	v_cndmask_b32_e64 v37, v19, v37, s[24:25]
	s_and_b64 s[24:25], s[26:27], s[24:25]
	v_cndmask_b32_e64 v17, 0, v37, s[26:27]
	v_cndmask_b32_e64 v16, 0, v36, s[24:25]
	v_add_f64 v[36:37], v[16:17], 1.0
	v_add_f64 v[38:39], v[36:37], -1.0
	v_add_f64 v[40:41], v[38:39], -v[36:37]
	v_add_f64 v[40:41], v[40:41], 1.0
	v_add_f64 v[38:39], v[16:17], -v[38:39]
	s_mov_b32 s24, 0x55555555
	v_add_f64 v[38:39], v[38:39], v[40:41]
	v_frexp_mant_f64_e32 v[40:41], v[36:37]
	s_mov_b32 s25, 0x3fe55555
	v_frexp_exp_i32_f64_e32 v42, v[36:37]
	v_cmp_gt_f64_e64 s[24:25], s[24:25], v[40:41]
	s_mov_b32 s37, 0x3c7abc9e
	v_cmp_ngt_f64_e64 s[26:27], -1.0, v[16:17]
	v_subbrev_co_u32_e64 v56, s[24:25], 0, v42, s[24:25]
	v_sub_u32_e32 v40, 0, v56
	v_ldexp_f64 v[36:37], v[36:37], v40
	v_ldexp_f64 v[38:39], v[38:39], v40
	v_add_f64 v[40:41], v[36:37], -1.0
	v_add_f64 v[46:47], v[36:37], 1.0
	v_add_f64 v[42:43], v[40:41], 1.0
	v_add_f64 v[48:49], v[46:47], -1.0
	v_add_f64 v[42:43], v[36:37], -v[42:43]
	v_add_f64 v[36:37], v[36:37], -v[48:49]
	v_add_f64 v[36:37], v[38:39], v[36:37]
	v_add_f64 v[42:43], v[38:39], v[42:43]
	;; [unrolled: 1-line block ×3, first 2 shown]
	v_rcp_f64_e32 v[48:49], v[38:39]
	v_add_f64 v[44:45], v[40:41], v[42:43]
	v_add_f64 v[40:41], v[44:45], -v[40:41]
	v_add_f64 v[40:41], v[42:43], -v[40:41]
	;; [unrolled: 1-line block ×4, first 2 shown]
	v_fma_f64 v[42:43], -v[38:39], v[48:49], 1.0
	v_fmac_f64_e32 v[48:49], v[42:43], v[48:49]
	v_fma_f64 v[42:43], -v[38:39], v[48:49], 1.0
	v_fmac_f64_e32 v[48:49], v[42:43], v[48:49]
	v_mul_f64 v[42:43], v[44:45], v[48:49]
	v_mul_f64 v[46:47], v[38:39], v[42:43]
	v_fma_f64 v[50:51], v[42:43], v[38:39], -v[46:47]
	v_fmac_f64_e32 v[50:51], v[42:43], v[36:37]
	v_add_f64 v[52:53], v[46:47], v[50:51]
	v_add_f64 v[54:55], v[44:45], -v[52:53]
	v_add_f64 v[44:45], v[44:45], -v[54:55]
	v_add_f64 v[46:47], v[52:53], -v[46:47]
	v_add_f64 v[44:45], v[44:45], -v[52:53]
	v_add_f64 v[40:41], v[40:41], v[44:45]
	v_add_f64 v[44:45], v[46:47], -v[50:51]
	v_add_f64 v[40:41], v[44:45], v[40:41]
	v_add_f64 v[44:45], v[54:55], v[40:41]
	v_add_f64 v[46:47], v[54:55], -v[44:45]
	v_add_f64 v[40:41], v[40:41], v[46:47]
	v_mul_f64 v[46:47], v[48:49], v[44:45]
	v_mul_f64 v[50:51], v[38:39], v[46:47]
	v_fma_f64 v[38:39], v[46:47], v[38:39], -v[50:51]
	v_fmac_f64_e32 v[38:39], v[46:47], v[36:37]
	v_add_f64 v[36:37], v[50:51], v[38:39]
	v_add_f64 v[52:53], v[44:45], -v[36:37]
	v_add_f64 v[44:45], v[44:45], -v[52:53]
	;; [unrolled: 1-line block ×4, first 2 shown]
	v_add_f64 v[36:37], v[40:41], v[36:37]
	v_add_f64 v[38:39], v[50:51], -v[38:39]
	v_add_f64 v[36:37], v[38:39], v[36:37]
	v_add_f64 v[38:39], v[42:43], v[46:47]
	v_add_f64 v[36:37], v[52:53], v[36:37]
	v_add_f64 v[40:41], v[38:39], -v[42:43]
	v_mul_f64 v[36:37], v[48:49], v[36:37]
	v_add_f64 v[40:41], v[46:47], -v[40:41]
	v_add_f64 v[36:37], v[40:41], v[36:37]
	v_add_f64 v[40:41], v[38:39], v[36:37]
	v_add_f64 v[38:39], v[40:41], -v[38:39]
	s_mov_b32 s24, 0xbf559e2b
	v_add_f64 v[36:37], v[36:37], -v[38:39]
	v_mul_f64 v[38:39], v[40:41], v[40:41]
	v_mov_b32_e32 v42, 0x6b47b09a
	v_mov_b32_e32 v43, 0x3fc38538
	s_mov_b32 s25, 0x3fc3ab76
	v_fmac_f64_e32 v[42:43], s[24:25], v[38:39]
	v_mov_b32_e32 v44, 0xd7f4df2e
	v_mov_b32_e32 v45, 0x3fc7474d
	v_fmac_f64_e32 v[44:45], v[38:39], v[42:43]
	v_mov_b32_e32 v42, 0x16291751
	v_mov_b32_e32 v43, 0x3fcc71c0
	;; [unrolled: 3-line block ×5, first 2 shown]
	v_fmac_f64_e32 v[44:45], v[38:39], v[42:43]
	v_cvt_f64_i32_e32 v[42:43], v56
	v_mul_f64 v[46:47], v[42:43], s[34:35]
	v_fma_f64 v[48:49], v[42:43], s[34:35], -v[46:47]
	v_fmac_f64_e32 v[48:49], s[36:37], v[42:43]
	v_add_f64 v[42:43], v[46:47], v[48:49]
	v_add_f64 v[46:47], v[42:43], -v[46:47]
	v_mul_f64 v[38:39], v[40:41], v[38:39]
	v_add_f64 v[46:47], v[48:49], -v[46:47]
	v_ldexp_f64 v[48:49], v[40:41], 1
	v_mul_f64 v[38:39], v[38:39], v[44:45]
	v_add_f64 v[40:41], v[48:49], v[38:39]
	v_add_f64 v[44:45], v[40:41], -v[48:49]
	v_ldexp_f64 v[36:37], v[36:37], 1
	v_add_f64 v[38:39], v[38:39], -v[44:45]
	v_add_f64 v[36:37], v[36:37], v[38:39]
	v_add_f64 v[38:39], v[40:41], v[36:37]
	v_add_f64 v[40:41], v[38:39], -v[40:41]
	v_add_f64 v[36:37], v[36:37], -v[40:41]
	v_add_f64 v[40:41], v[42:43], v[38:39]
	v_add_f64 v[44:45], v[40:41], -v[42:43]
	v_add_f64 v[48:49], v[40:41], -v[44:45]
	;; [unrolled: 1-line block ×4, first 2 shown]
	v_add_f64 v[38:39], v[38:39], v[42:43]
	v_add_f64 v[42:43], v[46:47], v[36:37]
	v_add_f64 v[44:45], v[42:43], -v[46:47]
	v_add_f64 v[38:39], v[42:43], v[38:39]
	v_add_f64 v[48:49], v[42:43], -v[44:45]
	;; [unrolled: 2-line block ×3, first 2 shown]
	v_add_f64 v[36:37], v[36:37], -v[44:45]
	v_add_f64 v[40:41], v[42:43], -v[40:41]
	v_add_f64 v[36:37], v[36:37], v[46:47]
	v_add_f64 v[38:39], v[38:39], -v[40:41]
	s_mov_b32 s24, 0
	v_add_f64 v[36:37], v[36:37], v[38:39]
	s_mov_b32 s25, 0x7ff00000
	v_add_f64 v[36:37], v[42:43], v[36:37]
	v_cmp_neq_f64_e64 s[24:25], s[24:25], v[16:17]
	s_nop 1
	v_cndmask_b32_e64 v19, v19, v37, s[24:25]
	v_mov_b32_e32 v37, 0x7ff80000
	v_cndmask_b32_e64 v19, v37, v19, s[26:27]
	v_cmp_nge_f64_e64 s[26:27], -1.0, v[16:17]
	s_and_b64 s[24:25], s[26:27], s[24:25]
	v_cndmask_b32_e64 v36, 0, v36, s[24:25]
	v_mov_b32_e32 v37, 0xfff00000
	v_cmp_neq_f64_e64 s[24:25], -1.0, v[16:17]
	s_nop 1
	v_cndmask_b32_e64 v37, v37, v19, s[24:25]
	v_add_f64 v[16:17], v[14:15], v[36:37]
.LBB56_61:
	s_or_b64 exec, exec, s[28:29]
	ds_write_b64 v1, v[16:17] offset:24
.LBB56_62:
	s_or_b64 exec, exec, s[30:31]
	s_load_dwordx2 s[24:25], s[0:1], 0x20
	v_mul_u32_u24_e32 v19, 40, v0
	v_cmp_ne_u32_e64 s[0:1], 0, v0
	s_waitcnt lgkmcnt(0)
	s_barrier
	s_and_saveexec_b64 s[26:27], s[0:1]
	s_cbranch_execz .LBB56_66
; %bb.63:
	v_add_u32_e32 v0, -1, v0
	v_lshrrev_b32_e32 v1, 2, v0
	v_and_b32_e32 v1, 0x3ffffff8, v1
	v_lshl_add_u32 v0, v0, 3, v1
	ds_read_b64 v[14:15], v0
	s_waitcnt lgkmcnt(0)
	v_max_f64 v[0:1], v[14:15], v[14:15]
	v_min_f64 v[16:17], v[0:1], v[30:31]
	v_max_f64 v[0:1], v[0:1], v[30:31]
	v_cmp_u_f64_e64 s[0:1], v[14:15], v[14:15]
	s_nop 1
	v_cndmask_b32_e64 v16, v16, v14, s[0:1]
	v_cndmask_b32_e64 v17, v17, v15, s[0:1]
	;; [unrolled: 1-line block ×8, first 2 shown]
	s_movk_i32 s22, 0x1f8
	v_cmp_neq_f64_e64 s[0:1], v[16:17], v[0:1]
	v_cmp_class_f64_e64 s[22:23], v[16:17], s22
	s_or_b64 s[0:1], s[0:1], s[22:23]
	s_and_saveexec_b64 s[28:29], s[0:1]
	s_cbranch_execz .LBB56_65
; %bb.64:
	s_mov_b32 s0, 0x652b82fe
	v_add_f64 v[2:3], v[16:17], -v[0:1]
	s_mov_b32 s1, 0x3ff71547
	v_mul_f64 v[14:15], v[2:3], s[0:1]
	v_rndne_f64_e32 v[14:15], v[14:15]
	s_mov_b32 s31, 0xbfe62e42
	s_mov_b32 s30, 0xfefa39ef
	v_fma_f64 v[16:17], s[30:31], v[14:15], v[2:3]
	s_mov_b32 s35, 0xbc7abc9e
	s_mov_b32 s34, 0x3b39803f
	;; [unrolled: 1-line block ×3, first 2 shown]
	v_fmac_f64_e32 v[16:17], s[34:35], v[14:15]
	v_mov_b32_e32 v30, 0xfca7ab0c
	v_mov_b32_e32 v31, 0x3e928af3
	s_mov_b32 s1, 0x3e5ade15
	v_fmac_f64_e32 v[30:31], s[0:1], v[16:17]
	v_mov_b32_e32 v32, 0x623fde64
	v_mov_b32_e32 v33, 0x3ec71dee
	v_fmac_f64_e32 v[32:33], v[16:17], v[30:31]
	v_mov_b32_e32 v30, 0x7c89e6b0
	v_mov_b32_e32 v31, 0x3efa0199
	v_fmac_f64_e32 v[30:31], v[16:17], v[32:33]
	v_mov_b32_e32 v32, 0x14761f6e
	v_mov_b32_e32 v33, 0x3f2a01a0
	v_fmac_f64_e32 v[32:33], v[16:17], v[30:31]
	v_mov_b32_e32 v30, 0x1852b7b0
	v_mov_b32_e32 v31, 0x3f56c16c
	v_fmac_f64_e32 v[30:31], v[16:17], v[32:33]
	v_mov_b32_e32 v32, 0x11122322
	v_mov_b32_e32 v33, 0x3f811111
	v_fmac_f64_e32 v[32:33], v[16:17], v[30:31]
	v_mov_b32_e32 v30, 0x555502a1
	v_mov_b32_e32 v31, 0x3fa55555
	v_fmac_f64_e32 v[30:31], v[16:17], v[32:33]
	v_mov_b32_e32 v32, 0x55555511
	v_mov_b32_e32 v33, 0x3fc55555
	v_fmac_f64_e32 v[32:33], v[16:17], v[30:31]
	v_mov_b32_e32 v30, 11
	v_mov_b32_e32 v31, 0x3fe00000
	v_fmac_f64_e32 v[30:31], v[16:17], v[32:33]
	v_fma_f64 v[30:31], v[16:17], v[30:31], 1.0
	s_mov_b32 s0, 0
	s_mov_b32 s22, 0
	v_fma_f64 v[16:17], v[16:17], v[30:31], 1.0
	v_cvt_i32_f64_e32 v14, v[14:15]
	s_mov_b32 s1, 0x40900000
	s_mov_b32 s23, 0xc090cc00
	v_ldexp_f64 v[14:15], v[16:17], v14
	v_mov_b32_e32 v46, 0x7ff00000
	v_cmp_nlt_f64_e64 s[0:1], s[0:1], v[2:3]
	v_cmp_ngt_f64_e64 s[22:23], s[22:23], v[2:3]
	s_mov_b32 s31, 0x3fe62e42
	v_cndmask_b32_e64 v15, v46, v15, s[0:1]
	s_and_b64 s[0:1], s[22:23], s[0:1]
	v_cndmask_b32_e64 v3, 0, v15, s[22:23]
	v_cndmask_b32_e64 v2, 0, v14, s[0:1]
	v_add_f64 v[14:15], v[2:3], 1.0
	v_add_f64 v[16:17], v[14:15], -1.0
	v_add_f64 v[30:31], v[16:17], -v[14:15]
	v_add_f64 v[30:31], v[30:31], 1.0
	v_add_f64 v[16:17], v[2:3], -v[16:17]
	s_mov_b32 s0, 0x55555555
	v_add_f64 v[16:17], v[16:17], v[30:31]
	v_frexp_mant_f64_e32 v[30:31], v[14:15]
	s_mov_b32 s1, 0x3fe55555
	v_frexp_exp_i32_f64_e32 v32, v[14:15]
	v_cmp_gt_f64_e64 s[0:1], s[0:1], v[30:31]
	s_mov_b32 s35, 0x3c7abc9e
	v_cmp_ngt_f64_e64 s[22:23], -1.0, v[2:3]
	v_subbrev_co_u32_e64 v47, s[0:1], 0, v32, s[0:1]
	v_sub_u32_e32 v30, 0, v47
	v_ldexp_f64 v[14:15], v[14:15], v30
	v_ldexp_f64 v[16:17], v[16:17], v30
	v_add_f64 v[30:31], v[14:15], -1.0
	v_add_f64 v[36:37], v[14:15], 1.0
	v_add_f64 v[32:33], v[30:31], 1.0
	v_add_f64 v[38:39], v[36:37], -1.0
	v_add_f64 v[32:33], v[14:15], -v[32:33]
	v_add_f64 v[14:15], v[14:15], -v[38:39]
	v_add_f64 v[14:15], v[16:17], v[14:15]
	v_add_f64 v[32:33], v[16:17], v[32:33]
	;; [unrolled: 1-line block ×3, first 2 shown]
	v_rcp_f64_e32 v[38:39], v[16:17]
	v_add_f64 v[34:35], v[30:31], v[32:33]
	v_add_f64 v[30:31], v[34:35], -v[30:31]
	v_add_f64 v[30:31], v[32:33], -v[30:31]
	;; [unrolled: 1-line block ×4, first 2 shown]
	v_fma_f64 v[32:33], -v[16:17], v[38:39], 1.0
	v_fmac_f64_e32 v[38:39], v[32:33], v[38:39]
	v_fma_f64 v[32:33], -v[16:17], v[38:39], 1.0
	v_fmac_f64_e32 v[38:39], v[32:33], v[38:39]
	v_mul_f64 v[32:33], v[34:35], v[38:39]
	v_mul_f64 v[36:37], v[16:17], v[32:33]
	v_fma_f64 v[40:41], v[32:33], v[16:17], -v[36:37]
	v_fmac_f64_e32 v[40:41], v[32:33], v[14:15]
	v_add_f64 v[42:43], v[36:37], v[40:41]
	v_add_f64 v[44:45], v[34:35], -v[42:43]
	v_add_f64 v[34:35], v[34:35], -v[44:45]
	;; [unrolled: 1-line block ×4, first 2 shown]
	v_add_f64 v[30:31], v[30:31], v[34:35]
	v_add_f64 v[34:35], v[36:37], -v[40:41]
	v_add_f64 v[30:31], v[34:35], v[30:31]
	v_add_f64 v[34:35], v[44:45], v[30:31]
	v_add_f64 v[36:37], v[44:45], -v[34:35]
	v_add_f64 v[30:31], v[30:31], v[36:37]
	v_mul_f64 v[36:37], v[38:39], v[34:35]
	v_mul_f64 v[40:41], v[16:17], v[36:37]
	v_fma_f64 v[16:17], v[36:37], v[16:17], -v[40:41]
	v_fmac_f64_e32 v[16:17], v[36:37], v[14:15]
	v_add_f64 v[14:15], v[40:41], v[16:17]
	v_add_f64 v[42:43], v[34:35], -v[14:15]
	v_add_f64 v[34:35], v[34:35], -v[42:43]
	;; [unrolled: 1-line block ×4, first 2 shown]
	v_add_f64 v[14:15], v[30:31], v[14:15]
	v_add_f64 v[16:17], v[40:41], -v[16:17]
	v_add_f64 v[14:15], v[16:17], v[14:15]
	v_add_f64 v[16:17], v[32:33], v[36:37]
	;; [unrolled: 1-line block ×3, first 2 shown]
	v_add_f64 v[30:31], v[16:17], -v[32:33]
	v_mul_f64 v[14:15], v[38:39], v[14:15]
	v_add_f64 v[30:31], v[36:37], -v[30:31]
	v_add_f64 v[14:15], v[30:31], v[14:15]
	v_add_f64 v[30:31], v[16:17], v[14:15]
	v_add_f64 v[16:17], v[30:31], -v[16:17]
	s_mov_b32 s0, 0xbf559e2b
	v_add_f64 v[14:15], v[14:15], -v[16:17]
	v_mul_f64 v[16:17], v[30:31], v[30:31]
	v_mov_b32_e32 v32, 0x6b47b09a
	v_mov_b32_e32 v33, 0x3fc38538
	s_mov_b32 s1, 0x3fc3ab76
	v_fmac_f64_e32 v[32:33], s[0:1], v[16:17]
	v_mov_b32_e32 v34, 0xd7f4df2e
	v_mov_b32_e32 v35, 0x3fc7474d
	v_fmac_f64_e32 v[34:35], v[16:17], v[32:33]
	v_mov_b32_e32 v32, 0x16291751
	v_mov_b32_e32 v33, 0x3fcc71c0
	;; [unrolled: 3-line block ×5, first 2 shown]
	v_fmac_f64_e32 v[34:35], v[16:17], v[32:33]
	v_cvt_f64_i32_e32 v[32:33], v47
	v_mul_f64 v[36:37], v[32:33], s[30:31]
	v_fma_f64 v[38:39], v[32:33], s[30:31], -v[36:37]
	v_fmac_f64_e32 v[38:39], s[34:35], v[32:33]
	v_add_f64 v[32:33], v[36:37], v[38:39]
	v_add_f64 v[36:37], v[32:33], -v[36:37]
	v_mul_f64 v[16:17], v[30:31], v[16:17]
	v_add_f64 v[36:37], v[38:39], -v[36:37]
	v_ldexp_f64 v[38:39], v[30:31], 1
	v_mul_f64 v[16:17], v[16:17], v[34:35]
	v_add_f64 v[30:31], v[38:39], v[16:17]
	v_add_f64 v[34:35], v[30:31], -v[38:39]
	v_ldexp_f64 v[14:15], v[14:15], 1
	v_add_f64 v[16:17], v[16:17], -v[34:35]
	v_add_f64 v[14:15], v[14:15], v[16:17]
	v_add_f64 v[16:17], v[30:31], v[14:15]
	v_add_f64 v[30:31], v[16:17], -v[30:31]
	v_add_f64 v[14:15], v[14:15], -v[30:31]
	v_add_f64 v[30:31], v[32:33], v[16:17]
	v_add_f64 v[34:35], v[30:31], -v[32:33]
	v_add_f64 v[38:39], v[30:31], -v[34:35]
	;; [unrolled: 1-line block ×4, first 2 shown]
	v_add_f64 v[16:17], v[16:17], v[32:33]
	v_add_f64 v[32:33], v[36:37], v[14:15]
	v_add_f64 v[34:35], v[32:33], -v[36:37]
	v_add_f64 v[16:17], v[32:33], v[16:17]
	v_add_f64 v[38:39], v[32:33], -v[34:35]
	;; [unrolled: 2-line block ×3, first 2 shown]
	v_add_f64 v[14:15], v[14:15], -v[34:35]
	v_add_f64 v[30:31], v[32:33], -v[30:31]
	v_add_f64 v[14:15], v[14:15], v[36:37]
	v_add_f64 v[16:17], v[16:17], -v[30:31]
	s_mov_b32 s0, 0
	v_add_f64 v[14:15], v[14:15], v[16:17]
	s_mov_b32 s1, 0x7ff00000
	v_add_f64 v[14:15], v[32:33], v[14:15]
	v_cmp_neq_f64_e64 s[0:1], s[0:1], v[2:3]
	v_mov_b32_e32 v16, 0x7ff80000
	s_nop 0
	v_cndmask_b32_e64 v15, v46, v15, s[0:1]
	v_cndmask_b32_e64 v15, v16, v15, s[22:23]
	v_cmp_nge_f64_e64 s[22:23], -1.0, v[2:3]
	s_and_b64 s[0:1], s[22:23], s[0:1]
	v_cndmask_b32_e64 v14, 0, v14, s[0:1]
	v_mov_b32_e32 v16, 0xfff00000
	v_cmp_neq_f64_e64 s[0:1], -1.0, v[2:3]
	s_nop 1
	v_cndmask_b32_e64 v15, v16, v15, s[0:1]
	v_add_f64 v[14:15], v[0:1], v[14:15]
.LBB56_65:
	s_or_b64 exec, exec, s[28:29]
	v_max_f64 v[0:1], v[14:15], v[14:15]
	v_min_f64 v[32:33], v[0:1], v[28:29]
	v_max_f64 v[34:35], v[0:1], v[28:29]
	v_mov_b64_e32 v[2:3], v[14:15]
	;;#ASMSTART
	;;#ASMEND
.LBB56_66:
	s_or_b64 exec, exec, s[26:27]
	v_cmp_u_f64_e64 s[0:1], v[2:3], v[2:3]
	s_movk_i32 s30, 0x1f8
	s_nop 0
	v_cndmask_b32_e64 v0, v32, v2, s[0:1]
	v_cndmask_b32_e64 v1, v33, v3, s[0:1]
	;; [unrolled: 1-line block ×8, first 2 shown]
	v_cmp_neq_f64_e64 s[0:1], v[14:15], v[0:1]
	v_cmp_class_f64_e64 s[10:11], v[14:15], s30
	s_or_b64 s[0:1], s[0:1], s[10:11]
	v_mov_b64_e32 v[4:5], v[2:3]
	s_and_saveexec_b64 s[22:23], s[0:1]
	s_cbranch_execz .LBB56_68
; %bb.67:
	s_mov_b32 s0, 0x652b82fe
	v_add_f64 v[4:5], v[14:15], -v[0:1]
	s_mov_b32 s1, 0x3ff71547
	v_mul_f64 v[14:15], v[4:5], s[0:1]
	v_rndne_f64_e32 v[14:15], v[14:15]
	s_mov_b32 s27, 0xbfe62e42
	s_mov_b32 s26, 0xfefa39ef
	v_fma_f64 v[16:17], s[26:27], v[14:15], v[4:5]
	s_mov_b32 s29, 0xbc7abc9e
	s_mov_b32 s28, 0x3b39803f
	;; [unrolled: 1-line block ×3, first 2 shown]
	v_fmac_f64_e32 v[16:17], s[28:29], v[14:15]
	v_mov_b32_e32 v28, 0xfca7ab0c
	v_mov_b32_e32 v29, 0x3e928af3
	s_mov_b32 s1, 0x3e5ade15
	v_fmac_f64_e32 v[28:29], s[0:1], v[16:17]
	v_mov_b32_e32 v30, 0x623fde64
	v_mov_b32_e32 v31, 0x3ec71dee
	v_fmac_f64_e32 v[30:31], v[16:17], v[28:29]
	v_mov_b32_e32 v28, 0x7c89e6b0
	v_mov_b32_e32 v29, 0x3efa0199
	;; [unrolled: 3-line block ×8, first 2 shown]
	v_fmac_f64_e32 v[28:29], v[16:17], v[30:31]
	v_fma_f64 v[28:29], v[16:17], v[28:29], 1.0
	s_mov_b32 s0, 0
	s_mov_b32 s10, 0
	v_fma_f64 v[16:17], v[16:17], v[28:29], 1.0
	v_cvt_i32_f64_e32 v14, v[14:15]
	s_mov_b32 s1, 0x40900000
	s_mov_b32 s11, 0xc090cc00
	v_ldexp_f64 v[14:15], v[16:17], v14
	v_mov_b32_e32 v44, 0x7ff00000
	v_cmp_nlt_f64_e64 s[0:1], s[0:1], v[4:5]
	v_cmp_ngt_f64_e64 s[10:11], s[10:11], v[4:5]
	s_mov_b32 s27, 0x3fe62e42
	v_cndmask_b32_e64 v15, v44, v15, s[0:1]
	s_and_b64 s[0:1], s[10:11], s[0:1]
	v_cndmask_b32_e64 v5, 0, v15, s[10:11]
	v_cndmask_b32_e64 v4, 0, v14, s[0:1]
	v_add_f64 v[14:15], v[4:5], 1.0
	v_add_f64 v[16:17], v[14:15], -1.0
	v_add_f64 v[28:29], v[16:17], -v[14:15]
	v_add_f64 v[28:29], v[28:29], 1.0
	v_add_f64 v[16:17], v[4:5], -v[16:17]
	s_mov_b32 s0, 0x55555555
	v_add_f64 v[16:17], v[16:17], v[28:29]
	v_frexp_mant_f64_e32 v[28:29], v[14:15]
	s_mov_b32 s1, 0x3fe55555
	v_frexp_exp_i32_f64_e32 v30, v[14:15]
	v_cmp_gt_f64_e64 s[0:1], s[0:1], v[28:29]
	s_mov_b32 s29, 0x3c7abc9e
	v_cmp_ngt_f64_e64 s[10:11], -1.0, v[4:5]
	v_subbrev_co_u32_e64 v45, s[0:1], 0, v30, s[0:1]
	v_sub_u32_e32 v28, 0, v45
	v_ldexp_f64 v[14:15], v[14:15], v28
	v_ldexp_f64 v[16:17], v[16:17], v28
	v_add_f64 v[28:29], v[14:15], -1.0
	v_add_f64 v[34:35], v[14:15], 1.0
	v_add_f64 v[30:31], v[28:29], 1.0
	v_add_f64 v[36:37], v[34:35], -1.0
	v_add_f64 v[30:31], v[14:15], -v[30:31]
	v_add_f64 v[14:15], v[14:15], -v[36:37]
	v_add_f64 v[14:15], v[16:17], v[14:15]
	v_add_f64 v[30:31], v[16:17], v[30:31]
	;; [unrolled: 1-line block ×3, first 2 shown]
	v_rcp_f64_e32 v[36:37], v[16:17]
	v_add_f64 v[32:33], v[28:29], v[30:31]
	v_add_f64 v[28:29], v[32:33], -v[28:29]
	v_add_f64 v[28:29], v[30:31], -v[28:29]
	;; [unrolled: 1-line block ×4, first 2 shown]
	v_fma_f64 v[30:31], -v[16:17], v[36:37], 1.0
	v_fmac_f64_e32 v[36:37], v[30:31], v[36:37]
	v_fma_f64 v[30:31], -v[16:17], v[36:37], 1.0
	v_fmac_f64_e32 v[36:37], v[30:31], v[36:37]
	v_mul_f64 v[30:31], v[32:33], v[36:37]
	v_mul_f64 v[34:35], v[16:17], v[30:31]
	v_fma_f64 v[38:39], v[30:31], v[16:17], -v[34:35]
	v_fmac_f64_e32 v[38:39], v[30:31], v[14:15]
	v_add_f64 v[40:41], v[34:35], v[38:39]
	v_add_f64 v[42:43], v[32:33], -v[40:41]
	v_add_f64 v[32:33], v[32:33], -v[42:43]
	;; [unrolled: 1-line block ×4, first 2 shown]
	v_add_f64 v[28:29], v[28:29], v[32:33]
	v_add_f64 v[32:33], v[34:35], -v[38:39]
	v_add_f64 v[28:29], v[32:33], v[28:29]
	v_add_f64 v[32:33], v[42:43], v[28:29]
	v_add_f64 v[34:35], v[42:43], -v[32:33]
	v_add_f64 v[28:29], v[28:29], v[34:35]
	v_mul_f64 v[34:35], v[36:37], v[32:33]
	v_mul_f64 v[38:39], v[16:17], v[34:35]
	v_fma_f64 v[16:17], v[34:35], v[16:17], -v[38:39]
	v_fmac_f64_e32 v[16:17], v[34:35], v[14:15]
	v_add_f64 v[14:15], v[38:39], v[16:17]
	v_add_f64 v[40:41], v[32:33], -v[14:15]
	v_add_f64 v[32:33], v[32:33], -v[40:41]
	;; [unrolled: 1-line block ×4, first 2 shown]
	v_add_f64 v[14:15], v[28:29], v[14:15]
	v_add_f64 v[16:17], v[38:39], -v[16:17]
	v_add_f64 v[14:15], v[16:17], v[14:15]
	v_add_f64 v[16:17], v[30:31], v[34:35]
	;; [unrolled: 1-line block ×3, first 2 shown]
	v_add_f64 v[28:29], v[16:17], -v[30:31]
	v_mul_f64 v[14:15], v[36:37], v[14:15]
	v_add_f64 v[28:29], v[34:35], -v[28:29]
	v_add_f64 v[14:15], v[28:29], v[14:15]
	v_add_f64 v[28:29], v[16:17], v[14:15]
	v_add_f64 v[16:17], v[28:29], -v[16:17]
	s_mov_b32 s0, 0xbf559e2b
	v_add_f64 v[14:15], v[14:15], -v[16:17]
	v_mul_f64 v[16:17], v[28:29], v[28:29]
	v_mov_b32_e32 v30, 0x6b47b09a
	v_mov_b32_e32 v31, 0x3fc38538
	s_mov_b32 s1, 0x3fc3ab76
	v_fmac_f64_e32 v[30:31], s[0:1], v[16:17]
	v_mov_b32_e32 v32, 0xd7f4df2e
	v_mov_b32_e32 v33, 0x3fc7474d
	v_fmac_f64_e32 v[32:33], v[16:17], v[30:31]
	v_mov_b32_e32 v30, 0x16291751
	v_mov_b32_e32 v31, 0x3fcc71c0
	;; [unrolled: 3-line block ×5, first 2 shown]
	v_fmac_f64_e32 v[32:33], v[16:17], v[30:31]
	v_cvt_f64_i32_e32 v[30:31], v45
	v_mul_f64 v[34:35], v[30:31], s[26:27]
	v_fma_f64 v[36:37], v[30:31], s[26:27], -v[34:35]
	v_fmac_f64_e32 v[36:37], s[28:29], v[30:31]
	v_add_f64 v[30:31], v[34:35], v[36:37]
	v_add_f64 v[34:35], v[30:31], -v[34:35]
	v_mul_f64 v[16:17], v[28:29], v[16:17]
	v_add_f64 v[34:35], v[36:37], -v[34:35]
	v_ldexp_f64 v[36:37], v[28:29], 1
	v_mul_f64 v[16:17], v[16:17], v[32:33]
	v_add_f64 v[28:29], v[36:37], v[16:17]
	v_add_f64 v[32:33], v[28:29], -v[36:37]
	v_ldexp_f64 v[14:15], v[14:15], 1
	v_add_f64 v[16:17], v[16:17], -v[32:33]
	v_add_f64 v[14:15], v[14:15], v[16:17]
	v_add_f64 v[16:17], v[28:29], v[14:15]
	v_add_f64 v[28:29], v[16:17], -v[28:29]
	v_add_f64 v[14:15], v[14:15], -v[28:29]
	v_add_f64 v[28:29], v[30:31], v[16:17]
	v_add_f64 v[32:33], v[28:29], -v[30:31]
	v_add_f64 v[36:37], v[28:29], -v[32:33]
	;; [unrolled: 1-line block ×4, first 2 shown]
	v_add_f64 v[16:17], v[16:17], v[30:31]
	v_add_f64 v[30:31], v[34:35], v[14:15]
	v_add_f64 v[32:33], v[30:31], -v[34:35]
	v_add_f64 v[16:17], v[30:31], v[16:17]
	v_add_f64 v[36:37], v[30:31], -v[32:33]
	;; [unrolled: 2-line block ×3, first 2 shown]
	v_add_f64 v[14:15], v[14:15], -v[32:33]
	v_add_f64 v[28:29], v[30:31], -v[28:29]
	v_add_f64 v[14:15], v[14:15], v[34:35]
	v_add_f64 v[16:17], v[16:17], -v[28:29]
	s_mov_b32 s0, 0
	v_add_f64 v[14:15], v[14:15], v[16:17]
	s_mov_b32 s1, 0x7ff00000
	v_add_f64 v[14:15], v[30:31], v[14:15]
	v_cmp_neq_f64_e64 s[0:1], s[0:1], v[4:5]
	v_mov_b32_e32 v16, 0x7ff80000
	s_nop 0
	v_cndmask_b32_e64 v15, v44, v15, s[0:1]
	v_cndmask_b32_e64 v15, v16, v15, s[10:11]
	v_cmp_nge_f64_e64 s[10:11], -1.0, v[4:5]
	s_and_b64 s[0:1], s[10:11], s[0:1]
	v_cndmask_b32_e64 v14, 0, v14, s[0:1]
	v_mov_b32_e32 v16, 0xfff00000
	v_cmp_neq_f64_e64 s[0:1], -1.0, v[4:5]
	s_nop 1
	v_cndmask_b32_e64 v15, v16, v15, s[0:1]
	v_add_f64 v[4:5], v[0:1], v[14:15]
.LBB56_68:
	s_or_b64 exec, exec, s[22:23]
	v_max_f64 v[0:1], v[4:5], v[4:5]
	v_min_f64 v[14:15], v[0:1], v[20:21]
	v_cmp_u_f64_e64 s[0:1], v[4:5], v[4:5]
	v_max_f64 v[0:1], v[0:1], v[20:21]
	s_nop 0
	v_cndmask_b32_e64 v14, v14, v4, s[0:1]
	v_cndmask_b32_e64 v15, v15, v5, s[0:1]
	;; [unrolled: 1-line block ×8, first 2 shown]
	v_cmp_neq_f64_e64 s[0:1], v[14:15], v[0:1]
	v_cmp_class_f64_e64 s[10:11], v[14:15], s30
	s_or_b64 s[0:1], s[0:1], s[10:11]
	v_mov_b64_e32 v[10:11], v[4:5]
	s_and_saveexec_b64 s[12:13], s[0:1]
	s_cbranch_execz .LBB56_70
; %bb.69:
	s_mov_b32 s0, 0x652b82fe
	v_add_f64 v[10:11], v[14:15], -v[0:1]
	s_mov_b32 s1, 0x3ff71547
	v_mul_f64 v[14:15], v[10:11], s[0:1]
	v_rndne_f64_e32 v[14:15], v[14:15]
	s_mov_b32 s23, 0xbfe62e42
	s_mov_b32 s22, 0xfefa39ef
	v_fma_f64 v[16:17], s[22:23], v[14:15], v[10:11]
	s_mov_b32 s27, 0xbc7abc9e
	s_mov_b32 s26, 0x3b39803f
	;; [unrolled: 1-line block ×3, first 2 shown]
	v_fmac_f64_e32 v[16:17], s[26:27], v[14:15]
	v_mov_b32_e32 v20, 0xfca7ab0c
	v_mov_b32_e32 v21, 0x3e928af3
	s_mov_b32 s1, 0x3e5ade15
	v_fmac_f64_e32 v[20:21], s[0:1], v[16:17]
	v_mov_b32_e32 v28, 0x623fde64
	v_mov_b32_e32 v29, 0x3ec71dee
	v_fmac_f64_e32 v[28:29], v[16:17], v[20:21]
	v_mov_b32_e32 v20, 0x7c89e6b0
	v_mov_b32_e32 v21, 0x3efa0199
	;; [unrolled: 3-line block ×8, first 2 shown]
	v_fmac_f64_e32 v[20:21], v[16:17], v[28:29]
	v_fma_f64 v[20:21], v[16:17], v[20:21], 1.0
	s_mov_b32 s0, 0
	s_mov_b32 s10, 0
	v_fma_f64 v[16:17], v[16:17], v[20:21], 1.0
	v_cvt_i32_f64_e32 v14, v[14:15]
	s_mov_b32 s1, 0x40900000
	s_mov_b32 s11, 0xc090cc00
	v_ldexp_f64 v[14:15], v[16:17], v14
	v_mov_b32_e32 v42, 0x7ff00000
	v_cmp_nlt_f64_e64 s[0:1], s[0:1], v[10:11]
	v_cmp_ngt_f64_e64 s[10:11], s[10:11], v[10:11]
	s_mov_b32 s23, 0x3fe62e42
	v_cndmask_b32_e64 v15, v42, v15, s[0:1]
	s_and_b64 s[0:1], s[10:11], s[0:1]
	v_cndmask_b32_e64 v11, 0, v15, s[10:11]
	v_cndmask_b32_e64 v10, 0, v14, s[0:1]
	v_add_f64 v[14:15], v[10:11], 1.0
	v_add_f64 v[16:17], v[14:15], -1.0
	v_add_f64 v[20:21], v[16:17], -v[14:15]
	v_add_f64 v[20:21], v[20:21], 1.0
	v_add_f64 v[16:17], v[10:11], -v[16:17]
	s_mov_b32 s0, 0x55555555
	v_add_f64 v[16:17], v[16:17], v[20:21]
	v_frexp_mant_f64_e32 v[20:21], v[14:15]
	s_mov_b32 s1, 0x3fe55555
	v_frexp_exp_i32_f64_e32 v28, v[14:15]
	v_cmp_gt_f64_e64 s[0:1], s[0:1], v[20:21]
	s_mov_b32 s27, 0x3c7abc9e
	v_cmp_ngt_f64_e64 s[10:11], -1.0, v[10:11]
	v_subbrev_co_u32_e64 v43, s[0:1], 0, v28, s[0:1]
	v_sub_u32_e32 v20, 0, v43
	v_ldexp_f64 v[14:15], v[14:15], v20
	v_ldexp_f64 v[16:17], v[16:17], v20
	v_add_f64 v[20:21], v[14:15], -1.0
	v_add_f64 v[32:33], v[14:15], 1.0
	v_add_f64 v[28:29], v[20:21], 1.0
	v_add_f64 v[34:35], v[32:33], -1.0
	v_add_f64 v[28:29], v[14:15], -v[28:29]
	v_add_f64 v[14:15], v[14:15], -v[34:35]
	v_add_f64 v[14:15], v[16:17], v[14:15]
	v_add_f64 v[28:29], v[16:17], v[28:29]
	;; [unrolled: 1-line block ×3, first 2 shown]
	v_rcp_f64_e32 v[34:35], v[16:17]
	v_add_f64 v[30:31], v[20:21], v[28:29]
	v_add_f64 v[20:21], v[30:31], -v[20:21]
	v_add_f64 v[20:21], v[28:29], -v[20:21]
	v_add_f64 v[28:29], v[16:17], -v[32:33]
	v_add_f64 v[14:15], v[14:15], -v[28:29]
	v_fma_f64 v[28:29], -v[16:17], v[34:35], 1.0
	v_fmac_f64_e32 v[34:35], v[28:29], v[34:35]
	v_fma_f64 v[28:29], -v[16:17], v[34:35], 1.0
	v_fmac_f64_e32 v[34:35], v[28:29], v[34:35]
	v_mul_f64 v[28:29], v[30:31], v[34:35]
	v_mul_f64 v[32:33], v[16:17], v[28:29]
	v_fma_f64 v[36:37], v[28:29], v[16:17], -v[32:33]
	v_fmac_f64_e32 v[36:37], v[28:29], v[14:15]
	v_add_f64 v[38:39], v[32:33], v[36:37]
	v_add_f64 v[40:41], v[30:31], -v[38:39]
	v_add_f64 v[30:31], v[30:31], -v[40:41]
	;; [unrolled: 1-line block ×4, first 2 shown]
	v_add_f64 v[20:21], v[20:21], v[30:31]
	v_add_f64 v[30:31], v[32:33], -v[36:37]
	v_add_f64 v[20:21], v[30:31], v[20:21]
	v_add_f64 v[30:31], v[40:41], v[20:21]
	v_add_f64 v[32:33], v[40:41], -v[30:31]
	v_add_f64 v[20:21], v[20:21], v[32:33]
	v_mul_f64 v[32:33], v[34:35], v[30:31]
	v_mul_f64 v[36:37], v[16:17], v[32:33]
	v_fma_f64 v[16:17], v[32:33], v[16:17], -v[36:37]
	v_fmac_f64_e32 v[16:17], v[32:33], v[14:15]
	v_add_f64 v[14:15], v[36:37], v[16:17]
	v_add_f64 v[38:39], v[30:31], -v[14:15]
	v_add_f64 v[30:31], v[30:31], -v[38:39]
	;; [unrolled: 1-line block ×4, first 2 shown]
	v_add_f64 v[14:15], v[20:21], v[14:15]
	v_add_f64 v[16:17], v[36:37], -v[16:17]
	v_add_f64 v[14:15], v[16:17], v[14:15]
	v_add_f64 v[16:17], v[28:29], v[32:33]
	v_add_f64 v[14:15], v[38:39], v[14:15]
	v_add_f64 v[20:21], v[16:17], -v[28:29]
	v_mul_f64 v[14:15], v[34:35], v[14:15]
	v_add_f64 v[20:21], v[32:33], -v[20:21]
	v_add_f64 v[14:15], v[20:21], v[14:15]
	v_add_f64 v[20:21], v[16:17], v[14:15]
	v_add_f64 v[16:17], v[20:21], -v[16:17]
	s_mov_b32 s0, 0xbf559e2b
	v_add_f64 v[14:15], v[14:15], -v[16:17]
	v_mul_f64 v[16:17], v[20:21], v[20:21]
	v_mov_b32_e32 v28, 0x6b47b09a
	v_mov_b32_e32 v29, 0x3fc38538
	s_mov_b32 s1, 0x3fc3ab76
	v_fmac_f64_e32 v[28:29], s[0:1], v[16:17]
	v_mov_b32_e32 v30, 0xd7f4df2e
	v_mov_b32_e32 v31, 0x3fc7474d
	v_fmac_f64_e32 v[30:31], v[16:17], v[28:29]
	v_mov_b32_e32 v28, 0x16291751
	v_mov_b32_e32 v29, 0x3fcc71c0
	;; [unrolled: 3-line block ×5, first 2 shown]
	v_fmac_f64_e32 v[30:31], v[16:17], v[28:29]
	v_cvt_f64_i32_e32 v[28:29], v43
	v_mul_f64 v[32:33], v[28:29], s[22:23]
	v_fma_f64 v[34:35], v[28:29], s[22:23], -v[32:33]
	v_fmac_f64_e32 v[34:35], s[26:27], v[28:29]
	v_add_f64 v[28:29], v[32:33], v[34:35]
	v_add_f64 v[32:33], v[28:29], -v[32:33]
	v_mul_f64 v[16:17], v[20:21], v[16:17]
	v_add_f64 v[32:33], v[34:35], -v[32:33]
	v_ldexp_f64 v[34:35], v[20:21], 1
	v_mul_f64 v[16:17], v[16:17], v[30:31]
	v_add_f64 v[20:21], v[34:35], v[16:17]
	v_add_f64 v[30:31], v[20:21], -v[34:35]
	v_ldexp_f64 v[14:15], v[14:15], 1
	v_add_f64 v[16:17], v[16:17], -v[30:31]
	v_add_f64 v[14:15], v[14:15], v[16:17]
	v_add_f64 v[16:17], v[20:21], v[14:15]
	v_add_f64 v[20:21], v[16:17], -v[20:21]
	v_add_f64 v[14:15], v[14:15], -v[20:21]
	v_add_f64 v[20:21], v[28:29], v[16:17]
	v_add_f64 v[30:31], v[20:21], -v[28:29]
	v_add_f64 v[34:35], v[20:21], -v[30:31]
	;; [unrolled: 1-line block ×4, first 2 shown]
	v_add_f64 v[16:17], v[16:17], v[28:29]
	v_add_f64 v[28:29], v[32:33], v[14:15]
	v_add_f64 v[30:31], v[28:29], -v[32:33]
	v_add_f64 v[16:17], v[28:29], v[16:17]
	v_add_f64 v[34:35], v[28:29], -v[30:31]
	;; [unrolled: 2-line block ×3, first 2 shown]
	v_add_f64 v[14:15], v[14:15], -v[30:31]
	v_add_f64 v[20:21], v[28:29], -v[20:21]
	v_add_f64 v[14:15], v[14:15], v[32:33]
	v_add_f64 v[16:17], v[16:17], -v[20:21]
	s_mov_b32 s0, 0
	v_add_f64 v[14:15], v[14:15], v[16:17]
	s_mov_b32 s1, 0x7ff00000
	v_add_f64 v[14:15], v[28:29], v[14:15]
	v_cmp_neq_f64_e64 s[0:1], s[0:1], v[10:11]
	v_mov_b32_e32 v16, 0x7ff80000
	s_nop 0
	v_cndmask_b32_e64 v15, v42, v15, s[0:1]
	v_cndmask_b32_e64 v15, v16, v15, s[10:11]
	v_cmp_nge_f64_e64 s[10:11], -1.0, v[10:11]
	s_and_b64 s[0:1], s[10:11], s[0:1]
	v_cndmask_b32_e64 v14, 0, v14, s[0:1]
	v_mov_b32_e32 v16, 0xfff00000
	v_cmp_neq_f64_e64 s[0:1], -1.0, v[10:11]
	s_nop 1
	v_cndmask_b32_e64 v15, v16, v15, s[0:1]
	v_add_f64 v[10:11], v[0:1], v[14:15]
.LBB56_70:
	s_or_b64 exec, exec, s[12:13]
	v_max_f64 v[0:1], v[10:11], v[10:11]
	v_min_f64 v[14:15], v[0:1], v[22:23]
	v_cmp_u_f64_e64 s[0:1], v[10:11], v[10:11]
	v_max_f64 v[0:1], v[0:1], v[22:23]
	s_movk_i32 s26, 0x1f8
	v_cndmask_b32_e64 v14, v14, v10, s[0:1]
	v_cndmask_b32_e64 v15, v15, v11, s[0:1]
	;; [unrolled: 1-line block ×8, first 2 shown]
	v_cmp_neq_f64_e64 s[0:1], v[14:15], v[0:1]
	v_cmp_class_f64_e64 s[10:11], v[14:15], s26
	s_or_b64 s[0:1], s[0:1], s[10:11]
	v_mov_b64_e32 v[12:13], v[10:11]
	s_and_saveexec_b64 s[12:13], s[0:1]
	s_cbranch_execz .LBB56_72
; %bb.71:
	s_mov_b32 s0, 0x652b82fe
	v_add_f64 v[12:13], v[14:15], -v[0:1]
	s_mov_b32 s1, 0x3ff71547
	v_mul_f64 v[14:15], v[12:13], s[0:1]
	v_rndne_f64_e32 v[14:15], v[14:15]
	s_mov_b32 s15, 0xbfe62e42
	s_mov_b32 s14, 0xfefa39ef
	v_fma_f64 v[16:17], s[14:15], v[14:15], v[12:13]
	s_mov_b32 s23, 0xbc7abc9e
	s_mov_b32 s22, 0x3b39803f
	;; [unrolled: 1-line block ×3, first 2 shown]
	v_fmac_f64_e32 v[16:17], s[22:23], v[14:15]
	v_mov_b32_e32 v20, 0xfca7ab0c
	v_mov_b32_e32 v21, 0x3e928af3
	s_mov_b32 s1, 0x3e5ade15
	v_fmac_f64_e32 v[20:21], s[0:1], v[16:17]
	v_mov_b32_e32 v22, 0x623fde64
	v_mov_b32_e32 v23, 0x3ec71dee
	v_fmac_f64_e32 v[22:23], v[16:17], v[20:21]
	v_mov_b32_e32 v20, 0x7c89e6b0
	v_mov_b32_e32 v21, 0x3efa0199
	;; [unrolled: 3-line block ×8, first 2 shown]
	v_fmac_f64_e32 v[20:21], v[16:17], v[22:23]
	v_fma_f64 v[20:21], v[16:17], v[20:21], 1.0
	s_mov_b32 s0, 0
	s_mov_b32 s10, 0
	v_fma_f64 v[16:17], v[16:17], v[20:21], 1.0
	v_cvt_i32_f64_e32 v14, v[14:15]
	s_mov_b32 s1, 0x40900000
	s_mov_b32 s11, 0xc090cc00
	v_ldexp_f64 v[14:15], v[16:17], v14
	v_mov_b32_e32 v40, 0x7ff00000
	v_cmp_nlt_f64_e64 s[0:1], s[0:1], v[12:13]
	v_cmp_ngt_f64_e64 s[10:11], s[10:11], v[12:13]
	s_mov_b32 s15, 0x3fe62e42
	v_cndmask_b32_e64 v15, v40, v15, s[0:1]
	s_and_b64 s[0:1], s[10:11], s[0:1]
	v_cndmask_b32_e64 v13, 0, v15, s[10:11]
	v_cndmask_b32_e64 v12, 0, v14, s[0:1]
	v_add_f64 v[14:15], v[12:13], 1.0
	v_add_f64 v[16:17], v[14:15], -1.0
	v_add_f64 v[20:21], v[16:17], -v[14:15]
	v_add_f64 v[20:21], v[20:21], 1.0
	v_add_f64 v[16:17], v[12:13], -v[16:17]
	s_mov_b32 s0, 0x55555555
	v_add_f64 v[16:17], v[16:17], v[20:21]
	v_frexp_mant_f64_e32 v[20:21], v[14:15]
	s_mov_b32 s1, 0x3fe55555
	v_frexp_exp_i32_f64_e32 v22, v[14:15]
	v_cmp_gt_f64_e64 s[0:1], s[0:1], v[20:21]
	s_mov_b32 s23, 0x3c7abc9e
	v_cmp_ngt_f64_e64 s[10:11], -1.0, v[12:13]
	v_subbrev_co_u32_e64 v41, s[0:1], 0, v22, s[0:1]
	v_sub_u32_e32 v20, 0, v41
	v_ldexp_f64 v[14:15], v[14:15], v20
	v_ldexp_f64 v[16:17], v[16:17], v20
	v_add_f64 v[20:21], v[14:15], -1.0
	v_add_f64 v[30:31], v[14:15], 1.0
	v_add_f64 v[22:23], v[20:21], 1.0
	v_add_f64 v[32:33], v[30:31], -1.0
	v_add_f64 v[22:23], v[14:15], -v[22:23]
	v_add_f64 v[14:15], v[14:15], -v[32:33]
	v_add_f64 v[14:15], v[16:17], v[14:15]
	v_add_f64 v[22:23], v[16:17], v[22:23]
	;; [unrolled: 1-line block ×3, first 2 shown]
	v_rcp_f64_e32 v[32:33], v[16:17]
	v_add_f64 v[28:29], v[20:21], v[22:23]
	v_add_f64 v[20:21], v[28:29], -v[20:21]
	v_add_f64 v[20:21], v[22:23], -v[20:21]
	;; [unrolled: 1-line block ×4, first 2 shown]
	v_fma_f64 v[22:23], -v[16:17], v[32:33], 1.0
	v_fmac_f64_e32 v[32:33], v[22:23], v[32:33]
	v_fma_f64 v[22:23], -v[16:17], v[32:33], 1.0
	v_fmac_f64_e32 v[32:33], v[22:23], v[32:33]
	v_mul_f64 v[22:23], v[28:29], v[32:33]
	v_mul_f64 v[30:31], v[16:17], v[22:23]
	v_fma_f64 v[34:35], v[22:23], v[16:17], -v[30:31]
	v_fmac_f64_e32 v[34:35], v[22:23], v[14:15]
	v_add_f64 v[36:37], v[30:31], v[34:35]
	v_add_f64 v[38:39], v[28:29], -v[36:37]
	v_add_f64 v[28:29], v[28:29], -v[38:39]
	;; [unrolled: 1-line block ×4, first 2 shown]
	v_add_f64 v[20:21], v[20:21], v[28:29]
	v_add_f64 v[28:29], v[30:31], -v[34:35]
	v_add_f64 v[20:21], v[28:29], v[20:21]
	v_add_f64 v[28:29], v[38:39], v[20:21]
	v_add_f64 v[30:31], v[38:39], -v[28:29]
	v_add_f64 v[20:21], v[20:21], v[30:31]
	v_mul_f64 v[30:31], v[32:33], v[28:29]
	v_mul_f64 v[34:35], v[16:17], v[30:31]
	v_fma_f64 v[16:17], v[30:31], v[16:17], -v[34:35]
	v_fmac_f64_e32 v[16:17], v[30:31], v[14:15]
	v_add_f64 v[14:15], v[34:35], v[16:17]
	v_add_f64 v[36:37], v[28:29], -v[14:15]
	v_add_f64 v[28:29], v[28:29], -v[36:37]
	;; [unrolled: 1-line block ×4, first 2 shown]
	v_add_f64 v[14:15], v[20:21], v[14:15]
	v_add_f64 v[16:17], v[34:35], -v[16:17]
	v_add_f64 v[14:15], v[16:17], v[14:15]
	v_add_f64 v[16:17], v[22:23], v[30:31]
	v_add_f64 v[14:15], v[36:37], v[14:15]
	v_add_f64 v[20:21], v[16:17], -v[22:23]
	v_mul_f64 v[14:15], v[32:33], v[14:15]
	v_add_f64 v[20:21], v[30:31], -v[20:21]
	v_add_f64 v[14:15], v[20:21], v[14:15]
	v_add_f64 v[20:21], v[16:17], v[14:15]
	v_add_f64 v[16:17], v[20:21], -v[16:17]
	s_mov_b32 s0, 0xbf559e2b
	v_add_f64 v[14:15], v[14:15], -v[16:17]
	v_mul_f64 v[16:17], v[20:21], v[20:21]
	v_mov_b32_e32 v22, 0x6b47b09a
	v_mov_b32_e32 v23, 0x3fc38538
	s_mov_b32 s1, 0x3fc3ab76
	v_fmac_f64_e32 v[22:23], s[0:1], v[16:17]
	v_mov_b32_e32 v28, 0xd7f4df2e
	v_mov_b32_e32 v29, 0x3fc7474d
	v_fmac_f64_e32 v[28:29], v[16:17], v[22:23]
	v_mov_b32_e32 v22, 0x16291751
	v_mov_b32_e32 v23, 0x3fcc71c0
	;; [unrolled: 3-line block ×5, first 2 shown]
	v_fmac_f64_e32 v[28:29], v[16:17], v[22:23]
	v_cvt_f64_i32_e32 v[22:23], v41
	v_mul_f64 v[30:31], v[22:23], s[14:15]
	v_fma_f64 v[32:33], v[22:23], s[14:15], -v[30:31]
	v_fmac_f64_e32 v[32:33], s[22:23], v[22:23]
	v_add_f64 v[22:23], v[30:31], v[32:33]
	v_add_f64 v[30:31], v[22:23], -v[30:31]
	v_mul_f64 v[16:17], v[20:21], v[16:17]
	v_add_f64 v[30:31], v[32:33], -v[30:31]
	v_ldexp_f64 v[32:33], v[20:21], 1
	v_mul_f64 v[16:17], v[16:17], v[28:29]
	v_add_f64 v[20:21], v[32:33], v[16:17]
	v_add_f64 v[28:29], v[20:21], -v[32:33]
	v_ldexp_f64 v[14:15], v[14:15], 1
	v_add_f64 v[16:17], v[16:17], -v[28:29]
	v_add_f64 v[14:15], v[14:15], v[16:17]
	v_add_f64 v[16:17], v[20:21], v[14:15]
	v_add_f64 v[20:21], v[16:17], -v[20:21]
	v_add_f64 v[14:15], v[14:15], -v[20:21]
	v_add_f64 v[20:21], v[22:23], v[16:17]
	v_add_f64 v[28:29], v[20:21], -v[22:23]
	v_add_f64 v[32:33], v[20:21], -v[28:29]
	;; [unrolled: 1-line block ×4, first 2 shown]
	v_add_f64 v[16:17], v[16:17], v[22:23]
	v_add_f64 v[22:23], v[30:31], v[14:15]
	v_add_f64 v[28:29], v[22:23], -v[30:31]
	v_add_f64 v[16:17], v[22:23], v[16:17]
	v_add_f64 v[32:33], v[22:23], -v[28:29]
	;; [unrolled: 2-line block ×3, first 2 shown]
	v_add_f64 v[14:15], v[14:15], -v[28:29]
	v_add_f64 v[20:21], v[22:23], -v[20:21]
	v_add_f64 v[14:15], v[14:15], v[30:31]
	v_add_f64 v[16:17], v[16:17], -v[20:21]
	s_mov_b32 s0, 0
	v_add_f64 v[14:15], v[14:15], v[16:17]
	s_mov_b32 s1, 0x7ff00000
	v_add_f64 v[14:15], v[22:23], v[14:15]
	v_cmp_neq_f64_e64 s[0:1], s[0:1], v[12:13]
	v_mov_b32_e32 v16, 0x7ff80000
	s_nop 0
	v_cndmask_b32_e64 v15, v40, v15, s[0:1]
	v_cndmask_b32_e64 v15, v16, v15, s[10:11]
	v_cmp_nge_f64_e64 s[10:11], -1.0, v[12:13]
	s_and_b64 s[0:1], s[10:11], s[0:1]
	v_cndmask_b32_e64 v14, 0, v14, s[0:1]
	v_mov_b32_e32 v16, 0xfff00000
	v_cmp_neq_f64_e64 s[0:1], -1.0, v[12:13]
	s_nop 1
	v_cndmask_b32_e64 v15, v16, v15, s[0:1]
	v_add_f64 v[12:13], v[0:1], v[14:15]
.LBB56_72:
	s_or_b64 exec, exec, s[12:13]
	v_max_f64 v[0:1], v[12:13], v[12:13]
	v_min_f64 v[14:15], v[0:1], v[24:25]
	v_cmp_u_f64_e64 s[0:1], v[12:13], v[12:13]
	v_max_f64 v[0:1], v[0:1], v[24:25]
	s_nop 0
	v_cndmask_b32_e64 v14, v14, v12, s[0:1]
	v_cndmask_b32_e64 v15, v15, v13, s[0:1]
	;; [unrolled: 1-line block ×8, first 2 shown]
	v_cmp_neq_f64_e64 s[0:1], v[14:15], v[0:1]
	v_cmp_class_f64_e64 s[10:11], v[14:15], s26
	s_or_b64 s[0:1], s[0:1], s[10:11]
	v_mov_b64_e32 v[6:7], v[12:13]
	s_and_saveexec_b64 s[12:13], s[0:1]
	s_cbranch_execz .LBB56_74
; %bb.73:
	s_mov_b32 s0, 0x652b82fe
	v_add_f64 v[6:7], v[14:15], -v[0:1]
	s_mov_b32 s1, 0x3ff71547
	v_mul_f64 v[14:15], v[6:7], s[0:1]
	v_rndne_f64_e32 v[14:15], v[14:15]
	s_mov_b32 s15, 0xbfe62e42
	s_mov_b32 s14, 0xfefa39ef
	v_fma_f64 v[16:17], s[14:15], v[14:15], v[6:7]
	s_mov_b32 s17, 0xbc7abc9e
	s_mov_b32 s16, 0x3b39803f
	;; [unrolled: 1-line block ×3, first 2 shown]
	v_fmac_f64_e32 v[16:17], s[16:17], v[14:15]
	v_mov_b32_e32 v20, 0xfca7ab0c
	v_mov_b32_e32 v21, 0x3e928af3
	s_mov_b32 s1, 0x3e5ade15
	v_fmac_f64_e32 v[20:21], s[0:1], v[16:17]
	v_mov_b32_e32 v22, 0x623fde64
	v_mov_b32_e32 v23, 0x3ec71dee
	v_fmac_f64_e32 v[22:23], v[16:17], v[20:21]
	v_mov_b32_e32 v20, 0x7c89e6b0
	v_mov_b32_e32 v21, 0x3efa0199
	;; [unrolled: 3-line block ×8, first 2 shown]
	v_fmac_f64_e32 v[20:21], v[16:17], v[22:23]
	v_fma_f64 v[20:21], v[16:17], v[20:21], 1.0
	s_mov_b32 s0, 0
	s_mov_b32 s10, 0
	v_fma_f64 v[16:17], v[16:17], v[20:21], 1.0
	v_cvt_i32_f64_e32 v14, v[14:15]
	s_mov_b32 s1, 0x40900000
	s_mov_b32 s11, 0xc090cc00
	v_ldexp_f64 v[14:15], v[16:17], v14
	v_mov_b32_e32 v38, 0x7ff00000
	v_cmp_nlt_f64_e64 s[0:1], s[0:1], v[6:7]
	v_cmp_ngt_f64_e64 s[10:11], s[10:11], v[6:7]
	s_mov_b32 s15, 0x3fe62e42
	v_cndmask_b32_e64 v15, v38, v15, s[0:1]
	s_and_b64 s[0:1], s[10:11], s[0:1]
	v_cndmask_b32_e64 v7, 0, v15, s[10:11]
	v_cndmask_b32_e64 v6, 0, v14, s[0:1]
	v_add_f64 v[14:15], v[6:7], 1.0
	v_add_f64 v[16:17], v[14:15], -1.0
	v_add_f64 v[20:21], v[16:17], -v[14:15]
	v_add_f64 v[20:21], v[20:21], 1.0
	v_add_f64 v[16:17], v[6:7], -v[16:17]
	s_mov_b32 s0, 0x55555555
	v_add_f64 v[16:17], v[16:17], v[20:21]
	v_frexp_mant_f64_e32 v[20:21], v[14:15]
	s_mov_b32 s1, 0x3fe55555
	v_frexp_exp_i32_f64_e32 v22, v[14:15]
	v_cmp_gt_f64_e64 s[0:1], s[0:1], v[20:21]
	s_mov_b32 s17, 0x3c7abc9e
	v_cmp_ngt_f64_e64 s[10:11], -1.0, v[6:7]
	v_subbrev_co_u32_e64 v39, s[0:1], 0, v22, s[0:1]
	v_sub_u32_e32 v20, 0, v39
	v_ldexp_f64 v[14:15], v[14:15], v20
	v_ldexp_f64 v[16:17], v[16:17], v20
	v_add_f64 v[20:21], v[14:15], -1.0
	v_add_f64 v[28:29], v[14:15], 1.0
	v_add_f64 v[22:23], v[20:21], 1.0
	v_add_f64 v[30:31], v[28:29], -1.0
	v_add_f64 v[22:23], v[14:15], -v[22:23]
	v_add_f64 v[14:15], v[14:15], -v[30:31]
	v_add_f64 v[14:15], v[16:17], v[14:15]
	v_add_f64 v[22:23], v[16:17], v[22:23]
	;; [unrolled: 1-line block ×3, first 2 shown]
	v_rcp_f64_e32 v[30:31], v[16:17]
	v_add_f64 v[24:25], v[20:21], v[22:23]
	v_add_f64 v[20:21], v[24:25], -v[20:21]
	v_add_f64 v[20:21], v[22:23], -v[20:21]
	;; [unrolled: 1-line block ×4, first 2 shown]
	v_fma_f64 v[22:23], -v[16:17], v[30:31], 1.0
	v_fmac_f64_e32 v[30:31], v[22:23], v[30:31]
	v_fma_f64 v[22:23], -v[16:17], v[30:31], 1.0
	v_fmac_f64_e32 v[30:31], v[22:23], v[30:31]
	v_mul_f64 v[22:23], v[24:25], v[30:31]
	v_mul_f64 v[28:29], v[16:17], v[22:23]
	v_fma_f64 v[32:33], v[22:23], v[16:17], -v[28:29]
	v_fmac_f64_e32 v[32:33], v[22:23], v[14:15]
	v_add_f64 v[34:35], v[28:29], v[32:33]
	v_add_f64 v[36:37], v[24:25], -v[34:35]
	v_add_f64 v[24:25], v[24:25], -v[36:37]
	;; [unrolled: 1-line block ×4, first 2 shown]
	v_add_f64 v[20:21], v[20:21], v[24:25]
	v_add_f64 v[24:25], v[28:29], -v[32:33]
	v_add_f64 v[20:21], v[24:25], v[20:21]
	v_add_f64 v[24:25], v[36:37], v[20:21]
	v_add_f64 v[28:29], v[36:37], -v[24:25]
	v_add_f64 v[20:21], v[20:21], v[28:29]
	v_mul_f64 v[28:29], v[30:31], v[24:25]
	v_mul_f64 v[32:33], v[16:17], v[28:29]
	v_fma_f64 v[16:17], v[28:29], v[16:17], -v[32:33]
	v_fmac_f64_e32 v[16:17], v[28:29], v[14:15]
	v_add_f64 v[14:15], v[32:33], v[16:17]
	v_add_f64 v[34:35], v[24:25], -v[14:15]
	v_add_f64 v[24:25], v[24:25], -v[34:35]
	v_add_f64 v[32:33], v[14:15], -v[32:33]
	v_add_f64 v[14:15], v[24:25], -v[14:15]
	v_add_f64 v[14:15], v[20:21], v[14:15]
	v_add_f64 v[16:17], v[32:33], -v[16:17]
	v_add_f64 v[14:15], v[16:17], v[14:15]
	v_add_f64 v[16:17], v[22:23], v[28:29]
	;; [unrolled: 1-line block ×3, first 2 shown]
	v_add_f64 v[20:21], v[16:17], -v[22:23]
	v_mul_f64 v[14:15], v[30:31], v[14:15]
	v_add_f64 v[20:21], v[28:29], -v[20:21]
	v_add_f64 v[14:15], v[20:21], v[14:15]
	v_add_f64 v[20:21], v[16:17], v[14:15]
	v_add_f64 v[16:17], v[20:21], -v[16:17]
	s_mov_b32 s0, 0xbf559e2b
	v_add_f64 v[14:15], v[14:15], -v[16:17]
	v_mul_f64 v[16:17], v[20:21], v[20:21]
	v_mov_b32_e32 v22, 0x6b47b09a
	v_mov_b32_e32 v23, 0x3fc38538
	s_mov_b32 s1, 0x3fc3ab76
	v_fmac_f64_e32 v[22:23], s[0:1], v[16:17]
	v_mov_b32_e32 v24, 0xd7f4df2e
	v_mov_b32_e32 v25, 0x3fc7474d
	v_fmac_f64_e32 v[24:25], v[16:17], v[22:23]
	v_mov_b32_e32 v22, 0x16291751
	v_mov_b32_e32 v23, 0x3fcc71c0
	;; [unrolled: 3-line block ×5, first 2 shown]
	v_fmac_f64_e32 v[24:25], v[16:17], v[22:23]
	v_cvt_f64_i32_e32 v[22:23], v39
	v_mul_f64 v[28:29], v[22:23], s[14:15]
	v_fma_f64 v[30:31], v[22:23], s[14:15], -v[28:29]
	v_fmac_f64_e32 v[30:31], s[16:17], v[22:23]
	v_add_f64 v[22:23], v[28:29], v[30:31]
	v_add_f64 v[28:29], v[22:23], -v[28:29]
	v_mul_f64 v[16:17], v[20:21], v[16:17]
	v_add_f64 v[28:29], v[30:31], -v[28:29]
	v_ldexp_f64 v[30:31], v[20:21], 1
	v_mul_f64 v[16:17], v[16:17], v[24:25]
	v_add_f64 v[20:21], v[30:31], v[16:17]
	v_add_f64 v[24:25], v[20:21], -v[30:31]
	v_ldexp_f64 v[14:15], v[14:15], 1
	v_add_f64 v[16:17], v[16:17], -v[24:25]
	v_add_f64 v[14:15], v[14:15], v[16:17]
	v_add_f64 v[16:17], v[20:21], v[14:15]
	v_add_f64 v[20:21], v[16:17], -v[20:21]
	v_add_f64 v[14:15], v[14:15], -v[20:21]
	v_add_f64 v[20:21], v[22:23], v[16:17]
	v_add_f64 v[24:25], v[20:21], -v[22:23]
	v_add_f64 v[30:31], v[20:21], -v[24:25]
	;; [unrolled: 1-line block ×4, first 2 shown]
	v_add_f64 v[16:17], v[16:17], v[22:23]
	v_add_f64 v[22:23], v[28:29], v[14:15]
	v_add_f64 v[24:25], v[22:23], -v[28:29]
	v_add_f64 v[16:17], v[22:23], v[16:17]
	v_add_f64 v[30:31], v[22:23], -v[24:25]
	;; [unrolled: 2-line block ×3, first 2 shown]
	v_add_f64 v[14:15], v[14:15], -v[24:25]
	v_add_f64 v[20:21], v[22:23], -v[20:21]
	v_add_f64 v[14:15], v[14:15], v[28:29]
	v_add_f64 v[16:17], v[16:17], -v[20:21]
	s_mov_b32 s0, 0
	v_add_f64 v[14:15], v[14:15], v[16:17]
	s_mov_b32 s1, 0x7ff00000
	v_add_f64 v[14:15], v[22:23], v[14:15]
	v_cmp_neq_f64_e64 s[0:1], s[0:1], v[6:7]
	v_mov_b32_e32 v16, 0x7ff80000
	s_nop 0
	v_cndmask_b32_e64 v15, v38, v15, s[0:1]
	v_cndmask_b32_e64 v15, v16, v15, s[10:11]
	v_cmp_nge_f64_e64 s[10:11], -1.0, v[6:7]
	s_and_b64 s[0:1], s[10:11], s[0:1]
	v_cndmask_b32_e64 v14, 0, v14, s[0:1]
	v_mov_b32_e32 v16, 0xfff00000
	v_cmp_neq_f64_e64 s[0:1], -1.0, v[6:7]
	s_nop 1
	v_cndmask_b32_e64 v15, v16, v15, s[0:1]
	v_add_f64 v[6:7], v[0:1], v[14:15]
.LBB56_74:
	s_or_b64 exec, exec, s[12:13]
	v_max_f64 v[0:1], v[6:7], v[6:7]
	v_min_f64 v[14:15], v[0:1], v[26:27]
	v_cmp_u_f64_e64 s[0:1], v[6:7], v[6:7]
	v_max_f64 v[0:1], v[0:1], v[26:27]
	s_movk_i32 s10, 0x1f8
	v_cndmask_b32_e64 v14, v14, v6, s[0:1]
	v_cndmask_b32_e64 v15, v15, v7, s[0:1]
	;; [unrolled: 1-line block ×8, first 2 shown]
	v_cmp_neq_f64_e64 s[0:1], v[14:15], v[0:1]
	v_cmp_class_f64_e64 s[10:11], v[14:15], s10
	s_or_b64 s[0:1], s[0:1], s[10:11]
	v_mov_b64_e32 v[8:9], v[6:7]
	s_and_saveexec_b64 s[12:13], s[0:1]
	s_cbranch_execz .LBB56_76
; %bb.75:
	s_mov_b32 s0, 0x652b82fe
	v_add_f64 v[8:9], v[14:15], -v[0:1]
	s_mov_b32 s1, 0x3ff71547
	v_mul_f64 v[14:15], v[8:9], s[0:1]
	v_rndne_f64_e32 v[14:15], v[14:15]
	s_mov_b32 s15, 0xbfe62e42
	s_mov_b32 s14, 0xfefa39ef
	v_fma_f64 v[16:17], s[14:15], v[14:15], v[8:9]
	s_mov_b32 s17, 0xbc7abc9e
	s_mov_b32 s16, 0x3b39803f
	s_mov_b32 s0, 0x6a5dcb37
	v_fmac_f64_e32 v[16:17], s[16:17], v[14:15]
	v_mov_b32_e32 v20, 0xfca7ab0c
	v_mov_b32_e32 v21, 0x3e928af3
	s_mov_b32 s1, 0x3e5ade15
	v_fmac_f64_e32 v[20:21], s[0:1], v[16:17]
	v_mov_b32_e32 v22, 0x623fde64
	v_mov_b32_e32 v23, 0x3ec71dee
	v_fmac_f64_e32 v[22:23], v[16:17], v[20:21]
	v_mov_b32_e32 v20, 0x7c89e6b0
	v_mov_b32_e32 v21, 0x3efa0199
	;; [unrolled: 3-line block ×8, first 2 shown]
	v_fmac_f64_e32 v[20:21], v[16:17], v[22:23]
	v_fma_f64 v[20:21], v[16:17], v[20:21], 1.0
	s_mov_b32 s0, 0
	s_mov_b32 s10, 0
	v_fma_f64 v[16:17], v[16:17], v[20:21], 1.0
	v_cvt_i32_f64_e32 v14, v[14:15]
	s_mov_b32 s1, 0x40900000
	s_mov_b32 s11, 0xc090cc00
	v_ldexp_f64 v[14:15], v[16:17], v14
	v_mov_b32_e32 v36, 0x7ff00000
	v_cmp_nlt_f64_e64 s[0:1], s[0:1], v[8:9]
	v_cmp_ngt_f64_e64 s[10:11], s[10:11], v[8:9]
	s_mov_b32 s15, 0x3fe62e42
	v_cndmask_b32_e64 v15, v36, v15, s[0:1]
	s_and_b64 s[0:1], s[10:11], s[0:1]
	v_cndmask_b32_e64 v9, 0, v15, s[10:11]
	v_cndmask_b32_e64 v8, 0, v14, s[0:1]
	v_add_f64 v[14:15], v[8:9], 1.0
	v_add_f64 v[16:17], v[14:15], -1.0
	v_add_f64 v[20:21], v[16:17], -v[14:15]
	v_add_f64 v[20:21], v[20:21], 1.0
	v_add_f64 v[16:17], v[8:9], -v[16:17]
	s_mov_b32 s0, 0x55555555
	v_add_f64 v[16:17], v[16:17], v[20:21]
	v_frexp_mant_f64_e32 v[20:21], v[14:15]
	s_mov_b32 s1, 0x3fe55555
	v_frexp_exp_i32_f64_e32 v22, v[14:15]
	v_cmp_gt_f64_e64 s[0:1], s[0:1], v[20:21]
	s_mov_b32 s17, 0x3c7abc9e
	v_cmp_ngt_f64_e64 s[10:11], -1.0, v[8:9]
	v_subbrev_co_u32_e64 v37, s[0:1], 0, v22, s[0:1]
	v_sub_u32_e32 v20, 0, v37
	v_ldexp_f64 v[14:15], v[14:15], v20
	v_ldexp_f64 v[16:17], v[16:17], v20
	v_add_f64 v[20:21], v[14:15], -1.0
	v_add_f64 v[26:27], v[14:15], 1.0
	v_add_f64 v[22:23], v[20:21], 1.0
	v_add_f64 v[28:29], v[26:27], -1.0
	v_add_f64 v[22:23], v[14:15], -v[22:23]
	v_add_f64 v[14:15], v[14:15], -v[28:29]
	v_add_f64 v[14:15], v[16:17], v[14:15]
	v_add_f64 v[22:23], v[16:17], v[22:23]
	;; [unrolled: 1-line block ×3, first 2 shown]
	v_rcp_f64_e32 v[28:29], v[16:17]
	v_add_f64 v[24:25], v[20:21], v[22:23]
	v_add_f64 v[20:21], v[24:25], -v[20:21]
	v_add_f64 v[20:21], v[22:23], -v[20:21]
	;; [unrolled: 1-line block ×4, first 2 shown]
	v_fma_f64 v[22:23], -v[16:17], v[28:29], 1.0
	v_fmac_f64_e32 v[28:29], v[22:23], v[28:29]
	v_fma_f64 v[22:23], -v[16:17], v[28:29], 1.0
	v_fmac_f64_e32 v[28:29], v[22:23], v[28:29]
	v_mul_f64 v[22:23], v[24:25], v[28:29]
	v_mul_f64 v[26:27], v[16:17], v[22:23]
	v_fma_f64 v[30:31], v[22:23], v[16:17], -v[26:27]
	v_fmac_f64_e32 v[30:31], v[22:23], v[14:15]
	v_add_f64 v[32:33], v[26:27], v[30:31]
	v_add_f64 v[34:35], v[24:25], -v[32:33]
	v_add_f64 v[24:25], v[24:25], -v[34:35]
	;; [unrolled: 1-line block ×4, first 2 shown]
	v_add_f64 v[20:21], v[20:21], v[24:25]
	v_add_f64 v[24:25], v[26:27], -v[30:31]
	v_add_f64 v[20:21], v[24:25], v[20:21]
	v_add_f64 v[24:25], v[34:35], v[20:21]
	v_add_f64 v[26:27], v[34:35], -v[24:25]
	v_add_f64 v[20:21], v[20:21], v[26:27]
	v_mul_f64 v[26:27], v[28:29], v[24:25]
	v_mul_f64 v[30:31], v[16:17], v[26:27]
	v_fma_f64 v[16:17], v[26:27], v[16:17], -v[30:31]
	v_fmac_f64_e32 v[16:17], v[26:27], v[14:15]
	v_add_f64 v[14:15], v[30:31], v[16:17]
	v_add_f64 v[32:33], v[24:25], -v[14:15]
	v_add_f64 v[24:25], v[24:25], -v[32:33]
	;; [unrolled: 1-line block ×4, first 2 shown]
	v_add_f64 v[14:15], v[20:21], v[14:15]
	v_add_f64 v[16:17], v[30:31], -v[16:17]
	v_add_f64 v[14:15], v[16:17], v[14:15]
	v_add_f64 v[16:17], v[22:23], v[26:27]
	;; [unrolled: 1-line block ×3, first 2 shown]
	v_add_f64 v[20:21], v[16:17], -v[22:23]
	v_mul_f64 v[14:15], v[28:29], v[14:15]
	v_add_f64 v[20:21], v[26:27], -v[20:21]
	v_add_f64 v[14:15], v[20:21], v[14:15]
	v_add_f64 v[20:21], v[16:17], v[14:15]
	v_add_f64 v[16:17], v[20:21], -v[16:17]
	s_mov_b32 s0, 0xbf559e2b
	v_add_f64 v[14:15], v[14:15], -v[16:17]
	v_mul_f64 v[16:17], v[20:21], v[20:21]
	v_mov_b32_e32 v22, 0x6b47b09a
	v_mov_b32_e32 v23, 0x3fc38538
	s_mov_b32 s1, 0x3fc3ab76
	v_fmac_f64_e32 v[22:23], s[0:1], v[16:17]
	v_mov_b32_e32 v24, 0xd7f4df2e
	v_mov_b32_e32 v25, 0x3fc7474d
	v_fmac_f64_e32 v[24:25], v[16:17], v[22:23]
	v_mov_b32_e32 v22, 0x16291751
	v_mov_b32_e32 v23, 0x3fcc71c0
	;; [unrolled: 3-line block ×5, first 2 shown]
	v_fmac_f64_e32 v[24:25], v[16:17], v[22:23]
	v_cvt_f64_i32_e32 v[22:23], v37
	v_mul_f64 v[26:27], v[22:23], s[14:15]
	v_fma_f64 v[28:29], v[22:23], s[14:15], -v[26:27]
	v_fmac_f64_e32 v[28:29], s[16:17], v[22:23]
	v_add_f64 v[22:23], v[26:27], v[28:29]
	v_add_f64 v[26:27], v[22:23], -v[26:27]
	v_mul_f64 v[16:17], v[20:21], v[16:17]
	v_add_f64 v[26:27], v[28:29], -v[26:27]
	v_ldexp_f64 v[28:29], v[20:21], 1
	v_mul_f64 v[16:17], v[16:17], v[24:25]
	v_add_f64 v[20:21], v[28:29], v[16:17]
	v_add_f64 v[24:25], v[20:21], -v[28:29]
	v_ldexp_f64 v[14:15], v[14:15], 1
	v_add_f64 v[16:17], v[16:17], -v[24:25]
	v_add_f64 v[14:15], v[14:15], v[16:17]
	v_add_f64 v[16:17], v[20:21], v[14:15]
	v_add_f64 v[20:21], v[16:17], -v[20:21]
	v_add_f64 v[14:15], v[14:15], -v[20:21]
	v_add_f64 v[20:21], v[22:23], v[16:17]
	v_add_f64 v[24:25], v[20:21], -v[22:23]
	v_add_f64 v[28:29], v[20:21], -v[24:25]
	;; [unrolled: 1-line block ×4, first 2 shown]
	v_add_f64 v[16:17], v[16:17], v[22:23]
	v_add_f64 v[22:23], v[26:27], v[14:15]
	v_add_f64 v[24:25], v[22:23], -v[26:27]
	v_add_f64 v[16:17], v[22:23], v[16:17]
	v_add_f64 v[28:29], v[22:23], -v[24:25]
	v_add_f64 v[22:23], v[20:21], v[16:17]
	v_add_f64 v[26:27], v[26:27], -v[28:29]
	v_add_f64 v[14:15], v[14:15], -v[24:25]
	v_add_f64 v[20:21], v[22:23], -v[20:21]
	v_add_f64 v[14:15], v[14:15], v[26:27]
	v_add_f64 v[16:17], v[16:17], -v[20:21]
	s_mov_b32 s0, 0
	v_add_f64 v[14:15], v[14:15], v[16:17]
	s_mov_b32 s1, 0x7ff00000
	v_add_f64 v[14:15], v[22:23], v[14:15]
	v_cmp_neq_f64_e64 s[0:1], s[0:1], v[8:9]
	v_mov_b32_e32 v16, 0x7ff80000
	s_nop 0
	v_cndmask_b32_e64 v15, v36, v15, s[0:1]
	v_cndmask_b32_e64 v15, v16, v15, s[10:11]
	v_cmp_nge_f64_e64 s[10:11], -1.0, v[8:9]
	s_and_b64 s[0:1], s[10:11], s[0:1]
	v_cndmask_b32_e64 v14, 0, v14, s[0:1]
	v_mov_b32_e32 v16, 0xfff00000
	v_cmp_neq_f64_e64 s[0:1], -1.0, v[8:9]
	s_nop 1
	v_cndmask_b32_e64 v15, v16, v15, s[0:1]
	v_add_f64 v[8:9], v[0:1], v[14:15]
.LBB56_76:
	s_or_b64 exec, exec, s[12:13]
	v_add_u32_e32 v0, v18, v19
	s_barrier
	ds_write_b128 v0, v[2:5]
	ds_write_b128 v0, v[10:13] offset:16
	ds_write_b128 v0, v[6:9] offset:32
	s_waitcnt lgkmcnt(0)
	s_barrier
	ds_read2st64_b64 v[4:7], v18 offset0:4 offset1:8
	ds_read2st64_b64 v[0:3], v18 offset0:12 offset1:16
	ds_read_b64 v[8:9], v18 offset:10240
	v_mov_b32_e32 v19, 0
	v_lshl_add_u64 v[10:11], s[24:25], 0, v[18:19]
	s_and_saveexec_b64 s[0:1], vcc
	s_cbranch_execnz .LBB56_83
; %bb.77:
	s_or_b64 exec, exec, s[0:1]
	s_and_saveexec_b64 s[0:1], s[20:21]
	s_cbranch_execnz .LBB56_84
.LBB56_78:
	s_or_b64 exec, exec, s[0:1]
	s_and_saveexec_b64 s[0:1], s[2:3]
	s_cbranch_execnz .LBB56_85
.LBB56_79:
	s_or_b64 exec, exec, s[0:1]
	s_and_saveexec_b64 s[0:1], s[4:5]
	s_cbranch_execnz .LBB56_86
.LBB56_80:
	s_or_b64 exec, exec, s[0:1]
	s_and_saveexec_b64 s[0:1], s[6:7]
	s_cbranch_execnz .LBB56_87
.LBB56_81:
	s_or_b64 exec, exec, s[0:1]
	s_and_saveexec_b64 s[0:1], s[8:9]
	s_cbranch_execnz .LBB56_88
.LBB56_82:
	s_endpgm
.LBB56_83:
	ds_read_b64 v[12:13], v18
	s_waitcnt lgkmcnt(0)
	global_store_dwordx2 v[10:11], v[12:13], off
	s_or_b64 exec, exec, s[0:1]
	s_and_saveexec_b64 s[0:1], s[20:21]
	s_cbranch_execz .LBB56_78
.LBB56_84:
	s_waitcnt lgkmcnt(2)
	global_store_dwordx2 v[10:11], v[4:5], off offset:2048
	s_or_b64 exec, exec, s[0:1]
	s_and_saveexec_b64 s[0:1], s[2:3]
	s_cbranch_execz .LBB56_79
.LBB56_85:
	s_waitcnt lgkmcnt(2)
	v_add_co_u32_e32 v4, vcc, 0x1000, v10
	s_nop 1
	v_addc_co_u32_e32 v5, vcc, 0, v11, vcc
	global_store_dwordx2 v[4:5], v[6:7], off
	s_or_b64 exec, exec, s[0:1]
	s_and_saveexec_b64 s[0:1], s[4:5]
	s_cbranch_execz .LBB56_80
.LBB56_86:
	s_waitcnt lgkmcnt(2)
	v_add_co_u32_e32 v4, vcc, 0x1000, v10
	s_nop 1
	v_addc_co_u32_e32 v5, vcc, 0, v11, vcc
	s_waitcnt lgkmcnt(1)
	global_store_dwordx2 v[4:5], v[0:1], off offset:2048
	s_or_b64 exec, exec, s[0:1]
	s_and_saveexec_b64 s[0:1], s[6:7]
	s_cbranch_execz .LBB56_81
.LBB56_87:
	s_waitcnt lgkmcnt(1)
	v_add_co_u32_e32 v0, vcc, 0x2000, v10
	s_nop 1
	v_addc_co_u32_e32 v1, vcc, 0, v11, vcc
	global_store_dwordx2 v[0:1], v[2:3], off
	s_or_b64 exec, exec, s[0:1]
	s_and_saveexec_b64 s[0:1], s[8:9]
	s_cbranch_execz .LBB56_82
.LBB56_88:
	s_waitcnt lgkmcnt(1)
	v_add_co_u32_e32 v0, vcc, 0x2000, v10
	s_nop 1
	v_addc_co_u32_e32 v1, vcc, 0, v11, vcc
	s_waitcnt lgkmcnt(0)
	global_store_dwordx2 v[0:1], v[8:9], off offset:2048
	s_endpgm
	.section	.rodata,"a",@progbits
	.p2align	6, 0x0
	.amdhsa_kernel _ZN7rocprim17ROCPRIM_400000_NS6detail17trampoline_kernelINS0_14default_configENS1_20scan_config_selectorIdEEZZNS1_9scan_implILNS1_25lookback_scan_determinismE0ELb0ELb0ES3_PKdPddZZZN2at6native31launch_logcumsumexp_cuda_kernelERKNSB_10TensorBaseESF_lENKUlvE_clEvENKUlvE_clEvEUlddE_dEEDaPvRmT3_T4_T5_mT6_P12ihipStream_tbENKUlT_T0_E_clISt17integral_constantIbLb1EESV_IbLb0EEEEDaSR_SS_EUlSR_E0_NS1_11comp_targetILNS1_3genE0ELNS1_11target_archE4294967295ELNS1_3gpuE0ELNS1_3repE0EEENS1_30default_config_static_selectorELNS0_4arch9wavefront6targetE1EEEvT1_
		.amdhsa_group_segment_fixed_size 12288
		.amdhsa_private_segment_fixed_size 0
		.amdhsa_kernarg_size 40
		.amdhsa_user_sgpr_count 2
		.amdhsa_user_sgpr_dispatch_ptr 0
		.amdhsa_user_sgpr_queue_ptr 0
		.amdhsa_user_sgpr_kernarg_segment_ptr 1
		.amdhsa_user_sgpr_dispatch_id 0
		.amdhsa_user_sgpr_kernarg_preload_length 0
		.amdhsa_user_sgpr_kernarg_preload_offset 0
		.amdhsa_user_sgpr_private_segment_size 0
		.amdhsa_uses_dynamic_stack 0
		.amdhsa_enable_private_segment 0
		.amdhsa_system_sgpr_workgroup_id_x 1
		.amdhsa_system_sgpr_workgroup_id_y 0
		.amdhsa_system_sgpr_workgroup_id_z 0
		.amdhsa_system_sgpr_workgroup_info 0
		.amdhsa_system_vgpr_workitem_id 0
		.amdhsa_next_free_vgpr 65
		.amdhsa_next_free_sgpr 42
		.amdhsa_accum_offset 68
		.amdhsa_reserve_vcc 1
		.amdhsa_float_round_mode_32 0
		.amdhsa_float_round_mode_16_64 0
		.amdhsa_float_denorm_mode_32 3
		.amdhsa_float_denorm_mode_16_64 3
		.amdhsa_dx10_clamp 1
		.amdhsa_ieee_mode 1
		.amdhsa_fp16_overflow 0
		.amdhsa_tg_split 0
		.amdhsa_exception_fp_ieee_invalid_op 0
		.amdhsa_exception_fp_denorm_src 0
		.amdhsa_exception_fp_ieee_div_zero 0
		.amdhsa_exception_fp_ieee_overflow 0
		.amdhsa_exception_fp_ieee_underflow 0
		.amdhsa_exception_fp_ieee_inexact 0
		.amdhsa_exception_int_div_zero 0
	.end_amdhsa_kernel
	.section	.text._ZN7rocprim17ROCPRIM_400000_NS6detail17trampoline_kernelINS0_14default_configENS1_20scan_config_selectorIdEEZZNS1_9scan_implILNS1_25lookback_scan_determinismE0ELb0ELb0ES3_PKdPddZZZN2at6native31launch_logcumsumexp_cuda_kernelERKNSB_10TensorBaseESF_lENKUlvE_clEvENKUlvE_clEvEUlddE_dEEDaPvRmT3_T4_T5_mT6_P12ihipStream_tbENKUlT_T0_E_clISt17integral_constantIbLb1EESV_IbLb0EEEEDaSR_SS_EUlSR_E0_NS1_11comp_targetILNS1_3genE0ELNS1_11target_archE4294967295ELNS1_3gpuE0ELNS1_3repE0EEENS1_30default_config_static_selectorELNS0_4arch9wavefront6targetE1EEEvT1_,"axG",@progbits,_ZN7rocprim17ROCPRIM_400000_NS6detail17trampoline_kernelINS0_14default_configENS1_20scan_config_selectorIdEEZZNS1_9scan_implILNS1_25lookback_scan_determinismE0ELb0ELb0ES3_PKdPddZZZN2at6native31launch_logcumsumexp_cuda_kernelERKNSB_10TensorBaseESF_lENKUlvE_clEvENKUlvE_clEvEUlddE_dEEDaPvRmT3_T4_T5_mT6_P12ihipStream_tbENKUlT_T0_E_clISt17integral_constantIbLb1EESV_IbLb0EEEEDaSR_SS_EUlSR_E0_NS1_11comp_targetILNS1_3genE0ELNS1_11target_archE4294967295ELNS1_3gpuE0ELNS1_3repE0EEENS1_30default_config_static_selectorELNS0_4arch9wavefront6targetE1EEEvT1_,comdat
.Lfunc_end56:
	.size	_ZN7rocprim17ROCPRIM_400000_NS6detail17trampoline_kernelINS0_14default_configENS1_20scan_config_selectorIdEEZZNS1_9scan_implILNS1_25lookback_scan_determinismE0ELb0ELb0ES3_PKdPddZZZN2at6native31launch_logcumsumexp_cuda_kernelERKNSB_10TensorBaseESF_lENKUlvE_clEvENKUlvE_clEvEUlddE_dEEDaPvRmT3_T4_T5_mT6_P12ihipStream_tbENKUlT_T0_E_clISt17integral_constantIbLb1EESV_IbLb0EEEEDaSR_SS_EUlSR_E0_NS1_11comp_targetILNS1_3genE0ELNS1_11target_archE4294967295ELNS1_3gpuE0ELNS1_3repE0EEENS1_30default_config_static_selectorELNS0_4arch9wavefront6targetE1EEEvT1_, .Lfunc_end56-_ZN7rocprim17ROCPRIM_400000_NS6detail17trampoline_kernelINS0_14default_configENS1_20scan_config_selectorIdEEZZNS1_9scan_implILNS1_25lookback_scan_determinismE0ELb0ELb0ES3_PKdPddZZZN2at6native31launch_logcumsumexp_cuda_kernelERKNSB_10TensorBaseESF_lENKUlvE_clEvENKUlvE_clEvEUlddE_dEEDaPvRmT3_T4_T5_mT6_P12ihipStream_tbENKUlT_T0_E_clISt17integral_constantIbLb1EESV_IbLb0EEEEDaSR_SS_EUlSR_E0_NS1_11comp_targetILNS1_3genE0ELNS1_11target_archE4294967295ELNS1_3gpuE0ELNS1_3repE0EEENS1_30default_config_static_selectorELNS0_4arch9wavefront6targetE1EEEvT1_
                                        ; -- End function
	.set _ZN7rocprim17ROCPRIM_400000_NS6detail17trampoline_kernelINS0_14default_configENS1_20scan_config_selectorIdEEZZNS1_9scan_implILNS1_25lookback_scan_determinismE0ELb0ELb0ES3_PKdPddZZZN2at6native31launch_logcumsumexp_cuda_kernelERKNSB_10TensorBaseESF_lENKUlvE_clEvENKUlvE_clEvEUlddE_dEEDaPvRmT3_T4_T5_mT6_P12ihipStream_tbENKUlT_T0_E_clISt17integral_constantIbLb1EESV_IbLb0EEEEDaSR_SS_EUlSR_E0_NS1_11comp_targetILNS1_3genE0ELNS1_11target_archE4294967295ELNS1_3gpuE0ELNS1_3repE0EEENS1_30default_config_static_selectorELNS0_4arch9wavefront6targetE1EEEvT1_.num_vgpr, 65
	.set _ZN7rocprim17ROCPRIM_400000_NS6detail17trampoline_kernelINS0_14default_configENS1_20scan_config_selectorIdEEZZNS1_9scan_implILNS1_25lookback_scan_determinismE0ELb0ELb0ES3_PKdPddZZZN2at6native31launch_logcumsumexp_cuda_kernelERKNSB_10TensorBaseESF_lENKUlvE_clEvENKUlvE_clEvEUlddE_dEEDaPvRmT3_T4_T5_mT6_P12ihipStream_tbENKUlT_T0_E_clISt17integral_constantIbLb1EESV_IbLb0EEEEDaSR_SS_EUlSR_E0_NS1_11comp_targetILNS1_3genE0ELNS1_11target_archE4294967295ELNS1_3gpuE0ELNS1_3repE0EEENS1_30default_config_static_selectorELNS0_4arch9wavefront6targetE1EEEvT1_.num_agpr, 0
	.set _ZN7rocprim17ROCPRIM_400000_NS6detail17trampoline_kernelINS0_14default_configENS1_20scan_config_selectorIdEEZZNS1_9scan_implILNS1_25lookback_scan_determinismE0ELb0ELb0ES3_PKdPddZZZN2at6native31launch_logcumsumexp_cuda_kernelERKNSB_10TensorBaseESF_lENKUlvE_clEvENKUlvE_clEvEUlddE_dEEDaPvRmT3_T4_T5_mT6_P12ihipStream_tbENKUlT_T0_E_clISt17integral_constantIbLb1EESV_IbLb0EEEEDaSR_SS_EUlSR_E0_NS1_11comp_targetILNS1_3genE0ELNS1_11target_archE4294967295ELNS1_3gpuE0ELNS1_3repE0EEENS1_30default_config_static_selectorELNS0_4arch9wavefront6targetE1EEEvT1_.numbered_sgpr, 42
	.set _ZN7rocprim17ROCPRIM_400000_NS6detail17trampoline_kernelINS0_14default_configENS1_20scan_config_selectorIdEEZZNS1_9scan_implILNS1_25lookback_scan_determinismE0ELb0ELb0ES3_PKdPddZZZN2at6native31launch_logcumsumexp_cuda_kernelERKNSB_10TensorBaseESF_lENKUlvE_clEvENKUlvE_clEvEUlddE_dEEDaPvRmT3_T4_T5_mT6_P12ihipStream_tbENKUlT_T0_E_clISt17integral_constantIbLb1EESV_IbLb0EEEEDaSR_SS_EUlSR_E0_NS1_11comp_targetILNS1_3genE0ELNS1_11target_archE4294967295ELNS1_3gpuE0ELNS1_3repE0EEENS1_30default_config_static_selectorELNS0_4arch9wavefront6targetE1EEEvT1_.num_named_barrier, 0
	.set _ZN7rocprim17ROCPRIM_400000_NS6detail17trampoline_kernelINS0_14default_configENS1_20scan_config_selectorIdEEZZNS1_9scan_implILNS1_25lookback_scan_determinismE0ELb0ELb0ES3_PKdPddZZZN2at6native31launch_logcumsumexp_cuda_kernelERKNSB_10TensorBaseESF_lENKUlvE_clEvENKUlvE_clEvEUlddE_dEEDaPvRmT3_T4_T5_mT6_P12ihipStream_tbENKUlT_T0_E_clISt17integral_constantIbLb1EESV_IbLb0EEEEDaSR_SS_EUlSR_E0_NS1_11comp_targetILNS1_3genE0ELNS1_11target_archE4294967295ELNS1_3gpuE0ELNS1_3repE0EEENS1_30default_config_static_selectorELNS0_4arch9wavefront6targetE1EEEvT1_.private_seg_size, 0
	.set _ZN7rocprim17ROCPRIM_400000_NS6detail17trampoline_kernelINS0_14default_configENS1_20scan_config_selectorIdEEZZNS1_9scan_implILNS1_25lookback_scan_determinismE0ELb0ELb0ES3_PKdPddZZZN2at6native31launch_logcumsumexp_cuda_kernelERKNSB_10TensorBaseESF_lENKUlvE_clEvENKUlvE_clEvEUlddE_dEEDaPvRmT3_T4_T5_mT6_P12ihipStream_tbENKUlT_T0_E_clISt17integral_constantIbLb1EESV_IbLb0EEEEDaSR_SS_EUlSR_E0_NS1_11comp_targetILNS1_3genE0ELNS1_11target_archE4294967295ELNS1_3gpuE0ELNS1_3repE0EEENS1_30default_config_static_selectorELNS0_4arch9wavefront6targetE1EEEvT1_.uses_vcc, 1
	.set _ZN7rocprim17ROCPRIM_400000_NS6detail17trampoline_kernelINS0_14default_configENS1_20scan_config_selectorIdEEZZNS1_9scan_implILNS1_25lookback_scan_determinismE0ELb0ELb0ES3_PKdPddZZZN2at6native31launch_logcumsumexp_cuda_kernelERKNSB_10TensorBaseESF_lENKUlvE_clEvENKUlvE_clEvEUlddE_dEEDaPvRmT3_T4_T5_mT6_P12ihipStream_tbENKUlT_T0_E_clISt17integral_constantIbLb1EESV_IbLb0EEEEDaSR_SS_EUlSR_E0_NS1_11comp_targetILNS1_3genE0ELNS1_11target_archE4294967295ELNS1_3gpuE0ELNS1_3repE0EEENS1_30default_config_static_selectorELNS0_4arch9wavefront6targetE1EEEvT1_.uses_flat_scratch, 0
	.set _ZN7rocprim17ROCPRIM_400000_NS6detail17trampoline_kernelINS0_14default_configENS1_20scan_config_selectorIdEEZZNS1_9scan_implILNS1_25lookback_scan_determinismE0ELb0ELb0ES3_PKdPddZZZN2at6native31launch_logcumsumexp_cuda_kernelERKNSB_10TensorBaseESF_lENKUlvE_clEvENKUlvE_clEvEUlddE_dEEDaPvRmT3_T4_T5_mT6_P12ihipStream_tbENKUlT_T0_E_clISt17integral_constantIbLb1EESV_IbLb0EEEEDaSR_SS_EUlSR_E0_NS1_11comp_targetILNS1_3genE0ELNS1_11target_archE4294967295ELNS1_3gpuE0ELNS1_3repE0EEENS1_30default_config_static_selectorELNS0_4arch9wavefront6targetE1EEEvT1_.has_dyn_sized_stack, 0
	.set _ZN7rocprim17ROCPRIM_400000_NS6detail17trampoline_kernelINS0_14default_configENS1_20scan_config_selectorIdEEZZNS1_9scan_implILNS1_25lookback_scan_determinismE0ELb0ELb0ES3_PKdPddZZZN2at6native31launch_logcumsumexp_cuda_kernelERKNSB_10TensorBaseESF_lENKUlvE_clEvENKUlvE_clEvEUlddE_dEEDaPvRmT3_T4_T5_mT6_P12ihipStream_tbENKUlT_T0_E_clISt17integral_constantIbLb1EESV_IbLb0EEEEDaSR_SS_EUlSR_E0_NS1_11comp_targetILNS1_3genE0ELNS1_11target_archE4294967295ELNS1_3gpuE0ELNS1_3repE0EEENS1_30default_config_static_selectorELNS0_4arch9wavefront6targetE1EEEvT1_.has_recursion, 0
	.set _ZN7rocprim17ROCPRIM_400000_NS6detail17trampoline_kernelINS0_14default_configENS1_20scan_config_selectorIdEEZZNS1_9scan_implILNS1_25lookback_scan_determinismE0ELb0ELb0ES3_PKdPddZZZN2at6native31launch_logcumsumexp_cuda_kernelERKNSB_10TensorBaseESF_lENKUlvE_clEvENKUlvE_clEvEUlddE_dEEDaPvRmT3_T4_T5_mT6_P12ihipStream_tbENKUlT_T0_E_clISt17integral_constantIbLb1EESV_IbLb0EEEEDaSR_SS_EUlSR_E0_NS1_11comp_targetILNS1_3genE0ELNS1_11target_archE4294967295ELNS1_3gpuE0ELNS1_3repE0EEENS1_30default_config_static_selectorELNS0_4arch9wavefront6targetE1EEEvT1_.has_indirect_call, 0
	.section	.AMDGPU.csdata,"",@progbits
; Kernel info:
; codeLenInByte = 39776
; TotalNumSgprs: 48
; NumVgprs: 65
; NumAgprs: 0
; TotalNumVgprs: 65
; ScratchSize: 0
; MemoryBound: 0
; FloatMode: 240
; IeeeMode: 1
; LDSByteSize: 12288 bytes/workgroup (compile time only)
; SGPRBlocks: 5
; VGPRBlocks: 8
; NumSGPRsForWavesPerEU: 48
; NumVGPRsForWavesPerEU: 65
; AccumOffset: 68
; Occupancy: 7
; WaveLimiterHint : 0
; COMPUTE_PGM_RSRC2:SCRATCH_EN: 0
; COMPUTE_PGM_RSRC2:USER_SGPR: 2
; COMPUTE_PGM_RSRC2:TRAP_HANDLER: 0
; COMPUTE_PGM_RSRC2:TGID_X_EN: 1
; COMPUTE_PGM_RSRC2:TGID_Y_EN: 0
; COMPUTE_PGM_RSRC2:TGID_Z_EN: 0
; COMPUTE_PGM_RSRC2:TIDIG_COMP_CNT: 0
; COMPUTE_PGM_RSRC3_GFX90A:ACCUM_OFFSET: 16
; COMPUTE_PGM_RSRC3_GFX90A:TG_SPLIT: 0
	.section	.text._ZN7rocprim17ROCPRIM_400000_NS6detail17trampoline_kernelINS0_14default_configENS1_20scan_config_selectorIdEEZZNS1_9scan_implILNS1_25lookback_scan_determinismE0ELb0ELb0ES3_PKdPddZZZN2at6native31launch_logcumsumexp_cuda_kernelERKNSB_10TensorBaseESF_lENKUlvE_clEvENKUlvE_clEvEUlddE_dEEDaPvRmT3_T4_T5_mT6_P12ihipStream_tbENKUlT_T0_E_clISt17integral_constantIbLb1EESV_IbLb0EEEEDaSR_SS_EUlSR_E0_NS1_11comp_targetILNS1_3genE5ELNS1_11target_archE942ELNS1_3gpuE9ELNS1_3repE0EEENS1_30default_config_static_selectorELNS0_4arch9wavefront6targetE1EEEvT1_,"axG",@progbits,_ZN7rocprim17ROCPRIM_400000_NS6detail17trampoline_kernelINS0_14default_configENS1_20scan_config_selectorIdEEZZNS1_9scan_implILNS1_25lookback_scan_determinismE0ELb0ELb0ES3_PKdPddZZZN2at6native31launch_logcumsumexp_cuda_kernelERKNSB_10TensorBaseESF_lENKUlvE_clEvENKUlvE_clEvEUlddE_dEEDaPvRmT3_T4_T5_mT6_P12ihipStream_tbENKUlT_T0_E_clISt17integral_constantIbLb1EESV_IbLb0EEEEDaSR_SS_EUlSR_E0_NS1_11comp_targetILNS1_3genE5ELNS1_11target_archE942ELNS1_3gpuE9ELNS1_3repE0EEENS1_30default_config_static_selectorELNS0_4arch9wavefront6targetE1EEEvT1_,comdat
	.globl	_ZN7rocprim17ROCPRIM_400000_NS6detail17trampoline_kernelINS0_14default_configENS1_20scan_config_selectorIdEEZZNS1_9scan_implILNS1_25lookback_scan_determinismE0ELb0ELb0ES3_PKdPddZZZN2at6native31launch_logcumsumexp_cuda_kernelERKNSB_10TensorBaseESF_lENKUlvE_clEvENKUlvE_clEvEUlddE_dEEDaPvRmT3_T4_T5_mT6_P12ihipStream_tbENKUlT_T0_E_clISt17integral_constantIbLb1EESV_IbLb0EEEEDaSR_SS_EUlSR_E0_NS1_11comp_targetILNS1_3genE5ELNS1_11target_archE942ELNS1_3gpuE9ELNS1_3repE0EEENS1_30default_config_static_selectorELNS0_4arch9wavefront6targetE1EEEvT1_ ; -- Begin function _ZN7rocprim17ROCPRIM_400000_NS6detail17trampoline_kernelINS0_14default_configENS1_20scan_config_selectorIdEEZZNS1_9scan_implILNS1_25lookback_scan_determinismE0ELb0ELb0ES3_PKdPddZZZN2at6native31launch_logcumsumexp_cuda_kernelERKNSB_10TensorBaseESF_lENKUlvE_clEvENKUlvE_clEvEUlddE_dEEDaPvRmT3_T4_T5_mT6_P12ihipStream_tbENKUlT_T0_E_clISt17integral_constantIbLb1EESV_IbLb0EEEEDaSR_SS_EUlSR_E0_NS1_11comp_targetILNS1_3genE5ELNS1_11target_archE942ELNS1_3gpuE9ELNS1_3repE0EEENS1_30default_config_static_selectorELNS0_4arch9wavefront6targetE1EEEvT1_
	.p2align	8
	.type	_ZN7rocprim17ROCPRIM_400000_NS6detail17trampoline_kernelINS0_14default_configENS1_20scan_config_selectorIdEEZZNS1_9scan_implILNS1_25lookback_scan_determinismE0ELb0ELb0ES3_PKdPddZZZN2at6native31launch_logcumsumexp_cuda_kernelERKNSB_10TensorBaseESF_lENKUlvE_clEvENKUlvE_clEvEUlddE_dEEDaPvRmT3_T4_T5_mT6_P12ihipStream_tbENKUlT_T0_E_clISt17integral_constantIbLb1EESV_IbLb0EEEEDaSR_SS_EUlSR_E0_NS1_11comp_targetILNS1_3genE5ELNS1_11target_archE942ELNS1_3gpuE9ELNS1_3repE0EEENS1_30default_config_static_selectorELNS0_4arch9wavefront6targetE1EEEvT1_,@function
_ZN7rocprim17ROCPRIM_400000_NS6detail17trampoline_kernelINS0_14default_configENS1_20scan_config_selectorIdEEZZNS1_9scan_implILNS1_25lookback_scan_determinismE0ELb0ELb0ES3_PKdPddZZZN2at6native31launch_logcumsumexp_cuda_kernelERKNSB_10TensorBaseESF_lENKUlvE_clEvENKUlvE_clEvEUlddE_dEEDaPvRmT3_T4_T5_mT6_P12ihipStream_tbENKUlT_T0_E_clISt17integral_constantIbLb1EESV_IbLb0EEEEDaSR_SS_EUlSR_E0_NS1_11comp_targetILNS1_3genE5ELNS1_11target_archE942ELNS1_3gpuE9ELNS1_3repE0EEENS1_30default_config_static_selectorELNS0_4arch9wavefront6targetE1EEEvT1_: ; @_ZN7rocprim17ROCPRIM_400000_NS6detail17trampoline_kernelINS0_14default_configENS1_20scan_config_selectorIdEEZZNS1_9scan_implILNS1_25lookback_scan_determinismE0ELb0ELb0ES3_PKdPddZZZN2at6native31launch_logcumsumexp_cuda_kernelERKNSB_10TensorBaseESF_lENKUlvE_clEvENKUlvE_clEvEUlddE_dEEDaPvRmT3_T4_T5_mT6_P12ihipStream_tbENKUlT_T0_E_clISt17integral_constantIbLb1EESV_IbLb0EEEEDaSR_SS_EUlSR_E0_NS1_11comp_targetILNS1_3genE5ELNS1_11target_archE942ELNS1_3gpuE9ELNS1_3repE0EEENS1_30default_config_static_selectorELNS0_4arch9wavefront6targetE1EEEvT1_
; %bb.0:
	.section	.rodata,"a",@progbits
	.p2align	6, 0x0
	.amdhsa_kernel _ZN7rocprim17ROCPRIM_400000_NS6detail17trampoline_kernelINS0_14default_configENS1_20scan_config_selectorIdEEZZNS1_9scan_implILNS1_25lookback_scan_determinismE0ELb0ELb0ES3_PKdPddZZZN2at6native31launch_logcumsumexp_cuda_kernelERKNSB_10TensorBaseESF_lENKUlvE_clEvENKUlvE_clEvEUlddE_dEEDaPvRmT3_T4_T5_mT6_P12ihipStream_tbENKUlT_T0_E_clISt17integral_constantIbLb1EESV_IbLb0EEEEDaSR_SS_EUlSR_E0_NS1_11comp_targetILNS1_3genE5ELNS1_11target_archE942ELNS1_3gpuE9ELNS1_3repE0EEENS1_30default_config_static_selectorELNS0_4arch9wavefront6targetE1EEEvT1_
		.amdhsa_group_segment_fixed_size 0
		.amdhsa_private_segment_fixed_size 0
		.amdhsa_kernarg_size 40
		.amdhsa_user_sgpr_count 2
		.amdhsa_user_sgpr_dispatch_ptr 0
		.amdhsa_user_sgpr_queue_ptr 0
		.amdhsa_user_sgpr_kernarg_segment_ptr 1
		.amdhsa_user_sgpr_dispatch_id 0
		.amdhsa_user_sgpr_kernarg_preload_length 0
		.amdhsa_user_sgpr_kernarg_preload_offset 0
		.amdhsa_user_sgpr_private_segment_size 0
		.amdhsa_uses_dynamic_stack 0
		.amdhsa_enable_private_segment 0
		.amdhsa_system_sgpr_workgroup_id_x 1
		.amdhsa_system_sgpr_workgroup_id_y 0
		.amdhsa_system_sgpr_workgroup_id_z 0
		.amdhsa_system_sgpr_workgroup_info 0
		.amdhsa_system_vgpr_workitem_id 0
		.amdhsa_next_free_vgpr 1
		.amdhsa_next_free_sgpr 0
		.amdhsa_accum_offset 4
		.amdhsa_reserve_vcc 0
		.amdhsa_float_round_mode_32 0
		.amdhsa_float_round_mode_16_64 0
		.amdhsa_float_denorm_mode_32 3
		.amdhsa_float_denorm_mode_16_64 3
		.amdhsa_dx10_clamp 1
		.amdhsa_ieee_mode 1
		.amdhsa_fp16_overflow 0
		.amdhsa_tg_split 0
		.amdhsa_exception_fp_ieee_invalid_op 0
		.amdhsa_exception_fp_denorm_src 0
		.amdhsa_exception_fp_ieee_div_zero 0
		.amdhsa_exception_fp_ieee_overflow 0
		.amdhsa_exception_fp_ieee_underflow 0
		.amdhsa_exception_fp_ieee_inexact 0
		.amdhsa_exception_int_div_zero 0
	.end_amdhsa_kernel
	.section	.text._ZN7rocprim17ROCPRIM_400000_NS6detail17trampoline_kernelINS0_14default_configENS1_20scan_config_selectorIdEEZZNS1_9scan_implILNS1_25lookback_scan_determinismE0ELb0ELb0ES3_PKdPddZZZN2at6native31launch_logcumsumexp_cuda_kernelERKNSB_10TensorBaseESF_lENKUlvE_clEvENKUlvE_clEvEUlddE_dEEDaPvRmT3_T4_T5_mT6_P12ihipStream_tbENKUlT_T0_E_clISt17integral_constantIbLb1EESV_IbLb0EEEEDaSR_SS_EUlSR_E0_NS1_11comp_targetILNS1_3genE5ELNS1_11target_archE942ELNS1_3gpuE9ELNS1_3repE0EEENS1_30default_config_static_selectorELNS0_4arch9wavefront6targetE1EEEvT1_,"axG",@progbits,_ZN7rocprim17ROCPRIM_400000_NS6detail17trampoline_kernelINS0_14default_configENS1_20scan_config_selectorIdEEZZNS1_9scan_implILNS1_25lookback_scan_determinismE0ELb0ELb0ES3_PKdPddZZZN2at6native31launch_logcumsumexp_cuda_kernelERKNSB_10TensorBaseESF_lENKUlvE_clEvENKUlvE_clEvEUlddE_dEEDaPvRmT3_T4_T5_mT6_P12ihipStream_tbENKUlT_T0_E_clISt17integral_constantIbLb1EESV_IbLb0EEEEDaSR_SS_EUlSR_E0_NS1_11comp_targetILNS1_3genE5ELNS1_11target_archE942ELNS1_3gpuE9ELNS1_3repE0EEENS1_30default_config_static_selectorELNS0_4arch9wavefront6targetE1EEEvT1_,comdat
.Lfunc_end57:
	.size	_ZN7rocprim17ROCPRIM_400000_NS6detail17trampoline_kernelINS0_14default_configENS1_20scan_config_selectorIdEEZZNS1_9scan_implILNS1_25lookback_scan_determinismE0ELb0ELb0ES3_PKdPddZZZN2at6native31launch_logcumsumexp_cuda_kernelERKNSB_10TensorBaseESF_lENKUlvE_clEvENKUlvE_clEvEUlddE_dEEDaPvRmT3_T4_T5_mT6_P12ihipStream_tbENKUlT_T0_E_clISt17integral_constantIbLb1EESV_IbLb0EEEEDaSR_SS_EUlSR_E0_NS1_11comp_targetILNS1_3genE5ELNS1_11target_archE942ELNS1_3gpuE9ELNS1_3repE0EEENS1_30default_config_static_selectorELNS0_4arch9wavefront6targetE1EEEvT1_, .Lfunc_end57-_ZN7rocprim17ROCPRIM_400000_NS6detail17trampoline_kernelINS0_14default_configENS1_20scan_config_selectorIdEEZZNS1_9scan_implILNS1_25lookback_scan_determinismE0ELb0ELb0ES3_PKdPddZZZN2at6native31launch_logcumsumexp_cuda_kernelERKNSB_10TensorBaseESF_lENKUlvE_clEvENKUlvE_clEvEUlddE_dEEDaPvRmT3_T4_T5_mT6_P12ihipStream_tbENKUlT_T0_E_clISt17integral_constantIbLb1EESV_IbLb0EEEEDaSR_SS_EUlSR_E0_NS1_11comp_targetILNS1_3genE5ELNS1_11target_archE942ELNS1_3gpuE9ELNS1_3repE0EEENS1_30default_config_static_selectorELNS0_4arch9wavefront6targetE1EEEvT1_
                                        ; -- End function
	.set _ZN7rocprim17ROCPRIM_400000_NS6detail17trampoline_kernelINS0_14default_configENS1_20scan_config_selectorIdEEZZNS1_9scan_implILNS1_25lookback_scan_determinismE0ELb0ELb0ES3_PKdPddZZZN2at6native31launch_logcumsumexp_cuda_kernelERKNSB_10TensorBaseESF_lENKUlvE_clEvENKUlvE_clEvEUlddE_dEEDaPvRmT3_T4_T5_mT6_P12ihipStream_tbENKUlT_T0_E_clISt17integral_constantIbLb1EESV_IbLb0EEEEDaSR_SS_EUlSR_E0_NS1_11comp_targetILNS1_3genE5ELNS1_11target_archE942ELNS1_3gpuE9ELNS1_3repE0EEENS1_30default_config_static_selectorELNS0_4arch9wavefront6targetE1EEEvT1_.num_vgpr, 0
	.set _ZN7rocprim17ROCPRIM_400000_NS6detail17trampoline_kernelINS0_14default_configENS1_20scan_config_selectorIdEEZZNS1_9scan_implILNS1_25lookback_scan_determinismE0ELb0ELb0ES3_PKdPddZZZN2at6native31launch_logcumsumexp_cuda_kernelERKNSB_10TensorBaseESF_lENKUlvE_clEvENKUlvE_clEvEUlddE_dEEDaPvRmT3_T4_T5_mT6_P12ihipStream_tbENKUlT_T0_E_clISt17integral_constantIbLb1EESV_IbLb0EEEEDaSR_SS_EUlSR_E0_NS1_11comp_targetILNS1_3genE5ELNS1_11target_archE942ELNS1_3gpuE9ELNS1_3repE0EEENS1_30default_config_static_selectorELNS0_4arch9wavefront6targetE1EEEvT1_.num_agpr, 0
	.set _ZN7rocprim17ROCPRIM_400000_NS6detail17trampoline_kernelINS0_14default_configENS1_20scan_config_selectorIdEEZZNS1_9scan_implILNS1_25lookback_scan_determinismE0ELb0ELb0ES3_PKdPddZZZN2at6native31launch_logcumsumexp_cuda_kernelERKNSB_10TensorBaseESF_lENKUlvE_clEvENKUlvE_clEvEUlddE_dEEDaPvRmT3_T4_T5_mT6_P12ihipStream_tbENKUlT_T0_E_clISt17integral_constantIbLb1EESV_IbLb0EEEEDaSR_SS_EUlSR_E0_NS1_11comp_targetILNS1_3genE5ELNS1_11target_archE942ELNS1_3gpuE9ELNS1_3repE0EEENS1_30default_config_static_selectorELNS0_4arch9wavefront6targetE1EEEvT1_.numbered_sgpr, 0
	.set _ZN7rocprim17ROCPRIM_400000_NS6detail17trampoline_kernelINS0_14default_configENS1_20scan_config_selectorIdEEZZNS1_9scan_implILNS1_25lookback_scan_determinismE0ELb0ELb0ES3_PKdPddZZZN2at6native31launch_logcumsumexp_cuda_kernelERKNSB_10TensorBaseESF_lENKUlvE_clEvENKUlvE_clEvEUlddE_dEEDaPvRmT3_T4_T5_mT6_P12ihipStream_tbENKUlT_T0_E_clISt17integral_constantIbLb1EESV_IbLb0EEEEDaSR_SS_EUlSR_E0_NS1_11comp_targetILNS1_3genE5ELNS1_11target_archE942ELNS1_3gpuE9ELNS1_3repE0EEENS1_30default_config_static_selectorELNS0_4arch9wavefront6targetE1EEEvT1_.num_named_barrier, 0
	.set _ZN7rocprim17ROCPRIM_400000_NS6detail17trampoline_kernelINS0_14default_configENS1_20scan_config_selectorIdEEZZNS1_9scan_implILNS1_25lookback_scan_determinismE0ELb0ELb0ES3_PKdPddZZZN2at6native31launch_logcumsumexp_cuda_kernelERKNSB_10TensorBaseESF_lENKUlvE_clEvENKUlvE_clEvEUlddE_dEEDaPvRmT3_T4_T5_mT6_P12ihipStream_tbENKUlT_T0_E_clISt17integral_constantIbLb1EESV_IbLb0EEEEDaSR_SS_EUlSR_E0_NS1_11comp_targetILNS1_3genE5ELNS1_11target_archE942ELNS1_3gpuE9ELNS1_3repE0EEENS1_30default_config_static_selectorELNS0_4arch9wavefront6targetE1EEEvT1_.private_seg_size, 0
	.set _ZN7rocprim17ROCPRIM_400000_NS6detail17trampoline_kernelINS0_14default_configENS1_20scan_config_selectorIdEEZZNS1_9scan_implILNS1_25lookback_scan_determinismE0ELb0ELb0ES3_PKdPddZZZN2at6native31launch_logcumsumexp_cuda_kernelERKNSB_10TensorBaseESF_lENKUlvE_clEvENKUlvE_clEvEUlddE_dEEDaPvRmT3_T4_T5_mT6_P12ihipStream_tbENKUlT_T0_E_clISt17integral_constantIbLb1EESV_IbLb0EEEEDaSR_SS_EUlSR_E0_NS1_11comp_targetILNS1_3genE5ELNS1_11target_archE942ELNS1_3gpuE9ELNS1_3repE0EEENS1_30default_config_static_selectorELNS0_4arch9wavefront6targetE1EEEvT1_.uses_vcc, 0
	.set _ZN7rocprim17ROCPRIM_400000_NS6detail17trampoline_kernelINS0_14default_configENS1_20scan_config_selectorIdEEZZNS1_9scan_implILNS1_25lookback_scan_determinismE0ELb0ELb0ES3_PKdPddZZZN2at6native31launch_logcumsumexp_cuda_kernelERKNSB_10TensorBaseESF_lENKUlvE_clEvENKUlvE_clEvEUlddE_dEEDaPvRmT3_T4_T5_mT6_P12ihipStream_tbENKUlT_T0_E_clISt17integral_constantIbLb1EESV_IbLb0EEEEDaSR_SS_EUlSR_E0_NS1_11comp_targetILNS1_3genE5ELNS1_11target_archE942ELNS1_3gpuE9ELNS1_3repE0EEENS1_30default_config_static_selectorELNS0_4arch9wavefront6targetE1EEEvT1_.uses_flat_scratch, 0
	.set _ZN7rocprim17ROCPRIM_400000_NS6detail17trampoline_kernelINS0_14default_configENS1_20scan_config_selectorIdEEZZNS1_9scan_implILNS1_25lookback_scan_determinismE0ELb0ELb0ES3_PKdPddZZZN2at6native31launch_logcumsumexp_cuda_kernelERKNSB_10TensorBaseESF_lENKUlvE_clEvENKUlvE_clEvEUlddE_dEEDaPvRmT3_T4_T5_mT6_P12ihipStream_tbENKUlT_T0_E_clISt17integral_constantIbLb1EESV_IbLb0EEEEDaSR_SS_EUlSR_E0_NS1_11comp_targetILNS1_3genE5ELNS1_11target_archE942ELNS1_3gpuE9ELNS1_3repE0EEENS1_30default_config_static_selectorELNS0_4arch9wavefront6targetE1EEEvT1_.has_dyn_sized_stack, 0
	.set _ZN7rocprim17ROCPRIM_400000_NS6detail17trampoline_kernelINS0_14default_configENS1_20scan_config_selectorIdEEZZNS1_9scan_implILNS1_25lookback_scan_determinismE0ELb0ELb0ES3_PKdPddZZZN2at6native31launch_logcumsumexp_cuda_kernelERKNSB_10TensorBaseESF_lENKUlvE_clEvENKUlvE_clEvEUlddE_dEEDaPvRmT3_T4_T5_mT6_P12ihipStream_tbENKUlT_T0_E_clISt17integral_constantIbLb1EESV_IbLb0EEEEDaSR_SS_EUlSR_E0_NS1_11comp_targetILNS1_3genE5ELNS1_11target_archE942ELNS1_3gpuE9ELNS1_3repE0EEENS1_30default_config_static_selectorELNS0_4arch9wavefront6targetE1EEEvT1_.has_recursion, 0
	.set _ZN7rocprim17ROCPRIM_400000_NS6detail17trampoline_kernelINS0_14default_configENS1_20scan_config_selectorIdEEZZNS1_9scan_implILNS1_25lookback_scan_determinismE0ELb0ELb0ES3_PKdPddZZZN2at6native31launch_logcumsumexp_cuda_kernelERKNSB_10TensorBaseESF_lENKUlvE_clEvENKUlvE_clEvEUlddE_dEEDaPvRmT3_T4_T5_mT6_P12ihipStream_tbENKUlT_T0_E_clISt17integral_constantIbLb1EESV_IbLb0EEEEDaSR_SS_EUlSR_E0_NS1_11comp_targetILNS1_3genE5ELNS1_11target_archE942ELNS1_3gpuE9ELNS1_3repE0EEENS1_30default_config_static_selectorELNS0_4arch9wavefront6targetE1EEEvT1_.has_indirect_call, 0
	.section	.AMDGPU.csdata,"",@progbits
; Kernel info:
; codeLenInByte = 0
; TotalNumSgprs: 6
; NumVgprs: 0
; NumAgprs: 0
; TotalNumVgprs: 0
; ScratchSize: 0
; MemoryBound: 0
; FloatMode: 240
; IeeeMode: 1
; LDSByteSize: 0 bytes/workgroup (compile time only)
; SGPRBlocks: 0
; VGPRBlocks: 0
; NumSGPRsForWavesPerEU: 6
; NumVGPRsForWavesPerEU: 1
; AccumOffset: 4
; Occupancy: 8
; WaveLimiterHint : 0
; COMPUTE_PGM_RSRC2:SCRATCH_EN: 0
; COMPUTE_PGM_RSRC2:USER_SGPR: 2
; COMPUTE_PGM_RSRC2:TRAP_HANDLER: 0
; COMPUTE_PGM_RSRC2:TGID_X_EN: 1
; COMPUTE_PGM_RSRC2:TGID_Y_EN: 0
; COMPUTE_PGM_RSRC2:TGID_Z_EN: 0
; COMPUTE_PGM_RSRC2:TIDIG_COMP_CNT: 0
; COMPUTE_PGM_RSRC3_GFX90A:ACCUM_OFFSET: 0
; COMPUTE_PGM_RSRC3_GFX90A:TG_SPLIT: 0
	.section	.text._ZN7rocprim17ROCPRIM_400000_NS6detail17trampoline_kernelINS0_14default_configENS1_20scan_config_selectorIdEEZZNS1_9scan_implILNS1_25lookback_scan_determinismE0ELb0ELb0ES3_PKdPddZZZN2at6native31launch_logcumsumexp_cuda_kernelERKNSB_10TensorBaseESF_lENKUlvE_clEvENKUlvE_clEvEUlddE_dEEDaPvRmT3_T4_T5_mT6_P12ihipStream_tbENKUlT_T0_E_clISt17integral_constantIbLb1EESV_IbLb0EEEEDaSR_SS_EUlSR_E0_NS1_11comp_targetILNS1_3genE4ELNS1_11target_archE910ELNS1_3gpuE8ELNS1_3repE0EEENS1_30default_config_static_selectorELNS0_4arch9wavefront6targetE1EEEvT1_,"axG",@progbits,_ZN7rocprim17ROCPRIM_400000_NS6detail17trampoline_kernelINS0_14default_configENS1_20scan_config_selectorIdEEZZNS1_9scan_implILNS1_25lookback_scan_determinismE0ELb0ELb0ES3_PKdPddZZZN2at6native31launch_logcumsumexp_cuda_kernelERKNSB_10TensorBaseESF_lENKUlvE_clEvENKUlvE_clEvEUlddE_dEEDaPvRmT3_T4_T5_mT6_P12ihipStream_tbENKUlT_T0_E_clISt17integral_constantIbLb1EESV_IbLb0EEEEDaSR_SS_EUlSR_E0_NS1_11comp_targetILNS1_3genE4ELNS1_11target_archE910ELNS1_3gpuE8ELNS1_3repE0EEENS1_30default_config_static_selectorELNS0_4arch9wavefront6targetE1EEEvT1_,comdat
	.globl	_ZN7rocprim17ROCPRIM_400000_NS6detail17trampoline_kernelINS0_14default_configENS1_20scan_config_selectorIdEEZZNS1_9scan_implILNS1_25lookback_scan_determinismE0ELb0ELb0ES3_PKdPddZZZN2at6native31launch_logcumsumexp_cuda_kernelERKNSB_10TensorBaseESF_lENKUlvE_clEvENKUlvE_clEvEUlddE_dEEDaPvRmT3_T4_T5_mT6_P12ihipStream_tbENKUlT_T0_E_clISt17integral_constantIbLb1EESV_IbLb0EEEEDaSR_SS_EUlSR_E0_NS1_11comp_targetILNS1_3genE4ELNS1_11target_archE910ELNS1_3gpuE8ELNS1_3repE0EEENS1_30default_config_static_selectorELNS0_4arch9wavefront6targetE1EEEvT1_ ; -- Begin function _ZN7rocprim17ROCPRIM_400000_NS6detail17trampoline_kernelINS0_14default_configENS1_20scan_config_selectorIdEEZZNS1_9scan_implILNS1_25lookback_scan_determinismE0ELb0ELb0ES3_PKdPddZZZN2at6native31launch_logcumsumexp_cuda_kernelERKNSB_10TensorBaseESF_lENKUlvE_clEvENKUlvE_clEvEUlddE_dEEDaPvRmT3_T4_T5_mT6_P12ihipStream_tbENKUlT_T0_E_clISt17integral_constantIbLb1EESV_IbLb0EEEEDaSR_SS_EUlSR_E0_NS1_11comp_targetILNS1_3genE4ELNS1_11target_archE910ELNS1_3gpuE8ELNS1_3repE0EEENS1_30default_config_static_selectorELNS0_4arch9wavefront6targetE1EEEvT1_
	.p2align	8
	.type	_ZN7rocprim17ROCPRIM_400000_NS6detail17trampoline_kernelINS0_14default_configENS1_20scan_config_selectorIdEEZZNS1_9scan_implILNS1_25lookback_scan_determinismE0ELb0ELb0ES3_PKdPddZZZN2at6native31launch_logcumsumexp_cuda_kernelERKNSB_10TensorBaseESF_lENKUlvE_clEvENKUlvE_clEvEUlddE_dEEDaPvRmT3_T4_T5_mT6_P12ihipStream_tbENKUlT_T0_E_clISt17integral_constantIbLb1EESV_IbLb0EEEEDaSR_SS_EUlSR_E0_NS1_11comp_targetILNS1_3genE4ELNS1_11target_archE910ELNS1_3gpuE8ELNS1_3repE0EEENS1_30default_config_static_selectorELNS0_4arch9wavefront6targetE1EEEvT1_,@function
_ZN7rocprim17ROCPRIM_400000_NS6detail17trampoline_kernelINS0_14default_configENS1_20scan_config_selectorIdEEZZNS1_9scan_implILNS1_25lookback_scan_determinismE0ELb0ELb0ES3_PKdPddZZZN2at6native31launch_logcumsumexp_cuda_kernelERKNSB_10TensorBaseESF_lENKUlvE_clEvENKUlvE_clEvEUlddE_dEEDaPvRmT3_T4_T5_mT6_P12ihipStream_tbENKUlT_T0_E_clISt17integral_constantIbLb1EESV_IbLb0EEEEDaSR_SS_EUlSR_E0_NS1_11comp_targetILNS1_3genE4ELNS1_11target_archE910ELNS1_3gpuE8ELNS1_3repE0EEENS1_30default_config_static_selectorELNS0_4arch9wavefront6targetE1EEEvT1_: ; @_ZN7rocprim17ROCPRIM_400000_NS6detail17trampoline_kernelINS0_14default_configENS1_20scan_config_selectorIdEEZZNS1_9scan_implILNS1_25lookback_scan_determinismE0ELb0ELb0ES3_PKdPddZZZN2at6native31launch_logcumsumexp_cuda_kernelERKNSB_10TensorBaseESF_lENKUlvE_clEvENKUlvE_clEvEUlddE_dEEDaPvRmT3_T4_T5_mT6_P12ihipStream_tbENKUlT_T0_E_clISt17integral_constantIbLb1EESV_IbLb0EEEEDaSR_SS_EUlSR_E0_NS1_11comp_targetILNS1_3genE4ELNS1_11target_archE910ELNS1_3gpuE8ELNS1_3repE0EEENS1_30default_config_static_selectorELNS0_4arch9wavefront6targetE1EEEvT1_
; %bb.0:
	.section	.rodata,"a",@progbits
	.p2align	6, 0x0
	.amdhsa_kernel _ZN7rocprim17ROCPRIM_400000_NS6detail17trampoline_kernelINS0_14default_configENS1_20scan_config_selectorIdEEZZNS1_9scan_implILNS1_25lookback_scan_determinismE0ELb0ELb0ES3_PKdPddZZZN2at6native31launch_logcumsumexp_cuda_kernelERKNSB_10TensorBaseESF_lENKUlvE_clEvENKUlvE_clEvEUlddE_dEEDaPvRmT3_T4_T5_mT6_P12ihipStream_tbENKUlT_T0_E_clISt17integral_constantIbLb1EESV_IbLb0EEEEDaSR_SS_EUlSR_E0_NS1_11comp_targetILNS1_3genE4ELNS1_11target_archE910ELNS1_3gpuE8ELNS1_3repE0EEENS1_30default_config_static_selectorELNS0_4arch9wavefront6targetE1EEEvT1_
		.amdhsa_group_segment_fixed_size 0
		.amdhsa_private_segment_fixed_size 0
		.amdhsa_kernarg_size 40
		.amdhsa_user_sgpr_count 2
		.amdhsa_user_sgpr_dispatch_ptr 0
		.amdhsa_user_sgpr_queue_ptr 0
		.amdhsa_user_sgpr_kernarg_segment_ptr 1
		.amdhsa_user_sgpr_dispatch_id 0
		.amdhsa_user_sgpr_kernarg_preload_length 0
		.amdhsa_user_sgpr_kernarg_preload_offset 0
		.amdhsa_user_sgpr_private_segment_size 0
		.amdhsa_uses_dynamic_stack 0
		.amdhsa_enable_private_segment 0
		.amdhsa_system_sgpr_workgroup_id_x 1
		.amdhsa_system_sgpr_workgroup_id_y 0
		.amdhsa_system_sgpr_workgroup_id_z 0
		.amdhsa_system_sgpr_workgroup_info 0
		.amdhsa_system_vgpr_workitem_id 0
		.amdhsa_next_free_vgpr 1
		.amdhsa_next_free_sgpr 0
		.amdhsa_accum_offset 4
		.amdhsa_reserve_vcc 0
		.amdhsa_float_round_mode_32 0
		.amdhsa_float_round_mode_16_64 0
		.amdhsa_float_denorm_mode_32 3
		.amdhsa_float_denorm_mode_16_64 3
		.amdhsa_dx10_clamp 1
		.amdhsa_ieee_mode 1
		.amdhsa_fp16_overflow 0
		.amdhsa_tg_split 0
		.amdhsa_exception_fp_ieee_invalid_op 0
		.amdhsa_exception_fp_denorm_src 0
		.amdhsa_exception_fp_ieee_div_zero 0
		.amdhsa_exception_fp_ieee_overflow 0
		.amdhsa_exception_fp_ieee_underflow 0
		.amdhsa_exception_fp_ieee_inexact 0
		.amdhsa_exception_int_div_zero 0
	.end_amdhsa_kernel
	.section	.text._ZN7rocprim17ROCPRIM_400000_NS6detail17trampoline_kernelINS0_14default_configENS1_20scan_config_selectorIdEEZZNS1_9scan_implILNS1_25lookback_scan_determinismE0ELb0ELb0ES3_PKdPddZZZN2at6native31launch_logcumsumexp_cuda_kernelERKNSB_10TensorBaseESF_lENKUlvE_clEvENKUlvE_clEvEUlddE_dEEDaPvRmT3_T4_T5_mT6_P12ihipStream_tbENKUlT_T0_E_clISt17integral_constantIbLb1EESV_IbLb0EEEEDaSR_SS_EUlSR_E0_NS1_11comp_targetILNS1_3genE4ELNS1_11target_archE910ELNS1_3gpuE8ELNS1_3repE0EEENS1_30default_config_static_selectorELNS0_4arch9wavefront6targetE1EEEvT1_,"axG",@progbits,_ZN7rocprim17ROCPRIM_400000_NS6detail17trampoline_kernelINS0_14default_configENS1_20scan_config_selectorIdEEZZNS1_9scan_implILNS1_25lookback_scan_determinismE0ELb0ELb0ES3_PKdPddZZZN2at6native31launch_logcumsumexp_cuda_kernelERKNSB_10TensorBaseESF_lENKUlvE_clEvENKUlvE_clEvEUlddE_dEEDaPvRmT3_T4_T5_mT6_P12ihipStream_tbENKUlT_T0_E_clISt17integral_constantIbLb1EESV_IbLb0EEEEDaSR_SS_EUlSR_E0_NS1_11comp_targetILNS1_3genE4ELNS1_11target_archE910ELNS1_3gpuE8ELNS1_3repE0EEENS1_30default_config_static_selectorELNS0_4arch9wavefront6targetE1EEEvT1_,comdat
.Lfunc_end58:
	.size	_ZN7rocprim17ROCPRIM_400000_NS6detail17trampoline_kernelINS0_14default_configENS1_20scan_config_selectorIdEEZZNS1_9scan_implILNS1_25lookback_scan_determinismE0ELb0ELb0ES3_PKdPddZZZN2at6native31launch_logcumsumexp_cuda_kernelERKNSB_10TensorBaseESF_lENKUlvE_clEvENKUlvE_clEvEUlddE_dEEDaPvRmT3_T4_T5_mT6_P12ihipStream_tbENKUlT_T0_E_clISt17integral_constantIbLb1EESV_IbLb0EEEEDaSR_SS_EUlSR_E0_NS1_11comp_targetILNS1_3genE4ELNS1_11target_archE910ELNS1_3gpuE8ELNS1_3repE0EEENS1_30default_config_static_selectorELNS0_4arch9wavefront6targetE1EEEvT1_, .Lfunc_end58-_ZN7rocprim17ROCPRIM_400000_NS6detail17trampoline_kernelINS0_14default_configENS1_20scan_config_selectorIdEEZZNS1_9scan_implILNS1_25lookback_scan_determinismE0ELb0ELb0ES3_PKdPddZZZN2at6native31launch_logcumsumexp_cuda_kernelERKNSB_10TensorBaseESF_lENKUlvE_clEvENKUlvE_clEvEUlddE_dEEDaPvRmT3_T4_T5_mT6_P12ihipStream_tbENKUlT_T0_E_clISt17integral_constantIbLb1EESV_IbLb0EEEEDaSR_SS_EUlSR_E0_NS1_11comp_targetILNS1_3genE4ELNS1_11target_archE910ELNS1_3gpuE8ELNS1_3repE0EEENS1_30default_config_static_selectorELNS0_4arch9wavefront6targetE1EEEvT1_
                                        ; -- End function
	.set _ZN7rocprim17ROCPRIM_400000_NS6detail17trampoline_kernelINS0_14default_configENS1_20scan_config_selectorIdEEZZNS1_9scan_implILNS1_25lookback_scan_determinismE0ELb0ELb0ES3_PKdPddZZZN2at6native31launch_logcumsumexp_cuda_kernelERKNSB_10TensorBaseESF_lENKUlvE_clEvENKUlvE_clEvEUlddE_dEEDaPvRmT3_T4_T5_mT6_P12ihipStream_tbENKUlT_T0_E_clISt17integral_constantIbLb1EESV_IbLb0EEEEDaSR_SS_EUlSR_E0_NS1_11comp_targetILNS1_3genE4ELNS1_11target_archE910ELNS1_3gpuE8ELNS1_3repE0EEENS1_30default_config_static_selectorELNS0_4arch9wavefront6targetE1EEEvT1_.num_vgpr, 0
	.set _ZN7rocprim17ROCPRIM_400000_NS6detail17trampoline_kernelINS0_14default_configENS1_20scan_config_selectorIdEEZZNS1_9scan_implILNS1_25lookback_scan_determinismE0ELb0ELb0ES3_PKdPddZZZN2at6native31launch_logcumsumexp_cuda_kernelERKNSB_10TensorBaseESF_lENKUlvE_clEvENKUlvE_clEvEUlddE_dEEDaPvRmT3_T4_T5_mT6_P12ihipStream_tbENKUlT_T0_E_clISt17integral_constantIbLb1EESV_IbLb0EEEEDaSR_SS_EUlSR_E0_NS1_11comp_targetILNS1_3genE4ELNS1_11target_archE910ELNS1_3gpuE8ELNS1_3repE0EEENS1_30default_config_static_selectorELNS0_4arch9wavefront6targetE1EEEvT1_.num_agpr, 0
	.set _ZN7rocprim17ROCPRIM_400000_NS6detail17trampoline_kernelINS0_14default_configENS1_20scan_config_selectorIdEEZZNS1_9scan_implILNS1_25lookback_scan_determinismE0ELb0ELb0ES3_PKdPddZZZN2at6native31launch_logcumsumexp_cuda_kernelERKNSB_10TensorBaseESF_lENKUlvE_clEvENKUlvE_clEvEUlddE_dEEDaPvRmT3_T4_T5_mT6_P12ihipStream_tbENKUlT_T0_E_clISt17integral_constantIbLb1EESV_IbLb0EEEEDaSR_SS_EUlSR_E0_NS1_11comp_targetILNS1_3genE4ELNS1_11target_archE910ELNS1_3gpuE8ELNS1_3repE0EEENS1_30default_config_static_selectorELNS0_4arch9wavefront6targetE1EEEvT1_.numbered_sgpr, 0
	.set _ZN7rocprim17ROCPRIM_400000_NS6detail17trampoline_kernelINS0_14default_configENS1_20scan_config_selectorIdEEZZNS1_9scan_implILNS1_25lookback_scan_determinismE0ELb0ELb0ES3_PKdPddZZZN2at6native31launch_logcumsumexp_cuda_kernelERKNSB_10TensorBaseESF_lENKUlvE_clEvENKUlvE_clEvEUlddE_dEEDaPvRmT3_T4_T5_mT6_P12ihipStream_tbENKUlT_T0_E_clISt17integral_constantIbLb1EESV_IbLb0EEEEDaSR_SS_EUlSR_E0_NS1_11comp_targetILNS1_3genE4ELNS1_11target_archE910ELNS1_3gpuE8ELNS1_3repE0EEENS1_30default_config_static_selectorELNS0_4arch9wavefront6targetE1EEEvT1_.num_named_barrier, 0
	.set _ZN7rocprim17ROCPRIM_400000_NS6detail17trampoline_kernelINS0_14default_configENS1_20scan_config_selectorIdEEZZNS1_9scan_implILNS1_25lookback_scan_determinismE0ELb0ELb0ES3_PKdPddZZZN2at6native31launch_logcumsumexp_cuda_kernelERKNSB_10TensorBaseESF_lENKUlvE_clEvENKUlvE_clEvEUlddE_dEEDaPvRmT3_T4_T5_mT6_P12ihipStream_tbENKUlT_T0_E_clISt17integral_constantIbLb1EESV_IbLb0EEEEDaSR_SS_EUlSR_E0_NS1_11comp_targetILNS1_3genE4ELNS1_11target_archE910ELNS1_3gpuE8ELNS1_3repE0EEENS1_30default_config_static_selectorELNS0_4arch9wavefront6targetE1EEEvT1_.private_seg_size, 0
	.set _ZN7rocprim17ROCPRIM_400000_NS6detail17trampoline_kernelINS0_14default_configENS1_20scan_config_selectorIdEEZZNS1_9scan_implILNS1_25lookback_scan_determinismE0ELb0ELb0ES3_PKdPddZZZN2at6native31launch_logcumsumexp_cuda_kernelERKNSB_10TensorBaseESF_lENKUlvE_clEvENKUlvE_clEvEUlddE_dEEDaPvRmT3_T4_T5_mT6_P12ihipStream_tbENKUlT_T0_E_clISt17integral_constantIbLb1EESV_IbLb0EEEEDaSR_SS_EUlSR_E0_NS1_11comp_targetILNS1_3genE4ELNS1_11target_archE910ELNS1_3gpuE8ELNS1_3repE0EEENS1_30default_config_static_selectorELNS0_4arch9wavefront6targetE1EEEvT1_.uses_vcc, 0
	.set _ZN7rocprim17ROCPRIM_400000_NS6detail17trampoline_kernelINS0_14default_configENS1_20scan_config_selectorIdEEZZNS1_9scan_implILNS1_25lookback_scan_determinismE0ELb0ELb0ES3_PKdPddZZZN2at6native31launch_logcumsumexp_cuda_kernelERKNSB_10TensorBaseESF_lENKUlvE_clEvENKUlvE_clEvEUlddE_dEEDaPvRmT3_T4_T5_mT6_P12ihipStream_tbENKUlT_T0_E_clISt17integral_constantIbLb1EESV_IbLb0EEEEDaSR_SS_EUlSR_E0_NS1_11comp_targetILNS1_3genE4ELNS1_11target_archE910ELNS1_3gpuE8ELNS1_3repE0EEENS1_30default_config_static_selectorELNS0_4arch9wavefront6targetE1EEEvT1_.uses_flat_scratch, 0
	.set _ZN7rocprim17ROCPRIM_400000_NS6detail17trampoline_kernelINS0_14default_configENS1_20scan_config_selectorIdEEZZNS1_9scan_implILNS1_25lookback_scan_determinismE0ELb0ELb0ES3_PKdPddZZZN2at6native31launch_logcumsumexp_cuda_kernelERKNSB_10TensorBaseESF_lENKUlvE_clEvENKUlvE_clEvEUlddE_dEEDaPvRmT3_T4_T5_mT6_P12ihipStream_tbENKUlT_T0_E_clISt17integral_constantIbLb1EESV_IbLb0EEEEDaSR_SS_EUlSR_E0_NS1_11comp_targetILNS1_3genE4ELNS1_11target_archE910ELNS1_3gpuE8ELNS1_3repE0EEENS1_30default_config_static_selectorELNS0_4arch9wavefront6targetE1EEEvT1_.has_dyn_sized_stack, 0
	.set _ZN7rocprim17ROCPRIM_400000_NS6detail17trampoline_kernelINS0_14default_configENS1_20scan_config_selectorIdEEZZNS1_9scan_implILNS1_25lookback_scan_determinismE0ELb0ELb0ES3_PKdPddZZZN2at6native31launch_logcumsumexp_cuda_kernelERKNSB_10TensorBaseESF_lENKUlvE_clEvENKUlvE_clEvEUlddE_dEEDaPvRmT3_T4_T5_mT6_P12ihipStream_tbENKUlT_T0_E_clISt17integral_constantIbLb1EESV_IbLb0EEEEDaSR_SS_EUlSR_E0_NS1_11comp_targetILNS1_3genE4ELNS1_11target_archE910ELNS1_3gpuE8ELNS1_3repE0EEENS1_30default_config_static_selectorELNS0_4arch9wavefront6targetE1EEEvT1_.has_recursion, 0
	.set _ZN7rocprim17ROCPRIM_400000_NS6detail17trampoline_kernelINS0_14default_configENS1_20scan_config_selectorIdEEZZNS1_9scan_implILNS1_25lookback_scan_determinismE0ELb0ELb0ES3_PKdPddZZZN2at6native31launch_logcumsumexp_cuda_kernelERKNSB_10TensorBaseESF_lENKUlvE_clEvENKUlvE_clEvEUlddE_dEEDaPvRmT3_T4_T5_mT6_P12ihipStream_tbENKUlT_T0_E_clISt17integral_constantIbLb1EESV_IbLb0EEEEDaSR_SS_EUlSR_E0_NS1_11comp_targetILNS1_3genE4ELNS1_11target_archE910ELNS1_3gpuE8ELNS1_3repE0EEENS1_30default_config_static_selectorELNS0_4arch9wavefront6targetE1EEEvT1_.has_indirect_call, 0
	.section	.AMDGPU.csdata,"",@progbits
; Kernel info:
; codeLenInByte = 0
; TotalNumSgprs: 6
; NumVgprs: 0
; NumAgprs: 0
; TotalNumVgprs: 0
; ScratchSize: 0
; MemoryBound: 0
; FloatMode: 240
; IeeeMode: 1
; LDSByteSize: 0 bytes/workgroup (compile time only)
; SGPRBlocks: 0
; VGPRBlocks: 0
; NumSGPRsForWavesPerEU: 6
; NumVGPRsForWavesPerEU: 1
; AccumOffset: 4
; Occupancy: 8
; WaveLimiterHint : 0
; COMPUTE_PGM_RSRC2:SCRATCH_EN: 0
; COMPUTE_PGM_RSRC2:USER_SGPR: 2
; COMPUTE_PGM_RSRC2:TRAP_HANDLER: 0
; COMPUTE_PGM_RSRC2:TGID_X_EN: 1
; COMPUTE_PGM_RSRC2:TGID_Y_EN: 0
; COMPUTE_PGM_RSRC2:TGID_Z_EN: 0
; COMPUTE_PGM_RSRC2:TIDIG_COMP_CNT: 0
; COMPUTE_PGM_RSRC3_GFX90A:ACCUM_OFFSET: 0
; COMPUTE_PGM_RSRC3_GFX90A:TG_SPLIT: 0
	.section	.text._ZN7rocprim17ROCPRIM_400000_NS6detail17trampoline_kernelINS0_14default_configENS1_20scan_config_selectorIdEEZZNS1_9scan_implILNS1_25lookback_scan_determinismE0ELb0ELb0ES3_PKdPddZZZN2at6native31launch_logcumsumexp_cuda_kernelERKNSB_10TensorBaseESF_lENKUlvE_clEvENKUlvE_clEvEUlddE_dEEDaPvRmT3_T4_T5_mT6_P12ihipStream_tbENKUlT_T0_E_clISt17integral_constantIbLb1EESV_IbLb0EEEEDaSR_SS_EUlSR_E0_NS1_11comp_targetILNS1_3genE3ELNS1_11target_archE908ELNS1_3gpuE7ELNS1_3repE0EEENS1_30default_config_static_selectorELNS0_4arch9wavefront6targetE1EEEvT1_,"axG",@progbits,_ZN7rocprim17ROCPRIM_400000_NS6detail17trampoline_kernelINS0_14default_configENS1_20scan_config_selectorIdEEZZNS1_9scan_implILNS1_25lookback_scan_determinismE0ELb0ELb0ES3_PKdPddZZZN2at6native31launch_logcumsumexp_cuda_kernelERKNSB_10TensorBaseESF_lENKUlvE_clEvENKUlvE_clEvEUlddE_dEEDaPvRmT3_T4_T5_mT6_P12ihipStream_tbENKUlT_T0_E_clISt17integral_constantIbLb1EESV_IbLb0EEEEDaSR_SS_EUlSR_E0_NS1_11comp_targetILNS1_3genE3ELNS1_11target_archE908ELNS1_3gpuE7ELNS1_3repE0EEENS1_30default_config_static_selectorELNS0_4arch9wavefront6targetE1EEEvT1_,comdat
	.globl	_ZN7rocprim17ROCPRIM_400000_NS6detail17trampoline_kernelINS0_14default_configENS1_20scan_config_selectorIdEEZZNS1_9scan_implILNS1_25lookback_scan_determinismE0ELb0ELb0ES3_PKdPddZZZN2at6native31launch_logcumsumexp_cuda_kernelERKNSB_10TensorBaseESF_lENKUlvE_clEvENKUlvE_clEvEUlddE_dEEDaPvRmT3_T4_T5_mT6_P12ihipStream_tbENKUlT_T0_E_clISt17integral_constantIbLb1EESV_IbLb0EEEEDaSR_SS_EUlSR_E0_NS1_11comp_targetILNS1_3genE3ELNS1_11target_archE908ELNS1_3gpuE7ELNS1_3repE0EEENS1_30default_config_static_selectorELNS0_4arch9wavefront6targetE1EEEvT1_ ; -- Begin function _ZN7rocprim17ROCPRIM_400000_NS6detail17trampoline_kernelINS0_14default_configENS1_20scan_config_selectorIdEEZZNS1_9scan_implILNS1_25lookback_scan_determinismE0ELb0ELb0ES3_PKdPddZZZN2at6native31launch_logcumsumexp_cuda_kernelERKNSB_10TensorBaseESF_lENKUlvE_clEvENKUlvE_clEvEUlddE_dEEDaPvRmT3_T4_T5_mT6_P12ihipStream_tbENKUlT_T0_E_clISt17integral_constantIbLb1EESV_IbLb0EEEEDaSR_SS_EUlSR_E0_NS1_11comp_targetILNS1_3genE3ELNS1_11target_archE908ELNS1_3gpuE7ELNS1_3repE0EEENS1_30default_config_static_selectorELNS0_4arch9wavefront6targetE1EEEvT1_
	.p2align	8
	.type	_ZN7rocprim17ROCPRIM_400000_NS6detail17trampoline_kernelINS0_14default_configENS1_20scan_config_selectorIdEEZZNS1_9scan_implILNS1_25lookback_scan_determinismE0ELb0ELb0ES3_PKdPddZZZN2at6native31launch_logcumsumexp_cuda_kernelERKNSB_10TensorBaseESF_lENKUlvE_clEvENKUlvE_clEvEUlddE_dEEDaPvRmT3_T4_T5_mT6_P12ihipStream_tbENKUlT_T0_E_clISt17integral_constantIbLb1EESV_IbLb0EEEEDaSR_SS_EUlSR_E0_NS1_11comp_targetILNS1_3genE3ELNS1_11target_archE908ELNS1_3gpuE7ELNS1_3repE0EEENS1_30default_config_static_selectorELNS0_4arch9wavefront6targetE1EEEvT1_,@function
_ZN7rocprim17ROCPRIM_400000_NS6detail17trampoline_kernelINS0_14default_configENS1_20scan_config_selectorIdEEZZNS1_9scan_implILNS1_25lookback_scan_determinismE0ELb0ELb0ES3_PKdPddZZZN2at6native31launch_logcumsumexp_cuda_kernelERKNSB_10TensorBaseESF_lENKUlvE_clEvENKUlvE_clEvEUlddE_dEEDaPvRmT3_T4_T5_mT6_P12ihipStream_tbENKUlT_T0_E_clISt17integral_constantIbLb1EESV_IbLb0EEEEDaSR_SS_EUlSR_E0_NS1_11comp_targetILNS1_3genE3ELNS1_11target_archE908ELNS1_3gpuE7ELNS1_3repE0EEENS1_30default_config_static_selectorELNS0_4arch9wavefront6targetE1EEEvT1_: ; @_ZN7rocprim17ROCPRIM_400000_NS6detail17trampoline_kernelINS0_14default_configENS1_20scan_config_selectorIdEEZZNS1_9scan_implILNS1_25lookback_scan_determinismE0ELb0ELb0ES3_PKdPddZZZN2at6native31launch_logcumsumexp_cuda_kernelERKNSB_10TensorBaseESF_lENKUlvE_clEvENKUlvE_clEvEUlddE_dEEDaPvRmT3_T4_T5_mT6_P12ihipStream_tbENKUlT_T0_E_clISt17integral_constantIbLb1EESV_IbLb0EEEEDaSR_SS_EUlSR_E0_NS1_11comp_targetILNS1_3genE3ELNS1_11target_archE908ELNS1_3gpuE7ELNS1_3repE0EEENS1_30default_config_static_selectorELNS0_4arch9wavefront6targetE1EEEvT1_
; %bb.0:
	.section	.rodata,"a",@progbits
	.p2align	6, 0x0
	.amdhsa_kernel _ZN7rocprim17ROCPRIM_400000_NS6detail17trampoline_kernelINS0_14default_configENS1_20scan_config_selectorIdEEZZNS1_9scan_implILNS1_25lookback_scan_determinismE0ELb0ELb0ES3_PKdPddZZZN2at6native31launch_logcumsumexp_cuda_kernelERKNSB_10TensorBaseESF_lENKUlvE_clEvENKUlvE_clEvEUlddE_dEEDaPvRmT3_T4_T5_mT6_P12ihipStream_tbENKUlT_T0_E_clISt17integral_constantIbLb1EESV_IbLb0EEEEDaSR_SS_EUlSR_E0_NS1_11comp_targetILNS1_3genE3ELNS1_11target_archE908ELNS1_3gpuE7ELNS1_3repE0EEENS1_30default_config_static_selectorELNS0_4arch9wavefront6targetE1EEEvT1_
		.amdhsa_group_segment_fixed_size 0
		.amdhsa_private_segment_fixed_size 0
		.amdhsa_kernarg_size 40
		.amdhsa_user_sgpr_count 2
		.amdhsa_user_sgpr_dispatch_ptr 0
		.amdhsa_user_sgpr_queue_ptr 0
		.amdhsa_user_sgpr_kernarg_segment_ptr 1
		.amdhsa_user_sgpr_dispatch_id 0
		.amdhsa_user_sgpr_kernarg_preload_length 0
		.amdhsa_user_sgpr_kernarg_preload_offset 0
		.amdhsa_user_sgpr_private_segment_size 0
		.amdhsa_uses_dynamic_stack 0
		.amdhsa_enable_private_segment 0
		.amdhsa_system_sgpr_workgroup_id_x 1
		.amdhsa_system_sgpr_workgroup_id_y 0
		.amdhsa_system_sgpr_workgroup_id_z 0
		.amdhsa_system_sgpr_workgroup_info 0
		.amdhsa_system_vgpr_workitem_id 0
		.amdhsa_next_free_vgpr 1
		.amdhsa_next_free_sgpr 0
		.amdhsa_accum_offset 4
		.amdhsa_reserve_vcc 0
		.amdhsa_float_round_mode_32 0
		.amdhsa_float_round_mode_16_64 0
		.amdhsa_float_denorm_mode_32 3
		.amdhsa_float_denorm_mode_16_64 3
		.amdhsa_dx10_clamp 1
		.amdhsa_ieee_mode 1
		.amdhsa_fp16_overflow 0
		.amdhsa_tg_split 0
		.amdhsa_exception_fp_ieee_invalid_op 0
		.amdhsa_exception_fp_denorm_src 0
		.amdhsa_exception_fp_ieee_div_zero 0
		.amdhsa_exception_fp_ieee_overflow 0
		.amdhsa_exception_fp_ieee_underflow 0
		.amdhsa_exception_fp_ieee_inexact 0
		.amdhsa_exception_int_div_zero 0
	.end_amdhsa_kernel
	.section	.text._ZN7rocprim17ROCPRIM_400000_NS6detail17trampoline_kernelINS0_14default_configENS1_20scan_config_selectorIdEEZZNS1_9scan_implILNS1_25lookback_scan_determinismE0ELb0ELb0ES3_PKdPddZZZN2at6native31launch_logcumsumexp_cuda_kernelERKNSB_10TensorBaseESF_lENKUlvE_clEvENKUlvE_clEvEUlddE_dEEDaPvRmT3_T4_T5_mT6_P12ihipStream_tbENKUlT_T0_E_clISt17integral_constantIbLb1EESV_IbLb0EEEEDaSR_SS_EUlSR_E0_NS1_11comp_targetILNS1_3genE3ELNS1_11target_archE908ELNS1_3gpuE7ELNS1_3repE0EEENS1_30default_config_static_selectorELNS0_4arch9wavefront6targetE1EEEvT1_,"axG",@progbits,_ZN7rocprim17ROCPRIM_400000_NS6detail17trampoline_kernelINS0_14default_configENS1_20scan_config_selectorIdEEZZNS1_9scan_implILNS1_25lookback_scan_determinismE0ELb0ELb0ES3_PKdPddZZZN2at6native31launch_logcumsumexp_cuda_kernelERKNSB_10TensorBaseESF_lENKUlvE_clEvENKUlvE_clEvEUlddE_dEEDaPvRmT3_T4_T5_mT6_P12ihipStream_tbENKUlT_T0_E_clISt17integral_constantIbLb1EESV_IbLb0EEEEDaSR_SS_EUlSR_E0_NS1_11comp_targetILNS1_3genE3ELNS1_11target_archE908ELNS1_3gpuE7ELNS1_3repE0EEENS1_30default_config_static_selectorELNS0_4arch9wavefront6targetE1EEEvT1_,comdat
.Lfunc_end59:
	.size	_ZN7rocprim17ROCPRIM_400000_NS6detail17trampoline_kernelINS0_14default_configENS1_20scan_config_selectorIdEEZZNS1_9scan_implILNS1_25lookback_scan_determinismE0ELb0ELb0ES3_PKdPddZZZN2at6native31launch_logcumsumexp_cuda_kernelERKNSB_10TensorBaseESF_lENKUlvE_clEvENKUlvE_clEvEUlddE_dEEDaPvRmT3_T4_T5_mT6_P12ihipStream_tbENKUlT_T0_E_clISt17integral_constantIbLb1EESV_IbLb0EEEEDaSR_SS_EUlSR_E0_NS1_11comp_targetILNS1_3genE3ELNS1_11target_archE908ELNS1_3gpuE7ELNS1_3repE0EEENS1_30default_config_static_selectorELNS0_4arch9wavefront6targetE1EEEvT1_, .Lfunc_end59-_ZN7rocprim17ROCPRIM_400000_NS6detail17trampoline_kernelINS0_14default_configENS1_20scan_config_selectorIdEEZZNS1_9scan_implILNS1_25lookback_scan_determinismE0ELb0ELb0ES3_PKdPddZZZN2at6native31launch_logcumsumexp_cuda_kernelERKNSB_10TensorBaseESF_lENKUlvE_clEvENKUlvE_clEvEUlddE_dEEDaPvRmT3_T4_T5_mT6_P12ihipStream_tbENKUlT_T0_E_clISt17integral_constantIbLb1EESV_IbLb0EEEEDaSR_SS_EUlSR_E0_NS1_11comp_targetILNS1_3genE3ELNS1_11target_archE908ELNS1_3gpuE7ELNS1_3repE0EEENS1_30default_config_static_selectorELNS0_4arch9wavefront6targetE1EEEvT1_
                                        ; -- End function
	.set _ZN7rocprim17ROCPRIM_400000_NS6detail17trampoline_kernelINS0_14default_configENS1_20scan_config_selectorIdEEZZNS1_9scan_implILNS1_25lookback_scan_determinismE0ELb0ELb0ES3_PKdPddZZZN2at6native31launch_logcumsumexp_cuda_kernelERKNSB_10TensorBaseESF_lENKUlvE_clEvENKUlvE_clEvEUlddE_dEEDaPvRmT3_T4_T5_mT6_P12ihipStream_tbENKUlT_T0_E_clISt17integral_constantIbLb1EESV_IbLb0EEEEDaSR_SS_EUlSR_E0_NS1_11comp_targetILNS1_3genE3ELNS1_11target_archE908ELNS1_3gpuE7ELNS1_3repE0EEENS1_30default_config_static_selectorELNS0_4arch9wavefront6targetE1EEEvT1_.num_vgpr, 0
	.set _ZN7rocprim17ROCPRIM_400000_NS6detail17trampoline_kernelINS0_14default_configENS1_20scan_config_selectorIdEEZZNS1_9scan_implILNS1_25lookback_scan_determinismE0ELb0ELb0ES3_PKdPddZZZN2at6native31launch_logcumsumexp_cuda_kernelERKNSB_10TensorBaseESF_lENKUlvE_clEvENKUlvE_clEvEUlddE_dEEDaPvRmT3_T4_T5_mT6_P12ihipStream_tbENKUlT_T0_E_clISt17integral_constantIbLb1EESV_IbLb0EEEEDaSR_SS_EUlSR_E0_NS1_11comp_targetILNS1_3genE3ELNS1_11target_archE908ELNS1_3gpuE7ELNS1_3repE0EEENS1_30default_config_static_selectorELNS0_4arch9wavefront6targetE1EEEvT1_.num_agpr, 0
	.set _ZN7rocprim17ROCPRIM_400000_NS6detail17trampoline_kernelINS0_14default_configENS1_20scan_config_selectorIdEEZZNS1_9scan_implILNS1_25lookback_scan_determinismE0ELb0ELb0ES3_PKdPddZZZN2at6native31launch_logcumsumexp_cuda_kernelERKNSB_10TensorBaseESF_lENKUlvE_clEvENKUlvE_clEvEUlddE_dEEDaPvRmT3_T4_T5_mT6_P12ihipStream_tbENKUlT_T0_E_clISt17integral_constantIbLb1EESV_IbLb0EEEEDaSR_SS_EUlSR_E0_NS1_11comp_targetILNS1_3genE3ELNS1_11target_archE908ELNS1_3gpuE7ELNS1_3repE0EEENS1_30default_config_static_selectorELNS0_4arch9wavefront6targetE1EEEvT1_.numbered_sgpr, 0
	.set _ZN7rocprim17ROCPRIM_400000_NS6detail17trampoline_kernelINS0_14default_configENS1_20scan_config_selectorIdEEZZNS1_9scan_implILNS1_25lookback_scan_determinismE0ELb0ELb0ES3_PKdPddZZZN2at6native31launch_logcumsumexp_cuda_kernelERKNSB_10TensorBaseESF_lENKUlvE_clEvENKUlvE_clEvEUlddE_dEEDaPvRmT3_T4_T5_mT6_P12ihipStream_tbENKUlT_T0_E_clISt17integral_constantIbLb1EESV_IbLb0EEEEDaSR_SS_EUlSR_E0_NS1_11comp_targetILNS1_3genE3ELNS1_11target_archE908ELNS1_3gpuE7ELNS1_3repE0EEENS1_30default_config_static_selectorELNS0_4arch9wavefront6targetE1EEEvT1_.num_named_barrier, 0
	.set _ZN7rocprim17ROCPRIM_400000_NS6detail17trampoline_kernelINS0_14default_configENS1_20scan_config_selectorIdEEZZNS1_9scan_implILNS1_25lookback_scan_determinismE0ELb0ELb0ES3_PKdPddZZZN2at6native31launch_logcumsumexp_cuda_kernelERKNSB_10TensorBaseESF_lENKUlvE_clEvENKUlvE_clEvEUlddE_dEEDaPvRmT3_T4_T5_mT6_P12ihipStream_tbENKUlT_T0_E_clISt17integral_constantIbLb1EESV_IbLb0EEEEDaSR_SS_EUlSR_E0_NS1_11comp_targetILNS1_3genE3ELNS1_11target_archE908ELNS1_3gpuE7ELNS1_3repE0EEENS1_30default_config_static_selectorELNS0_4arch9wavefront6targetE1EEEvT1_.private_seg_size, 0
	.set _ZN7rocprim17ROCPRIM_400000_NS6detail17trampoline_kernelINS0_14default_configENS1_20scan_config_selectorIdEEZZNS1_9scan_implILNS1_25lookback_scan_determinismE0ELb0ELb0ES3_PKdPddZZZN2at6native31launch_logcumsumexp_cuda_kernelERKNSB_10TensorBaseESF_lENKUlvE_clEvENKUlvE_clEvEUlddE_dEEDaPvRmT3_T4_T5_mT6_P12ihipStream_tbENKUlT_T0_E_clISt17integral_constantIbLb1EESV_IbLb0EEEEDaSR_SS_EUlSR_E0_NS1_11comp_targetILNS1_3genE3ELNS1_11target_archE908ELNS1_3gpuE7ELNS1_3repE0EEENS1_30default_config_static_selectorELNS0_4arch9wavefront6targetE1EEEvT1_.uses_vcc, 0
	.set _ZN7rocprim17ROCPRIM_400000_NS6detail17trampoline_kernelINS0_14default_configENS1_20scan_config_selectorIdEEZZNS1_9scan_implILNS1_25lookback_scan_determinismE0ELb0ELb0ES3_PKdPddZZZN2at6native31launch_logcumsumexp_cuda_kernelERKNSB_10TensorBaseESF_lENKUlvE_clEvENKUlvE_clEvEUlddE_dEEDaPvRmT3_T4_T5_mT6_P12ihipStream_tbENKUlT_T0_E_clISt17integral_constantIbLb1EESV_IbLb0EEEEDaSR_SS_EUlSR_E0_NS1_11comp_targetILNS1_3genE3ELNS1_11target_archE908ELNS1_3gpuE7ELNS1_3repE0EEENS1_30default_config_static_selectorELNS0_4arch9wavefront6targetE1EEEvT1_.uses_flat_scratch, 0
	.set _ZN7rocprim17ROCPRIM_400000_NS6detail17trampoline_kernelINS0_14default_configENS1_20scan_config_selectorIdEEZZNS1_9scan_implILNS1_25lookback_scan_determinismE0ELb0ELb0ES3_PKdPddZZZN2at6native31launch_logcumsumexp_cuda_kernelERKNSB_10TensorBaseESF_lENKUlvE_clEvENKUlvE_clEvEUlddE_dEEDaPvRmT3_T4_T5_mT6_P12ihipStream_tbENKUlT_T0_E_clISt17integral_constantIbLb1EESV_IbLb0EEEEDaSR_SS_EUlSR_E0_NS1_11comp_targetILNS1_3genE3ELNS1_11target_archE908ELNS1_3gpuE7ELNS1_3repE0EEENS1_30default_config_static_selectorELNS0_4arch9wavefront6targetE1EEEvT1_.has_dyn_sized_stack, 0
	.set _ZN7rocprim17ROCPRIM_400000_NS6detail17trampoline_kernelINS0_14default_configENS1_20scan_config_selectorIdEEZZNS1_9scan_implILNS1_25lookback_scan_determinismE0ELb0ELb0ES3_PKdPddZZZN2at6native31launch_logcumsumexp_cuda_kernelERKNSB_10TensorBaseESF_lENKUlvE_clEvENKUlvE_clEvEUlddE_dEEDaPvRmT3_T4_T5_mT6_P12ihipStream_tbENKUlT_T0_E_clISt17integral_constantIbLb1EESV_IbLb0EEEEDaSR_SS_EUlSR_E0_NS1_11comp_targetILNS1_3genE3ELNS1_11target_archE908ELNS1_3gpuE7ELNS1_3repE0EEENS1_30default_config_static_selectorELNS0_4arch9wavefront6targetE1EEEvT1_.has_recursion, 0
	.set _ZN7rocprim17ROCPRIM_400000_NS6detail17trampoline_kernelINS0_14default_configENS1_20scan_config_selectorIdEEZZNS1_9scan_implILNS1_25lookback_scan_determinismE0ELb0ELb0ES3_PKdPddZZZN2at6native31launch_logcumsumexp_cuda_kernelERKNSB_10TensorBaseESF_lENKUlvE_clEvENKUlvE_clEvEUlddE_dEEDaPvRmT3_T4_T5_mT6_P12ihipStream_tbENKUlT_T0_E_clISt17integral_constantIbLb1EESV_IbLb0EEEEDaSR_SS_EUlSR_E0_NS1_11comp_targetILNS1_3genE3ELNS1_11target_archE908ELNS1_3gpuE7ELNS1_3repE0EEENS1_30default_config_static_selectorELNS0_4arch9wavefront6targetE1EEEvT1_.has_indirect_call, 0
	.section	.AMDGPU.csdata,"",@progbits
; Kernel info:
; codeLenInByte = 0
; TotalNumSgprs: 6
; NumVgprs: 0
; NumAgprs: 0
; TotalNumVgprs: 0
; ScratchSize: 0
; MemoryBound: 0
; FloatMode: 240
; IeeeMode: 1
; LDSByteSize: 0 bytes/workgroup (compile time only)
; SGPRBlocks: 0
; VGPRBlocks: 0
; NumSGPRsForWavesPerEU: 6
; NumVGPRsForWavesPerEU: 1
; AccumOffset: 4
; Occupancy: 8
; WaveLimiterHint : 0
; COMPUTE_PGM_RSRC2:SCRATCH_EN: 0
; COMPUTE_PGM_RSRC2:USER_SGPR: 2
; COMPUTE_PGM_RSRC2:TRAP_HANDLER: 0
; COMPUTE_PGM_RSRC2:TGID_X_EN: 1
; COMPUTE_PGM_RSRC2:TGID_Y_EN: 0
; COMPUTE_PGM_RSRC2:TGID_Z_EN: 0
; COMPUTE_PGM_RSRC2:TIDIG_COMP_CNT: 0
; COMPUTE_PGM_RSRC3_GFX90A:ACCUM_OFFSET: 0
; COMPUTE_PGM_RSRC3_GFX90A:TG_SPLIT: 0
	.section	.text._ZN7rocprim17ROCPRIM_400000_NS6detail17trampoline_kernelINS0_14default_configENS1_20scan_config_selectorIdEEZZNS1_9scan_implILNS1_25lookback_scan_determinismE0ELb0ELb0ES3_PKdPddZZZN2at6native31launch_logcumsumexp_cuda_kernelERKNSB_10TensorBaseESF_lENKUlvE_clEvENKUlvE_clEvEUlddE_dEEDaPvRmT3_T4_T5_mT6_P12ihipStream_tbENKUlT_T0_E_clISt17integral_constantIbLb1EESV_IbLb0EEEEDaSR_SS_EUlSR_E0_NS1_11comp_targetILNS1_3genE2ELNS1_11target_archE906ELNS1_3gpuE6ELNS1_3repE0EEENS1_30default_config_static_selectorELNS0_4arch9wavefront6targetE1EEEvT1_,"axG",@progbits,_ZN7rocprim17ROCPRIM_400000_NS6detail17trampoline_kernelINS0_14default_configENS1_20scan_config_selectorIdEEZZNS1_9scan_implILNS1_25lookback_scan_determinismE0ELb0ELb0ES3_PKdPddZZZN2at6native31launch_logcumsumexp_cuda_kernelERKNSB_10TensorBaseESF_lENKUlvE_clEvENKUlvE_clEvEUlddE_dEEDaPvRmT3_T4_T5_mT6_P12ihipStream_tbENKUlT_T0_E_clISt17integral_constantIbLb1EESV_IbLb0EEEEDaSR_SS_EUlSR_E0_NS1_11comp_targetILNS1_3genE2ELNS1_11target_archE906ELNS1_3gpuE6ELNS1_3repE0EEENS1_30default_config_static_selectorELNS0_4arch9wavefront6targetE1EEEvT1_,comdat
	.globl	_ZN7rocprim17ROCPRIM_400000_NS6detail17trampoline_kernelINS0_14default_configENS1_20scan_config_selectorIdEEZZNS1_9scan_implILNS1_25lookback_scan_determinismE0ELb0ELb0ES3_PKdPddZZZN2at6native31launch_logcumsumexp_cuda_kernelERKNSB_10TensorBaseESF_lENKUlvE_clEvENKUlvE_clEvEUlddE_dEEDaPvRmT3_T4_T5_mT6_P12ihipStream_tbENKUlT_T0_E_clISt17integral_constantIbLb1EESV_IbLb0EEEEDaSR_SS_EUlSR_E0_NS1_11comp_targetILNS1_3genE2ELNS1_11target_archE906ELNS1_3gpuE6ELNS1_3repE0EEENS1_30default_config_static_selectorELNS0_4arch9wavefront6targetE1EEEvT1_ ; -- Begin function _ZN7rocprim17ROCPRIM_400000_NS6detail17trampoline_kernelINS0_14default_configENS1_20scan_config_selectorIdEEZZNS1_9scan_implILNS1_25lookback_scan_determinismE0ELb0ELb0ES3_PKdPddZZZN2at6native31launch_logcumsumexp_cuda_kernelERKNSB_10TensorBaseESF_lENKUlvE_clEvENKUlvE_clEvEUlddE_dEEDaPvRmT3_T4_T5_mT6_P12ihipStream_tbENKUlT_T0_E_clISt17integral_constantIbLb1EESV_IbLb0EEEEDaSR_SS_EUlSR_E0_NS1_11comp_targetILNS1_3genE2ELNS1_11target_archE906ELNS1_3gpuE6ELNS1_3repE0EEENS1_30default_config_static_selectorELNS0_4arch9wavefront6targetE1EEEvT1_
	.p2align	8
	.type	_ZN7rocprim17ROCPRIM_400000_NS6detail17trampoline_kernelINS0_14default_configENS1_20scan_config_selectorIdEEZZNS1_9scan_implILNS1_25lookback_scan_determinismE0ELb0ELb0ES3_PKdPddZZZN2at6native31launch_logcumsumexp_cuda_kernelERKNSB_10TensorBaseESF_lENKUlvE_clEvENKUlvE_clEvEUlddE_dEEDaPvRmT3_T4_T5_mT6_P12ihipStream_tbENKUlT_T0_E_clISt17integral_constantIbLb1EESV_IbLb0EEEEDaSR_SS_EUlSR_E0_NS1_11comp_targetILNS1_3genE2ELNS1_11target_archE906ELNS1_3gpuE6ELNS1_3repE0EEENS1_30default_config_static_selectorELNS0_4arch9wavefront6targetE1EEEvT1_,@function
_ZN7rocprim17ROCPRIM_400000_NS6detail17trampoline_kernelINS0_14default_configENS1_20scan_config_selectorIdEEZZNS1_9scan_implILNS1_25lookback_scan_determinismE0ELb0ELb0ES3_PKdPddZZZN2at6native31launch_logcumsumexp_cuda_kernelERKNSB_10TensorBaseESF_lENKUlvE_clEvENKUlvE_clEvEUlddE_dEEDaPvRmT3_T4_T5_mT6_P12ihipStream_tbENKUlT_T0_E_clISt17integral_constantIbLb1EESV_IbLb0EEEEDaSR_SS_EUlSR_E0_NS1_11comp_targetILNS1_3genE2ELNS1_11target_archE906ELNS1_3gpuE6ELNS1_3repE0EEENS1_30default_config_static_selectorELNS0_4arch9wavefront6targetE1EEEvT1_: ; @_ZN7rocprim17ROCPRIM_400000_NS6detail17trampoline_kernelINS0_14default_configENS1_20scan_config_selectorIdEEZZNS1_9scan_implILNS1_25lookback_scan_determinismE0ELb0ELb0ES3_PKdPddZZZN2at6native31launch_logcumsumexp_cuda_kernelERKNSB_10TensorBaseESF_lENKUlvE_clEvENKUlvE_clEvEUlddE_dEEDaPvRmT3_T4_T5_mT6_P12ihipStream_tbENKUlT_T0_E_clISt17integral_constantIbLb1EESV_IbLb0EEEEDaSR_SS_EUlSR_E0_NS1_11comp_targetILNS1_3genE2ELNS1_11target_archE906ELNS1_3gpuE6ELNS1_3repE0EEENS1_30default_config_static_selectorELNS0_4arch9wavefront6targetE1EEEvT1_
; %bb.0:
	.section	.rodata,"a",@progbits
	.p2align	6, 0x0
	.amdhsa_kernel _ZN7rocprim17ROCPRIM_400000_NS6detail17trampoline_kernelINS0_14default_configENS1_20scan_config_selectorIdEEZZNS1_9scan_implILNS1_25lookback_scan_determinismE0ELb0ELb0ES3_PKdPddZZZN2at6native31launch_logcumsumexp_cuda_kernelERKNSB_10TensorBaseESF_lENKUlvE_clEvENKUlvE_clEvEUlddE_dEEDaPvRmT3_T4_T5_mT6_P12ihipStream_tbENKUlT_T0_E_clISt17integral_constantIbLb1EESV_IbLb0EEEEDaSR_SS_EUlSR_E0_NS1_11comp_targetILNS1_3genE2ELNS1_11target_archE906ELNS1_3gpuE6ELNS1_3repE0EEENS1_30default_config_static_selectorELNS0_4arch9wavefront6targetE1EEEvT1_
		.amdhsa_group_segment_fixed_size 0
		.amdhsa_private_segment_fixed_size 0
		.amdhsa_kernarg_size 40
		.amdhsa_user_sgpr_count 2
		.amdhsa_user_sgpr_dispatch_ptr 0
		.amdhsa_user_sgpr_queue_ptr 0
		.amdhsa_user_sgpr_kernarg_segment_ptr 1
		.amdhsa_user_sgpr_dispatch_id 0
		.amdhsa_user_sgpr_kernarg_preload_length 0
		.amdhsa_user_sgpr_kernarg_preload_offset 0
		.amdhsa_user_sgpr_private_segment_size 0
		.amdhsa_uses_dynamic_stack 0
		.amdhsa_enable_private_segment 0
		.amdhsa_system_sgpr_workgroup_id_x 1
		.amdhsa_system_sgpr_workgroup_id_y 0
		.amdhsa_system_sgpr_workgroup_id_z 0
		.amdhsa_system_sgpr_workgroup_info 0
		.amdhsa_system_vgpr_workitem_id 0
		.amdhsa_next_free_vgpr 1
		.amdhsa_next_free_sgpr 0
		.amdhsa_accum_offset 4
		.amdhsa_reserve_vcc 0
		.amdhsa_float_round_mode_32 0
		.amdhsa_float_round_mode_16_64 0
		.amdhsa_float_denorm_mode_32 3
		.amdhsa_float_denorm_mode_16_64 3
		.amdhsa_dx10_clamp 1
		.amdhsa_ieee_mode 1
		.amdhsa_fp16_overflow 0
		.amdhsa_tg_split 0
		.amdhsa_exception_fp_ieee_invalid_op 0
		.amdhsa_exception_fp_denorm_src 0
		.amdhsa_exception_fp_ieee_div_zero 0
		.amdhsa_exception_fp_ieee_overflow 0
		.amdhsa_exception_fp_ieee_underflow 0
		.amdhsa_exception_fp_ieee_inexact 0
		.amdhsa_exception_int_div_zero 0
	.end_amdhsa_kernel
	.section	.text._ZN7rocprim17ROCPRIM_400000_NS6detail17trampoline_kernelINS0_14default_configENS1_20scan_config_selectorIdEEZZNS1_9scan_implILNS1_25lookback_scan_determinismE0ELb0ELb0ES3_PKdPddZZZN2at6native31launch_logcumsumexp_cuda_kernelERKNSB_10TensorBaseESF_lENKUlvE_clEvENKUlvE_clEvEUlddE_dEEDaPvRmT3_T4_T5_mT6_P12ihipStream_tbENKUlT_T0_E_clISt17integral_constantIbLb1EESV_IbLb0EEEEDaSR_SS_EUlSR_E0_NS1_11comp_targetILNS1_3genE2ELNS1_11target_archE906ELNS1_3gpuE6ELNS1_3repE0EEENS1_30default_config_static_selectorELNS0_4arch9wavefront6targetE1EEEvT1_,"axG",@progbits,_ZN7rocprim17ROCPRIM_400000_NS6detail17trampoline_kernelINS0_14default_configENS1_20scan_config_selectorIdEEZZNS1_9scan_implILNS1_25lookback_scan_determinismE0ELb0ELb0ES3_PKdPddZZZN2at6native31launch_logcumsumexp_cuda_kernelERKNSB_10TensorBaseESF_lENKUlvE_clEvENKUlvE_clEvEUlddE_dEEDaPvRmT3_T4_T5_mT6_P12ihipStream_tbENKUlT_T0_E_clISt17integral_constantIbLb1EESV_IbLb0EEEEDaSR_SS_EUlSR_E0_NS1_11comp_targetILNS1_3genE2ELNS1_11target_archE906ELNS1_3gpuE6ELNS1_3repE0EEENS1_30default_config_static_selectorELNS0_4arch9wavefront6targetE1EEEvT1_,comdat
.Lfunc_end60:
	.size	_ZN7rocprim17ROCPRIM_400000_NS6detail17trampoline_kernelINS0_14default_configENS1_20scan_config_selectorIdEEZZNS1_9scan_implILNS1_25lookback_scan_determinismE0ELb0ELb0ES3_PKdPddZZZN2at6native31launch_logcumsumexp_cuda_kernelERKNSB_10TensorBaseESF_lENKUlvE_clEvENKUlvE_clEvEUlddE_dEEDaPvRmT3_T4_T5_mT6_P12ihipStream_tbENKUlT_T0_E_clISt17integral_constantIbLb1EESV_IbLb0EEEEDaSR_SS_EUlSR_E0_NS1_11comp_targetILNS1_3genE2ELNS1_11target_archE906ELNS1_3gpuE6ELNS1_3repE0EEENS1_30default_config_static_selectorELNS0_4arch9wavefront6targetE1EEEvT1_, .Lfunc_end60-_ZN7rocprim17ROCPRIM_400000_NS6detail17trampoline_kernelINS0_14default_configENS1_20scan_config_selectorIdEEZZNS1_9scan_implILNS1_25lookback_scan_determinismE0ELb0ELb0ES3_PKdPddZZZN2at6native31launch_logcumsumexp_cuda_kernelERKNSB_10TensorBaseESF_lENKUlvE_clEvENKUlvE_clEvEUlddE_dEEDaPvRmT3_T4_T5_mT6_P12ihipStream_tbENKUlT_T0_E_clISt17integral_constantIbLb1EESV_IbLb0EEEEDaSR_SS_EUlSR_E0_NS1_11comp_targetILNS1_3genE2ELNS1_11target_archE906ELNS1_3gpuE6ELNS1_3repE0EEENS1_30default_config_static_selectorELNS0_4arch9wavefront6targetE1EEEvT1_
                                        ; -- End function
	.set _ZN7rocprim17ROCPRIM_400000_NS6detail17trampoline_kernelINS0_14default_configENS1_20scan_config_selectorIdEEZZNS1_9scan_implILNS1_25lookback_scan_determinismE0ELb0ELb0ES3_PKdPddZZZN2at6native31launch_logcumsumexp_cuda_kernelERKNSB_10TensorBaseESF_lENKUlvE_clEvENKUlvE_clEvEUlddE_dEEDaPvRmT3_T4_T5_mT6_P12ihipStream_tbENKUlT_T0_E_clISt17integral_constantIbLb1EESV_IbLb0EEEEDaSR_SS_EUlSR_E0_NS1_11comp_targetILNS1_3genE2ELNS1_11target_archE906ELNS1_3gpuE6ELNS1_3repE0EEENS1_30default_config_static_selectorELNS0_4arch9wavefront6targetE1EEEvT1_.num_vgpr, 0
	.set _ZN7rocprim17ROCPRIM_400000_NS6detail17trampoline_kernelINS0_14default_configENS1_20scan_config_selectorIdEEZZNS1_9scan_implILNS1_25lookback_scan_determinismE0ELb0ELb0ES3_PKdPddZZZN2at6native31launch_logcumsumexp_cuda_kernelERKNSB_10TensorBaseESF_lENKUlvE_clEvENKUlvE_clEvEUlddE_dEEDaPvRmT3_T4_T5_mT6_P12ihipStream_tbENKUlT_T0_E_clISt17integral_constantIbLb1EESV_IbLb0EEEEDaSR_SS_EUlSR_E0_NS1_11comp_targetILNS1_3genE2ELNS1_11target_archE906ELNS1_3gpuE6ELNS1_3repE0EEENS1_30default_config_static_selectorELNS0_4arch9wavefront6targetE1EEEvT1_.num_agpr, 0
	.set _ZN7rocprim17ROCPRIM_400000_NS6detail17trampoline_kernelINS0_14default_configENS1_20scan_config_selectorIdEEZZNS1_9scan_implILNS1_25lookback_scan_determinismE0ELb0ELb0ES3_PKdPddZZZN2at6native31launch_logcumsumexp_cuda_kernelERKNSB_10TensorBaseESF_lENKUlvE_clEvENKUlvE_clEvEUlddE_dEEDaPvRmT3_T4_T5_mT6_P12ihipStream_tbENKUlT_T0_E_clISt17integral_constantIbLb1EESV_IbLb0EEEEDaSR_SS_EUlSR_E0_NS1_11comp_targetILNS1_3genE2ELNS1_11target_archE906ELNS1_3gpuE6ELNS1_3repE0EEENS1_30default_config_static_selectorELNS0_4arch9wavefront6targetE1EEEvT1_.numbered_sgpr, 0
	.set _ZN7rocprim17ROCPRIM_400000_NS6detail17trampoline_kernelINS0_14default_configENS1_20scan_config_selectorIdEEZZNS1_9scan_implILNS1_25lookback_scan_determinismE0ELb0ELb0ES3_PKdPddZZZN2at6native31launch_logcumsumexp_cuda_kernelERKNSB_10TensorBaseESF_lENKUlvE_clEvENKUlvE_clEvEUlddE_dEEDaPvRmT3_T4_T5_mT6_P12ihipStream_tbENKUlT_T0_E_clISt17integral_constantIbLb1EESV_IbLb0EEEEDaSR_SS_EUlSR_E0_NS1_11comp_targetILNS1_3genE2ELNS1_11target_archE906ELNS1_3gpuE6ELNS1_3repE0EEENS1_30default_config_static_selectorELNS0_4arch9wavefront6targetE1EEEvT1_.num_named_barrier, 0
	.set _ZN7rocprim17ROCPRIM_400000_NS6detail17trampoline_kernelINS0_14default_configENS1_20scan_config_selectorIdEEZZNS1_9scan_implILNS1_25lookback_scan_determinismE0ELb0ELb0ES3_PKdPddZZZN2at6native31launch_logcumsumexp_cuda_kernelERKNSB_10TensorBaseESF_lENKUlvE_clEvENKUlvE_clEvEUlddE_dEEDaPvRmT3_T4_T5_mT6_P12ihipStream_tbENKUlT_T0_E_clISt17integral_constantIbLb1EESV_IbLb0EEEEDaSR_SS_EUlSR_E0_NS1_11comp_targetILNS1_3genE2ELNS1_11target_archE906ELNS1_3gpuE6ELNS1_3repE0EEENS1_30default_config_static_selectorELNS0_4arch9wavefront6targetE1EEEvT1_.private_seg_size, 0
	.set _ZN7rocprim17ROCPRIM_400000_NS6detail17trampoline_kernelINS0_14default_configENS1_20scan_config_selectorIdEEZZNS1_9scan_implILNS1_25lookback_scan_determinismE0ELb0ELb0ES3_PKdPddZZZN2at6native31launch_logcumsumexp_cuda_kernelERKNSB_10TensorBaseESF_lENKUlvE_clEvENKUlvE_clEvEUlddE_dEEDaPvRmT3_T4_T5_mT6_P12ihipStream_tbENKUlT_T0_E_clISt17integral_constantIbLb1EESV_IbLb0EEEEDaSR_SS_EUlSR_E0_NS1_11comp_targetILNS1_3genE2ELNS1_11target_archE906ELNS1_3gpuE6ELNS1_3repE0EEENS1_30default_config_static_selectorELNS0_4arch9wavefront6targetE1EEEvT1_.uses_vcc, 0
	.set _ZN7rocprim17ROCPRIM_400000_NS6detail17trampoline_kernelINS0_14default_configENS1_20scan_config_selectorIdEEZZNS1_9scan_implILNS1_25lookback_scan_determinismE0ELb0ELb0ES3_PKdPddZZZN2at6native31launch_logcumsumexp_cuda_kernelERKNSB_10TensorBaseESF_lENKUlvE_clEvENKUlvE_clEvEUlddE_dEEDaPvRmT3_T4_T5_mT6_P12ihipStream_tbENKUlT_T0_E_clISt17integral_constantIbLb1EESV_IbLb0EEEEDaSR_SS_EUlSR_E0_NS1_11comp_targetILNS1_3genE2ELNS1_11target_archE906ELNS1_3gpuE6ELNS1_3repE0EEENS1_30default_config_static_selectorELNS0_4arch9wavefront6targetE1EEEvT1_.uses_flat_scratch, 0
	.set _ZN7rocprim17ROCPRIM_400000_NS6detail17trampoline_kernelINS0_14default_configENS1_20scan_config_selectorIdEEZZNS1_9scan_implILNS1_25lookback_scan_determinismE0ELb0ELb0ES3_PKdPddZZZN2at6native31launch_logcumsumexp_cuda_kernelERKNSB_10TensorBaseESF_lENKUlvE_clEvENKUlvE_clEvEUlddE_dEEDaPvRmT3_T4_T5_mT6_P12ihipStream_tbENKUlT_T0_E_clISt17integral_constantIbLb1EESV_IbLb0EEEEDaSR_SS_EUlSR_E0_NS1_11comp_targetILNS1_3genE2ELNS1_11target_archE906ELNS1_3gpuE6ELNS1_3repE0EEENS1_30default_config_static_selectorELNS0_4arch9wavefront6targetE1EEEvT1_.has_dyn_sized_stack, 0
	.set _ZN7rocprim17ROCPRIM_400000_NS6detail17trampoline_kernelINS0_14default_configENS1_20scan_config_selectorIdEEZZNS1_9scan_implILNS1_25lookback_scan_determinismE0ELb0ELb0ES3_PKdPddZZZN2at6native31launch_logcumsumexp_cuda_kernelERKNSB_10TensorBaseESF_lENKUlvE_clEvENKUlvE_clEvEUlddE_dEEDaPvRmT3_T4_T5_mT6_P12ihipStream_tbENKUlT_T0_E_clISt17integral_constantIbLb1EESV_IbLb0EEEEDaSR_SS_EUlSR_E0_NS1_11comp_targetILNS1_3genE2ELNS1_11target_archE906ELNS1_3gpuE6ELNS1_3repE0EEENS1_30default_config_static_selectorELNS0_4arch9wavefront6targetE1EEEvT1_.has_recursion, 0
	.set _ZN7rocprim17ROCPRIM_400000_NS6detail17trampoline_kernelINS0_14default_configENS1_20scan_config_selectorIdEEZZNS1_9scan_implILNS1_25lookback_scan_determinismE0ELb0ELb0ES3_PKdPddZZZN2at6native31launch_logcumsumexp_cuda_kernelERKNSB_10TensorBaseESF_lENKUlvE_clEvENKUlvE_clEvEUlddE_dEEDaPvRmT3_T4_T5_mT6_P12ihipStream_tbENKUlT_T0_E_clISt17integral_constantIbLb1EESV_IbLb0EEEEDaSR_SS_EUlSR_E0_NS1_11comp_targetILNS1_3genE2ELNS1_11target_archE906ELNS1_3gpuE6ELNS1_3repE0EEENS1_30default_config_static_selectorELNS0_4arch9wavefront6targetE1EEEvT1_.has_indirect_call, 0
	.section	.AMDGPU.csdata,"",@progbits
; Kernel info:
; codeLenInByte = 0
; TotalNumSgprs: 6
; NumVgprs: 0
; NumAgprs: 0
; TotalNumVgprs: 0
; ScratchSize: 0
; MemoryBound: 0
; FloatMode: 240
; IeeeMode: 1
; LDSByteSize: 0 bytes/workgroup (compile time only)
; SGPRBlocks: 0
; VGPRBlocks: 0
; NumSGPRsForWavesPerEU: 6
; NumVGPRsForWavesPerEU: 1
; AccumOffset: 4
; Occupancy: 8
; WaveLimiterHint : 0
; COMPUTE_PGM_RSRC2:SCRATCH_EN: 0
; COMPUTE_PGM_RSRC2:USER_SGPR: 2
; COMPUTE_PGM_RSRC2:TRAP_HANDLER: 0
; COMPUTE_PGM_RSRC2:TGID_X_EN: 1
; COMPUTE_PGM_RSRC2:TGID_Y_EN: 0
; COMPUTE_PGM_RSRC2:TGID_Z_EN: 0
; COMPUTE_PGM_RSRC2:TIDIG_COMP_CNT: 0
; COMPUTE_PGM_RSRC3_GFX90A:ACCUM_OFFSET: 0
; COMPUTE_PGM_RSRC3_GFX90A:TG_SPLIT: 0
	.section	.text._ZN7rocprim17ROCPRIM_400000_NS6detail17trampoline_kernelINS0_14default_configENS1_20scan_config_selectorIdEEZZNS1_9scan_implILNS1_25lookback_scan_determinismE0ELb0ELb0ES3_PKdPddZZZN2at6native31launch_logcumsumexp_cuda_kernelERKNSB_10TensorBaseESF_lENKUlvE_clEvENKUlvE_clEvEUlddE_dEEDaPvRmT3_T4_T5_mT6_P12ihipStream_tbENKUlT_T0_E_clISt17integral_constantIbLb1EESV_IbLb0EEEEDaSR_SS_EUlSR_E0_NS1_11comp_targetILNS1_3genE10ELNS1_11target_archE1201ELNS1_3gpuE5ELNS1_3repE0EEENS1_30default_config_static_selectorELNS0_4arch9wavefront6targetE1EEEvT1_,"axG",@progbits,_ZN7rocprim17ROCPRIM_400000_NS6detail17trampoline_kernelINS0_14default_configENS1_20scan_config_selectorIdEEZZNS1_9scan_implILNS1_25lookback_scan_determinismE0ELb0ELb0ES3_PKdPddZZZN2at6native31launch_logcumsumexp_cuda_kernelERKNSB_10TensorBaseESF_lENKUlvE_clEvENKUlvE_clEvEUlddE_dEEDaPvRmT3_T4_T5_mT6_P12ihipStream_tbENKUlT_T0_E_clISt17integral_constantIbLb1EESV_IbLb0EEEEDaSR_SS_EUlSR_E0_NS1_11comp_targetILNS1_3genE10ELNS1_11target_archE1201ELNS1_3gpuE5ELNS1_3repE0EEENS1_30default_config_static_selectorELNS0_4arch9wavefront6targetE1EEEvT1_,comdat
	.globl	_ZN7rocprim17ROCPRIM_400000_NS6detail17trampoline_kernelINS0_14default_configENS1_20scan_config_selectorIdEEZZNS1_9scan_implILNS1_25lookback_scan_determinismE0ELb0ELb0ES3_PKdPddZZZN2at6native31launch_logcumsumexp_cuda_kernelERKNSB_10TensorBaseESF_lENKUlvE_clEvENKUlvE_clEvEUlddE_dEEDaPvRmT3_T4_T5_mT6_P12ihipStream_tbENKUlT_T0_E_clISt17integral_constantIbLb1EESV_IbLb0EEEEDaSR_SS_EUlSR_E0_NS1_11comp_targetILNS1_3genE10ELNS1_11target_archE1201ELNS1_3gpuE5ELNS1_3repE0EEENS1_30default_config_static_selectorELNS0_4arch9wavefront6targetE1EEEvT1_ ; -- Begin function _ZN7rocprim17ROCPRIM_400000_NS6detail17trampoline_kernelINS0_14default_configENS1_20scan_config_selectorIdEEZZNS1_9scan_implILNS1_25lookback_scan_determinismE0ELb0ELb0ES3_PKdPddZZZN2at6native31launch_logcumsumexp_cuda_kernelERKNSB_10TensorBaseESF_lENKUlvE_clEvENKUlvE_clEvEUlddE_dEEDaPvRmT3_T4_T5_mT6_P12ihipStream_tbENKUlT_T0_E_clISt17integral_constantIbLb1EESV_IbLb0EEEEDaSR_SS_EUlSR_E0_NS1_11comp_targetILNS1_3genE10ELNS1_11target_archE1201ELNS1_3gpuE5ELNS1_3repE0EEENS1_30default_config_static_selectorELNS0_4arch9wavefront6targetE1EEEvT1_
	.p2align	8
	.type	_ZN7rocprim17ROCPRIM_400000_NS6detail17trampoline_kernelINS0_14default_configENS1_20scan_config_selectorIdEEZZNS1_9scan_implILNS1_25lookback_scan_determinismE0ELb0ELb0ES3_PKdPddZZZN2at6native31launch_logcumsumexp_cuda_kernelERKNSB_10TensorBaseESF_lENKUlvE_clEvENKUlvE_clEvEUlddE_dEEDaPvRmT3_T4_T5_mT6_P12ihipStream_tbENKUlT_T0_E_clISt17integral_constantIbLb1EESV_IbLb0EEEEDaSR_SS_EUlSR_E0_NS1_11comp_targetILNS1_3genE10ELNS1_11target_archE1201ELNS1_3gpuE5ELNS1_3repE0EEENS1_30default_config_static_selectorELNS0_4arch9wavefront6targetE1EEEvT1_,@function
_ZN7rocprim17ROCPRIM_400000_NS6detail17trampoline_kernelINS0_14default_configENS1_20scan_config_selectorIdEEZZNS1_9scan_implILNS1_25lookback_scan_determinismE0ELb0ELb0ES3_PKdPddZZZN2at6native31launch_logcumsumexp_cuda_kernelERKNSB_10TensorBaseESF_lENKUlvE_clEvENKUlvE_clEvEUlddE_dEEDaPvRmT3_T4_T5_mT6_P12ihipStream_tbENKUlT_T0_E_clISt17integral_constantIbLb1EESV_IbLb0EEEEDaSR_SS_EUlSR_E0_NS1_11comp_targetILNS1_3genE10ELNS1_11target_archE1201ELNS1_3gpuE5ELNS1_3repE0EEENS1_30default_config_static_selectorELNS0_4arch9wavefront6targetE1EEEvT1_: ; @_ZN7rocprim17ROCPRIM_400000_NS6detail17trampoline_kernelINS0_14default_configENS1_20scan_config_selectorIdEEZZNS1_9scan_implILNS1_25lookback_scan_determinismE0ELb0ELb0ES3_PKdPddZZZN2at6native31launch_logcumsumexp_cuda_kernelERKNSB_10TensorBaseESF_lENKUlvE_clEvENKUlvE_clEvEUlddE_dEEDaPvRmT3_T4_T5_mT6_P12ihipStream_tbENKUlT_T0_E_clISt17integral_constantIbLb1EESV_IbLb0EEEEDaSR_SS_EUlSR_E0_NS1_11comp_targetILNS1_3genE10ELNS1_11target_archE1201ELNS1_3gpuE5ELNS1_3repE0EEENS1_30default_config_static_selectorELNS0_4arch9wavefront6targetE1EEEvT1_
; %bb.0:
	.section	.rodata,"a",@progbits
	.p2align	6, 0x0
	.amdhsa_kernel _ZN7rocprim17ROCPRIM_400000_NS6detail17trampoline_kernelINS0_14default_configENS1_20scan_config_selectorIdEEZZNS1_9scan_implILNS1_25lookback_scan_determinismE0ELb0ELb0ES3_PKdPddZZZN2at6native31launch_logcumsumexp_cuda_kernelERKNSB_10TensorBaseESF_lENKUlvE_clEvENKUlvE_clEvEUlddE_dEEDaPvRmT3_T4_T5_mT6_P12ihipStream_tbENKUlT_T0_E_clISt17integral_constantIbLb1EESV_IbLb0EEEEDaSR_SS_EUlSR_E0_NS1_11comp_targetILNS1_3genE10ELNS1_11target_archE1201ELNS1_3gpuE5ELNS1_3repE0EEENS1_30default_config_static_selectorELNS0_4arch9wavefront6targetE1EEEvT1_
		.amdhsa_group_segment_fixed_size 0
		.amdhsa_private_segment_fixed_size 0
		.amdhsa_kernarg_size 40
		.amdhsa_user_sgpr_count 2
		.amdhsa_user_sgpr_dispatch_ptr 0
		.amdhsa_user_sgpr_queue_ptr 0
		.amdhsa_user_sgpr_kernarg_segment_ptr 1
		.amdhsa_user_sgpr_dispatch_id 0
		.amdhsa_user_sgpr_kernarg_preload_length 0
		.amdhsa_user_sgpr_kernarg_preload_offset 0
		.amdhsa_user_sgpr_private_segment_size 0
		.amdhsa_uses_dynamic_stack 0
		.amdhsa_enable_private_segment 0
		.amdhsa_system_sgpr_workgroup_id_x 1
		.amdhsa_system_sgpr_workgroup_id_y 0
		.amdhsa_system_sgpr_workgroup_id_z 0
		.amdhsa_system_sgpr_workgroup_info 0
		.amdhsa_system_vgpr_workitem_id 0
		.amdhsa_next_free_vgpr 1
		.amdhsa_next_free_sgpr 0
		.amdhsa_accum_offset 4
		.amdhsa_reserve_vcc 0
		.amdhsa_float_round_mode_32 0
		.amdhsa_float_round_mode_16_64 0
		.amdhsa_float_denorm_mode_32 3
		.amdhsa_float_denorm_mode_16_64 3
		.amdhsa_dx10_clamp 1
		.amdhsa_ieee_mode 1
		.amdhsa_fp16_overflow 0
		.amdhsa_tg_split 0
		.amdhsa_exception_fp_ieee_invalid_op 0
		.amdhsa_exception_fp_denorm_src 0
		.amdhsa_exception_fp_ieee_div_zero 0
		.amdhsa_exception_fp_ieee_overflow 0
		.amdhsa_exception_fp_ieee_underflow 0
		.amdhsa_exception_fp_ieee_inexact 0
		.amdhsa_exception_int_div_zero 0
	.end_amdhsa_kernel
	.section	.text._ZN7rocprim17ROCPRIM_400000_NS6detail17trampoline_kernelINS0_14default_configENS1_20scan_config_selectorIdEEZZNS1_9scan_implILNS1_25lookback_scan_determinismE0ELb0ELb0ES3_PKdPddZZZN2at6native31launch_logcumsumexp_cuda_kernelERKNSB_10TensorBaseESF_lENKUlvE_clEvENKUlvE_clEvEUlddE_dEEDaPvRmT3_T4_T5_mT6_P12ihipStream_tbENKUlT_T0_E_clISt17integral_constantIbLb1EESV_IbLb0EEEEDaSR_SS_EUlSR_E0_NS1_11comp_targetILNS1_3genE10ELNS1_11target_archE1201ELNS1_3gpuE5ELNS1_3repE0EEENS1_30default_config_static_selectorELNS0_4arch9wavefront6targetE1EEEvT1_,"axG",@progbits,_ZN7rocprim17ROCPRIM_400000_NS6detail17trampoline_kernelINS0_14default_configENS1_20scan_config_selectorIdEEZZNS1_9scan_implILNS1_25lookback_scan_determinismE0ELb0ELb0ES3_PKdPddZZZN2at6native31launch_logcumsumexp_cuda_kernelERKNSB_10TensorBaseESF_lENKUlvE_clEvENKUlvE_clEvEUlddE_dEEDaPvRmT3_T4_T5_mT6_P12ihipStream_tbENKUlT_T0_E_clISt17integral_constantIbLb1EESV_IbLb0EEEEDaSR_SS_EUlSR_E0_NS1_11comp_targetILNS1_3genE10ELNS1_11target_archE1201ELNS1_3gpuE5ELNS1_3repE0EEENS1_30default_config_static_selectorELNS0_4arch9wavefront6targetE1EEEvT1_,comdat
.Lfunc_end61:
	.size	_ZN7rocprim17ROCPRIM_400000_NS6detail17trampoline_kernelINS0_14default_configENS1_20scan_config_selectorIdEEZZNS1_9scan_implILNS1_25lookback_scan_determinismE0ELb0ELb0ES3_PKdPddZZZN2at6native31launch_logcumsumexp_cuda_kernelERKNSB_10TensorBaseESF_lENKUlvE_clEvENKUlvE_clEvEUlddE_dEEDaPvRmT3_T4_T5_mT6_P12ihipStream_tbENKUlT_T0_E_clISt17integral_constantIbLb1EESV_IbLb0EEEEDaSR_SS_EUlSR_E0_NS1_11comp_targetILNS1_3genE10ELNS1_11target_archE1201ELNS1_3gpuE5ELNS1_3repE0EEENS1_30default_config_static_selectorELNS0_4arch9wavefront6targetE1EEEvT1_, .Lfunc_end61-_ZN7rocprim17ROCPRIM_400000_NS6detail17trampoline_kernelINS0_14default_configENS1_20scan_config_selectorIdEEZZNS1_9scan_implILNS1_25lookback_scan_determinismE0ELb0ELb0ES3_PKdPddZZZN2at6native31launch_logcumsumexp_cuda_kernelERKNSB_10TensorBaseESF_lENKUlvE_clEvENKUlvE_clEvEUlddE_dEEDaPvRmT3_T4_T5_mT6_P12ihipStream_tbENKUlT_T0_E_clISt17integral_constantIbLb1EESV_IbLb0EEEEDaSR_SS_EUlSR_E0_NS1_11comp_targetILNS1_3genE10ELNS1_11target_archE1201ELNS1_3gpuE5ELNS1_3repE0EEENS1_30default_config_static_selectorELNS0_4arch9wavefront6targetE1EEEvT1_
                                        ; -- End function
	.set _ZN7rocprim17ROCPRIM_400000_NS6detail17trampoline_kernelINS0_14default_configENS1_20scan_config_selectorIdEEZZNS1_9scan_implILNS1_25lookback_scan_determinismE0ELb0ELb0ES3_PKdPddZZZN2at6native31launch_logcumsumexp_cuda_kernelERKNSB_10TensorBaseESF_lENKUlvE_clEvENKUlvE_clEvEUlddE_dEEDaPvRmT3_T4_T5_mT6_P12ihipStream_tbENKUlT_T0_E_clISt17integral_constantIbLb1EESV_IbLb0EEEEDaSR_SS_EUlSR_E0_NS1_11comp_targetILNS1_3genE10ELNS1_11target_archE1201ELNS1_3gpuE5ELNS1_3repE0EEENS1_30default_config_static_selectorELNS0_4arch9wavefront6targetE1EEEvT1_.num_vgpr, 0
	.set _ZN7rocprim17ROCPRIM_400000_NS6detail17trampoline_kernelINS0_14default_configENS1_20scan_config_selectorIdEEZZNS1_9scan_implILNS1_25lookback_scan_determinismE0ELb0ELb0ES3_PKdPddZZZN2at6native31launch_logcumsumexp_cuda_kernelERKNSB_10TensorBaseESF_lENKUlvE_clEvENKUlvE_clEvEUlddE_dEEDaPvRmT3_T4_T5_mT6_P12ihipStream_tbENKUlT_T0_E_clISt17integral_constantIbLb1EESV_IbLb0EEEEDaSR_SS_EUlSR_E0_NS1_11comp_targetILNS1_3genE10ELNS1_11target_archE1201ELNS1_3gpuE5ELNS1_3repE0EEENS1_30default_config_static_selectorELNS0_4arch9wavefront6targetE1EEEvT1_.num_agpr, 0
	.set _ZN7rocprim17ROCPRIM_400000_NS6detail17trampoline_kernelINS0_14default_configENS1_20scan_config_selectorIdEEZZNS1_9scan_implILNS1_25lookback_scan_determinismE0ELb0ELb0ES3_PKdPddZZZN2at6native31launch_logcumsumexp_cuda_kernelERKNSB_10TensorBaseESF_lENKUlvE_clEvENKUlvE_clEvEUlddE_dEEDaPvRmT3_T4_T5_mT6_P12ihipStream_tbENKUlT_T0_E_clISt17integral_constantIbLb1EESV_IbLb0EEEEDaSR_SS_EUlSR_E0_NS1_11comp_targetILNS1_3genE10ELNS1_11target_archE1201ELNS1_3gpuE5ELNS1_3repE0EEENS1_30default_config_static_selectorELNS0_4arch9wavefront6targetE1EEEvT1_.numbered_sgpr, 0
	.set _ZN7rocprim17ROCPRIM_400000_NS6detail17trampoline_kernelINS0_14default_configENS1_20scan_config_selectorIdEEZZNS1_9scan_implILNS1_25lookback_scan_determinismE0ELb0ELb0ES3_PKdPddZZZN2at6native31launch_logcumsumexp_cuda_kernelERKNSB_10TensorBaseESF_lENKUlvE_clEvENKUlvE_clEvEUlddE_dEEDaPvRmT3_T4_T5_mT6_P12ihipStream_tbENKUlT_T0_E_clISt17integral_constantIbLb1EESV_IbLb0EEEEDaSR_SS_EUlSR_E0_NS1_11comp_targetILNS1_3genE10ELNS1_11target_archE1201ELNS1_3gpuE5ELNS1_3repE0EEENS1_30default_config_static_selectorELNS0_4arch9wavefront6targetE1EEEvT1_.num_named_barrier, 0
	.set _ZN7rocprim17ROCPRIM_400000_NS6detail17trampoline_kernelINS0_14default_configENS1_20scan_config_selectorIdEEZZNS1_9scan_implILNS1_25lookback_scan_determinismE0ELb0ELb0ES3_PKdPddZZZN2at6native31launch_logcumsumexp_cuda_kernelERKNSB_10TensorBaseESF_lENKUlvE_clEvENKUlvE_clEvEUlddE_dEEDaPvRmT3_T4_T5_mT6_P12ihipStream_tbENKUlT_T0_E_clISt17integral_constantIbLb1EESV_IbLb0EEEEDaSR_SS_EUlSR_E0_NS1_11comp_targetILNS1_3genE10ELNS1_11target_archE1201ELNS1_3gpuE5ELNS1_3repE0EEENS1_30default_config_static_selectorELNS0_4arch9wavefront6targetE1EEEvT1_.private_seg_size, 0
	.set _ZN7rocprim17ROCPRIM_400000_NS6detail17trampoline_kernelINS0_14default_configENS1_20scan_config_selectorIdEEZZNS1_9scan_implILNS1_25lookback_scan_determinismE0ELb0ELb0ES3_PKdPddZZZN2at6native31launch_logcumsumexp_cuda_kernelERKNSB_10TensorBaseESF_lENKUlvE_clEvENKUlvE_clEvEUlddE_dEEDaPvRmT3_T4_T5_mT6_P12ihipStream_tbENKUlT_T0_E_clISt17integral_constantIbLb1EESV_IbLb0EEEEDaSR_SS_EUlSR_E0_NS1_11comp_targetILNS1_3genE10ELNS1_11target_archE1201ELNS1_3gpuE5ELNS1_3repE0EEENS1_30default_config_static_selectorELNS0_4arch9wavefront6targetE1EEEvT1_.uses_vcc, 0
	.set _ZN7rocprim17ROCPRIM_400000_NS6detail17trampoline_kernelINS0_14default_configENS1_20scan_config_selectorIdEEZZNS1_9scan_implILNS1_25lookback_scan_determinismE0ELb0ELb0ES3_PKdPddZZZN2at6native31launch_logcumsumexp_cuda_kernelERKNSB_10TensorBaseESF_lENKUlvE_clEvENKUlvE_clEvEUlddE_dEEDaPvRmT3_T4_T5_mT6_P12ihipStream_tbENKUlT_T0_E_clISt17integral_constantIbLb1EESV_IbLb0EEEEDaSR_SS_EUlSR_E0_NS1_11comp_targetILNS1_3genE10ELNS1_11target_archE1201ELNS1_3gpuE5ELNS1_3repE0EEENS1_30default_config_static_selectorELNS0_4arch9wavefront6targetE1EEEvT1_.uses_flat_scratch, 0
	.set _ZN7rocprim17ROCPRIM_400000_NS6detail17trampoline_kernelINS0_14default_configENS1_20scan_config_selectorIdEEZZNS1_9scan_implILNS1_25lookback_scan_determinismE0ELb0ELb0ES3_PKdPddZZZN2at6native31launch_logcumsumexp_cuda_kernelERKNSB_10TensorBaseESF_lENKUlvE_clEvENKUlvE_clEvEUlddE_dEEDaPvRmT3_T4_T5_mT6_P12ihipStream_tbENKUlT_T0_E_clISt17integral_constantIbLb1EESV_IbLb0EEEEDaSR_SS_EUlSR_E0_NS1_11comp_targetILNS1_3genE10ELNS1_11target_archE1201ELNS1_3gpuE5ELNS1_3repE0EEENS1_30default_config_static_selectorELNS0_4arch9wavefront6targetE1EEEvT1_.has_dyn_sized_stack, 0
	.set _ZN7rocprim17ROCPRIM_400000_NS6detail17trampoline_kernelINS0_14default_configENS1_20scan_config_selectorIdEEZZNS1_9scan_implILNS1_25lookback_scan_determinismE0ELb0ELb0ES3_PKdPddZZZN2at6native31launch_logcumsumexp_cuda_kernelERKNSB_10TensorBaseESF_lENKUlvE_clEvENKUlvE_clEvEUlddE_dEEDaPvRmT3_T4_T5_mT6_P12ihipStream_tbENKUlT_T0_E_clISt17integral_constantIbLb1EESV_IbLb0EEEEDaSR_SS_EUlSR_E0_NS1_11comp_targetILNS1_3genE10ELNS1_11target_archE1201ELNS1_3gpuE5ELNS1_3repE0EEENS1_30default_config_static_selectorELNS0_4arch9wavefront6targetE1EEEvT1_.has_recursion, 0
	.set _ZN7rocprim17ROCPRIM_400000_NS6detail17trampoline_kernelINS0_14default_configENS1_20scan_config_selectorIdEEZZNS1_9scan_implILNS1_25lookback_scan_determinismE0ELb0ELb0ES3_PKdPddZZZN2at6native31launch_logcumsumexp_cuda_kernelERKNSB_10TensorBaseESF_lENKUlvE_clEvENKUlvE_clEvEUlddE_dEEDaPvRmT3_T4_T5_mT6_P12ihipStream_tbENKUlT_T0_E_clISt17integral_constantIbLb1EESV_IbLb0EEEEDaSR_SS_EUlSR_E0_NS1_11comp_targetILNS1_3genE10ELNS1_11target_archE1201ELNS1_3gpuE5ELNS1_3repE0EEENS1_30default_config_static_selectorELNS0_4arch9wavefront6targetE1EEEvT1_.has_indirect_call, 0
	.section	.AMDGPU.csdata,"",@progbits
; Kernel info:
; codeLenInByte = 0
; TotalNumSgprs: 6
; NumVgprs: 0
; NumAgprs: 0
; TotalNumVgprs: 0
; ScratchSize: 0
; MemoryBound: 0
; FloatMode: 240
; IeeeMode: 1
; LDSByteSize: 0 bytes/workgroup (compile time only)
; SGPRBlocks: 0
; VGPRBlocks: 0
; NumSGPRsForWavesPerEU: 6
; NumVGPRsForWavesPerEU: 1
; AccumOffset: 4
; Occupancy: 8
; WaveLimiterHint : 0
; COMPUTE_PGM_RSRC2:SCRATCH_EN: 0
; COMPUTE_PGM_RSRC2:USER_SGPR: 2
; COMPUTE_PGM_RSRC2:TRAP_HANDLER: 0
; COMPUTE_PGM_RSRC2:TGID_X_EN: 1
; COMPUTE_PGM_RSRC2:TGID_Y_EN: 0
; COMPUTE_PGM_RSRC2:TGID_Z_EN: 0
; COMPUTE_PGM_RSRC2:TIDIG_COMP_CNT: 0
; COMPUTE_PGM_RSRC3_GFX90A:ACCUM_OFFSET: 0
; COMPUTE_PGM_RSRC3_GFX90A:TG_SPLIT: 0
	.section	.text._ZN7rocprim17ROCPRIM_400000_NS6detail17trampoline_kernelINS0_14default_configENS1_20scan_config_selectorIdEEZZNS1_9scan_implILNS1_25lookback_scan_determinismE0ELb0ELb0ES3_PKdPddZZZN2at6native31launch_logcumsumexp_cuda_kernelERKNSB_10TensorBaseESF_lENKUlvE_clEvENKUlvE_clEvEUlddE_dEEDaPvRmT3_T4_T5_mT6_P12ihipStream_tbENKUlT_T0_E_clISt17integral_constantIbLb1EESV_IbLb0EEEEDaSR_SS_EUlSR_E0_NS1_11comp_targetILNS1_3genE10ELNS1_11target_archE1200ELNS1_3gpuE4ELNS1_3repE0EEENS1_30default_config_static_selectorELNS0_4arch9wavefront6targetE1EEEvT1_,"axG",@progbits,_ZN7rocprim17ROCPRIM_400000_NS6detail17trampoline_kernelINS0_14default_configENS1_20scan_config_selectorIdEEZZNS1_9scan_implILNS1_25lookback_scan_determinismE0ELb0ELb0ES3_PKdPddZZZN2at6native31launch_logcumsumexp_cuda_kernelERKNSB_10TensorBaseESF_lENKUlvE_clEvENKUlvE_clEvEUlddE_dEEDaPvRmT3_T4_T5_mT6_P12ihipStream_tbENKUlT_T0_E_clISt17integral_constantIbLb1EESV_IbLb0EEEEDaSR_SS_EUlSR_E0_NS1_11comp_targetILNS1_3genE10ELNS1_11target_archE1200ELNS1_3gpuE4ELNS1_3repE0EEENS1_30default_config_static_selectorELNS0_4arch9wavefront6targetE1EEEvT1_,comdat
	.globl	_ZN7rocprim17ROCPRIM_400000_NS6detail17trampoline_kernelINS0_14default_configENS1_20scan_config_selectorIdEEZZNS1_9scan_implILNS1_25lookback_scan_determinismE0ELb0ELb0ES3_PKdPddZZZN2at6native31launch_logcumsumexp_cuda_kernelERKNSB_10TensorBaseESF_lENKUlvE_clEvENKUlvE_clEvEUlddE_dEEDaPvRmT3_T4_T5_mT6_P12ihipStream_tbENKUlT_T0_E_clISt17integral_constantIbLb1EESV_IbLb0EEEEDaSR_SS_EUlSR_E0_NS1_11comp_targetILNS1_3genE10ELNS1_11target_archE1200ELNS1_3gpuE4ELNS1_3repE0EEENS1_30default_config_static_selectorELNS0_4arch9wavefront6targetE1EEEvT1_ ; -- Begin function _ZN7rocprim17ROCPRIM_400000_NS6detail17trampoline_kernelINS0_14default_configENS1_20scan_config_selectorIdEEZZNS1_9scan_implILNS1_25lookback_scan_determinismE0ELb0ELb0ES3_PKdPddZZZN2at6native31launch_logcumsumexp_cuda_kernelERKNSB_10TensorBaseESF_lENKUlvE_clEvENKUlvE_clEvEUlddE_dEEDaPvRmT3_T4_T5_mT6_P12ihipStream_tbENKUlT_T0_E_clISt17integral_constantIbLb1EESV_IbLb0EEEEDaSR_SS_EUlSR_E0_NS1_11comp_targetILNS1_3genE10ELNS1_11target_archE1200ELNS1_3gpuE4ELNS1_3repE0EEENS1_30default_config_static_selectorELNS0_4arch9wavefront6targetE1EEEvT1_
	.p2align	8
	.type	_ZN7rocprim17ROCPRIM_400000_NS6detail17trampoline_kernelINS0_14default_configENS1_20scan_config_selectorIdEEZZNS1_9scan_implILNS1_25lookback_scan_determinismE0ELb0ELb0ES3_PKdPddZZZN2at6native31launch_logcumsumexp_cuda_kernelERKNSB_10TensorBaseESF_lENKUlvE_clEvENKUlvE_clEvEUlddE_dEEDaPvRmT3_T4_T5_mT6_P12ihipStream_tbENKUlT_T0_E_clISt17integral_constantIbLb1EESV_IbLb0EEEEDaSR_SS_EUlSR_E0_NS1_11comp_targetILNS1_3genE10ELNS1_11target_archE1200ELNS1_3gpuE4ELNS1_3repE0EEENS1_30default_config_static_selectorELNS0_4arch9wavefront6targetE1EEEvT1_,@function
_ZN7rocprim17ROCPRIM_400000_NS6detail17trampoline_kernelINS0_14default_configENS1_20scan_config_selectorIdEEZZNS1_9scan_implILNS1_25lookback_scan_determinismE0ELb0ELb0ES3_PKdPddZZZN2at6native31launch_logcumsumexp_cuda_kernelERKNSB_10TensorBaseESF_lENKUlvE_clEvENKUlvE_clEvEUlddE_dEEDaPvRmT3_T4_T5_mT6_P12ihipStream_tbENKUlT_T0_E_clISt17integral_constantIbLb1EESV_IbLb0EEEEDaSR_SS_EUlSR_E0_NS1_11comp_targetILNS1_3genE10ELNS1_11target_archE1200ELNS1_3gpuE4ELNS1_3repE0EEENS1_30default_config_static_selectorELNS0_4arch9wavefront6targetE1EEEvT1_: ; @_ZN7rocprim17ROCPRIM_400000_NS6detail17trampoline_kernelINS0_14default_configENS1_20scan_config_selectorIdEEZZNS1_9scan_implILNS1_25lookback_scan_determinismE0ELb0ELb0ES3_PKdPddZZZN2at6native31launch_logcumsumexp_cuda_kernelERKNSB_10TensorBaseESF_lENKUlvE_clEvENKUlvE_clEvEUlddE_dEEDaPvRmT3_T4_T5_mT6_P12ihipStream_tbENKUlT_T0_E_clISt17integral_constantIbLb1EESV_IbLb0EEEEDaSR_SS_EUlSR_E0_NS1_11comp_targetILNS1_3genE10ELNS1_11target_archE1200ELNS1_3gpuE4ELNS1_3repE0EEENS1_30default_config_static_selectorELNS0_4arch9wavefront6targetE1EEEvT1_
; %bb.0:
	.section	.rodata,"a",@progbits
	.p2align	6, 0x0
	.amdhsa_kernel _ZN7rocprim17ROCPRIM_400000_NS6detail17trampoline_kernelINS0_14default_configENS1_20scan_config_selectorIdEEZZNS1_9scan_implILNS1_25lookback_scan_determinismE0ELb0ELb0ES3_PKdPddZZZN2at6native31launch_logcumsumexp_cuda_kernelERKNSB_10TensorBaseESF_lENKUlvE_clEvENKUlvE_clEvEUlddE_dEEDaPvRmT3_T4_T5_mT6_P12ihipStream_tbENKUlT_T0_E_clISt17integral_constantIbLb1EESV_IbLb0EEEEDaSR_SS_EUlSR_E0_NS1_11comp_targetILNS1_3genE10ELNS1_11target_archE1200ELNS1_3gpuE4ELNS1_3repE0EEENS1_30default_config_static_selectorELNS0_4arch9wavefront6targetE1EEEvT1_
		.amdhsa_group_segment_fixed_size 0
		.amdhsa_private_segment_fixed_size 0
		.amdhsa_kernarg_size 40
		.amdhsa_user_sgpr_count 2
		.amdhsa_user_sgpr_dispatch_ptr 0
		.amdhsa_user_sgpr_queue_ptr 0
		.amdhsa_user_sgpr_kernarg_segment_ptr 1
		.amdhsa_user_sgpr_dispatch_id 0
		.amdhsa_user_sgpr_kernarg_preload_length 0
		.amdhsa_user_sgpr_kernarg_preload_offset 0
		.amdhsa_user_sgpr_private_segment_size 0
		.amdhsa_uses_dynamic_stack 0
		.amdhsa_enable_private_segment 0
		.amdhsa_system_sgpr_workgroup_id_x 1
		.amdhsa_system_sgpr_workgroup_id_y 0
		.amdhsa_system_sgpr_workgroup_id_z 0
		.amdhsa_system_sgpr_workgroup_info 0
		.amdhsa_system_vgpr_workitem_id 0
		.amdhsa_next_free_vgpr 1
		.amdhsa_next_free_sgpr 0
		.amdhsa_accum_offset 4
		.amdhsa_reserve_vcc 0
		.amdhsa_float_round_mode_32 0
		.amdhsa_float_round_mode_16_64 0
		.amdhsa_float_denorm_mode_32 3
		.amdhsa_float_denorm_mode_16_64 3
		.amdhsa_dx10_clamp 1
		.amdhsa_ieee_mode 1
		.amdhsa_fp16_overflow 0
		.amdhsa_tg_split 0
		.amdhsa_exception_fp_ieee_invalid_op 0
		.amdhsa_exception_fp_denorm_src 0
		.amdhsa_exception_fp_ieee_div_zero 0
		.amdhsa_exception_fp_ieee_overflow 0
		.amdhsa_exception_fp_ieee_underflow 0
		.amdhsa_exception_fp_ieee_inexact 0
		.amdhsa_exception_int_div_zero 0
	.end_amdhsa_kernel
	.section	.text._ZN7rocprim17ROCPRIM_400000_NS6detail17trampoline_kernelINS0_14default_configENS1_20scan_config_selectorIdEEZZNS1_9scan_implILNS1_25lookback_scan_determinismE0ELb0ELb0ES3_PKdPddZZZN2at6native31launch_logcumsumexp_cuda_kernelERKNSB_10TensorBaseESF_lENKUlvE_clEvENKUlvE_clEvEUlddE_dEEDaPvRmT3_T4_T5_mT6_P12ihipStream_tbENKUlT_T0_E_clISt17integral_constantIbLb1EESV_IbLb0EEEEDaSR_SS_EUlSR_E0_NS1_11comp_targetILNS1_3genE10ELNS1_11target_archE1200ELNS1_3gpuE4ELNS1_3repE0EEENS1_30default_config_static_selectorELNS0_4arch9wavefront6targetE1EEEvT1_,"axG",@progbits,_ZN7rocprim17ROCPRIM_400000_NS6detail17trampoline_kernelINS0_14default_configENS1_20scan_config_selectorIdEEZZNS1_9scan_implILNS1_25lookback_scan_determinismE0ELb0ELb0ES3_PKdPddZZZN2at6native31launch_logcumsumexp_cuda_kernelERKNSB_10TensorBaseESF_lENKUlvE_clEvENKUlvE_clEvEUlddE_dEEDaPvRmT3_T4_T5_mT6_P12ihipStream_tbENKUlT_T0_E_clISt17integral_constantIbLb1EESV_IbLb0EEEEDaSR_SS_EUlSR_E0_NS1_11comp_targetILNS1_3genE10ELNS1_11target_archE1200ELNS1_3gpuE4ELNS1_3repE0EEENS1_30default_config_static_selectorELNS0_4arch9wavefront6targetE1EEEvT1_,comdat
.Lfunc_end62:
	.size	_ZN7rocprim17ROCPRIM_400000_NS6detail17trampoline_kernelINS0_14default_configENS1_20scan_config_selectorIdEEZZNS1_9scan_implILNS1_25lookback_scan_determinismE0ELb0ELb0ES3_PKdPddZZZN2at6native31launch_logcumsumexp_cuda_kernelERKNSB_10TensorBaseESF_lENKUlvE_clEvENKUlvE_clEvEUlddE_dEEDaPvRmT3_T4_T5_mT6_P12ihipStream_tbENKUlT_T0_E_clISt17integral_constantIbLb1EESV_IbLb0EEEEDaSR_SS_EUlSR_E0_NS1_11comp_targetILNS1_3genE10ELNS1_11target_archE1200ELNS1_3gpuE4ELNS1_3repE0EEENS1_30default_config_static_selectorELNS0_4arch9wavefront6targetE1EEEvT1_, .Lfunc_end62-_ZN7rocprim17ROCPRIM_400000_NS6detail17trampoline_kernelINS0_14default_configENS1_20scan_config_selectorIdEEZZNS1_9scan_implILNS1_25lookback_scan_determinismE0ELb0ELb0ES3_PKdPddZZZN2at6native31launch_logcumsumexp_cuda_kernelERKNSB_10TensorBaseESF_lENKUlvE_clEvENKUlvE_clEvEUlddE_dEEDaPvRmT3_T4_T5_mT6_P12ihipStream_tbENKUlT_T0_E_clISt17integral_constantIbLb1EESV_IbLb0EEEEDaSR_SS_EUlSR_E0_NS1_11comp_targetILNS1_3genE10ELNS1_11target_archE1200ELNS1_3gpuE4ELNS1_3repE0EEENS1_30default_config_static_selectorELNS0_4arch9wavefront6targetE1EEEvT1_
                                        ; -- End function
	.set _ZN7rocprim17ROCPRIM_400000_NS6detail17trampoline_kernelINS0_14default_configENS1_20scan_config_selectorIdEEZZNS1_9scan_implILNS1_25lookback_scan_determinismE0ELb0ELb0ES3_PKdPddZZZN2at6native31launch_logcumsumexp_cuda_kernelERKNSB_10TensorBaseESF_lENKUlvE_clEvENKUlvE_clEvEUlddE_dEEDaPvRmT3_T4_T5_mT6_P12ihipStream_tbENKUlT_T0_E_clISt17integral_constantIbLb1EESV_IbLb0EEEEDaSR_SS_EUlSR_E0_NS1_11comp_targetILNS1_3genE10ELNS1_11target_archE1200ELNS1_3gpuE4ELNS1_3repE0EEENS1_30default_config_static_selectorELNS0_4arch9wavefront6targetE1EEEvT1_.num_vgpr, 0
	.set _ZN7rocprim17ROCPRIM_400000_NS6detail17trampoline_kernelINS0_14default_configENS1_20scan_config_selectorIdEEZZNS1_9scan_implILNS1_25lookback_scan_determinismE0ELb0ELb0ES3_PKdPddZZZN2at6native31launch_logcumsumexp_cuda_kernelERKNSB_10TensorBaseESF_lENKUlvE_clEvENKUlvE_clEvEUlddE_dEEDaPvRmT3_T4_T5_mT6_P12ihipStream_tbENKUlT_T0_E_clISt17integral_constantIbLb1EESV_IbLb0EEEEDaSR_SS_EUlSR_E0_NS1_11comp_targetILNS1_3genE10ELNS1_11target_archE1200ELNS1_3gpuE4ELNS1_3repE0EEENS1_30default_config_static_selectorELNS0_4arch9wavefront6targetE1EEEvT1_.num_agpr, 0
	.set _ZN7rocprim17ROCPRIM_400000_NS6detail17trampoline_kernelINS0_14default_configENS1_20scan_config_selectorIdEEZZNS1_9scan_implILNS1_25lookback_scan_determinismE0ELb0ELb0ES3_PKdPddZZZN2at6native31launch_logcumsumexp_cuda_kernelERKNSB_10TensorBaseESF_lENKUlvE_clEvENKUlvE_clEvEUlddE_dEEDaPvRmT3_T4_T5_mT6_P12ihipStream_tbENKUlT_T0_E_clISt17integral_constantIbLb1EESV_IbLb0EEEEDaSR_SS_EUlSR_E0_NS1_11comp_targetILNS1_3genE10ELNS1_11target_archE1200ELNS1_3gpuE4ELNS1_3repE0EEENS1_30default_config_static_selectorELNS0_4arch9wavefront6targetE1EEEvT1_.numbered_sgpr, 0
	.set _ZN7rocprim17ROCPRIM_400000_NS6detail17trampoline_kernelINS0_14default_configENS1_20scan_config_selectorIdEEZZNS1_9scan_implILNS1_25lookback_scan_determinismE0ELb0ELb0ES3_PKdPddZZZN2at6native31launch_logcumsumexp_cuda_kernelERKNSB_10TensorBaseESF_lENKUlvE_clEvENKUlvE_clEvEUlddE_dEEDaPvRmT3_T4_T5_mT6_P12ihipStream_tbENKUlT_T0_E_clISt17integral_constantIbLb1EESV_IbLb0EEEEDaSR_SS_EUlSR_E0_NS1_11comp_targetILNS1_3genE10ELNS1_11target_archE1200ELNS1_3gpuE4ELNS1_3repE0EEENS1_30default_config_static_selectorELNS0_4arch9wavefront6targetE1EEEvT1_.num_named_barrier, 0
	.set _ZN7rocprim17ROCPRIM_400000_NS6detail17trampoline_kernelINS0_14default_configENS1_20scan_config_selectorIdEEZZNS1_9scan_implILNS1_25lookback_scan_determinismE0ELb0ELb0ES3_PKdPddZZZN2at6native31launch_logcumsumexp_cuda_kernelERKNSB_10TensorBaseESF_lENKUlvE_clEvENKUlvE_clEvEUlddE_dEEDaPvRmT3_T4_T5_mT6_P12ihipStream_tbENKUlT_T0_E_clISt17integral_constantIbLb1EESV_IbLb0EEEEDaSR_SS_EUlSR_E0_NS1_11comp_targetILNS1_3genE10ELNS1_11target_archE1200ELNS1_3gpuE4ELNS1_3repE0EEENS1_30default_config_static_selectorELNS0_4arch9wavefront6targetE1EEEvT1_.private_seg_size, 0
	.set _ZN7rocprim17ROCPRIM_400000_NS6detail17trampoline_kernelINS0_14default_configENS1_20scan_config_selectorIdEEZZNS1_9scan_implILNS1_25lookback_scan_determinismE0ELb0ELb0ES3_PKdPddZZZN2at6native31launch_logcumsumexp_cuda_kernelERKNSB_10TensorBaseESF_lENKUlvE_clEvENKUlvE_clEvEUlddE_dEEDaPvRmT3_T4_T5_mT6_P12ihipStream_tbENKUlT_T0_E_clISt17integral_constantIbLb1EESV_IbLb0EEEEDaSR_SS_EUlSR_E0_NS1_11comp_targetILNS1_3genE10ELNS1_11target_archE1200ELNS1_3gpuE4ELNS1_3repE0EEENS1_30default_config_static_selectorELNS0_4arch9wavefront6targetE1EEEvT1_.uses_vcc, 0
	.set _ZN7rocprim17ROCPRIM_400000_NS6detail17trampoline_kernelINS0_14default_configENS1_20scan_config_selectorIdEEZZNS1_9scan_implILNS1_25lookback_scan_determinismE0ELb0ELb0ES3_PKdPddZZZN2at6native31launch_logcumsumexp_cuda_kernelERKNSB_10TensorBaseESF_lENKUlvE_clEvENKUlvE_clEvEUlddE_dEEDaPvRmT3_T4_T5_mT6_P12ihipStream_tbENKUlT_T0_E_clISt17integral_constantIbLb1EESV_IbLb0EEEEDaSR_SS_EUlSR_E0_NS1_11comp_targetILNS1_3genE10ELNS1_11target_archE1200ELNS1_3gpuE4ELNS1_3repE0EEENS1_30default_config_static_selectorELNS0_4arch9wavefront6targetE1EEEvT1_.uses_flat_scratch, 0
	.set _ZN7rocprim17ROCPRIM_400000_NS6detail17trampoline_kernelINS0_14default_configENS1_20scan_config_selectorIdEEZZNS1_9scan_implILNS1_25lookback_scan_determinismE0ELb0ELb0ES3_PKdPddZZZN2at6native31launch_logcumsumexp_cuda_kernelERKNSB_10TensorBaseESF_lENKUlvE_clEvENKUlvE_clEvEUlddE_dEEDaPvRmT3_T4_T5_mT6_P12ihipStream_tbENKUlT_T0_E_clISt17integral_constantIbLb1EESV_IbLb0EEEEDaSR_SS_EUlSR_E0_NS1_11comp_targetILNS1_3genE10ELNS1_11target_archE1200ELNS1_3gpuE4ELNS1_3repE0EEENS1_30default_config_static_selectorELNS0_4arch9wavefront6targetE1EEEvT1_.has_dyn_sized_stack, 0
	.set _ZN7rocprim17ROCPRIM_400000_NS6detail17trampoline_kernelINS0_14default_configENS1_20scan_config_selectorIdEEZZNS1_9scan_implILNS1_25lookback_scan_determinismE0ELb0ELb0ES3_PKdPddZZZN2at6native31launch_logcumsumexp_cuda_kernelERKNSB_10TensorBaseESF_lENKUlvE_clEvENKUlvE_clEvEUlddE_dEEDaPvRmT3_T4_T5_mT6_P12ihipStream_tbENKUlT_T0_E_clISt17integral_constantIbLb1EESV_IbLb0EEEEDaSR_SS_EUlSR_E0_NS1_11comp_targetILNS1_3genE10ELNS1_11target_archE1200ELNS1_3gpuE4ELNS1_3repE0EEENS1_30default_config_static_selectorELNS0_4arch9wavefront6targetE1EEEvT1_.has_recursion, 0
	.set _ZN7rocprim17ROCPRIM_400000_NS6detail17trampoline_kernelINS0_14default_configENS1_20scan_config_selectorIdEEZZNS1_9scan_implILNS1_25lookback_scan_determinismE0ELb0ELb0ES3_PKdPddZZZN2at6native31launch_logcumsumexp_cuda_kernelERKNSB_10TensorBaseESF_lENKUlvE_clEvENKUlvE_clEvEUlddE_dEEDaPvRmT3_T4_T5_mT6_P12ihipStream_tbENKUlT_T0_E_clISt17integral_constantIbLb1EESV_IbLb0EEEEDaSR_SS_EUlSR_E0_NS1_11comp_targetILNS1_3genE10ELNS1_11target_archE1200ELNS1_3gpuE4ELNS1_3repE0EEENS1_30default_config_static_selectorELNS0_4arch9wavefront6targetE1EEEvT1_.has_indirect_call, 0
	.section	.AMDGPU.csdata,"",@progbits
; Kernel info:
; codeLenInByte = 0
; TotalNumSgprs: 6
; NumVgprs: 0
; NumAgprs: 0
; TotalNumVgprs: 0
; ScratchSize: 0
; MemoryBound: 0
; FloatMode: 240
; IeeeMode: 1
; LDSByteSize: 0 bytes/workgroup (compile time only)
; SGPRBlocks: 0
; VGPRBlocks: 0
; NumSGPRsForWavesPerEU: 6
; NumVGPRsForWavesPerEU: 1
; AccumOffset: 4
; Occupancy: 8
; WaveLimiterHint : 0
; COMPUTE_PGM_RSRC2:SCRATCH_EN: 0
; COMPUTE_PGM_RSRC2:USER_SGPR: 2
; COMPUTE_PGM_RSRC2:TRAP_HANDLER: 0
; COMPUTE_PGM_RSRC2:TGID_X_EN: 1
; COMPUTE_PGM_RSRC2:TGID_Y_EN: 0
; COMPUTE_PGM_RSRC2:TGID_Z_EN: 0
; COMPUTE_PGM_RSRC2:TIDIG_COMP_CNT: 0
; COMPUTE_PGM_RSRC3_GFX90A:ACCUM_OFFSET: 0
; COMPUTE_PGM_RSRC3_GFX90A:TG_SPLIT: 0
	.section	.text._ZN7rocprim17ROCPRIM_400000_NS6detail17trampoline_kernelINS0_14default_configENS1_20scan_config_selectorIdEEZZNS1_9scan_implILNS1_25lookback_scan_determinismE0ELb0ELb0ES3_PKdPddZZZN2at6native31launch_logcumsumexp_cuda_kernelERKNSB_10TensorBaseESF_lENKUlvE_clEvENKUlvE_clEvEUlddE_dEEDaPvRmT3_T4_T5_mT6_P12ihipStream_tbENKUlT_T0_E_clISt17integral_constantIbLb1EESV_IbLb0EEEEDaSR_SS_EUlSR_E0_NS1_11comp_targetILNS1_3genE9ELNS1_11target_archE1100ELNS1_3gpuE3ELNS1_3repE0EEENS1_30default_config_static_selectorELNS0_4arch9wavefront6targetE1EEEvT1_,"axG",@progbits,_ZN7rocprim17ROCPRIM_400000_NS6detail17trampoline_kernelINS0_14default_configENS1_20scan_config_selectorIdEEZZNS1_9scan_implILNS1_25lookback_scan_determinismE0ELb0ELb0ES3_PKdPddZZZN2at6native31launch_logcumsumexp_cuda_kernelERKNSB_10TensorBaseESF_lENKUlvE_clEvENKUlvE_clEvEUlddE_dEEDaPvRmT3_T4_T5_mT6_P12ihipStream_tbENKUlT_T0_E_clISt17integral_constantIbLb1EESV_IbLb0EEEEDaSR_SS_EUlSR_E0_NS1_11comp_targetILNS1_3genE9ELNS1_11target_archE1100ELNS1_3gpuE3ELNS1_3repE0EEENS1_30default_config_static_selectorELNS0_4arch9wavefront6targetE1EEEvT1_,comdat
	.globl	_ZN7rocprim17ROCPRIM_400000_NS6detail17trampoline_kernelINS0_14default_configENS1_20scan_config_selectorIdEEZZNS1_9scan_implILNS1_25lookback_scan_determinismE0ELb0ELb0ES3_PKdPddZZZN2at6native31launch_logcumsumexp_cuda_kernelERKNSB_10TensorBaseESF_lENKUlvE_clEvENKUlvE_clEvEUlddE_dEEDaPvRmT3_T4_T5_mT6_P12ihipStream_tbENKUlT_T0_E_clISt17integral_constantIbLb1EESV_IbLb0EEEEDaSR_SS_EUlSR_E0_NS1_11comp_targetILNS1_3genE9ELNS1_11target_archE1100ELNS1_3gpuE3ELNS1_3repE0EEENS1_30default_config_static_selectorELNS0_4arch9wavefront6targetE1EEEvT1_ ; -- Begin function _ZN7rocprim17ROCPRIM_400000_NS6detail17trampoline_kernelINS0_14default_configENS1_20scan_config_selectorIdEEZZNS1_9scan_implILNS1_25lookback_scan_determinismE0ELb0ELb0ES3_PKdPddZZZN2at6native31launch_logcumsumexp_cuda_kernelERKNSB_10TensorBaseESF_lENKUlvE_clEvENKUlvE_clEvEUlddE_dEEDaPvRmT3_T4_T5_mT6_P12ihipStream_tbENKUlT_T0_E_clISt17integral_constantIbLb1EESV_IbLb0EEEEDaSR_SS_EUlSR_E0_NS1_11comp_targetILNS1_3genE9ELNS1_11target_archE1100ELNS1_3gpuE3ELNS1_3repE0EEENS1_30default_config_static_selectorELNS0_4arch9wavefront6targetE1EEEvT1_
	.p2align	8
	.type	_ZN7rocprim17ROCPRIM_400000_NS6detail17trampoline_kernelINS0_14default_configENS1_20scan_config_selectorIdEEZZNS1_9scan_implILNS1_25lookback_scan_determinismE0ELb0ELb0ES3_PKdPddZZZN2at6native31launch_logcumsumexp_cuda_kernelERKNSB_10TensorBaseESF_lENKUlvE_clEvENKUlvE_clEvEUlddE_dEEDaPvRmT3_T4_T5_mT6_P12ihipStream_tbENKUlT_T0_E_clISt17integral_constantIbLb1EESV_IbLb0EEEEDaSR_SS_EUlSR_E0_NS1_11comp_targetILNS1_3genE9ELNS1_11target_archE1100ELNS1_3gpuE3ELNS1_3repE0EEENS1_30default_config_static_selectorELNS0_4arch9wavefront6targetE1EEEvT1_,@function
_ZN7rocprim17ROCPRIM_400000_NS6detail17trampoline_kernelINS0_14default_configENS1_20scan_config_selectorIdEEZZNS1_9scan_implILNS1_25lookback_scan_determinismE0ELb0ELb0ES3_PKdPddZZZN2at6native31launch_logcumsumexp_cuda_kernelERKNSB_10TensorBaseESF_lENKUlvE_clEvENKUlvE_clEvEUlddE_dEEDaPvRmT3_T4_T5_mT6_P12ihipStream_tbENKUlT_T0_E_clISt17integral_constantIbLb1EESV_IbLb0EEEEDaSR_SS_EUlSR_E0_NS1_11comp_targetILNS1_3genE9ELNS1_11target_archE1100ELNS1_3gpuE3ELNS1_3repE0EEENS1_30default_config_static_selectorELNS0_4arch9wavefront6targetE1EEEvT1_: ; @_ZN7rocprim17ROCPRIM_400000_NS6detail17trampoline_kernelINS0_14default_configENS1_20scan_config_selectorIdEEZZNS1_9scan_implILNS1_25lookback_scan_determinismE0ELb0ELb0ES3_PKdPddZZZN2at6native31launch_logcumsumexp_cuda_kernelERKNSB_10TensorBaseESF_lENKUlvE_clEvENKUlvE_clEvEUlddE_dEEDaPvRmT3_T4_T5_mT6_P12ihipStream_tbENKUlT_T0_E_clISt17integral_constantIbLb1EESV_IbLb0EEEEDaSR_SS_EUlSR_E0_NS1_11comp_targetILNS1_3genE9ELNS1_11target_archE1100ELNS1_3gpuE3ELNS1_3repE0EEENS1_30default_config_static_selectorELNS0_4arch9wavefront6targetE1EEEvT1_
; %bb.0:
	.section	.rodata,"a",@progbits
	.p2align	6, 0x0
	.amdhsa_kernel _ZN7rocprim17ROCPRIM_400000_NS6detail17trampoline_kernelINS0_14default_configENS1_20scan_config_selectorIdEEZZNS1_9scan_implILNS1_25lookback_scan_determinismE0ELb0ELb0ES3_PKdPddZZZN2at6native31launch_logcumsumexp_cuda_kernelERKNSB_10TensorBaseESF_lENKUlvE_clEvENKUlvE_clEvEUlddE_dEEDaPvRmT3_T4_T5_mT6_P12ihipStream_tbENKUlT_T0_E_clISt17integral_constantIbLb1EESV_IbLb0EEEEDaSR_SS_EUlSR_E0_NS1_11comp_targetILNS1_3genE9ELNS1_11target_archE1100ELNS1_3gpuE3ELNS1_3repE0EEENS1_30default_config_static_selectorELNS0_4arch9wavefront6targetE1EEEvT1_
		.amdhsa_group_segment_fixed_size 0
		.amdhsa_private_segment_fixed_size 0
		.amdhsa_kernarg_size 40
		.amdhsa_user_sgpr_count 2
		.amdhsa_user_sgpr_dispatch_ptr 0
		.amdhsa_user_sgpr_queue_ptr 0
		.amdhsa_user_sgpr_kernarg_segment_ptr 1
		.amdhsa_user_sgpr_dispatch_id 0
		.amdhsa_user_sgpr_kernarg_preload_length 0
		.amdhsa_user_sgpr_kernarg_preload_offset 0
		.amdhsa_user_sgpr_private_segment_size 0
		.amdhsa_uses_dynamic_stack 0
		.amdhsa_enable_private_segment 0
		.amdhsa_system_sgpr_workgroup_id_x 1
		.amdhsa_system_sgpr_workgroup_id_y 0
		.amdhsa_system_sgpr_workgroup_id_z 0
		.amdhsa_system_sgpr_workgroup_info 0
		.amdhsa_system_vgpr_workitem_id 0
		.amdhsa_next_free_vgpr 1
		.amdhsa_next_free_sgpr 0
		.amdhsa_accum_offset 4
		.amdhsa_reserve_vcc 0
		.amdhsa_float_round_mode_32 0
		.amdhsa_float_round_mode_16_64 0
		.amdhsa_float_denorm_mode_32 3
		.amdhsa_float_denorm_mode_16_64 3
		.amdhsa_dx10_clamp 1
		.amdhsa_ieee_mode 1
		.amdhsa_fp16_overflow 0
		.amdhsa_tg_split 0
		.amdhsa_exception_fp_ieee_invalid_op 0
		.amdhsa_exception_fp_denorm_src 0
		.amdhsa_exception_fp_ieee_div_zero 0
		.amdhsa_exception_fp_ieee_overflow 0
		.amdhsa_exception_fp_ieee_underflow 0
		.amdhsa_exception_fp_ieee_inexact 0
		.amdhsa_exception_int_div_zero 0
	.end_amdhsa_kernel
	.section	.text._ZN7rocprim17ROCPRIM_400000_NS6detail17trampoline_kernelINS0_14default_configENS1_20scan_config_selectorIdEEZZNS1_9scan_implILNS1_25lookback_scan_determinismE0ELb0ELb0ES3_PKdPddZZZN2at6native31launch_logcumsumexp_cuda_kernelERKNSB_10TensorBaseESF_lENKUlvE_clEvENKUlvE_clEvEUlddE_dEEDaPvRmT3_T4_T5_mT6_P12ihipStream_tbENKUlT_T0_E_clISt17integral_constantIbLb1EESV_IbLb0EEEEDaSR_SS_EUlSR_E0_NS1_11comp_targetILNS1_3genE9ELNS1_11target_archE1100ELNS1_3gpuE3ELNS1_3repE0EEENS1_30default_config_static_selectorELNS0_4arch9wavefront6targetE1EEEvT1_,"axG",@progbits,_ZN7rocprim17ROCPRIM_400000_NS6detail17trampoline_kernelINS0_14default_configENS1_20scan_config_selectorIdEEZZNS1_9scan_implILNS1_25lookback_scan_determinismE0ELb0ELb0ES3_PKdPddZZZN2at6native31launch_logcumsumexp_cuda_kernelERKNSB_10TensorBaseESF_lENKUlvE_clEvENKUlvE_clEvEUlddE_dEEDaPvRmT3_T4_T5_mT6_P12ihipStream_tbENKUlT_T0_E_clISt17integral_constantIbLb1EESV_IbLb0EEEEDaSR_SS_EUlSR_E0_NS1_11comp_targetILNS1_3genE9ELNS1_11target_archE1100ELNS1_3gpuE3ELNS1_3repE0EEENS1_30default_config_static_selectorELNS0_4arch9wavefront6targetE1EEEvT1_,comdat
.Lfunc_end63:
	.size	_ZN7rocprim17ROCPRIM_400000_NS6detail17trampoline_kernelINS0_14default_configENS1_20scan_config_selectorIdEEZZNS1_9scan_implILNS1_25lookback_scan_determinismE0ELb0ELb0ES3_PKdPddZZZN2at6native31launch_logcumsumexp_cuda_kernelERKNSB_10TensorBaseESF_lENKUlvE_clEvENKUlvE_clEvEUlddE_dEEDaPvRmT3_T4_T5_mT6_P12ihipStream_tbENKUlT_T0_E_clISt17integral_constantIbLb1EESV_IbLb0EEEEDaSR_SS_EUlSR_E0_NS1_11comp_targetILNS1_3genE9ELNS1_11target_archE1100ELNS1_3gpuE3ELNS1_3repE0EEENS1_30default_config_static_selectorELNS0_4arch9wavefront6targetE1EEEvT1_, .Lfunc_end63-_ZN7rocprim17ROCPRIM_400000_NS6detail17trampoline_kernelINS0_14default_configENS1_20scan_config_selectorIdEEZZNS1_9scan_implILNS1_25lookback_scan_determinismE0ELb0ELb0ES3_PKdPddZZZN2at6native31launch_logcumsumexp_cuda_kernelERKNSB_10TensorBaseESF_lENKUlvE_clEvENKUlvE_clEvEUlddE_dEEDaPvRmT3_T4_T5_mT6_P12ihipStream_tbENKUlT_T0_E_clISt17integral_constantIbLb1EESV_IbLb0EEEEDaSR_SS_EUlSR_E0_NS1_11comp_targetILNS1_3genE9ELNS1_11target_archE1100ELNS1_3gpuE3ELNS1_3repE0EEENS1_30default_config_static_selectorELNS0_4arch9wavefront6targetE1EEEvT1_
                                        ; -- End function
	.set _ZN7rocprim17ROCPRIM_400000_NS6detail17trampoline_kernelINS0_14default_configENS1_20scan_config_selectorIdEEZZNS1_9scan_implILNS1_25lookback_scan_determinismE0ELb0ELb0ES3_PKdPddZZZN2at6native31launch_logcumsumexp_cuda_kernelERKNSB_10TensorBaseESF_lENKUlvE_clEvENKUlvE_clEvEUlddE_dEEDaPvRmT3_T4_T5_mT6_P12ihipStream_tbENKUlT_T0_E_clISt17integral_constantIbLb1EESV_IbLb0EEEEDaSR_SS_EUlSR_E0_NS1_11comp_targetILNS1_3genE9ELNS1_11target_archE1100ELNS1_3gpuE3ELNS1_3repE0EEENS1_30default_config_static_selectorELNS0_4arch9wavefront6targetE1EEEvT1_.num_vgpr, 0
	.set _ZN7rocprim17ROCPRIM_400000_NS6detail17trampoline_kernelINS0_14default_configENS1_20scan_config_selectorIdEEZZNS1_9scan_implILNS1_25lookback_scan_determinismE0ELb0ELb0ES3_PKdPddZZZN2at6native31launch_logcumsumexp_cuda_kernelERKNSB_10TensorBaseESF_lENKUlvE_clEvENKUlvE_clEvEUlddE_dEEDaPvRmT3_T4_T5_mT6_P12ihipStream_tbENKUlT_T0_E_clISt17integral_constantIbLb1EESV_IbLb0EEEEDaSR_SS_EUlSR_E0_NS1_11comp_targetILNS1_3genE9ELNS1_11target_archE1100ELNS1_3gpuE3ELNS1_3repE0EEENS1_30default_config_static_selectorELNS0_4arch9wavefront6targetE1EEEvT1_.num_agpr, 0
	.set _ZN7rocprim17ROCPRIM_400000_NS6detail17trampoline_kernelINS0_14default_configENS1_20scan_config_selectorIdEEZZNS1_9scan_implILNS1_25lookback_scan_determinismE0ELb0ELb0ES3_PKdPddZZZN2at6native31launch_logcumsumexp_cuda_kernelERKNSB_10TensorBaseESF_lENKUlvE_clEvENKUlvE_clEvEUlddE_dEEDaPvRmT3_T4_T5_mT6_P12ihipStream_tbENKUlT_T0_E_clISt17integral_constantIbLb1EESV_IbLb0EEEEDaSR_SS_EUlSR_E0_NS1_11comp_targetILNS1_3genE9ELNS1_11target_archE1100ELNS1_3gpuE3ELNS1_3repE0EEENS1_30default_config_static_selectorELNS0_4arch9wavefront6targetE1EEEvT1_.numbered_sgpr, 0
	.set _ZN7rocprim17ROCPRIM_400000_NS6detail17trampoline_kernelINS0_14default_configENS1_20scan_config_selectorIdEEZZNS1_9scan_implILNS1_25lookback_scan_determinismE0ELb0ELb0ES3_PKdPddZZZN2at6native31launch_logcumsumexp_cuda_kernelERKNSB_10TensorBaseESF_lENKUlvE_clEvENKUlvE_clEvEUlddE_dEEDaPvRmT3_T4_T5_mT6_P12ihipStream_tbENKUlT_T0_E_clISt17integral_constantIbLb1EESV_IbLb0EEEEDaSR_SS_EUlSR_E0_NS1_11comp_targetILNS1_3genE9ELNS1_11target_archE1100ELNS1_3gpuE3ELNS1_3repE0EEENS1_30default_config_static_selectorELNS0_4arch9wavefront6targetE1EEEvT1_.num_named_barrier, 0
	.set _ZN7rocprim17ROCPRIM_400000_NS6detail17trampoline_kernelINS0_14default_configENS1_20scan_config_selectorIdEEZZNS1_9scan_implILNS1_25lookback_scan_determinismE0ELb0ELb0ES3_PKdPddZZZN2at6native31launch_logcumsumexp_cuda_kernelERKNSB_10TensorBaseESF_lENKUlvE_clEvENKUlvE_clEvEUlddE_dEEDaPvRmT3_T4_T5_mT6_P12ihipStream_tbENKUlT_T0_E_clISt17integral_constantIbLb1EESV_IbLb0EEEEDaSR_SS_EUlSR_E0_NS1_11comp_targetILNS1_3genE9ELNS1_11target_archE1100ELNS1_3gpuE3ELNS1_3repE0EEENS1_30default_config_static_selectorELNS0_4arch9wavefront6targetE1EEEvT1_.private_seg_size, 0
	.set _ZN7rocprim17ROCPRIM_400000_NS6detail17trampoline_kernelINS0_14default_configENS1_20scan_config_selectorIdEEZZNS1_9scan_implILNS1_25lookback_scan_determinismE0ELb0ELb0ES3_PKdPddZZZN2at6native31launch_logcumsumexp_cuda_kernelERKNSB_10TensorBaseESF_lENKUlvE_clEvENKUlvE_clEvEUlddE_dEEDaPvRmT3_T4_T5_mT6_P12ihipStream_tbENKUlT_T0_E_clISt17integral_constantIbLb1EESV_IbLb0EEEEDaSR_SS_EUlSR_E0_NS1_11comp_targetILNS1_3genE9ELNS1_11target_archE1100ELNS1_3gpuE3ELNS1_3repE0EEENS1_30default_config_static_selectorELNS0_4arch9wavefront6targetE1EEEvT1_.uses_vcc, 0
	.set _ZN7rocprim17ROCPRIM_400000_NS6detail17trampoline_kernelINS0_14default_configENS1_20scan_config_selectorIdEEZZNS1_9scan_implILNS1_25lookback_scan_determinismE0ELb0ELb0ES3_PKdPddZZZN2at6native31launch_logcumsumexp_cuda_kernelERKNSB_10TensorBaseESF_lENKUlvE_clEvENKUlvE_clEvEUlddE_dEEDaPvRmT3_T4_T5_mT6_P12ihipStream_tbENKUlT_T0_E_clISt17integral_constantIbLb1EESV_IbLb0EEEEDaSR_SS_EUlSR_E0_NS1_11comp_targetILNS1_3genE9ELNS1_11target_archE1100ELNS1_3gpuE3ELNS1_3repE0EEENS1_30default_config_static_selectorELNS0_4arch9wavefront6targetE1EEEvT1_.uses_flat_scratch, 0
	.set _ZN7rocprim17ROCPRIM_400000_NS6detail17trampoline_kernelINS0_14default_configENS1_20scan_config_selectorIdEEZZNS1_9scan_implILNS1_25lookback_scan_determinismE0ELb0ELb0ES3_PKdPddZZZN2at6native31launch_logcumsumexp_cuda_kernelERKNSB_10TensorBaseESF_lENKUlvE_clEvENKUlvE_clEvEUlddE_dEEDaPvRmT3_T4_T5_mT6_P12ihipStream_tbENKUlT_T0_E_clISt17integral_constantIbLb1EESV_IbLb0EEEEDaSR_SS_EUlSR_E0_NS1_11comp_targetILNS1_3genE9ELNS1_11target_archE1100ELNS1_3gpuE3ELNS1_3repE0EEENS1_30default_config_static_selectorELNS0_4arch9wavefront6targetE1EEEvT1_.has_dyn_sized_stack, 0
	.set _ZN7rocprim17ROCPRIM_400000_NS6detail17trampoline_kernelINS0_14default_configENS1_20scan_config_selectorIdEEZZNS1_9scan_implILNS1_25lookback_scan_determinismE0ELb0ELb0ES3_PKdPddZZZN2at6native31launch_logcumsumexp_cuda_kernelERKNSB_10TensorBaseESF_lENKUlvE_clEvENKUlvE_clEvEUlddE_dEEDaPvRmT3_T4_T5_mT6_P12ihipStream_tbENKUlT_T0_E_clISt17integral_constantIbLb1EESV_IbLb0EEEEDaSR_SS_EUlSR_E0_NS1_11comp_targetILNS1_3genE9ELNS1_11target_archE1100ELNS1_3gpuE3ELNS1_3repE0EEENS1_30default_config_static_selectorELNS0_4arch9wavefront6targetE1EEEvT1_.has_recursion, 0
	.set _ZN7rocprim17ROCPRIM_400000_NS6detail17trampoline_kernelINS0_14default_configENS1_20scan_config_selectorIdEEZZNS1_9scan_implILNS1_25lookback_scan_determinismE0ELb0ELb0ES3_PKdPddZZZN2at6native31launch_logcumsumexp_cuda_kernelERKNSB_10TensorBaseESF_lENKUlvE_clEvENKUlvE_clEvEUlddE_dEEDaPvRmT3_T4_T5_mT6_P12ihipStream_tbENKUlT_T0_E_clISt17integral_constantIbLb1EESV_IbLb0EEEEDaSR_SS_EUlSR_E0_NS1_11comp_targetILNS1_3genE9ELNS1_11target_archE1100ELNS1_3gpuE3ELNS1_3repE0EEENS1_30default_config_static_selectorELNS0_4arch9wavefront6targetE1EEEvT1_.has_indirect_call, 0
	.section	.AMDGPU.csdata,"",@progbits
; Kernel info:
; codeLenInByte = 0
; TotalNumSgprs: 6
; NumVgprs: 0
; NumAgprs: 0
; TotalNumVgprs: 0
; ScratchSize: 0
; MemoryBound: 0
; FloatMode: 240
; IeeeMode: 1
; LDSByteSize: 0 bytes/workgroup (compile time only)
; SGPRBlocks: 0
; VGPRBlocks: 0
; NumSGPRsForWavesPerEU: 6
; NumVGPRsForWavesPerEU: 1
; AccumOffset: 4
; Occupancy: 8
; WaveLimiterHint : 0
; COMPUTE_PGM_RSRC2:SCRATCH_EN: 0
; COMPUTE_PGM_RSRC2:USER_SGPR: 2
; COMPUTE_PGM_RSRC2:TRAP_HANDLER: 0
; COMPUTE_PGM_RSRC2:TGID_X_EN: 1
; COMPUTE_PGM_RSRC2:TGID_Y_EN: 0
; COMPUTE_PGM_RSRC2:TGID_Z_EN: 0
; COMPUTE_PGM_RSRC2:TIDIG_COMP_CNT: 0
; COMPUTE_PGM_RSRC3_GFX90A:ACCUM_OFFSET: 0
; COMPUTE_PGM_RSRC3_GFX90A:TG_SPLIT: 0
	.section	.text._ZN7rocprim17ROCPRIM_400000_NS6detail17trampoline_kernelINS0_14default_configENS1_20scan_config_selectorIdEEZZNS1_9scan_implILNS1_25lookback_scan_determinismE0ELb0ELb0ES3_PKdPddZZZN2at6native31launch_logcumsumexp_cuda_kernelERKNSB_10TensorBaseESF_lENKUlvE_clEvENKUlvE_clEvEUlddE_dEEDaPvRmT3_T4_T5_mT6_P12ihipStream_tbENKUlT_T0_E_clISt17integral_constantIbLb1EESV_IbLb0EEEEDaSR_SS_EUlSR_E0_NS1_11comp_targetILNS1_3genE8ELNS1_11target_archE1030ELNS1_3gpuE2ELNS1_3repE0EEENS1_30default_config_static_selectorELNS0_4arch9wavefront6targetE1EEEvT1_,"axG",@progbits,_ZN7rocprim17ROCPRIM_400000_NS6detail17trampoline_kernelINS0_14default_configENS1_20scan_config_selectorIdEEZZNS1_9scan_implILNS1_25lookback_scan_determinismE0ELb0ELb0ES3_PKdPddZZZN2at6native31launch_logcumsumexp_cuda_kernelERKNSB_10TensorBaseESF_lENKUlvE_clEvENKUlvE_clEvEUlddE_dEEDaPvRmT3_T4_T5_mT6_P12ihipStream_tbENKUlT_T0_E_clISt17integral_constantIbLb1EESV_IbLb0EEEEDaSR_SS_EUlSR_E0_NS1_11comp_targetILNS1_3genE8ELNS1_11target_archE1030ELNS1_3gpuE2ELNS1_3repE0EEENS1_30default_config_static_selectorELNS0_4arch9wavefront6targetE1EEEvT1_,comdat
	.globl	_ZN7rocprim17ROCPRIM_400000_NS6detail17trampoline_kernelINS0_14default_configENS1_20scan_config_selectorIdEEZZNS1_9scan_implILNS1_25lookback_scan_determinismE0ELb0ELb0ES3_PKdPddZZZN2at6native31launch_logcumsumexp_cuda_kernelERKNSB_10TensorBaseESF_lENKUlvE_clEvENKUlvE_clEvEUlddE_dEEDaPvRmT3_T4_T5_mT6_P12ihipStream_tbENKUlT_T0_E_clISt17integral_constantIbLb1EESV_IbLb0EEEEDaSR_SS_EUlSR_E0_NS1_11comp_targetILNS1_3genE8ELNS1_11target_archE1030ELNS1_3gpuE2ELNS1_3repE0EEENS1_30default_config_static_selectorELNS0_4arch9wavefront6targetE1EEEvT1_ ; -- Begin function _ZN7rocprim17ROCPRIM_400000_NS6detail17trampoline_kernelINS0_14default_configENS1_20scan_config_selectorIdEEZZNS1_9scan_implILNS1_25lookback_scan_determinismE0ELb0ELb0ES3_PKdPddZZZN2at6native31launch_logcumsumexp_cuda_kernelERKNSB_10TensorBaseESF_lENKUlvE_clEvENKUlvE_clEvEUlddE_dEEDaPvRmT3_T4_T5_mT6_P12ihipStream_tbENKUlT_T0_E_clISt17integral_constantIbLb1EESV_IbLb0EEEEDaSR_SS_EUlSR_E0_NS1_11comp_targetILNS1_3genE8ELNS1_11target_archE1030ELNS1_3gpuE2ELNS1_3repE0EEENS1_30default_config_static_selectorELNS0_4arch9wavefront6targetE1EEEvT1_
	.p2align	8
	.type	_ZN7rocprim17ROCPRIM_400000_NS6detail17trampoline_kernelINS0_14default_configENS1_20scan_config_selectorIdEEZZNS1_9scan_implILNS1_25lookback_scan_determinismE0ELb0ELb0ES3_PKdPddZZZN2at6native31launch_logcumsumexp_cuda_kernelERKNSB_10TensorBaseESF_lENKUlvE_clEvENKUlvE_clEvEUlddE_dEEDaPvRmT3_T4_T5_mT6_P12ihipStream_tbENKUlT_T0_E_clISt17integral_constantIbLb1EESV_IbLb0EEEEDaSR_SS_EUlSR_E0_NS1_11comp_targetILNS1_3genE8ELNS1_11target_archE1030ELNS1_3gpuE2ELNS1_3repE0EEENS1_30default_config_static_selectorELNS0_4arch9wavefront6targetE1EEEvT1_,@function
_ZN7rocprim17ROCPRIM_400000_NS6detail17trampoline_kernelINS0_14default_configENS1_20scan_config_selectorIdEEZZNS1_9scan_implILNS1_25lookback_scan_determinismE0ELb0ELb0ES3_PKdPddZZZN2at6native31launch_logcumsumexp_cuda_kernelERKNSB_10TensorBaseESF_lENKUlvE_clEvENKUlvE_clEvEUlddE_dEEDaPvRmT3_T4_T5_mT6_P12ihipStream_tbENKUlT_T0_E_clISt17integral_constantIbLb1EESV_IbLb0EEEEDaSR_SS_EUlSR_E0_NS1_11comp_targetILNS1_3genE8ELNS1_11target_archE1030ELNS1_3gpuE2ELNS1_3repE0EEENS1_30default_config_static_selectorELNS0_4arch9wavefront6targetE1EEEvT1_: ; @_ZN7rocprim17ROCPRIM_400000_NS6detail17trampoline_kernelINS0_14default_configENS1_20scan_config_selectorIdEEZZNS1_9scan_implILNS1_25lookback_scan_determinismE0ELb0ELb0ES3_PKdPddZZZN2at6native31launch_logcumsumexp_cuda_kernelERKNSB_10TensorBaseESF_lENKUlvE_clEvENKUlvE_clEvEUlddE_dEEDaPvRmT3_T4_T5_mT6_P12ihipStream_tbENKUlT_T0_E_clISt17integral_constantIbLb1EESV_IbLb0EEEEDaSR_SS_EUlSR_E0_NS1_11comp_targetILNS1_3genE8ELNS1_11target_archE1030ELNS1_3gpuE2ELNS1_3repE0EEENS1_30default_config_static_selectorELNS0_4arch9wavefront6targetE1EEEvT1_
; %bb.0:
	.section	.rodata,"a",@progbits
	.p2align	6, 0x0
	.amdhsa_kernel _ZN7rocprim17ROCPRIM_400000_NS6detail17trampoline_kernelINS0_14default_configENS1_20scan_config_selectorIdEEZZNS1_9scan_implILNS1_25lookback_scan_determinismE0ELb0ELb0ES3_PKdPddZZZN2at6native31launch_logcumsumexp_cuda_kernelERKNSB_10TensorBaseESF_lENKUlvE_clEvENKUlvE_clEvEUlddE_dEEDaPvRmT3_T4_T5_mT6_P12ihipStream_tbENKUlT_T0_E_clISt17integral_constantIbLb1EESV_IbLb0EEEEDaSR_SS_EUlSR_E0_NS1_11comp_targetILNS1_3genE8ELNS1_11target_archE1030ELNS1_3gpuE2ELNS1_3repE0EEENS1_30default_config_static_selectorELNS0_4arch9wavefront6targetE1EEEvT1_
		.amdhsa_group_segment_fixed_size 0
		.amdhsa_private_segment_fixed_size 0
		.amdhsa_kernarg_size 40
		.amdhsa_user_sgpr_count 2
		.amdhsa_user_sgpr_dispatch_ptr 0
		.amdhsa_user_sgpr_queue_ptr 0
		.amdhsa_user_sgpr_kernarg_segment_ptr 1
		.amdhsa_user_sgpr_dispatch_id 0
		.amdhsa_user_sgpr_kernarg_preload_length 0
		.amdhsa_user_sgpr_kernarg_preload_offset 0
		.amdhsa_user_sgpr_private_segment_size 0
		.amdhsa_uses_dynamic_stack 0
		.amdhsa_enable_private_segment 0
		.amdhsa_system_sgpr_workgroup_id_x 1
		.amdhsa_system_sgpr_workgroup_id_y 0
		.amdhsa_system_sgpr_workgroup_id_z 0
		.amdhsa_system_sgpr_workgroup_info 0
		.amdhsa_system_vgpr_workitem_id 0
		.amdhsa_next_free_vgpr 1
		.amdhsa_next_free_sgpr 0
		.amdhsa_accum_offset 4
		.amdhsa_reserve_vcc 0
		.amdhsa_float_round_mode_32 0
		.amdhsa_float_round_mode_16_64 0
		.amdhsa_float_denorm_mode_32 3
		.amdhsa_float_denorm_mode_16_64 3
		.amdhsa_dx10_clamp 1
		.amdhsa_ieee_mode 1
		.amdhsa_fp16_overflow 0
		.amdhsa_tg_split 0
		.amdhsa_exception_fp_ieee_invalid_op 0
		.amdhsa_exception_fp_denorm_src 0
		.amdhsa_exception_fp_ieee_div_zero 0
		.amdhsa_exception_fp_ieee_overflow 0
		.amdhsa_exception_fp_ieee_underflow 0
		.amdhsa_exception_fp_ieee_inexact 0
		.amdhsa_exception_int_div_zero 0
	.end_amdhsa_kernel
	.section	.text._ZN7rocprim17ROCPRIM_400000_NS6detail17trampoline_kernelINS0_14default_configENS1_20scan_config_selectorIdEEZZNS1_9scan_implILNS1_25lookback_scan_determinismE0ELb0ELb0ES3_PKdPddZZZN2at6native31launch_logcumsumexp_cuda_kernelERKNSB_10TensorBaseESF_lENKUlvE_clEvENKUlvE_clEvEUlddE_dEEDaPvRmT3_T4_T5_mT6_P12ihipStream_tbENKUlT_T0_E_clISt17integral_constantIbLb1EESV_IbLb0EEEEDaSR_SS_EUlSR_E0_NS1_11comp_targetILNS1_3genE8ELNS1_11target_archE1030ELNS1_3gpuE2ELNS1_3repE0EEENS1_30default_config_static_selectorELNS0_4arch9wavefront6targetE1EEEvT1_,"axG",@progbits,_ZN7rocprim17ROCPRIM_400000_NS6detail17trampoline_kernelINS0_14default_configENS1_20scan_config_selectorIdEEZZNS1_9scan_implILNS1_25lookback_scan_determinismE0ELb0ELb0ES3_PKdPddZZZN2at6native31launch_logcumsumexp_cuda_kernelERKNSB_10TensorBaseESF_lENKUlvE_clEvENKUlvE_clEvEUlddE_dEEDaPvRmT3_T4_T5_mT6_P12ihipStream_tbENKUlT_T0_E_clISt17integral_constantIbLb1EESV_IbLb0EEEEDaSR_SS_EUlSR_E0_NS1_11comp_targetILNS1_3genE8ELNS1_11target_archE1030ELNS1_3gpuE2ELNS1_3repE0EEENS1_30default_config_static_selectorELNS0_4arch9wavefront6targetE1EEEvT1_,comdat
.Lfunc_end64:
	.size	_ZN7rocprim17ROCPRIM_400000_NS6detail17trampoline_kernelINS0_14default_configENS1_20scan_config_selectorIdEEZZNS1_9scan_implILNS1_25lookback_scan_determinismE0ELb0ELb0ES3_PKdPddZZZN2at6native31launch_logcumsumexp_cuda_kernelERKNSB_10TensorBaseESF_lENKUlvE_clEvENKUlvE_clEvEUlddE_dEEDaPvRmT3_T4_T5_mT6_P12ihipStream_tbENKUlT_T0_E_clISt17integral_constantIbLb1EESV_IbLb0EEEEDaSR_SS_EUlSR_E0_NS1_11comp_targetILNS1_3genE8ELNS1_11target_archE1030ELNS1_3gpuE2ELNS1_3repE0EEENS1_30default_config_static_selectorELNS0_4arch9wavefront6targetE1EEEvT1_, .Lfunc_end64-_ZN7rocprim17ROCPRIM_400000_NS6detail17trampoline_kernelINS0_14default_configENS1_20scan_config_selectorIdEEZZNS1_9scan_implILNS1_25lookback_scan_determinismE0ELb0ELb0ES3_PKdPddZZZN2at6native31launch_logcumsumexp_cuda_kernelERKNSB_10TensorBaseESF_lENKUlvE_clEvENKUlvE_clEvEUlddE_dEEDaPvRmT3_T4_T5_mT6_P12ihipStream_tbENKUlT_T0_E_clISt17integral_constantIbLb1EESV_IbLb0EEEEDaSR_SS_EUlSR_E0_NS1_11comp_targetILNS1_3genE8ELNS1_11target_archE1030ELNS1_3gpuE2ELNS1_3repE0EEENS1_30default_config_static_selectorELNS0_4arch9wavefront6targetE1EEEvT1_
                                        ; -- End function
	.set _ZN7rocprim17ROCPRIM_400000_NS6detail17trampoline_kernelINS0_14default_configENS1_20scan_config_selectorIdEEZZNS1_9scan_implILNS1_25lookback_scan_determinismE0ELb0ELb0ES3_PKdPddZZZN2at6native31launch_logcumsumexp_cuda_kernelERKNSB_10TensorBaseESF_lENKUlvE_clEvENKUlvE_clEvEUlddE_dEEDaPvRmT3_T4_T5_mT6_P12ihipStream_tbENKUlT_T0_E_clISt17integral_constantIbLb1EESV_IbLb0EEEEDaSR_SS_EUlSR_E0_NS1_11comp_targetILNS1_3genE8ELNS1_11target_archE1030ELNS1_3gpuE2ELNS1_3repE0EEENS1_30default_config_static_selectorELNS0_4arch9wavefront6targetE1EEEvT1_.num_vgpr, 0
	.set _ZN7rocprim17ROCPRIM_400000_NS6detail17trampoline_kernelINS0_14default_configENS1_20scan_config_selectorIdEEZZNS1_9scan_implILNS1_25lookback_scan_determinismE0ELb0ELb0ES3_PKdPddZZZN2at6native31launch_logcumsumexp_cuda_kernelERKNSB_10TensorBaseESF_lENKUlvE_clEvENKUlvE_clEvEUlddE_dEEDaPvRmT3_T4_T5_mT6_P12ihipStream_tbENKUlT_T0_E_clISt17integral_constantIbLb1EESV_IbLb0EEEEDaSR_SS_EUlSR_E0_NS1_11comp_targetILNS1_3genE8ELNS1_11target_archE1030ELNS1_3gpuE2ELNS1_3repE0EEENS1_30default_config_static_selectorELNS0_4arch9wavefront6targetE1EEEvT1_.num_agpr, 0
	.set _ZN7rocprim17ROCPRIM_400000_NS6detail17trampoline_kernelINS0_14default_configENS1_20scan_config_selectorIdEEZZNS1_9scan_implILNS1_25lookback_scan_determinismE0ELb0ELb0ES3_PKdPddZZZN2at6native31launch_logcumsumexp_cuda_kernelERKNSB_10TensorBaseESF_lENKUlvE_clEvENKUlvE_clEvEUlddE_dEEDaPvRmT3_T4_T5_mT6_P12ihipStream_tbENKUlT_T0_E_clISt17integral_constantIbLb1EESV_IbLb0EEEEDaSR_SS_EUlSR_E0_NS1_11comp_targetILNS1_3genE8ELNS1_11target_archE1030ELNS1_3gpuE2ELNS1_3repE0EEENS1_30default_config_static_selectorELNS0_4arch9wavefront6targetE1EEEvT1_.numbered_sgpr, 0
	.set _ZN7rocprim17ROCPRIM_400000_NS6detail17trampoline_kernelINS0_14default_configENS1_20scan_config_selectorIdEEZZNS1_9scan_implILNS1_25lookback_scan_determinismE0ELb0ELb0ES3_PKdPddZZZN2at6native31launch_logcumsumexp_cuda_kernelERKNSB_10TensorBaseESF_lENKUlvE_clEvENKUlvE_clEvEUlddE_dEEDaPvRmT3_T4_T5_mT6_P12ihipStream_tbENKUlT_T0_E_clISt17integral_constantIbLb1EESV_IbLb0EEEEDaSR_SS_EUlSR_E0_NS1_11comp_targetILNS1_3genE8ELNS1_11target_archE1030ELNS1_3gpuE2ELNS1_3repE0EEENS1_30default_config_static_selectorELNS0_4arch9wavefront6targetE1EEEvT1_.num_named_barrier, 0
	.set _ZN7rocprim17ROCPRIM_400000_NS6detail17trampoline_kernelINS0_14default_configENS1_20scan_config_selectorIdEEZZNS1_9scan_implILNS1_25lookback_scan_determinismE0ELb0ELb0ES3_PKdPddZZZN2at6native31launch_logcumsumexp_cuda_kernelERKNSB_10TensorBaseESF_lENKUlvE_clEvENKUlvE_clEvEUlddE_dEEDaPvRmT3_T4_T5_mT6_P12ihipStream_tbENKUlT_T0_E_clISt17integral_constantIbLb1EESV_IbLb0EEEEDaSR_SS_EUlSR_E0_NS1_11comp_targetILNS1_3genE8ELNS1_11target_archE1030ELNS1_3gpuE2ELNS1_3repE0EEENS1_30default_config_static_selectorELNS0_4arch9wavefront6targetE1EEEvT1_.private_seg_size, 0
	.set _ZN7rocprim17ROCPRIM_400000_NS6detail17trampoline_kernelINS0_14default_configENS1_20scan_config_selectorIdEEZZNS1_9scan_implILNS1_25lookback_scan_determinismE0ELb0ELb0ES3_PKdPddZZZN2at6native31launch_logcumsumexp_cuda_kernelERKNSB_10TensorBaseESF_lENKUlvE_clEvENKUlvE_clEvEUlddE_dEEDaPvRmT3_T4_T5_mT6_P12ihipStream_tbENKUlT_T0_E_clISt17integral_constantIbLb1EESV_IbLb0EEEEDaSR_SS_EUlSR_E0_NS1_11comp_targetILNS1_3genE8ELNS1_11target_archE1030ELNS1_3gpuE2ELNS1_3repE0EEENS1_30default_config_static_selectorELNS0_4arch9wavefront6targetE1EEEvT1_.uses_vcc, 0
	.set _ZN7rocprim17ROCPRIM_400000_NS6detail17trampoline_kernelINS0_14default_configENS1_20scan_config_selectorIdEEZZNS1_9scan_implILNS1_25lookback_scan_determinismE0ELb0ELb0ES3_PKdPddZZZN2at6native31launch_logcumsumexp_cuda_kernelERKNSB_10TensorBaseESF_lENKUlvE_clEvENKUlvE_clEvEUlddE_dEEDaPvRmT3_T4_T5_mT6_P12ihipStream_tbENKUlT_T0_E_clISt17integral_constantIbLb1EESV_IbLb0EEEEDaSR_SS_EUlSR_E0_NS1_11comp_targetILNS1_3genE8ELNS1_11target_archE1030ELNS1_3gpuE2ELNS1_3repE0EEENS1_30default_config_static_selectorELNS0_4arch9wavefront6targetE1EEEvT1_.uses_flat_scratch, 0
	.set _ZN7rocprim17ROCPRIM_400000_NS6detail17trampoline_kernelINS0_14default_configENS1_20scan_config_selectorIdEEZZNS1_9scan_implILNS1_25lookback_scan_determinismE0ELb0ELb0ES3_PKdPddZZZN2at6native31launch_logcumsumexp_cuda_kernelERKNSB_10TensorBaseESF_lENKUlvE_clEvENKUlvE_clEvEUlddE_dEEDaPvRmT3_T4_T5_mT6_P12ihipStream_tbENKUlT_T0_E_clISt17integral_constantIbLb1EESV_IbLb0EEEEDaSR_SS_EUlSR_E0_NS1_11comp_targetILNS1_3genE8ELNS1_11target_archE1030ELNS1_3gpuE2ELNS1_3repE0EEENS1_30default_config_static_selectorELNS0_4arch9wavefront6targetE1EEEvT1_.has_dyn_sized_stack, 0
	.set _ZN7rocprim17ROCPRIM_400000_NS6detail17trampoline_kernelINS0_14default_configENS1_20scan_config_selectorIdEEZZNS1_9scan_implILNS1_25lookback_scan_determinismE0ELb0ELb0ES3_PKdPddZZZN2at6native31launch_logcumsumexp_cuda_kernelERKNSB_10TensorBaseESF_lENKUlvE_clEvENKUlvE_clEvEUlddE_dEEDaPvRmT3_T4_T5_mT6_P12ihipStream_tbENKUlT_T0_E_clISt17integral_constantIbLb1EESV_IbLb0EEEEDaSR_SS_EUlSR_E0_NS1_11comp_targetILNS1_3genE8ELNS1_11target_archE1030ELNS1_3gpuE2ELNS1_3repE0EEENS1_30default_config_static_selectorELNS0_4arch9wavefront6targetE1EEEvT1_.has_recursion, 0
	.set _ZN7rocprim17ROCPRIM_400000_NS6detail17trampoline_kernelINS0_14default_configENS1_20scan_config_selectorIdEEZZNS1_9scan_implILNS1_25lookback_scan_determinismE0ELb0ELb0ES3_PKdPddZZZN2at6native31launch_logcumsumexp_cuda_kernelERKNSB_10TensorBaseESF_lENKUlvE_clEvENKUlvE_clEvEUlddE_dEEDaPvRmT3_T4_T5_mT6_P12ihipStream_tbENKUlT_T0_E_clISt17integral_constantIbLb1EESV_IbLb0EEEEDaSR_SS_EUlSR_E0_NS1_11comp_targetILNS1_3genE8ELNS1_11target_archE1030ELNS1_3gpuE2ELNS1_3repE0EEENS1_30default_config_static_selectorELNS0_4arch9wavefront6targetE1EEEvT1_.has_indirect_call, 0
	.section	.AMDGPU.csdata,"",@progbits
; Kernel info:
; codeLenInByte = 0
; TotalNumSgprs: 6
; NumVgprs: 0
; NumAgprs: 0
; TotalNumVgprs: 0
; ScratchSize: 0
; MemoryBound: 0
; FloatMode: 240
; IeeeMode: 1
; LDSByteSize: 0 bytes/workgroup (compile time only)
; SGPRBlocks: 0
; VGPRBlocks: 0
; NumSGPRsForWavesPerEU: 6
; NumVGPRsForWavesPerEU: 1
; AccumOffset: 4
; Occupancy: 8
; WaveLimiterHint : 0
; COMPUTE_PGM_RSRC2:SCRATCH_EN: 0
; COMPUTE_PGM_RSRC2:USER_SGPR: 2
; COMPUTE_PGM_RSRC2:TRAP_HANDLER: 0
; COMPUTE_PGM_RSRC2:TGID_X_EN: 1
; COMPUTE_PGM_RSRC2:TGID_Y_EN: 0
; COMPUTE_PGM_RSRC2:TGID_Z_EN: 0
; COMPUTE_PGM_RSRC2:TIDIG_COMP_CNT: 0
; COMPUTE_PGM_RSRC3_GFX90A:ACCUM_OFFSET: 0
; COMPUTE_PGM_RSRC3_GFX90A:TG_SPLIT: 0
	.section	.text._ZN7rocprim17ROCPRIM_400000_NS6detail31init_lookback_scan_state_kernelINS1_19lookback_scan_stateIdLb0ELb1EEENS1_16block_id_wrapperIjLb1EEEEEvT_jT0_jPNS7_10value_typeE,"axG",@progbits,_ZN7rocprim17ROCPRIM_400000_NS6detail31init_lookback_scan_state_kernelINS1_19lookback_scan_stateIdLb0ELb1EEENS1_16block_id_wrapperIjLb1EEEEEvT_jT0_jPNS7_10value_typeE,comdat
	.protected	_ZN7rocprim17ROCPRIM_400000_NS6detail31init_lookback_scan_state_kernelINS1_19lookback_scan_stateIdLb0ELb1EEENS1_16block_id_wrapperIjLb1EEEEEvT_jT0_jPNS7_10value_typeE ; -- Begin function _ZN7rocprim17ROCPRIM_400000_NS6detail31init_lookback_scan_state_kernelINS1_19lookback_scan_stateIdLb0ELb1EEENS1_16block_id_wrapperIjLb1EEEEEvT_jT0_jPNS7_10value_typeE
	.globl	_ZN7rocprim17ROCPRIM_400000_NS6detail31init_lookback_scan_state_kernelINS1_19lookback_scan_stateIdLb0ELb1EEENS1_16block_id_wrapperIjLb1EEEEEvT_jT0_jPNS7_10value_typeE
	.p2align	8
	.type	_ZN7rocprim17ROCPRIM_400000_NS6detail31init_lookback_scan_state_kernelINS1_19lookback_scan_stateIdLb0ELb1EEENS1_16block_id_wrapperIjLb1EEEEEvT_jT0_jPNS7_10value_typeE,@function
_ZN7rocprim17ROCPRIM_400000_NS6detail31init_lookback_scan_state_kernelINS1_19lookback_scan_stateIdLb0ELb1EEENS1_16block_id_wrapperIjLb1EEEEEvT_jT0_jPNS7_10value_typeE: ; @_ZN7rocprim17ROCPRIM_400000_NS6detail31init_lookback_scan_state_kernelINS1_19lookback_scan_stateIdLb0ELb1EEENS1_16block_id_wrapperIjLb1EEEEEvT_jT0_jPNS7_10value_typeE
; %bb.0:
	s_load_dword s3, s[0:1], 0x34
	s_load_dwordx2 s[6:7], s[0:1], 0x20
	s_load_dwordx2 s[4:5], s[0:1], 0x0
	s_load_dword s14, s[0:1], 0x8
	s_waitcnt lgkmcnt(0)
	s_and_b32 s3, s3, 0xffff
	s_mul_i32 s2, s2, s3
	s_cmp_eq_u64 s[6:7], 0
	v_add_u32_e32 v0, s2, v0
	s_cbranch_scc1 .LBB65_8
; %bb.1:
	s_load_dword s8, s[0:1], 0x18
	s_mov_b32 s9, 0
	s_waitcnt lgkmcnt(0)
	s_cmp_lt_u32 s8, s14
	s_cselect_b32 s2, s8, 0
	v_cmp_eq_u32_e32 vcc, s2, v0
	s_and_saveexec_b64 s[2:3], vcc
	s_cbranch_execz .LBB65_7
; %bb.2:
	s_add_i32 s8, s8, 64
	s_lshl_b64 s[8:9], s[8:9], 4
	s_add_u32 s12, s4, s8
	s_addc_u32 s13, s5, s9
	v_mov_b64_e32 v[2:3], s[12:13]
	;;#ASMSTART
	global_load_dwordx4 v[2:5], v[2:3] off sc1	
s_waitcnt vmcnt(0)
	;;#ASMEND
	v_mov_b32_e32 v7, 0
	v_and_b32_e32 v6, 0xff, v4
	s_mov_b64 s[10:11], 0
	v_cmp_eq_u64_e32 vcc, 0, v[6:7]
	s_and_saveexec_b64 s[8:9], vcc
	s_cbranch_execz .LBB65_6
; %bb.3:
	v_mov_b64_e32 v[8:9], s[12:13]
.LBB65_4:                               ; =>This Inner Loop Header: Depth=1
	;;#ASMSTART
	global_load_dwordx4 v[2:5], v[8:9] off sc1	
s_waitcnt vmcnt(0)
	;;#ASMEND
	s_nop 0
	v_and_b32_e32 v6, 0xff, v4
	v_cmp_ne_u64_e32 vcc, 0, v[6:7]
	s_or_b64 s[10:11], vcc, s[10:11]
	s_andn2_b64 exec, exec, s[10:11]
	s_cbranch_execnz .LBB65_4
; %bb.5:
	s_or_b64 exec, exec, s[10:11]
.LBB65_6:
	s_or_b64 exec, exec, s[8:9]
	v_mov_b32_e32 v1, 0
	global_store_dwordx2 v1, v[2:3], s[6:7]
.LBB65_7:
	s_or_b64 exec, exec, s[2:3]
.LBB65_8:
	v_cmp_eq_u32_e32 vcc, 0, v0
	s_and_saveexec_b64 s[2:3], vcc
	s_cbranch_execnz .LBB65_12
; %bb.9:
	s_or_b64 exec, exec, s[2:3]
	v_cmp_gt_u32_e32 vcc, s14, v0
	s_and_saveexec_b64 s[0:1], vcc
	s_cbranch_execnz .LBB65_13
.LBB65_10:
	s_or_b64 exec, exec, s[0:1]
	v_cmp_gt_u32_e32 vcc, 64, v0
	s_and_saveexec_b64 s[0:1], vcc
	s_cbranch_execnz .LBB65_14
.LBB65_11:
	s_endpgm
.LBB65_12:
	s_load_dwordx2 s[0:1], s[0:1], 0x10
	v_mov_b32_e32 v1, 0
	s_waitcnt lgkmcnt(0)
	global_store_dword v1, v1, s[0:1]
	s_or_b64 exec, exec, s[2:3]
	v_cmp_gt_u32_e32 vcc, s14, v0
	s_and_saveexec_b64 s[0:1], vcc
	s_cbranch_execz .LBB65_10
.LBB65_13:
	v_add_u32_e32 v2, 64, v0
	v_mov_b32_e32 v3, 0
	v_lshl_add_u64 v[6:7], v[2:3], 4, s[4:5]
	v_mov_b32_e32 v2, v3
	v_mov_b32_e32 v4, v3
	;; [unrolled: 1-line block ×3, first 2 shown]
	global_store_dwordx4 v[6:7], v[2:5], off
	s_or_b64 exec, exec, s[0:1]
	v_cmp_gt_u32_e32 vcc, 64, v0
	s_and_saveexec_b64 s[0:1], vcc
	s_cbranch_execz .LBB65_11
.LBB65_14:
	v_mov_b32_e32 v1, 0
	v_lshl_add_u64 v[4:5], v[0:1], 4, s[4:5]
	v_mov_b32_e32 v2, 0xff
	v_mov_b32_e32 v0, v1
	;; [unrolled: 1-line block ×3, first 2 shown]
	global_store_dwordx4 v[4:5], v[0:3], off
	s_endpgm
	.section	.rodata,"a",@progbits
	.p2align	6, 0x0
	.amdhsa_kernel _ZN7rocprim17ROCPRIM_400000_NS6detail31init_lookback_scan_state_kernelINS1_19lookback_scan_stateIdLb0ELb1EEENS1_16block_id_wrapperIjLb1EEEEEvT_jT0_jPNS7_10value_typeE
		.amdhsa_group_segment_fixed_size 0
		.amdhsa_private_segment_fixed_size 0
		.amdhsa_kernarg_size 296
		.amdhsa_user_sgpr_count 2
		.amdhsa_user_sgpr_dispatch_ptr 0
		.amdhsa_user_sgpr_queue_ptr 0
		.amdhsa_user_sgpr_kernarg_segment_ptr 1
		.amdhsa_user_sgpr_dispatch_id 0
		.amdhsa_user_sgpr_kernarg_preload_length 0
		.amdhsa_user_sgpr_kernarg_preload_offset 0
		.amdhsa_user_sgpr_private_segment_size 0
		.amdhsa_uses_dynamic_stack 0
		.amdhsa_enable_private_segment 0
		.amdhsa_system_sgpr_workgroup_id_x 1
		.amdhsa_system_sgpr_workgroup_id_y 0
		.amdhsa_system_sgpr_workgroup_id_z 0
		.amdhsa_system_sgpr_workgroup_info 0
		.amdhsa_system_vgpr_workitem_id 0
		.amdhsa_next_free_vgpr 10
		.amdhsa_next_free_sgpr 15
		.amdhsa_accum_offset 12
		.amdhsa_reserve_vcc 1
		.amdhsa_float_round_mode_32 0
		.amdhsa_float_round_mode_16_64 0
		.amdhsa_float_denorm_mode_32 3
		.amdhsa_float_denorm_mode_16_64 3
		.amdhsa_dx10_clamp 1
		.amdhsa_ieee_mode 1
		.amdhsa_fp16_overflow 0
		.amdhsa_tg_split 0
		.amdhsa_exception_fp_ieee_invalid_op 0
		.amdhsa_exception_fp_denorm_src 0
		.amdhsa_exception_fp_ieee_div_zero 0
		.amdhsa_exception_fp_ieee_overflow 0
		.amdhsa_exception_fp_ieee_underflow 0
		.amdhsa_exception_fp_ieee_inexact 0
		.amdhsa_exception_int_div_zero 0
	.end_amdhsa_kernel
	.section	.text._ZN7rocprim17ROCPRIM_400000_NS6detail31init_lookback_scan_state_kernelINS1_19lookback_scan_stateIdLb0ELb1EEENS1_16block_id_wrapperIjLb1EEEEEvT_jT0_jPNS7_10value_typeE,"axG",@progbits,_ZN7rocprim17ROCPRIM_400000_NS6detail31init_lookback_scan_state_kernelINS1_19lookback_scan_stateIdLb0ELb1EEENS1_16block_id_wrapperIjLb1EEEEEvT_jT0_jPNS7_10value_typeE,comdat
.Lfunc_end65:
	.size	_ZN7rocprim17ROCPRIM_400000_NS6detail31init_lookback_scan_state_kernelINS1_19lookback_scan_stateIdLb0ELb1EEENS1_16block_id_wrapperIjLb1EEEEEvT_jT0_jPNS7_10value_typeE, .Lfunc_end65-_ZN7rocprim17ROCPRIM_400000_NS6detail31init_lookback_scan_state_kernelINS1_19lookback_scan_stateIdLb0ELb1EEENS1_16block_id_wrapperIjLb1EEEEEvT_jT0_jPNS7_10value_typeE
                                        ; -- End function
	.set _ZN7rocprim17ROCPRIM_400000_NS6detail31init_lookback_scan_state_kernelINS1_19lookback_scan_stateIdLb0ELb1EEENS1_16block_id_wrapperIjLb1EEEEEvT_jT0_jPNS7_10value_typeE.num_vgpr, 10
	.set _ZN7rocprim17ROCPRIM_400000_NS6detail31init_lookback_scan_state_kernelINS1_19lookback_scan_stateIdLb0ELb1EEENS1_16block_id_wrapperIjLb1EEEEEvT_jT0_jPNS7_10value_typeE.num_agpr, 0
	.set _ZN7rocprim17ROCPRIM_400000_NS6detail31init_lookback_scan_state_kernelINS1_19lookback_scan_stateIdLb0ELb1EEENS1_16block_id_wrapperIjLb1EEEEEvT_jT0_jPNS7_10value_typeE.numbered_sgpr, 15
	.set _ZN7rocprim17ROCPRIM_400000_NS6detail31init_lookback_scan_state_kernelINS1_19lookback_scan_stateIdLb0ELb1EEENS1_16block_id_wrapperIjLb1EEEEEvT_jT0_jPNS7_10value_typeE.num_named_barrier, 0
	.set _ZN7rocprim17ROCPRIM_400000_NS6detail31init_lookback_scan_state_kernelINS1_19lookback_scan_stateIdLb0ELb1EEENS1_16block_id_wrapperIjLb1EEEEEvT_jT0_jPNS7_10value_typeE.private_seg_size, 0
	.set _ZN7rocprim17ROCPRIM_400000_NS6detail31init_lookback_scan_state_kernelINS1_19lookback_scan_stateIdLb0ELb1EEENS1_16block_id_wrapperIjLb1EEEEEvT_jT0_jPNS7_10value_typeE.uses_vcc, 1
	.set _ZN7rocprim17ROCPRIM_400000_NS6detail31init_lookback_scan_state_kernelINS1_19lookback_scan_stateIdLb0ELb1EEENS1_16block_id_wrapperIjLb1EEEEEvT_jT0_jPNS7_10value_typeE.uses_flat_scratch, 0
	.set _ZN7rocprim17ROCPRIM_400000_NS6detail31init_lookback_scan_state_kernelINS1_19lookback_scan_stateIdLb0ELb1EEENS1_16block_id_wrapperIjLb1EEEEEvT_jT0_jPNS7_10value_typeE.has_dyn_sized_stack, 0
	.set _ZN7rocprim17ROCPRIM_400000_NS6detail31init_lookback_scan_state_kernelINS1_19lookback_scan_stateIdLb0ELb1EEENS1_16block_id_wrapperIjLb1EEEEEvT_jT0_jPNS7_10value_typeE.has_recursion, 0
	.set _ZN7rocprim17ROCPRIM_400000_NS6detail31init_lookback_scan_state_kernelINS1_19lookback_scan_stateIdLb0ELb1EEENS1_16block_id_wrapperIjLb1EEEEEvT_jT0_jPNS7_10value_typeE.has_indirect_call, 0
	.section	.AMDGPU.csdata,"",@progbits
; Kernel info:
; codeLenInByte = 444
; TotalNumSgprs: 21
; NumVgprs: 10
; NumAgprs: 0
; TotalNumVgprs: 10
; ScratchSize: 0
; MemoryBound: 0
; FloatMode: 240
; IeeeMode: 1
; LDSByteSize: 0 bytes/workgroup (compile time only)
; SGPRBlocks: 2
; VGPRBlocks: 1
; NumSGPRsForWavesPerEU: 21
; NumVGPRsForWavesPerEU: 10
; AccumOffset: 12
; Occupancy: 8
; WaveLimiterHint : 0
; COMPUTE_PGM_RSRC2:SCRATCH_EN: 0
; COMPUTE_PGM_RSRC2:USER_SGPR: 2
; COMPUTE_PGM_RSRC2:TRAP_HANDLER: 0
; COMPUTE_PGM_RSRC2:TGID_X_EN: 1
; COMPUTE_PGM_RSRC2:TGID_Y_EN: 0
; COMPUTE_PGM_RSRC2:TGID_Z_EN: 0
; COMPUTE_PGM_RSRC2:TIDIG_COMP_CNT: 0
; COMPUTE_PGM_RSRC3_GFX90A:ACCUM_OFFSET: 2
; COMPUTE_PGM_RSRC3_GFX90A:TG_SPLIT: 0
	.section	.text._ZN7rocprim17ROCPRIM_400000_NS6detail17trampoline_kernelINS0_14default_configENS1_20scan_config_selectorIdEEZZNS1_9scan_implILNS1_25lookback_scan_determinismE0ELb0ELb0ES3_PKdPddZZZN2at6native31launch_logcumsumexp_cuda_kernelERKNSB_10TensorBaseESF_lENKUlvE_clEvENKUlvE_clEvEUlddE_dEEDaPvRmT3_T4_T5_mT6_P12ihipStream_tbENKUlT_T0_E_clISt17integral_constantIbLb0EESV_IbLb1EEEEDaSR_SS_EUlSR_E_NS1_11comp_targetILNS1_3genE0ELNS1_11target_archE4294967295ELNS1_3gpuE0ELNS1_3repE0EEENS1_30default_config_static_selectorELNS0_4arch9wavefront6targetE1EEEvT1_,"axG",@progbits,_ZN7rocprim17ROCPRIM_400000_NS6detail17trampoline_kernelINS0_14default_configENS1_20scan_config_selectorIdEEZZNS1_9scan_implILNS1_25lookback_scan_determinismE0ELb0ELb0ES3_PKdPddZZZN2at6native31launch_logcumsumexp_cuda_kernelERKNSB_10TensorBaseESF_lENKUlvE_clEvENKUlvE_clEvEUlddE_dEEDaPvRmT3_T4_T5_mT6_P12ihipStream_tbENKUlT_T0_E_clISt17integral_constantIbLb0EESV_IbLb1EEEEDaSR_SS_EUlSR_E_NS1_11comp_targetILNS1_3genE0ELNS1_11target_archE4294967295ELNS1_3gpuE0ELNS1_3repE0EEENS1_30default_config_static_selectorELNS0_4arch9wavefront6targetE1EEEvT1_,comdat
	.globl	_ZN7rocprim17ROCPRIM_400000_NS6detail17trampoline_kernelINS0_14default_configENS1_20scan_config_selectorIdEEZZNS1_9scan_implILNS1_25lookback_scan_determinismE0ELb0ELb0ES3_PKdPddZZZN2at6native31launch_logcumsumexp_cuda_kernelERKNSB_10TensorBaseESF_lENKUlvE_clEvENKUlvE_clEvEUlddE_dEEDaPvRmT3_T4_T5_mT6_P12ihipStream_tbENKUlT_T0_E_clISt17integral_constantIbLb0EESV_IbLb1EEEEDaSR_SS_EUlSR_E_NS1_11comp_targetILNS1_3genE0ELNS1_11target_archE4294967295ELNS1_3gpuE0ELNS1_3repE0EEENS1_30default_config_static_selectorELNS0_4arch9wavefront6targetE1EEEvT1_ ; -- Begin function _ZN7rocprim17ROCPRIM_400000_NS6detail17trampoline_kernelINS0_14default_configENS1_20scan_config_selectorIdEEZZNS1_9scan_implILNS1_25lookback_scan_determinismE0ELb0ELb0ES3_PKdPddZZZN2at6native31launch_logcumsumexp_cuda_kernelERKNSB_10TensorBaseESF_lENKUlvE_clEvENKUlvE_clEvEUlddE_dEEDaPvRmT3_T4_T5_mT6_P12ihipStream_tbENKUlT_T0_E_clISt17integral_constantIbLb0EESV_IbLb1EEEEDaSR_SS_EUlSR_E_NS1_11comp_targetILNS1_3genE0ELNS1_11target_archE4294967295ELNS1_3gpuE0ELNS1_3repE0EEENS1_30default_config_static_selectorELNS0_4arch9wavefront6targetE1EEEvT1_
	.p2align	8
	.type	_ZN7rocprim17ROCPRIM_400000_NS6detail17trampoline_kernelINS0_14default_configENS1_20scan_config_selectorIdEEZZNS1_9scan_implILNS1_25lookback_scan_determinismE0ELb0ELb0ES3_PKdPddZZZN2at6native31launch_logcumsumexp_cuda_kernelERKNSB_10TensorBaseESF_lENKUlvE_clEvENKUlvE_clEvEUlddE_dEEDaPvRmT3_T4_T5_mT6_P12ihipStream_tbENKUlT_T0_E_clISt17integral_constantIbLb0EESV_IbLb1EEEEDaSR_SS_EUlSR_E_NS1_11comp_targetILNS1_3genE0ELNS1_11target_archE4294967295ELNS1_3gpuE0ELNS1_3repE0EEENS1_30default_config_static_selectorELNS0_4arch9wavefront6targetE1EEEvT1_,@function
_ZN7rocprim17ROCPRIM_400000_NS6detail17trampoline_kernelINS0_14default_configENS1_20scan_config_selectorIdEEZZNS1_9scan_implILNS1_25lookback_scan_determinismE0ELb0ELb0ES3_PKdPddZZZN2at6native31launch_logcumsumexp_cuda_kernelERKNSB_10TensorBaseESF_lENKUlvE_clEvENKUlvE_clEvEUlddE_dEEDaPvRmT3_T4_T5_mT6_P12ihipStream_tbENKUlT_T0_E_clISt17integral_constantIbLb0EESV_IbLb1EEEEDaSR_SS_EUlSR_E_NS1_11comp_targetILNS1_3genE0ELNS1_11target_archE4294967295ELNS1_3gpuE0ELNS1_3repE0EEENS1_30default_config_static_selectorELNS0_4arch9wavefront6targetE1EEEvT1_: ; @_ZN7rocprim17ROCPRIM_400000_NS6detail17trampoline_kernelINS0_14default_configENS1_20scan_config_selectorIdEEZZNS1_9scan_implILNS1_25lookback_scan_determinismE0ELb0ELb0ES3_PKdPddZZZN2at6native31launch_logcumsumexp_cuda_kernelERKNSB_10TensorBaseESF_lENKUlvE_clEvENKUlvE_clEvEUlddE_dEEDaPvRmT3_T4_T5_mT6_P12ihipStream_tbENKUlT_T0_E_clISt17integral_constantIbLb0EESV_IbLb1EEEEDaSR_SS_EUlSR_E_NS1_11comp_targetILNS1_3genE0ELNS1_11target_archE4294967295ELNS1_3gpuE0ELNS1_3repE0EEENS1_30default_config_static_selectorELNS0_4arch9wavefront6targetE1EEEvT1_
; %bb.0:
	s_load_dwordx2 s[34:35], s[0:1], 0x30
	v_cmp_ne_u32_e64 s[2:3], 0, v0
	v_cmp_eq_u32_e64 s[4:5], 0, v0
	s_and_saveexec_b64 s[6:7], s[4:5]
	s_cbranch_execz .LBB66_4
; %bb.1:
	s_mov_b64 s[10:11], exec
	v_mbcnt_lo_u32_b32 v1, s10, 0
	v_mbcnt_hi_u32_b32 v1, s11, v1
	v_cmp_eq_u32_e32 vcc, 0, v1
                                        ; implicit-def: $vgpr2
	s_and_saveexec_b64 s[8:9], vcc
	s_cbranch_execz .LBB66_3
; %bb.2:
	s_load_dwordx2 s[12:13], s[0:1], 0x60
	s_bcnt1_i32_b64 s10, s[10:11]
	v_mov_b32_e32 v2, 0
	v_mov_b32_e32 v3, s10
	s_waitcnt lgkmcnt(0)
	global_atomic_add v2, v2, v3, s[12:13] sc0
.LBB66_3:
	s_or_b64 exec, exec, s[8:9]
	s_waitcnt vmcnt(0)
	v_readfirstlane_b32 s8, v2
	v_mov_b32_e32 v2, 0
	s_nop 0
	v_add_u32_e32 v1, s8, v1
	ds_write_b32 v2, v1
.LBB66_4:
	s_or_b64 exec, exec, s[6:7]
	s_load_dwordx8 s[36:43], s[0:1], 0x0
	s_load_dword s6, s[0:1], 0x38
	s_load_dwordx8 s[24:31], s[0:1], 0x40
	v_mov_b32_e32 v31, 0
	s_waitcnt lgkmcnt(0)
	s_barrier
	ds_read_b32 v1, v31
	s_lshl_b64 s[38:39], s[38:39], 3
	s_add_u32 s7, s36, s38
	s_addc_u32 s10, s37, s39
	s_add_i32 s0, s6, -1
	s_waitcnt lgkmcnt(0)
	v_readfirstlane_b32 s69, v1
	s_mul_i32 s1, s0, 0x600
	s_mul_i32 s8, s69, 0x600
	s_mov_b32 s9, 0
	s_sub_u32 s33, s42, s1
	s_subb_u32 s68, s43, 0
	s_lshl_b64 s[36:37], s[8:9], 3
	v_cmp_ne_u32_e64 s[0:1], s0, v1
	s_add_u32 s8, s7, s36
	s_addc_u32 s9, s10, s37
	s_mov_b64 s[6:7], -1
	s_and_b64 vcc, exec, s[0:1]
	v_lshlrev_b32_e32 v30, 3, v0
	s_barrier
	s_cbranch_vccz .LBB66_6
; %bb.5:
	v_lshl_add_u64 v[2:3], s[8:9], 0, v[30:31]
	v_add_co_u32_e32 v8, vcc, 0x1000, v2
	global_load_dwordx2 v[4:5], v30, s[8:9]
	global_load_dwordx2 v[6:7], v30, s[8:9] offset:2048
	v_addc_co_u32_e32 v9, vcc, 0, v3, vcc
	v_add_co_u32_e32 v2, vcc, 0x2000, v2
	s_mov_b64 s[6:7], 0
	s_nop 0
	v_addc_co_u32_e32 v3, vcc, 0, v3, vcc
	global_load_dwordx2 v[10:11], v[8:9], off
	global_load_dwordx2 v[12:13], v[8:9], off offset:2048
	global_load_dwordx2 v[14:15], v[2:3], off
	global_load_dwordx2 v[16:17], v[2:3], off offset:2048
	s_waitcnt vmcnt(4)
	ds_write2st64_b64 v30, v[4:5], v[6:7] offset1:4
	s_waitcnt vmcnt(2)
	ds_write2st64_b64 v30, v[10:11], v[12:13] offset0:8 offset1:12
	s_waitcnt vmcnt(0)
	ds_write2st64_b64 v30, v[14:15], v[16:17] offset0:16 offset1:20
	s_waitcnt lgkmcnt(0)
	s_barrier
.LBB66_6:
	s_andn2_b64 vcc, exec, s[6:7]
	v_cmp_gt_u32_e64 s[6:7], s33, v0
	s_cbranch_vccnz .LBB66_20
; %bb.7:
	v_mov_b32_e32 v1, 0
	global_load_dwordx2 v[2:3], v1, s[8:9]
	s_waitcnt vmcnt(0)
	v_mov_b32_e32 v4, v2
	v_mov_b32_e32 v5, v3
	;; [unrolled: 1-line block ×8, first 2 shown]
	v_mov_b64_e32 v[18:19], v[14:15]
	v_mov_b64_e32 v[16:17], v[12:13]
	;; [unrolled: 1-line block ×8, first 2 shown]
	s_and_saveexec_b64 s[10:11], s[6:7]
	s_cbranch_execz .LBB66_9
; %bb.8:
	global_load_dwordx2 v[20:21], v30, s[8:9]
	v_mov_b32_e32 v4, v2
	v_mov_b32_e32 v5, v3
	;; [unrolled: 1-line block ×8, first 2 shown]
	v_mov_b64_e32 v[18:19], v[14:15]
	v_mov_b64_e32 v[16:17], v[12:13]
	;; [unrolled: 1-line block ×8, first 2 shown]
	s_waitcnt vmcnt(0)
	v_mov_b64_e32 v[2:3], v[20:21]
.LBB66_9:
	s_or_b64 exec, exec, s[10:11]
	v_or_b32_e32 v1, 0x100, v0
	v_cmp_gt_u32_e32 vcc, s33, v1
	s_and_saveexec_b64 s[6:7], vcc
	s_cbranch_execz .LBB66_11
; %bb.10:
	global_load_dwordx2 v[6:7], v30, s[8:9] offset:2048
.LBB66_11:
	s_or_b64 exec, exec, s[6:7]
	v_or_b32_e32 v1, 0x200, v0
	v_cmp_gt_u32_e32 vcc, s33, v1
	s_and_saveexec_b64 s[6:7], vcc
	s_cbranch_execz .LBB66_13
; %bb.12:
	v_lshlrev_b32_e32 v1, 3, v1
	global_load_dwordx2 v[8:9], v1, s[8:9]
.LBB66_13:
	s_or_b64 exec, exec, s[6:7]
	v_or_b32_e32 v1, 0x300, v0
	v_cmp_gt_u32_e32 vcc, s33, v1
	s_and_saveexec_b64 s[6:7], vcc
	s_cbranch_execz .LBB66_15
; %bb.14:
	v_lshlrev_b32_e32 v1, 3, v1
	global_load_dwordx2 v[10:11], v1, s[8:9]
.LBB66_15:
	;; [unrolled: 9-line block ×4, first 2 shown]
	s_or_b64 exec, exec, s[6:7]
	s_waitcnt vmcnt(0)
	ds_write2st64_b64 v30, v[2:3], v[6:7] offset1:4
	ds_write2st64_b64 v30, v[8:9], v[10:11] offset0:8 offset1:12
	ds_write2st64_b64 v30, v[12:13], v[14:15] offset0:16 offset1:20
	s_waitcnt lgkmcnt(0)
	s_barrier
.LBB66_20:
	v_mul_u32_u24_e32 v1, 48, v0
	ds_read_b128 v[2:5], v1
	ds_read_b128 v[26:29], v1 offset:16
	ds_read_b128 v[22:25], v1 offset:32
	s_cmp_lg_u32 s69, 0
	s_waitcnt lgkmcnt(0)
	v_cmp_u_f64_e64 s[6:7], v[4:5], v[4:5]
	v_max_f64 v[32:33], v[4:5], v[4:5]
	s_barrier
	s_cbranch_scc0 .LBB66_138
; %bb.21:
	v_max_f64 v[34:35], v[2:3], v[2:3]
	v_min_f64 v[6:7], v[34:35], v[32:33]
	v_cmp_u_f64_e64 s[16:17], v[2:3], v[2:3]
	s_movk_i32 s18, 0x1f8
	v_mov_b64_e32 v[36:37], v[2:3]
	v_cndmask_b32_e64 v6, v6, v2, s[16:17]
	v_cndmask_b32_e64 v7, v7, v3, s[16:17]
	;; [unrolled: 1-line block ×4, first 2 shown]
	v_max_f64 v[6:7], v[34:35], v[32:33]
	v_cndmask_b32_e64 v6, v6, v2, s[16:17]
	v_cndmask_b32_e64 v7, v7, v3, s[16:17]
	;; [unrolled: 1-line block ×4, first 2 shown]
	v_cmp_neq_f64_e32 vcc, v[8:9], v[6:7]
	v_cmp_class_f64_e64 s[8:9], v[8:9], s18
	s_or_b64 s[8:9], vcc, s[8:9]
	s_and_saveexec_b64 s[10:11], s[8:9]
	s_cbranch_execz .LBB66_23
; %bb.22:
	s_mov_b32 s8, 0x652b82fe
	v_add_f64 v[8:9], v[8:9], -v[6:7]
	s_mov_b32 s9, 0x3ff71547
	v_mul_f64 v[10:11], v[8:9], s[8:9]
	v_rndne_f64_e32 v[10:11], v[10:11]
	s_mov_b32 s13, 0xbfe62e42
	s_mov_b32 s12, 0xfefa39ef
	v_fma_f64 v[12:13], s[12:13], v[10:11], v[8:9]
	s_mov_b32 s15, 0xbc7abc9e
	s_mov_b32 s14, 0x3b39803f
	;; [unrolled: 1-line block ×3, first 2 shown]
	v_fmac_f64_e32 v[12:13], s[14:15], v[10:11]
	v_mov_b32_e32 v14, 0xfca7ab0c
	v_mov_b32_e32 v15, 0x3e928af3
	s_mov_b32 s9, 0x3e5ade15
	v_fmac_f64_e32 v[14:15], s[8:9], v[12:13]
	v_mov_b32_e32 v16, 0x623fde64
	v_mov_b32_e32 v17, 0x3ec71dee
	v_fmac_f64_e32 v[16:17], v[12:13], v[14:15]
	v_mov_b32_e32 v14, 0x7c89e6b0
	v_mov_b32_e32 v15, 0x3efa0199
	;; [unrolled: 3-line block ×8, first 2 shown]
	s_mov_b32 s8, 0
	v_fmac_f64_e32 v[14:15], v[12:13], v[16:17]
	s_mov_b32 s9, 0x40900000
	v_fma_f64 v[14:15], v[12:13], v[14:15], 1.0
	v_cmp_nlt_f64_e32 vcc, s[8:9], v[8:9]
	s_mov_b32 s8, 0
	v_fma_f64 v[12:13], v[12:13], v[14:15], 1.0
	v_cvt_i32_f64_e32 v10, v[10:11]
	s_mov_b32 s9, 0xc090cc00
	v_ldexp_f64 v[10:11], v[12:13], v10
	v_mov_b32_e32 v31, 0x7ff00000
	v_cmp_ngt_f64_e64 s[8:9], s[8:9], v[8:9]
	v_cndmask_b32_e32 v11, v31, v11, vcc
	s_and_b64 vcc, s[8:9], vcc
	v_cndmask_b32_e64 v9, 0, v11, s[8:9]
	v_cndmask_b32_e32 v8, 0, v10, vcc
	v_add_f64 v[10:11], v[8:9], 1.0
	v_add_f64 v[12:13], v[10:11], -1.0
	v_add_f64 v[14:15], v[12:13], -v[10:11]
	v_add_f64 v[14:15], v[14:15], 1.0
	v_add_f64 v[12:13], v[8:9], -v[12:13]
	s_mov_b32 s8, 0x55555555
	v_add_f64 v[12:13], v[12:13], v[14:15]
	v_frexp_mant_f64_e32 v[14:15], v[10:11]
	s_mov_b32 s9, 0x3fe55555
	v_frexp_exp_i32_f64_e32 v16, v[10:11]
	v_cmp_gt_f64_e32 vcc, s[8:9], v[14:15]
	s_mov_b32 s8, 0xbf559e2b
	s_mov_b32 s9, 0x3fc3ab76
	v_subbrev_co_u32_e32 v44, vcc, 0, v16, vcc
	v_sub_u32_e32 v14, 0, v44
	v_ldexp_f64 v[10:11], v[10:11], v14
	v_ldexp_f64 v[12:13], v[12:13], v14
	v_add_f64 v[14:15], v[10:11], -1.0
	v_add_f64 v[20:21], v[10:11], 1.0
	v_add_f64 v[16:17], v[14:15], 1.0
	v_add_f64 v[36:37], v[20:21], -1.0
	v_add_f64 v[16:17], v[10:11], -v[16:17]
	v_add_f64 v[10:11], v[10:11], -v[36:37]
	v_add_f64 v[10:11], v[12:13], v[10:11]
	v_add_f64 v[16:17], v[12:13], v[16:17]
	;; [unrolled: 1-line block ×3, first 2 shown]
	v_rcp_f64_e32 v[36:37], v[12:13]
	v_add_f64 v[18:19], v[14:15], v[16:17]
	v_add_f64 v[14:15], v[18:19], -v[14:15]
	v_add_f64 v[14:15], v[16:17], -v[14:15]
	;; [unrolled: 1-line block ×4, first 2 shown]
	v_fma_f64 v[16:17], -v[12:13], v[36:37], 1.0
	v_fmac_f64_e32 v[36:37], v[16:17], v[36:37]
	v_fma_f64 v[16:17], -v[12:13], v[36:37], 1.0
	v_fmac_f64_e32 v[36:37], v[16:17], v[36:37]
	v_mul_f64 v[16:17], v[18:19], v[36:37]
	v_mul_f64 v[20:21], v[12:13], v[16:17]
	v_fma_f64 v[38:39], v[16:17], v[12:13], -v[20:21]
	v_fmac_f64_e32 v[38:39], v[16:17], v[10:11]
	v_add_f64 v[40:41], v[20:21], v[38:39]
	v_add_f64 v[42:43], v[18:19], -v[40:41]
	v_add_f64 v[18:19], v[18:19], -v[42:43]
	;; [unrolled: 1-line block ×4, first 2 shown]
	v_add_f64 v[14:15], v[14:15], v[18:19]
	v_add_f64 v[18:19], v[20:21], -v[38:39]
	v_add_f64 v[14:15], v[18:19], v[14:15]
	v_add_f64 v[18:19], v[42:43], v[14:15]
	v_add_f64 v[20:21], v[42:43], -v[18:19]
	v_add_f64 v[14:15], v[14:15], v[20:21]
	v_mul_f64 v[20:21], v[36:37], v[18:19]
	v_mul_f64 v[38:39], v[12:13], v[20:21]
	v_fma_f64 v[12:13], v[20:21], v[12:13], -v[38:39]
	v_fmac_f64_e32 v[12:13], v[20:21], v[10:11]
	v_add_f64 v[10:11], v[38:39], v[12:13]
	v_add_f64 v[40:41], v[18:19], -v[10:11]
	v_add_f64 v[18:19], v[18:19], -v[40:41]
	;; [unrolled: 1-line block ×4, first 2 shown]
	v_add_f64 v[10:11], v[14:15], v[10:11]
	v_add_f64 v[12:13], v[38:39], -v[12:13]
	v_add_f64 v[10:11], v[12:13], v[10:11]
	v_add_f64 v[12:13], v[16:17], v[20:21]
	;; [unrolled: 1-line block ×3, first 2 shown]
	v_add_f64 v[14:15], v[12:13], -v[16:17]
	v_mul_f64 v[10:11], v[36:37], v[10:11]
	v_add_f64 v[14:15], v[20:21], -v[14:15]
	v_add_f64 v[10:11], v[14:15], v[10:11]
	v_add_f64 v[14:15], v[12:13], v[10:11]
	v_add_f64 v[12:13], v[14:15], -v[12:13]
	v_add_f64 v[10:11], v[10:11], -v[12:13]
	v_mul_f64 v[12:13], v[14:15], v[14:15]
	v_mov_b32_e32 v16, 0x6b47b09a
	v_mov_b32_e32 v17, 0x3fc38538
	v_fmac_f64_e32 v[16:17], s[8:9], v[12:13]
	v_mov_b32_e32 v18, 0xd7f4df2e
	v_mov_b32_e32 v19, 0x3fc7474d
	v_fmac_f64_e32 v[18:19], v[12:13], v[16:17]
	;; [unrolled: 3-line block ×6, first 2 shown]
	v_cvt_f64_i32_e32 v[16:17], v44
	s_mov_b32 s13, 0x3fe62e42
	v_mul_f64 v[20:21], v[16:17], s[12:13]
	v_fma_f64 v[36:37], v[16:17], s[12:13], -v[20:21]
	s_mov_b32 s15, 0x3c7abc9e
	v_fmac_f64_e32 v[36:37], s[14:15], v[16:17]
	v_add_f64 v[16:17], v[20:21], v[36:37]
	v_add_f64 v[20:21], v[16:17], -v[20:21]
	v_mul_f64 v[12:13], v[14:15], v[12:13]
	v_add_f64 v[20:21], v[36:37], -v[20:21]
	v_ldexp_f64 v[36:37], v[14:15], 1
	v_mul_f64 v[12:13], v[12:13], v[18:19]
	v_add_f64 v[14:15], v[36:37], v[12:13]
	v_add_f64 v[18:19], v[14:15], -v[36:37]
	v_ldexp_f64 v[10:11], v[10:11], 1
	v_add_f64 v[12:13], v[12:13], -v[18:19]
	v_add_f64 v[10:11], v[10:11], v[12:13]
	v_add_f64 v[12:13], v[14:15], v[10:11]
	v_add_f64 v[14:15], v[12:13], -v[14:15]
	v_add_f64 v[10:11], v[10:11], -v[14:15]
	v_add_f64 v[14:15], v[16:17], v[12:13]
	v_add_f64 v[18:19], v[14:15], -v[16:17]
	v_add_f64 v[36:37], v[14:15], -v[18:19]
	;; [unrolled: 1-line block ×4, first 2 shown]
	v_add_f64 v[12:13], v[12:13], v[16:17]
	v_add_f64 v[16:17], v[20:21], v[10:11]
	v_add_f64 v[18:19], v[16:17], -v[20:21]
	v_add_f64 v[12:13], v[16:17], v[12:13]
	v_add_f64 v[36:37], v[16:17], -v[18:19]
	;; [unrolled: 2-line block ×3, first 2 shown]
	v_add_f64 v[10:11], v[10:11], -v[18:19]
	v_add_f64 v[14:15], v[16:17], -v[14:15]
	v_add_f64 v[10:11], v[10:11], v[20:21]
	v_add_f64 v[12:13], v[12:13], -v[14:15]
	s_mov_b32 s8, 0
	v_add_f64 v[10:11], v[10:11], v[12:13]
	s_mov_b32 s9, 0x7ff00000
	v_add_f64 v[10:11], v[16:17], v[10:11]
	v_cmp_neq_f64_e32 vcc, s[8:9], v[8:9]
	v_mov_b32_e32 v12, 0x7ff80000
	v_cmp_ngt_f64_e64 s[8:9], -1.0, v[8:9]
	v_cndmask_b32_e32 v11, v31, v11, vcc
	s_nop 0
	v_cndmask_b32_e64 v11, v12, v11, s[8:9]
	v_cmp_nge_f64_e64 s[8:9], -1.0, v[8:9]
	s_and_b64 vcc, s[8:9], vcc
	v_cndmask_b32_e32 v10, 0, v10, vcc
	v_mov_b32_e32 v12, 0xfff00000
	v_cmp_neq_f64_e32 vcc, -1.0, v[8:9]
	s_nop 1
	v_cndmask_b32_e32 v11, v12, v11, vcc
	v_add_f64 v[36:37], v[6:7], v[10:11]
.LBB66_23:
	s_or_b64 exec, exec, s[10:11]
	v_max_f64 v[14:15], v[26:27], v[26:27]
	v_max_f64 v[6:7], v[36:37], v[36:37]
	v_min_f64 v[8:9], v[6:7], v[14:15]
	v_cmp_u_f64_e32 vcc, v[36:37], v[36:37]
	v_max_f64 v[6:7], v[6:7], v[14:15]
	v_cmp_u_f64_e64 s[8:9], v[26:27], v[26:27]
	v_cndmask_b32_e32 v8, v8, v36, vcc
	v_cndmask_b32_e32 v9, v9, v37, vcc
	;; [unrolled: 1-line block ×4, first 2 shown]
	v_cndmask_b32_e64 v9, v9, v27, s[8:9]
	v_cndmask_b32_e64 v8, v8, v26, s[8:9]
	;; [unrolled: 1-line block ×4, first 2 shown]
	v_cmp_neq_f64_e32 vcc, v[8:9], v[6:7]
	v_cmp_class_f64_e64 s[10:11], v[8:9], s18
	s_or_b64 s[10:11], vcc, s[10:11]
	s_and_saveexec_b64 s[12:13], s[10:11]
	s_cbranch_execz .LBB66_25
; %bb.24:
	s_mov_b32 s10, 0x652b82fe
	v_add_f64 v[8:9], v[8:9], -v[6:7]
	s_mov_b32 s11, 0x3ff71547
	v_mul_f64 v[10:11], v[8:9], s[10:11]
	v_rndne_f64_e32 v[10:11], v[10:11]
	s_mov_b32 s15, 0xbfe62e42
	s_mov_b32 s14, 0xfefa39ef
	v_fma_f64 v[12:13], s[14:15], v[10:11], v[8:9]
	s_mov_b32 s19, 0xbc7abc9e
	s_mov_b32 s18, 0x3b39803f
	s_mov_b32 s10, 0x6a5dcb37
	v_fmac_f64_e32 v[12:13], s[18:19], v[10:11]
	v_mov_b32_e32 v16, 0xfca7ab0c
	v_mov_b32_e32 v17, 0x3e928af3
	s_mov_b32 s11, 0x3e5ade15
	v_fmac_f64_e32 v[16:17], s[10:11], v[12:13]
	v_mov_b32_e32 v18, 0x623fde64
	v_mov_b32_e32 v19, 0x3ec71dee
	v_fmac_f64_e32 v[18:19], v[12:13], v[16:17]
	v_mov_b32_e32 v16, 0x7c89e6b0
	v_mov_b32_e32 v17, 0x3efa0199
	;; [unrolled: 3-line block ×8, first 2 shown]
	s_mov_b32 s10, 0
	v_fmac_f64_e32 v[16:17], v[12:13], v[18:19]
	s_mov_b32 s11, 0x40900000
	v_fma_f64 v[16:17], v[12:13], v[16:17], 1.0
	v_cmp_nlt_f64_e32 vcc, s[10:11], v[8:9]
	s_mov_b32 s10, 0
	v_fma_f64 v[12:13], v[12:13], v[16:17], 1.0
	v_cvt_i32_f64_e32 v10, v[10:11]
	s_mov_b32 s11, 0xc090cc00
	v_ldexp_f64 v[10:11], v[12:13], v10
	v_mov_b32_e32 v31, 0x7ff00000
	v_cmp_ngt_f64_e64 s[10:11], s[10:11], v[8:9]
	v_cndmask_b32_e32 v11, v31, v11, vcc
	s_and_b64 vcc, s[10:11], vcc
	v_cndmask_b32_e64 v9, 0, v11, s[10:11]
	v_cndmask_b32_e32 v8, 0, v10, vcc
	v_add_f64 v[10:11], v[8:9], 1.0
	v_add_f64 v[12:13], v[10:11], -1.0
	v_add_f64 v[16:17], v[12:13], -v[10:11]
	v_add_f64 v[16:17], v[16:17], 1.0
	v_add_f64 v[12:13], v[8:9], -v[12:13]
	s_mov_b32 s10, 0x55555555
	v_add_f64 v[12:13], v[12:13], v[16:17]
	v_frexp_mant_f64_e32 v[16:17], v[10:11]
	s_mov_b32 s11, 0x3fe55555
	v_frexp_exp_i32_f64_e32 v18, v[10:11]
	v_cmp_gt_f64_e32 vcc, s[10:11], v[16:17]
	s_mov_b32 s10, 0xbf559e2b
	s_mov_b32 s11, 0x3fc3ab76
	v_subbrev_co_u32_e32 v46, vcc, 0, v18, vcc
	v_sub_u32_e32 v16, 0, v46
	v_ldexp_f64 v[10:11], v[10:11], v16
	v_ldexp_f64 v[12:13], v[12:13], v16
	v_add_f64 v[16:17], v[10:11], -1.0
	v_add_f64 v[36:37], v[10:11], 1.0
	v_add_f64 v[18:19], v[16:17], 1.0
	v_add_f64 v[38:39], v[36:37], -1.0
	v_add_f64 v[18:19], v[10:11], -v[18:19]
	v_add_f64 v[10:11], v[10:11], -v[38:39]
	v_add_f64 v[10:11], v[12:13], v[10:11]
	v_add_f64 v[18:19], v[12:13], v[18:19]
	;; [unrolled: 1-line block ×3, first 2 shown]
	v_rcp_f64_e32 v[38:39], v[12:13]
	v_add_f64 v[20:21], v[16:17], v[18:19]
	v_add_f64 v[16:17], v[20:21], -v[16:17]
	v_add_f64 v[16:17], v[18:19], -v[16:17]
	;; [unrolled: 1-line block ×4, first 2 shown]
	v_fma_f64 v[18:19], -v[12:13], v[38:39], 1.0
	v_fmac_f64_e32 v[38:39], v[18:19], v[38:39]
	v_fma_f64 v[18:19], -v[12:13], v[38:39], 1.0
	v_fmac_f64_e32 v[38:39], v[18:19], v[38:39]
	v_mul_f64 v[18:19], v[20:21], v[38:39]
	v_mul_f64 v[36:37], v[12:13], v[18:19]
	v_fma_f64 v[40:41], v[18:19], v[12:13], -v[36:37]
	v_fmac_f64_e32 v[40:41], v[18:19], v[10:11]
	v_add_f64 v[42:43], v[36:37], v[40:41]
	v_add_f64 v[44:45], v[20:21], -v[42:43]
	v_add_f64 v[20:21], v[20:21], -v[44:45]
	;; [unrolled: 1-line block ×4, first 2 shown]
	v_add_f64 v[16:17], v[16:17], v[20:21]
	v_add_f64 v[20:21], v[36:37], -v[40:41]
	v_add_f64 v[16:17], v[20:21], v[16:17]
	v_add_f64 v[20:21], v[44:45], v[16:17]
	v_add_f64 v[36:37], v[44:45], -v[20:21]
	v_add_f64 v[16:17], v[16:17], v[36:37]
	v_mul_f64 v[36:37], v[38:39], v[20:21]
	v_mul_f64 v[40:41], v[12:13], v[36:37]
	v_fma_f64 v[12:13], v[36:37], v[12:13], -v[40:41]
	v_fmac_f64_e32 v[12:13], v[36:37], v[10:11]
	v_add_f64 v[10:11], v[40:41], v[12:13]
	v_add_f64 v[42:43], v[20:21], -v[10:11]
	v_add_f64 v[20:21], v[20:21], -v[42:43]
	;; [unrolled: 1-line block ×4, first 2 shown]
	v_add_f64 v[10:11], v[16:17], v[10:11]
	v_add_f64 v[12:13], v[40:41], -v[12:13]
	v_add_f64 v[10:11], v[12:13], v[10:11]
	v_add_f64 v[12:13], v[18:19], v[36:37]
	;; [unrolled: 1-line block ×3, first 2 shown]
	v_add_f64 v[16:17], v[12:13], -v[18:19]
	v_mul_f64 v[10:11], v[38:39], v[10:11]
	v_add_f64 v[16:17], v[36:37], -v[16:17]
	v_add_f64 v[10:11], v[16:17], v[10:11]
	v_add_f64 v[16:17], v[12:13], v[10:11]
	v_add_f64 v[12:13], v[16:17], -v[12:13]
	v_add_f64 v[10:11], v[10:11], -v[12:13]
	v_mul_f64 v[12:13], v[16:17], v[16:17]
	v_mov_b32_e32 v18, 0x6b47b09a
	v_mov_b32_e32 v19, 0x3fc38538
	v_fmac_f64_e32 v[18:19], s[10:11], v[12:13]
	v_mov_b32_e32 v20, 0xd7f4df2e
	v_mov_b32_e32 v21, 0x3fc7474d
	v_fmac_f64_e32 v[20:21], v[12:13], v[18:19]
	;; [unrolled: 3-line block ×6, first 2 shown]
	v_cvt_f64_i32_e32 v[18:19], v46
	s_mov_b32 s15, 0x3fe62e42
	v_mul_f64 v[36:37], v[18:19], s[14:15]
	v_fma_f64 v[38:39], v[18:19], s[14:15], -v[36:37]
	s_mov_b32 s19, 0x3c7abc9e
	v_fmac_f64_e32 v[38:39], s[18:19], v[18:19]
	v_add_f64 v[18:19], v[36:37], v[38:39]
	v_add_f64 v[36:37], v[18:19], -v[36:37]
	v_mul_f64 v[12:13], v[16:17], v[12:13]
	v_add_f64 v[36:37], v[38:39], -v[36:37]
	v_ldexp_f64 v[38:39], v[16:17], 1
	v_mul_f64 v[12:13], v[12:13], v[20:21]
	v_add_f64 v[16:17], v[38:39], v[12:13]
	v_add_f64 v[20:21], v[16:17], -v[38:39]
	v_ldexp_f64 v[10:11], v[10:11], 1
	v_add_f64 v[12:13], v[12:13], -v[20:21]
	v_add_f64 v[10:11], v[10:11], v[12:13]
	v_add_f64 v[12:13], v[16:17], v[10:11]
	v_add_f64 v[16:17], v[12:13], -v[16:17]
	v_add_f64 v[10:11], v[10:11], -v[16:17]
	v_add_f64 v[16:17], v[18:19], v[12:13]
	v_add_f64 v[20:21], v[16:17], -v[18:19]
	v_add_f64 v[38:39], v[16:17], -v[20:21]
	v_add_f64 v[18:19], v[18:19], -v[38:39]
	v_add_f64 v[12:13], v[12:13], -v[20:21]
	v_add_f64 v[12:13], v[12:13], v[18:19]
	v_add_f64 v[18:19], v[36:37], v[10:11]
	v_add_f64 v[20:21], v[18:19], -v[36:37]
	v_add_f64 v[12:13], v[18:19], v[12:13]
	v_add_f64 v[38:39], v[18:19], -v[20:21]
	;; [unrolled: 2-line block ×3, first 2 shown]
	v_add_f64 v[10:11], v[10:11], -v[20:21]
	v_add_f64 v[16:17], v[18:19], -v[16:17]
	v_add_f64 v[10:11], v[10:11], v[36:37]
	v_add_f64 v[12:13], v[12:13], -v[16:17]
	s_mov_b32 s10, 0
	v_add_f64 v[10:11], v[10:11], v[12:13]
	s_mov_b32 s11, 0x7ff00000
	v_add_f64 v[10:11], v[18:19], v[10:11]
	v_cmp_neq_f64_e32 vcc, s[10:11], v[8:9]
	v_mov_b32_e32 v12, 0x7ff80000
	v_cmp_ngt_f64_e64 s[10:11], -1.0, v[8:9]
	v_cndmask_b32_e32 v11, v31, v11, vcc
	s_nop 0
	v_cndmask_b32_e64 v11, v12, v11, s[10:11]
	v_cmp_nge_f64_e64 s[10:11], -1.0, v[8:9]
	s_and_b64 vcc, s[10:11], vcc
	v_cndmask_b32_e32 v10, 0, v10, vcc
	v_mov_b32_e32 v12, 0xfff00000
	v_cmp_neq_f64_e32 vcc, -1.0, v[8:9]
	s_nop 1
	v_cndmask_b32_e32 v11, v12, v11, vcc
	v_add_f64 v[36:37], v[6:7], v[10:11]
.LBB66_25:
	s_or_b64 exec, exec, s[12:13]
	v_max_f64 v[16:17], v[28:29], v[28:29]
	v_max_f64 v[6:7], v[36:37], v[36:37]
	v_min_f64 v[8:9], v[6:7], v[16:17]
	v_cmp_u_f64_e32 vcc, v[36:37], v[36:37]
	v_max_f64 v[6:7], v[6:7], v[16:17]
	v_cmp_u_f64_e64 s[10:11], v[28:29], v[28:29]
	v_cndmask_b32_e32 v8, v8, v36, vcc
	v_cndmask_b32_e32 v9, v9, v37, vcc
	;; [unrolled: 1-line block ×4, first 2 shown]
	v_cndmask_b32_e64 v9, v9, v29, s[10:11]
	v_cndmask_b32_e64 v8, v8, v28, s[10:11]
	;; [unrolled: 1-line block ×4, first 2 shown]
	s_movk_i32 s22, 0x1f8
	v_cmp_neq_f64_e32 vcc, v[8:9], v[6:7]
	v_cmp_class_f64_e64 s[12:13], v[8:9], s22
	s_or_b64 s[12:13], vcc, s[12:13]
	s_and_saveexec_b64 s[14:15], s[12:13]
	s_cbranch_execz .LBB66_27
; %bb.26:
	s_mov_b32 s12, 0x652b82fe
	v_add_f64 v[8:9], v[8:9], -v[6:7]
	s_mov_b32 s13, 0x3ff71547
	v_mul_f64 v[10:11], v[8:9], s[12:13]
	v_rndne_f64_e32 v[10:11], v[10:11]
	s_mov_b32 s19, 0xbfe62e42
	s_mov_b32 s18, 0xfefa39ef
	v_fma_f64 v[12:13], s[18:19], v[10:11], v[8:9]
	s_mov_b32 s21, 0xbc7abc9e
	s_mov_b32 s20, 0x3b39803f
	;; [unrolled: 1-line block ×3, first 2 shown]
	v_fmac_f64_e32 v[12:13], s[20:21], v[10:11]
	v_mov_b32_e32 v18, 0xfca7ab0c
	v_mov_b32_e32 v19, 0x3e928af3
	s_mov_b32 s13, 0x3e5ade15
	v_fmac_f64_e32 v[18:19], s[12:13], v[12:13]
	v_mov_b32_e32 v20, 0x623fde64
	v_mov_b32_e32 v21, 0x3ec71dee
	v_fmac_f64_e32 v[20:21], v[12:13], v[18:19]
	v_mov_b32_e32 v18, 0x7c89e6b0
	v_mov_b32_e32 v19, 0x3efa0199
	v_fmac_f64_e32 v[18:19], v[12:13], v[20:21]
	v_mov_b32_e32 v20, 0x14761f6e
	v_mov_b32_e32 v21, 0x3f2a01a0
	v_fmac_f64_e32 v[20:21], v[12:13], v[18:19]
	v_mov_b32_e32 v18, 0x1852b7b0
	v_mov_b32_e32 v19, 0x3f56c16c
	v_fmac_f64_e32 v[18:19], v[12:13], v[20:21]
	v_mov_b32_e32 v20, 0x11122322
	v_mov_b32_e32 v21, 0x3f811111
	v_fmac_f64_e32 v[20:21], v[12:13], v[18:19]
	v_mov_b32_e32 v18, 0x555502a1
	v_mov_b32_e32 v19, 0x3fa55555
	v_fmac_f64_e32 v[18:19], v[12:13], v[20:21]
	v_mov_b32_e32 v20, 0x55555511
	v_mov_b32_e32 v21, 0x3fc55555
	v_fmac_f64_e32 v[20:21], v[12:13], v[18:19]
	v_mov_b32_e32 v18, 11
	v_mov_b32_e32 v19, 0x3fe00000
	s_mov_b32 s12, 0
	v_fmac_f64_e32 v[18:19], v[12:13], v[20:21]
	s_mov_b32 s13, 0x40900000
	v_fma_f64 v[18:19], v[12:13], v[18:19], 1.0
	v_cmp_nlt_f64_e32 vcc, s[12:13], v[8:9]
	s_mov_b32 s12, 0
	v_fma_f64 v[12:13], v[12:13], v[18:19], 1.0
	v_cvt_i32_f64_e32 v10, v[10:11]
	s_mov_b32 s13, 0xc090cc00
	v_ldexp_f64 v[10:11], v[12:13], v10
	v_mov_b32_e32 v31, 0x7ff00000
	v_cmp_ngt_f64_e64 s[12:13], s[12:13], v[8:9]
	v_cndmask_b32_e32 v11, v31, v11, vcc
	s_and_b64 vcc, s[12:13], vcc
	v_cndmask_b32_e64 v9, 0, v11, s[12:13]
	v_cndmask_b32_e32 v8, 0, v10, vcc
	v_add_f64 v[10:11], v[8:9], 1.0
	v_add_f64 v[12:13], v[10:11], -1.0
	v_add_f64 v[18:19], v[12:13], -v[10:11]
	v_add_f64 v[18:19], v[18:19], 1.0
	v_add_f64 v[12:13], v[8:9], -v[12:13]
	s_mov_b32 s12, 0x55555555
	v_add_f64 v[12:13], v[12:13], v[18:19]
	v_frexp_mant_f64_e32 v[18:19], v[10:11]
	s_mov_b32 s13, 0x3fe55555
	v_frexp_exp_i32_f64_e32 v20, v[10:11]
	v_cmp_gt_f64_e32 vcc, s[12:13], v[18:19]
	s_mov_b32 s12, 0xbf559e2b
	s_mov_b32 s13, 0x3fc3ab76
	v_subbrev_co_u32_e32 v48, vcc, 0, v20, vcc
	v_sub_u32_e32 v18, 0, v48
	v_ldexp_f64 v[10:11], v[10:11], v18
	v_ldexp_f64 v[12:13], v[12:13], v18
	v_add_f64 v[18:19], v[10:11], -1.0
	v_add_f64 v[38:39], v[10:11], 1.0
	v_add_f64 v[20:21], v[18:19], 1.0
	v_add_f64 v[40:41], v[38:39], -1.0
	v_add_f64 v[20:21], v[10:11], -v[20:21]
	v_add_f64 v[10:11], v[10:11], -v[40:41]
	v_add_f64 v[10:11], v[12:13], v[10:11]
	v_add_f64 v[20:21], v[12:13], v[20:21]
	;; [unrolled: 1-line block ×3, first 2 shown]
	v_rcp_f64_e32 v[40:41], v[12:13]
	v_add_f64 v[36:37], v[18:19], v[20:21]
	v_add_f64 v[18:19], v[36:37], -v[18:19]
	v_add_f64 v[18:19], v[20:21], -v[18:19]
	;; [unrolled: 1-line block ×4, first 2 shown]
	v_fma_f64 v[20:21], -v[12:13], v[40:41], 1.0
	v_fmac_f64_e32 v[40:41], v[20:21], v[40:41]
	v_fma_f64 v[20:21], -v[12:13], v[40:41], 1.0
	v_fmac_f64_e32 v[40:41], v[20:21], v[40:41]
	v_mul_f64 v[20:21], v[36:37], v[40:41]
	v_mul_f64 v[38:39], v[12:13], v[20:21]
	v_fma_f64 v[42:43], v[20:21], v[12:13], -v[38:39]
	v_fmac_f64_e32 v[42:43], v[20:21], v[10:11]
	v_add_f64 v[44:45], v[38:39], v[42:43]
	v_add_f64 v[46:47], v[36:37], -v[44:45]
	v_add_f64 v[36:37], v[36:37], -v[46:47]
	;; [unrolled: 1-line block ×4, first 2 shown]
	v_add_f64 v[18:19], v[18:19], v[36:37]
	v_add_f64 v[36:37], v[38:39], -v[42:43]
	v_add_f64 v[18:19], v[36:37], v[18:19]
	v_add_f64 v[36:37], v[46:47], v[18:19]
	v_add_f64 v[38:39], v[46:47], -v[36:37]
	v_add_f64 v[18:19], v[18:19], v[38:39]
	v_mul_f64 v[38:39], v[40:41], v[36:37]
	v_mul_f64 v[42:43], v[12:13], v[38:39]
	v_fma_f64 v[12:13], v[38:39], v[12:13], -v[42:43]
	v_fmac_f64_e32 v[12:13], v[38:39], v[10:11]
	v_add_f64 v[10:11], v[42:43], v[12:13]
	v_add_f64 v[44:45], v[36:37], -v[10:11]
	v_add_f64 v[36:37], v[36:37], -v[44:45]
	;; [unrolled: 1-line block ×4, first 2 shown]
	v_add_f64 v[10:11], v[18:19], v[10:11]
	v_add_f64 v[12:13], v[42:43], -v[12:13]
	v_add_f64 v[10:11], v[12:13], v[10:11]
	v_add_f64 v[12:13], v[20:21], v[38:39]
	;; [unrolled: 1-line block ×3, first 2 shown]
	v_add_f64 v[18:19], v[12:13], -v[20:21]
	v_mul_f64 v[10:11], v[40:41], v[10:11]
	v_add_f64 v[18:19], v[38:39], -v[18:19]
	v_add_f64 v[10:11], v[18:19], v[10:11]
	v_add_f64 v[18:19], v[12:13], v[10:11]
	v_add_f64 v[12:13], v[18:19], -v[12:13]
	v_add_f64 v[10:11], v[10:11], -v[12:13]
	v_mul_f64 v[12:13], v[18:19], v[18:19]
	v_mov_b32_e32 v20, 0x6b47b09a
	v_mov_b32_e32 v21, 0x3fc38538
	v_fmac_f64_e32 v[20:21], s[12:13], v[12:13]
	v_mov_b32_e32 v36, 0xd7f4df2e
	v_mov_b32_e32 v37, 0x3fc7474d
	v_fmac_f64_e32 v[36:37], v[12:13], v[20:21]
	;; [unrolled: 3-line block ×6, first 2 shown]
	v_cvt_f64_i32_e32 v[20:21], v48
	s_mov_b32 s19, 0x3fe62e42
	v_mul_f64 v[38:39], v[20:21], s[18:19]
	v_fma_f64 v[40:41], v[20:21], s[18:19], -v[38:39]
	s_mov_b32 s21, 0x3c7abc9e
	v_fmac_f64_e32 v[40:41], s[20:21], v[20:21]
	v_add_f64 v[20:21], v[38:39], v[40:41]
	v_add_f64 v[38:39], v[20:21], -v[38:39]
	v_mul_f64 v[12:13], v[18:19], v[12:13]
	v_add_f64 v[38:39], v[40:41], -v[38:39]
	v_ldexp_f64 v[40:41], v[18:19], 1
	v_mul_f64 v[12:13], v[12:13], v[36:37]
	v_add_f64 v[18:19], v[40:41], v[12:13]
	v_add_f64 v[36:37], v[18:19], -v[40:41]
	v_ldexp_f64 v[10:11], v[10:11], 1
	v_add_f64 v[12:13], v[12:13], -v[36:37]
	v_add_f64 v[10:11], v[10:11], v[12:13]
	v_add_f64 v[12:13], v[18:19], v[10:11]
	v_add_f64 v[18:19], v[12:13], -v[18:19]
	v_add_f64 v[10:11], v[10:11], -v[18:19]
	v_add_f64 v[18:19], v[20:21], v[12:13]
	v_add_f64 v[36:37], v[18:19], -v[20:21]
	v_add_f64 v[40:41], v[18:19], -v[36:37]
	;; [unrolled: 1-line block ×4, first 2 shown]
	v_add_f64 v[12:13], v[12:13], v[20:21]
	v_add_f64 v[20:21], v[38:39], v[10:11]
	v_add_f64 v[36:37], v[20:21], -v[38:39]
	v_add_f64 v[12:13], v[20:21], v[12:13]
	v_add_f64 v[40:41], v[20:21], -v[36:37]
	;; [unrolled: 2-line block ×3, first 2 shown]
	v_add_f64 v[10:11], v[10:11], -v[36:37]
	v_add_f64 v[18:19], v[20:21], -v[18:19]
	v_add_f64 v[10:11], v[10:11], v[38:39]
	v_add_f64 v[12:13], v[12:13], -v[18:19]
	s_mov_b32 s12, 0
	v_add_f64 v[10:11], v[10:11], v[12:13]
	s_mov_b32 s13, 0x7ff00000
	v_add_f64 v[10:11], v[20:21], v[10:11]
	v_cmp_neq_f64_e32 vcc, s[12:13], v[8:9]
	v_mov_b32_e32 v12, 0x7ff80000
	v_cmp_ngt_f64_e64 s[12:13], -1.0, v[8:9]
	v_cndmask_b32_e32 v11, v31, v11, vcc
	s_nop 0
	v_cndmask_b32_e64 v11, v12, v11, s[12:13]
	v_cmp_nge_f64_e64 s[12:13], -1.0, v[8:9]
	s_and_b64 vcc, s[12:13], vcc
	v_cndmask_b32_e32 v10, 0, v10, vcc
	v_mov_b32_e32 v12, 0xfff00000
	v_cmp_neq_f64_e32 vcc, -1.0, v[8:9]
	s_nop 1
	v_cndmask_b32_e32 v11, v12, v11, vcc
	v_add_f64 v[36:37], v[6:7], v[10:11]
.LBB66_27:
	s_or_b64 exec, exec, s[14:15]
	v_max_f64 v[18:19], v[22:23], v[22:23]
	v_max_f64 v[6:7], v[36:37], v[36:37]
	v_min_f64 v[8:9], v[6:7], v[18:19]
	v_cmp_u_f64_e32 vcc, v[36:37], v[36:37]
	v_max_f64 v[6:7], v[6:7], v[18:19]
	v_cmp_u_f64_e64 s[12:13], v[22:23], v[22:23]
	v_cndmask_b32_e32 v8, v8, v36, vcc
	v_cndmask_b32_e32 v9, v9, v37, vcc
	;; [unrolled: 1-line block ×4, first 2 shown]
	v_cndmask_b32_e64 v9, v9, v23, s[12:13]
	v_cndmask_b32_e64 v8, v8, v22, s[12:13]
	;; [unrolled: 1-line block ×4, first 2 shown]
	v_cmp_neq_f64_e32 vcc, v[8:9], v[6:7]
	v_cmp_class_f64_e64 s[14:15], v[8:9], s22
	s_or_b64 s[14:15], vcc, s[14:15]
	s_and_saveexec_b64 s[18:19], s[14:15]
	s_cbranch_execz .LBB66_29
; %bb.28:
	s_mov_b32 s14, 0x652b82fe
	v_add_f64 v[8:9], v[8:9], -v[6:7]
	s_mov_b32 s15, 0x3ff71547
	v_mul_f64 v[10:11], v[8:9], s[14:15]
	v_rndne_f64_e32 v[10:11], v[10:11]
	s_mov_b32 s21, 0xbfe62e42
	s_mov_b32 s20, 0xfefa39ef
	v_fma_f64 v[12:13], s[20:21], v[10:11], v[8:9]
	s_mov_b32 s23, 0xbc7abc9e
	s_mov_b32 s22, 0x3b39803f
	;; [unrolled: 1-line block ×3, first 2 shown]
	v_fmac_f64_e32 v[12:13], s[22:23], v[10:11]
	v_mov_b32_e32 v20, 0xfca7ab0c
	v_mov_b32_e32 v21, 0x3e928af3
	s_mov_b32 s15, 0x3e5ade15
	v_fmac_f64_e32 v[20:21], s[14:15], v[12:13]
	v_mov_b32_e32 v36, 0x623fde64
	v_mov_b32_e32 v37, 0x3ec71dee
	v_fmac_f64_e32 v[36:37], v[12:13], v[20:21]
	v_mov_b32_e32 v20, 0x7c89e6b0
	v_mov_b32_e32 v21, 0x3efa0199
	;; [unrolled: 3-line block ×8, first 2 shown]
	s_mov_b32 s14, 0
	v_fmac_f64_e32 v[20:21], v[12:13], v[36:37]
	s_mov_b32 s15, 0x40900000
	v_fma_f64 v[20:21], v[12:13], v[20:21], 1.0
	v_cmp_nlt_f64_e32 vcc, s[14:15], v[8:9]
	s_mov_b32 s14, 0
	v_fma_f64 v[12:13], v[12:13], v[20:21], 1.0
	v_cvt_i32_f64_e32 v10, v[10:11]
	s_mov_b32 s15, 0xc090cc00
	v_ldexp_f64 v[10:11], v[12:13], v10
	v_mov_b32_e32 v31, 0x7ff00000
	v_cmp_ngt_f64_e64 s[14:15], s[14:15], v[8:9]
	v_cndmask_b32_e32 v11, v31, v11, vcc
	s_and_b64 vcc, s[14:15], vcc
	v_cndmask_b32_e64 v9, 0, v11, s[14:15]
	v_cndmask_b32_e32 v8, 0, v10, vcc
	v_add_f64 v[10:11], v[8:9], 1.0
	v_add_f64 v[12:13], v[10:11], -1.0
	v_add_f64 v[20:21], v[12:13], -v[10:11]
	v_add_f64 v[20:21], v[20:21], 1.0
	v_add_f64 v[12:13], v[8:9], -v[12:13]
	s_mov_b32 s14, 0x55555555
	v_add_f64 v[12:13], v[12:13], v[20:21]
	v_frexp_mant_f64_e32 v[20:21], v[10:11]
	s_mov_b32 s15, 0x3fe55555
	v_frexp_exp_i32_f64_e32 v36, v[10:11]
	v_cmp_gt_f64_e32 vcc, s[14:15], v[20:21]
	s_mov_b32 s14, 0xbf559e2b
	s_mov_b32 s15, 0x3fc3ab76
	v_subbrev_co_u32_e32 v50, vcc, 0, v36, vcc
	v_sub_u32_e32 v20, 0, v50
	v_ldexp_f64 v[10:11], v[10:11], v20
	v_ldexp_f64 v[12:13], v[12:13], v20
	v_add_f64 v[20:21], v[10:11], -1.0
	v_add_f64 v[40:41], v[10:11], 1.0
	v_add_f64 v[36:37], v[20:21], 1.0
	v_add_f64 v[42:43], v[40:41], -1.0
	v_add_f64 v[36:37], v[10:11], -v[36:37]
	v_add_f64 v[10:11], v[10:11], -v[42:43]
	v_add_f64 v[10:11], v[12:13], v[10:11]
	v_add_f64 v[36:37], v[12:13], v[36:37]
	;; [unrolled: 1-line block ×3, first 2 shown]
	v_rcp_f64_e32 v[42:43], v[12:13]
	v_add_f64 v[38:39], v[20:21], v[36:37]
	v_add_f64 v[20:21], v[38:39], -v[20:21]
	v_add_f64 v[20:21], v[36:37], -v[20:21]
	;; [unrolled: 1-line block ×4, first 2 shown]
	v_fma_f64 v[36:37], -v[12:13], v[42:43], 1.0
	v_fmac_f64_e32 v[42:43], v[36:37], v[42:43]
	v_fma_f64 v[36:37], -v[12:13], v[42:43], 1.0
	v_fmac_f64_e32 v[42:43], v[36:37], v[42:43]
	v_mul_f64 v[36:37], v[38:39], v[42:43]
	v_mul_f64 v[40:41], v[12:13], v[36:37]
	v_fma_f64 v[44:45], v[36:37], v[12:13], -v[40:41]
	v_fmac_f64_e32 v[44:45], v[36:37], v[10:11]
	v_add_f64 v[46:47], v[40:41], v[44:45]
	v_add_f64 v[48:49], v[38:39], -v[46:47]
	v_add_f64 v[38:39], v[38:39], -v[48:49]
	;; [unrolled: 1-line block ×4, first 2 shown]
	v_add_f64 v[20:21], v[20:21], v[38:39]
	v_add_f64 v[38:39], v[40:41], -v[44:45]
	v_add_f64 v[20:21], v[38:39], v[20:21]
	v_add_f64 v[38:39], v[48:49], v[20:21]
	v_add_f64 v[40:41], v[48:49], -v[38:39]
	v_add_f64 v[20:21], v[20:21], v[40:41]
	v_mul_f64 v[40:41], v[42:43], v[38:39]
	v_mul_f64 v[44:45], v[12:13], v[40:41]
	v_fma_f64 v[12:13], v[40:41], v[12:13], -v[44:45]
	v_fmac_f64_e32 v[12:13], v[40:41], v[10:11]
	v_add_f64 v[10:11], v[44:45], v[12:13]
	v_add_f64 v[46:47], v[38:39], -v[10:11]
	v_add_f64 v[38:39], v[38:39], -v[46:47]
	;; [unrolled: 1-line block ×4, first 2 shown]
	v_add_f64 v[10:11], v[20:21], v[10:11]
	v_add_f64 v[12:13], v[44:45], -v[12:13]
	v_add_f64 v[10:11], v[12:13], v[10:11]
	v_add_f64 v[12:13], v[36:37], v[40:41]
	;; [unrolled: 1-line block ×3, first 2 shown]
	v_add_f64 v[20:21], v[12:13], -v[36:37]
	v_mul_f64 v[10:11], v[42:43], v[10:11]
	v_add_f64 v[20:21], v[40:41], -v[20:21]
	v_add_f64 v[10:11], v[20:21], v[10:11]
	v_add_f64 v[20:21], v[12:13], v[10:11]
	v_add_f64 v[12:13], v[20:21], -v[12:13]
	v_add_f64 v[10:11], v[10:11], -v[12:13]
	v_mul_f64 v[12:13], v[20:21], v[20:21]
	v_mov_b32_e32 v36, 0x6b47b09a
	v_mov_b32_e32 v37, 0x3fc38538
	v_fmac_f64_e32 v[36:37], s[14:15], v[12:13]
	v_mov_b32_e32 v38, 0xd7f4df2e
	v_mov_b32_e32 v39, 0x3fc7474d
	v_fmac_f64_e32 v[38:39], v[12:13], v[36:37]
	;; [unrolled: 3-line block ×6, first 2 shown]
	v_cvt_f64_i32_e32 v[36:37], v50
	s_mov_b32 s21, 0x3fe62e42
	v_mul_f64 v[40:41], v[36:37], s[20:21]
	v_fma_f64 v[42:43], v[36:37], s[20:21], -v[40:41]
	s_mov_b32 s23, 0x3c7abc9e
	v_fmac_f64_e32 v[42:43], s[22:23], v[36:37]
	v_add_f64 v[36:37], v[40:41], v[42:43]
	v_add_f64 v[40:41], v[36:37], -v[40:41]
	v_mul_f64 v[12:13], v[20:21], v[12:13]
	v_add_f64 v[40:41], v[42:43], -v[40:41]
	v_ldexp_f64 v[42:43], v[20:21], 1
	v_mul_f64 v[12:13], v[12:13], v[38:39]
	v_add_f64 v[20:21], v[42:43], v[12:13]
	v_add_f64 v[38:39], v[20:21], -v[42:43]
	v_ldexp_f64 v[10:11], v[10:11], 1
	v_add_f64 v[12:13], v[12:13], -v[38:39]
	v_add_f64 v[10:11], v[10:11], v[12:13]
	v_add_f64 v[12:13], v[20:21], v[10:11]
	v_add_f64 v[20:21], v[12:13], -v[20:21]
	v_add_f64 v[10:11], v[10:11], -v[20:21]
	v_add_f64 v[20:21], v[36:37], v[12:13]
	v_add_f64 v[38:39], v[20:21], -v[36:37]
	v_add_f64 v[42:43], v[20:21], -v[38:39]
	;; [unrolled: 1-line block ×4, first 2 shown]
	v_add_f64 v[12:13], v[12:13], v[36:37]
	v_add_f64 v[36:37], v[40:41], v[10:11]
	v_add_f64 v[38:39], v[36:37], -v[40:41]
	v_add_f64 v[12:13], v[36:37], v[12:13]
	v_add_f64 v[42:43], v[36:37], -v[38:39]
	;; [unrolled: 2-line block ×3, first 2 shown]
	v_add_f64 v[10:11], v[10:11], -v[38:39]
	v_add_f64 v[20:21], v[36:37], -v[20:21]
	v_add_f64 v[10:11], v[10:11], v[40:41]
	v_add_f64 v[12:13], v[12:13], -v[20:21]
	s_mov_b32 s14, 0
	v_add_f64 v[10:11], v[10:11], v[12:13]
	s_mov_b32 s15, 0x7ff00000
	v_add_f64 v[10:11], v[36:37], v[10:11]
	v_cmp_neq_f64_e32 vcc, s[14:15], v[8:9]
	v_mov_b32_e32 v12, 0x7ff80000
	v_cmp_ngt_f64_e64 s[14:15], -1.0, v[8:9]
	v_cndmask_b32_e32 v11, v31, v11, vcc
	s_nop 0
	v_cndmask_b32_e64 v11, v12, v11, s[14:15]
	v_cmp_nge_f64_e64 s[14:15], -1.0, v[8:9]
	s_and_b64 vcc, s[14:15], vcc
	v_cndmask_b32_e32 v10, 0, v10, vcc
	v_mov_b32_e32 v12, 0xfff00000
	v_cmp_neq_f64_e32 vcc, -1.0, v[8:9]
	s_nop 1
	v_cndmask_b32_e32 v11, v12, v11, vcc
	v_add_f64 v[36:37], v[6:7], v[10:11]
.LBB66_29:
	s_or_b64 exec, exec, s[18:19]
	v_max_f64 v[20:21], v[24:25], v[24:25]
	v_max_f64 v[6:7], v[36:37], v[36:37]
	v_min_f64 v[8:9], v[6:7], v[20:21]
	v_cmp_u_f64_e32 vcc, v[36:37], v[36:37]
	v_max_f64 v[6:7], v[6:7], v[20:21]
	v_cmp_u_f64_e64 s[14:15], v[24:25], v[24:25]
	v_cndmask_b32_e32 v8, v8, v36, vcc
	v_cndmask_b32_e32 v9, v9, v37, vcc
	;; [unrolled: 1-line block ×4, first 2 shown]
	v_cndmask_b32_e64 v9, v9, v25, s[14:15]
	v_cndmask_b32_e64 v8, v8, v24, s[14:15]
	;; [unrolled: 1-line block ×4, first 2 shown]
	s_movk_i32 s18, 0x1f8
	v_cmp_neq_f64_e32 vcc, v[8:9], v[6:7]
	v_cmp_class_f64_e64 s[18:19], v[8:9], s18
	s_or_b64 s[18:19], vcc, s[18:19]
	s_and_saveexec_b64 s[20:21], s[18:19]
	s_cbranch_execz .LBB66_31
; %bb.30:
	s_mov_b32 s18, 0x652b82fe
	v_add_f64 v[8:9], v[8:9], -v[6:7]
	s_mov_b32 s19, 0x3ff71547
	v_mul_f64 v[10:11], v[8:9], s[18:19]
	v_rndne_f64_e32 v[10:11], v[10:11]
	s_mov_b32 s23, 0xbfe62e42
	s_mov_b32 s22, 0xfefa39ef
	v_fma_f64 v[12:13], s[22:23], v[10:11], v[8:9]
	s_mov_b32 s43, 0xbc7abc9e
	s_mov_b32 s42, 0x3b39803f
	;; [unrolled: 1-line block ×3, first 2 shown]
	v_fmac_f64_e32 v[12:13], s[42:43], v[10:11]
	v_mov_b32_e32 v36, 0xfca7ab0c
	v_mov_b32_e32 v37, 0x3e928af3
	s_mov_b32 s19, 0x3e5ade15
	v_fmac_f64_e32 v[36:37], s[18:19], v[12:13]
	v_mov_b32_e32 v38, 0x623fde64
	v_mov_b32_e32 v39, 0x3ec71dee
	v_fmac_f64_e32 v[38:39], v[12:13], v[36:37]
	v_mov_b32_e32 v36, 0x7c89e6b0
	v_mov_b32_e32 v37, 0x3efa0199
	;; [unrolled: 3-line block ×8, first 2 shown]
	s_mov_b32 s18, 0
	v_fmac_f64_e32 v[36:37], v[12:13], v[38:39]
	s_mov_b32 s19, 0x40900000
	v_fma_f64 v[36:37], v[12:13], v[36:37], 1.0
	v_cmp_nlt_f64_e32 vcc, s[18:19], v[8:9]
	s_mov_b32 s18, 0
	v_fma_f64 v[12:13], v[12:13], v[36:37], 1.0
	v_cvt_i32_f64_e32 v10, v[10:11]
	s_mov_b32 s19, 0xc090cc00
	v_ldexp_f64 v[10:11], v[12:13], v10
	v_mov_b32_e32 v31, 0x7ff00000
	v_cmp_ngt_f64_e64 s[18:19], s[18:19], v[8:9]
	v_cndmask_b32_e32 v11, v31, v11, vcc
	s_and_b64 vcc, s[18:19], vcc
	v_cndmask_b32_e64 v9, 0, v11, s[18:19]
	v_cndmask_b32_e32 v8, 0, v10, vcc
	v_add_f64 v[10:11], v[8:9], 1.0
	v_add_f64 v[12:13], v[10:11], -1.0
	v_add_f64 v[36:37], v[12:13], -v[10:11]
	v_add_f64 v[36:37], v[36:37], 1.0
	v_add_f64 v[12:13], v[8:9], -v[12:13]
	s_mov_b32 s18, 0x55555555
	v_add_f64 v[12:13], v[12:13], v[36:37]
	v_frexp_mant_f64_e32 v[36:37], v[10:11]
	s_mov_b32 s19, 0x3fe55555
	v_frexp_exp_i32_f64_e32 v38, v[10:11]
	v_cmp_gt_f64_e32 vcc, s[18:19], v[36:37]
	s_mov_b32 s18, 0xbf559e2b
	s_mov_b32 s19, 0x3fc3ab76
	v_subbrev_co_u32_e32 v52, vcc, 0, v38, vcc
	v_sub_u32_e32 v36, 0, v52
	v_ldexp_f64 v[10:11], v[10:11], v36
	v_ldexp_f64 v[12:13], v[12:13], v36
	v_add_f64 v[36:37], v[10:11], -1.0
	v_add_f64 v[42:43], v[10:11], 1.0
	v_add_f64 v[38:39], v[36:37], 1.0
	v_add_f64 v[44:45], v[42:43], -1.0
	v_add_f64 v[38:39], v[10:11], -v[38:39]
	v_add_f64 v[10:11], v[10:11], -v[44:45]
	v_add_f64 v[10:11], v[12:13], v[10:11]
	v_add_f64 v[38:39], v[12:13], v[38:39]
	;; [unrolled: 1-line block ×3, first 2 shown]
	v_rcp_f64_e32 v[44:45], v[12:13]
	v_add_f64 v[40:41], v[36:37], v[38:39]
	v_add_f64 v[36:37], v[40:41], -v[36:37]
	v_add_f64 v[36:37], v[38:39], -v[36:37]
	;; [unrolled: 1-line block ×4, first 2 shown]
	v_fma_f64 v[38:39], -v[12:13], v[44:45], 1.0
	v_fmac_f64_e32 v[44:45], v[38:39], v[44:45]
	v_fma_f64 v[38:39], -v[12:13], v[44:45], 1.0
	v_fmac_f64_e32 v[44:45], v[38:39], v[44:45]
	v_mul_f64 v[38:39], v[40:41], v[44:45]
	v_mul_f64 v[42:43], v[12:13], v[38:39]
	v_fma_f64 v[46:47], v[38:39], v[12:13], -v[42:43]
	v_fmac_f64_e32 v[46:47], v[38:39], v[10:11]
	v_add_f64 v[48:49], v[42:43], v[46:47]
	v_add_f64 v[50:51], v[40:41], -v[48:49]
	v_add_f64 v[40:41], v[40:41], -v[50:51]
	;; [unrolled: 1-line block ×4, first 2 shown]
	v_add_f64 v[36:37], v[36:37], v[40:41]
	v_add_f64 v[40:41], v[42:43], -v[46:47]
	v_add_f64 v[36:37], v[40:41], v[36:37]
	v_add_f64 v[40:41], v[50:51], v[36:37]
	v_add_f64 v[42:43], v[50:51], -v[40:41]
	v_add_f64 v[36:37], v[36:37], v[42:43]
	v_mul_f64 v[42:43], v[44:45], v[40:41]
	v_mul_f64 v[46:47], v[12:13], v[42:43]
	v_fma_f64 v[12:13], v[42:43], v[12:13], -v[46:47]
	v_fmac_f64_e32 v[12:13], v[42:43], v[10:11]
	v_add_f64 v[10:11], v[46:47], v[12:13]
	v_add_f64 v[48:49], v[40:41], -v[10:11]
	v_add_f64 v[40:41], v[40:41], -v[48:49]
	;; [unrolled: 1-line block ×4, first 2 shown]
	v_add_f64 v[10:11], v[36:37], v[10:11]
	v_add_f64 v[12:13], v[46:47], -v[12:13]
	v_add_f64 v[10:11], v[12:13], v[10:11]
	v_add_f64 v[12:13], v[38:39], v[42:43]
	;; [unrolled: 1-line block ×3, first 2 shown]
	v_add_f64 v[36:37], v[12:13], -v[38:39]
	v_mul_f64 v[10:11], v[44:45], v[10:11]
	v_add_f64 v[36:37], v[42:43], -v[36:37]
	v_add_f64 v[10:11], v[36:37], v[10:11]
	v_add_f64 v[36:37], v[12:13], v[10:11]
	v_add_f64 v[12:13], v[36:37], -v[12:13]
	v_add_f64 v[10:11], v[10:11], -v[12:13]
	v_mul_f64 v[12:13], v[36:37], v[36:37]
	v_mov_b32_e32 v38, 0x6b47b09a
	v_mov_b32_e32 v39, 0x3fc38538
	v_fmac_f64_e32 v[38:39], s[18:19], v[12:13]
	v_mov_b32_e32 v40, 0xd7f4df2e
	v_mov_b32_e32 v41, 0x3fc7474d
	v_fmac_f64_e32 v[40:41], v[12:13], v[38:39]
	;; [unrolled: 3-line block ×6, first 2 shown]
	v_cvt_f64_i32_e32 v[38:39], v52
	s_mov_b32 s23, 0x3fe62e42
	v_mul_f64 v[42:43], v[38:39], s[22:23]
	v_fma_f64 v[44:45], v[38:39], s[22:23], -v[42:43]
	s_mov_b32 s43, 0x3c7abc9e
	v_fmac_f64_e32 v[44:45], s[42:43], v[38:39]
	v_add_f64 v[38:39], v[42:43], v[44:45]
	v_add_f64 v[42:43], v[38:39], -v[42:43]
	v_mul_f64 v[12:13], v[36:37], v[12:13]
	v_add_f64 v[42:43], v[44:45], -v[42:43]
	v_ldexp_f64 v[44:45], v[36:37], 1
	v_mul_f64 v[12:13], v[12:13], v[40:41]
	v_add_f64 v[36:37], v[44:45], v[12:13]
	v_add_f64 v[40:41], v[36:37], -v[44:45]
	v_ldexp_f64 v[10:11], v[10:11], 1
	v_add_f64 v[12:13], v[12:13], -v[40:41]
	v_add_f64 v[10:11], v[10:11], v[12:13]
	v_add_f64 v[12:13], v[36:37], v[10:11]
	v_add_f64 v[36:37], v[12:13], -v[36:37]
	v_add_f64 v[10:11], v[10:11], -v[36:37]
	v_add_f64 v[36:37], v[38:39], v[12:13]
	v_add_f64 v[40:41], v[36:37], -v[38:39]
	v_add_f64 v[44:45], v[36:37], -v[40:41]
	;; [unrolled: 1-line block ×4, first 2 shown]
	v_add_f64 v[12:13], v[12:13], v[38:39]
	v_add_f64 v[38:39], v[42:43], v[10:11]
	v_add_f64 v[40:41], v[38:39], -v[42:43]
	v_add_f64 v[12:13], v[38:39], v[12:13]
	v_add_f64 v[44:45], v[38:39], -v[40:41]
	;; [unrolled: 2-line block ×3, first 2 shown]
	v_add_f64 v[10:11], v[10:11], -v[40:41]
	v_add_f64 v[36:37], v[38:39], -v[36:37]
	v_add_f64 v[10:11], v[10:11], v[42:43]
	v_add_f64 v[12:13], v[12:13], -v[36:37]
	s_mov_b32 s18, 0
	v_add_f64 v[10:11], v[10:11], v[12:13]
	s_mov_b32 s19, 0x7ff00000
	v_add_f64 v[10:11], v[38:39], v[10:11]
	v_cmp_neq_f64_e32 vcc, s[18:19], v[8:9]
	v_mov_b32_e32 v12, 0x7ff80000
	v_cmp_ngt_f64_e64 s[18:19], -1.0, v[8:9]
	v_cndmask_b32_e32 v11, v31, v11, vcc
	s_nop 0
	v_cndmask_b32_e64 v11, v12, v11, s[18:19]
	v_cmp_nge_f64_e64 s[18:19], -1.0, v[8:9]
	s_and_b64 vcc, s[18:19], vcc
	v_cndmask_b32_e32 v10, 0, v10, vcc
	v_mov_b32_e32 v12, 0xfff00000
	v_cmp_neq_f64_e32 vcc, -1.0, v[8:9]
	s_nop 1
	v_cndmask_b32_e32 v11, v12, v11, vcc
	v_add_f64 v[36:37], v[6:7], v[10:11]
.LBB66_31:
	s_or_b64 exec, exec, s[20:21]
	v_lshrrev_b32_e32 v6, 2, v0
	v_and_b32_e32 v6, 56, v6
	v_lshl_add_u32 v6, v0, 3, v6
	v_cmp_gt_u32_e32 vcc, 64, v0
	ds_write_b64 v6, v[36:37]
	s_waitcnt lgkmcnt(0)
	s_barrier
	s_and_saveexec_b64 s[42:43], vcc
	s_cbranch_execz .LBB66_71
; %bb.32:
	v_and_b32_e32 v6, 0xf8, v0
	v_lshlrev_b32_e32 v7, 5, v0
	v_add_u32_e32 v31, v6, v7
	ds_read2_b64 v[6:9], v31 offset1:1
	s_movk_i32 s50, 0x1f8
	s_waitcnt lgkmcnt(0)
	v_max_f64 v[12:13], v[8:9], v[8:9]
	v_max_f64 v[10:11], v[6:7], v[6:7]
	v_min_f64 v[38:39], v[10:11], v[12:13]
	v_cmp_u_f64_e64 s[18:19], v[6:7], v[6:7]
	v_max_f64 v[12:13], v[10:11], v[12:13]
	v_cmp_u_f64_e64 s[20:21], v[8:9], v[8:9]
	v_cndmask_b32_e64 v38, v38, v6, s[18:19]
	v_cndmask_b32_e64 v39, v39, v7, s[18:19]
	;; [unrolled: 1-line block ×8, first 2 shown]
	v_cmp_neq_f64_e64 s[20:21], v[38:39], v[12:13]
	v_cmp_class_f64_e64 s[22:23], v[38:39], s50
	s_or_b64 s[20:21], s[20:21], s[22:23]
	v_mov_b64_e32 v[8:9], v[6:7]
	s_and_saveexec_b64 s[44:45], s[20:21]
	s_cbranch_execz .LBB66_34
; %bb.33:
	s_mov_b32 s20, 0x652b82fe
	v_add_f64 v[8:9], v[38:39], -v[12:13]
	s_mov_b32 s21, 0x3ff71547
	v_mul_f64 v[38:39], v[8:9], s[20:21]
	v_rndne_f64_e32 v[38:39], v[38:39]
	s_mov_b32 s47, 0xbfe62e42
	s_mov_b32 s46, 0xfefa39ef
	v_fma_f64 v[40:41], s[46:47], v[38:39], v[8:9]
	s_mov_b32 s49, 0xbc7abc9e
	s_mov_b32 s48, 0x3b39803f
	;; [unrolled: 1-line block ×3, first 2 shown]
	v_fmac_f64_e32 v[40:41], s[48:49], v[38:39]
	v_mov_b32_e32 v42, 0xfca7ab0c
	v_mov_b32_e32 v43, 0x3e928af3
	s_mov_b32 s21, 0x3e5ade15
	v_fmac_f64_e32 v[42:43], s[20:21], v[40:41]
	v_mov_b32_e32 v44, 0x623fde64
	v_mov_b32_e32 v45, 0x3ec71dee
	v_fmac_f64_e32 v[44:45], v[40:41], v[42:43]
	v_mov_b32_e32 v42, 0x7c89e6b0
	v_mov_b32_e32 v43, 0x3efa0199
	;; [unrolled: 3-line block ×8, first 2 shown]
	v_fmac_f64_e32 v[42:43], v[40:41], v[44:45]
	v_fma_f64 v[42:43], v[40:41], v[42:43], 1.0
	s_mov_b32 s20, 0
	s_mov_b32 s22, 0
	v_fma_f64 v[40:41], v[40:41], v[42:43], 1.0
	v_cvt_i32_f64_e32 v38, v[38:39]
	s_mov_b32 s21, 0x40900000
	s_mov_b32 s23, 0xc090cc00
	v_ldexp_f64 v[38:39], v[40:41], v38
	v_mov_b32_e32 v58, 0x7ff00000
	v_cmp_nlt_f64_e64 s[20:21], s[20:21], v[8:9]
	v_cmp_ngt_f64_e64 s[22:23], s[22:23], v[8:9]
	s_mov_b32 s47, 0x3fe62e42
	v_cndmask_b32_e64 v39, v58, v39, s[20:21]
	s_and_b64 s[20:21], s[22:23], s[20:21]
	v_cndmask_b32_e64 v9, 0, v39, s[22:23]
	v_cndmask_b32_e64 v8, 0, v38, s[20:21]
	v_add_f64 v[38:39], v[8:9], 1.0
	v_add_f64 v[40:41], v[38:39], -1.0
	v_add_f64 v[42:43], v[40:41], -v[38:39]
	v_add_f64 v[42:43], v[42:43], 1.0
	v_add_f64 v[40:41], v[8:9], -v[40:41]
	s_mov_b32 s20, 0x55555555
	v_add_f64 v[40:41], v[40:41], v[42:43]
	v_frexp_mant_f64_e32 v[42:43], v[38:39]
	s_mov_b32 s21, 0x3fe55555
	v_frexp_exp_i32_f64_e32 v44, v[38:39]
	v_cmp_gt_f64_e64 s[20:21], s[20:21], v[42:43]
	s_mov_b32 s49, 0x3c7abc9e
	v_cmp_ngt_f64_e64 s[22:23], -1.0, v[8:9]
	v_subbrev_co_u32_e64 v59, s[20:21], 0, v44, s[20:21]
	v_sub_u32_e32 v42, 0, v59
	v_ldexp_f64 v[38:39], v[38:39], v42
	v_ldexp_f64 v[40:41], v[40:41], v42
	v_add_f64 v[42:43], v[38:39], -1.0
	v_add_f64 v[48:49], v[38:39], 1.0
	v_add_f64 v[44:45], v[42:43], 1.0
	v_add_f64 v[50:51], v[48:49], -1.0
	v_add_f64 v[44:45], v[38:39], -v[44:45]
	v_add_f64 v[38:39], v[38:39], -v[50:51]
	v_add_f64 v[38:39], v[40:41], v[38:39]
	v_add_f64 v[44:45], v[40:41], v[44:45]
	;; [unrolled: 1-line block ×3, first 2 shown]
	v_rcp_f64_e32 v[50:51], v[40:41]
	v_add_f64 v[46:47], v[42:43], v[44:45]
	v_add_f64 v[42:43], v[46:47], -v[42:43]
	v_add_f64 v[42:43], v[44:45], -v[42:43]
	;; [unrolled: 1-line block ×4, first 2 shown]
	v_fma_f64 v[44:45], -v[40:41], v[50:51], 1.0
	v_fmac_f64_e32 v[50:51], v[44:45], v[50:51]
	v_fma_f64 v[44:45], -v[40:41], v[50:51], 1.0
	v_fmac_f64_e32 v[50:51], v[44:45], v[50:51]
	v_mul_f64 v[44:45], v[46:47], v[50:51]
	v_mul_f64 v[48:49], v[40:41], v[44:45]
	v_fma_f64 v[52:53], v[44:45], v[40:41], -v[48:49]
	v_fmac_f64_e32 v[52:53], v[44:45], v[38:39]
	v_add_f64 v[54:55], v[48:49], v[52:53]
	v_add_f64 v[56:57], v[46:47], -v[54:55]
	v_add_f64 v[46:47], v[46:47], -v[56:57]
	v_add_f64 v[48:49], v[54:55], -v[48:49]
	v_add_f64 v[46:47], v[46:47], -v[54:55]
	v_add_f64 v[42:43], v[42:43], v[46:47]
	v_add_f64 v[46:47], v[48:49], -v[52:53]
	v_add_f64 v[42:43], v[46:47], v[42:43]
	v_add_f64 v[46:47], v[56:57], v[42:43]
	v_add_f64 v[48:49], v[56:57], -v[46:47]
	v_add_f64 v[42:43], v[42:43], v[48:49]
	v_mul_f64 v[48:49], v[50:51], v[46:47]
	v_mul_f64 v[52:53], v[40:41], v[48:49]
	v_fma_f64 v[40:41], v[48:49], v[40:41], -v[52:53]
	v_fmac_f64_e32 v[40:41], v[48:49], v[38:39]
	v_add_f64 v[38:39], v[52:53], v[40:41]
	v_add_f64 v[54:55], v[46:47], -v[38:39]
	v_add_f64 v[46:47], v[46:47], -v[54:55]
	;; [unrolled: 1-line block ×4, first 2 shown]
	v_add_f64 v[38:39], v[42:43], v[38:39]
	v_add_f64 v[40:41], v[52:53], -v[40:41]
	v_add_f64 v[38:39], v[40:41], v[38:39]
	v_add_f64 v[40:41], v[44:45], v[48:49]
	v_add_f64 v[38:39], v[54:55], v[38:39]
	v_add_f64 v[42:43], v[40:41], -v[44:45]
	v_mul_f64 v[38:39], v[50:51], v[38:39]
	v_add_f64 v[42:43], v[48:49], -v[42:43]
	v_add_f64 v[38:39], v[42:43], v[38:39]
	v_add_f64 v[42:43], v[40:41], v[38:39]
	v_add_f64 v[40:41], v[42:43], -v[40:41]
	s_mov_b32 s20, 0xbf559e2b
	v_add_f64 v[38:39], v[38:39], -v[40:41]
	v_mul_f64 v[40:41], v[42:43], v[42:43]
	v_mov_b32_e32 v44, 0x6b47b09a
	v_mov_b32_e32 v45, 0x3fc38538
	s_mov_b32 s21, 0x3fc3ab76
	v_fmac_f64_e32 v[44:45], s[20:21], v[40:41]
	v_mov_b32_e32 v46, 0xd7f4df2e
	v_mov_b32_e32 v47, 0x3fc7474d
	v_fmac_f64_e32 v[46:47], v[40:41], v[44:45]
	v_mov_b32_e32 v44, 0x16291751
	v_mov_b32_e32 v45, 0x3fcc71c0
	;; [unrolled: 3-line block ×5, first 2 shown]
	v_fmac_f64_e32 v[46:47], v[40:41], v[44:45]
	v_cvt_f64_i32_e32 v[44:45], v59
	v_mul_f64 v[48:49], v[44:45], s[46:47]
	v_fma_f64 v[50:51], v[44:45], s[46:47], -v[48:49]
	v_fmac_f64_e32 v[50:51], s[48:49], v[44:45]
	v_add_f64 v[44:45], v[48:49], v[50:51]
	v_add_f64 v[48:49], v[44:45], -v[48:49]
	v_mul_f64 v[40:41], v[42:43], v[40:41]
	v_add_f64 v[48:49], v[50:51], -v[48:49]
	v_ldexp_f64 v[50:51], v[42:43], 1
	v_mul_f64 v[40:41], v[40:41], v[46:47]
	v_add_f64 v[42:43], v[50:51], v[40:41]
	v_add_f64 v[46:47], v[42:43], -v[50:51]
	v_ldexp_f64 v[38:39], v[38:39], 1
	v_add_f64 v[40:41], v[40:41], -v[46:47]
	v_add_f64 v[38:39], v[38:39], v[40:41]
	v_add_f64 v[40:41], v[42:43], v[38:39]
	v_add_f64 v[42:43], v[40:41], -v[42:43]
	v_add_f64 v[38:39], v[38:39], -v[42:43]
	v_add_f64 v[42:43], v[44:45], v[40:41]
	v_add_f64 v[46:47], v[42:43], -v[44:45]
	v_add_f64 v[50:51], v[42:43], -v[46:47]
	;; [unrolled: 1-line block ×4, first 2 shown]
	v_add_f64 v[40:41], v[40:41], v[44:45]
	v_add_f64 v[44:45], v[48:49], v[38:39]
	v_add_f64 v[46:47], v[44:45], -v[48:49]
	v_add_f64 v[40:41], v[44:45], v[40:41]
	v_add_f64 v[50:51], v[44:45], -v[46:47]
	;; [unrolled: 2-line block ×3, first 2 shown]
	v_add_f64 v[38:39], v[38:39], -v[46:47]
	v_add_f64 v[42:43], v[44:45], -v[42:43]
	v_add_f64 v[38:39], v[38:39], v[48:49]
	v_add_f64 v[40:41], v[40:41], -v[42:43]
	s_mov_b32 s20, 0
	v_add_f64 v[38:39], v[38:39], v[40:41]
	s_mov_b32 s21, 0x7ff00000
	v_add_f64 v[38:39], v[44:45], v[38:39]
	v_cmp_neq_f64_e64 s[20:21], s[20:21], v[8:9]
	v_mov_b32_e32 v40, 0x7ff80000
	s_nop 0
	v_cndmask_b32_e64 v39, v58, v39, s[20:21]
	v_cndmask_b32_e64 v39, v40, v39, s[22:23]
	v_cmp_nge_f64_e64 s[22:23], -1.0, v[8:9]
	s_and_b64 s[20:21], s[22:23], s[20:21]
	v_cndmask_b32_e64 v38, 0, v38, s[20:21]
	v_mov_b32_e32 v40, 0xfff00000
	v_cmp_neq_f64_e64 s[20:21], -1.0, v[8:9]
	s_nop 1
	v_cndmask_b32_e64 v39, v40, v39, s[20:21]
	v_add_f64 v[8:9], v[12:13], v[38:39]
.LBB66_34:
	s_or_b64 exec, exec, s[44:45]
	ds_read_b64 v[12:13], v31 offset:16
	v_max_f64 v[40:41], v[8:9], v[8:9]
	v_cmp_u_f64_e64 s[20:21], v[8:9], v[8:9]
	s_waitcnt lgkmcnt(0)
	v_max_f64 v[42:43], v[12:13], v[12:13]
	v_min_f64 v[38:39], v[40:41], v[42:43]
	v_max_f64 v[40:41], v[40:41], v[42:43]
	v_cndmask_b32_e64 v38, v38, v8, s[20:21]
	v_cndmask_b32_e64 v39, v39, v9, s[20:21]
	v_cmp_u_f64_e64 s[22:23], v[12:13], v[12:13]
	v_cndmask_b32_e64 v40, v40, v8, s[20:21]
	v_cndmask_b32_e64 v41, v41, v9, s[20:21]
	;; [unrolled: 1-line block ×6, first 2 shown]
	v_cmp_neq_f64_e64 s[20:21], v[38:39], v[12:13]
	v_cmp_class_f64_e64 s[22:23], v[38:39], s50
	s_or_b64 s[20:21], s[20:21], s[22:23]
	s_and_saveexec_b64 s[44:45], s[20:21]
	s_cbranch_execz .LBB66_36
; %bb.35:
	s_mov_b32 s20, 0x652b82fe
	v_add_f64 v[8:9], v[38:39], -v[12:13]
	s_mov_b32 s21, 0x3ff71547
	v_mul_f64 v[38:39], v[8:9], s[20:21]
	v_rndne_f64_e32 v[38:39], v[38:39]
	s_mov_b32 s47, 0xbfe62e42
	s_mov_b32 s46, 0xfefa39ef
	v_fma_f64 v[40:41], s[46:47], v[38:39], v[8:9]
	s_mov_b32 s49, 0xbc7abc9e
	s_mov_b32 s48, 0x3b39803f
	;; [unrolled: 1-line block ×3, first 2 shown]
	v_fmac_f64_e32 v[40:41], s[48:49], v[38:39]
	v_mov_b32_e32 v42, 0xfca7ab0c
	v_mov_b32_e32 v43, 0x3e928af3
	s_mov_b32 s21, 0x3e5ade15
	v_fmac_f64_e32 v[42:43], s[20:21], v[40:41]
	v_mov_b32_e32 v44, 0x623fde64
	v_mov_b32_e32 v45, 0x3ec71dee
	v_fmac_f64_e32 v[44:45], v[40:41], v[42:43]
	v_mov_b32_e32 v42, 0x7c89e6b0
	v_mov_b32_e32 v43, 0x3efa0199
	v_fmac_f64_e32 v[42:43], v[40:41], v[44:45]
	v_mov_b32_e32 v44, 0x14761f6e
	v_mov_b32_e32 v45, 0x3f2a01a0
	v_fmac_f64_e32 v[44:45], v[40:41], v[42:43]
	v_mov_b32_e32 v42, 0x1852b7b0
	v_mov_b32_e32 v43, 0x3f56c16c
	v_fmac_f64_e32 v[42:43], v[40:41], v[44:45]
	v_mov_b32_e32 v44, 0x11122322
	v_mov_b32_e32 v45, 0x3f811111
	v_fmac_f64_e32 v[44:45], v[40:41], v[42:43]
	v_mov_b32_e32 v42, 0x555502a1
	v_mov_b32_e32 v43, 0x3fa55555
	v_fmac_f64_e32 v[42:43], v[40:41], v[44:45]
	v_mov_b32_e32 v44, 0x55555511
	v_mov_b32_e32 v45, 0x3fc55555
	v_fmac_f64_e32 v[44:45], v[40:41], v[42:43]
	v_mov_b32_e32 v42, 11
	v_mov_b32_e32 v43, 0x3fe00000
	v_fmac_f64_e32 v[42:43], v[40:41], v[44:45]
	v_fma_f64 v[42:43], v[40:41], v[42:43], 1.0
	s_mov_b32 s20, 0
	s_mov_b32 s22, 0
	v_fma_f64 v[40:41], v[40:41], v[42:43], 1.0
	v_cvt_i32_f64_e32 v38, v[38:39]
	s_mov_b32 s21, 0x40900000
	s_mov_b32 s23, 0xc090cc00
	v_ldexp_f64 v[38:39], v[40:41], v38
	v_mov_b32_e32 v58, 0x7ff00000
	v_cmp_nlt_f64_e64 s[20:21], s[20:21], v[8:9]
	v_cmp_ngt_f64_e64 s[22:23], s[22:23], v[8:9]
	s_mov_b32 s47, 0x3fe62e42
	v_cndmask_b32_e64 v39, v58, v39, s[20:21]
	s_and_b64 s[20:21], s[22:23], s[20:21]
	v_cndmask_b32_e64 v9, 0, v39, s[22:23]
	v_cndmask_b32_e64 v8, 0, v38, s[20:21]
	v_add_f64 v[38:39], v[8:9], 1.0
	v_add_f64 v[40:41], v[38:39], -1.0
	v_add_f64 v[42:43], v[40:41], -v[38:39]
	v_add_f64 v[42:43], v[42:43], 1.0
	v_add_f64 v[40:41], v[8:9], -v[40:41]
	s_mov_b32 s20, 0x55555555
	v_add_f64 v[40:41], v[40:41], v[42:43]
	v_frexp_mant_f64_e32 v[42:43], v[38:39]
	s_mov_b32 s21, 0x3fe55555
	v_frexp_exp_i32_f64_e32 v44, v[38:39]
	v_cmp_gt_f64_e64 s[20:21], s[20:21], v[42:43]
	s_mov_b32 s49, 0x3c7abc9e
	v_cmp_ngt_f64_e64 s[22:23], -1.0, v[8:9]
	v_subbrev_co_u32_e64 v59, s[20:21], 0, v44, s[20:21]
	v_sub_u32_e32 v42, 0, v59
	v_ldexp_f64 v[38:39], v[38:39], v42
	v_ldexp_f64 v[40:41], v[40:41], v42
	v_add_f64 v[42:43], v[38:39], -1.0
	v_add_f64 v[48:49], v[38:39], 1.0
	v_add_f64 v[44:45], v[42:43], 1.0
	v_add_f64 v[50:51], v[48:49], -1.0
	v_add_f64 v[44:45], v[38:39], -v[44:45]
	v_add_f64 v[38:39], v[38:39], -v[50:51]
	v_add_f64 v[38:39], v[40:41], v[38:39]
	v_add_f64 v[44:45], v[40:41], v[44:45]
	;; [unrolled: 1-line block ×3, first 2 shown]
	v_rcp_f64_e32 v[50:51], v[40:41]
	v_add_f64 v[46:47], v[42:43], v[44:45]
	v_add_f64 v[42:43], v[46:47], -v[42:43]
	v_add_f64 v[42:43], v[44:45], -v[42:43]
	;; [unrolled: 1-line block ×4, first 2 shown]
	v_fma_f64 v[44:45], -v[40:41], v[50:51], 1.0
	v_fmac_f64_e32 v[50:51], v[44:45], v[50:51]
	v_fma_f64 v[44:45], -v[40:41], v[50:51], 1.0
	v_fmac_f64_e32 v[50:51], v[44:45], v[50:51]
	v_mul_f64 v[44:45], v[46:47], v[50:51]
	v_mul_f64 v[48:49], v[40:41], v[44:45]
	v_fma_f64 v[52:53], v[44:45], v[40:41], -v[48:49]
	v_fmac_f64_e32 v[52:53], v[44:45], v[38:39]
	v_add_f64 v[54:55], v[48:49], v[52:53]
	v_add_f64 v[56:57], v[46:47], -v[54:55]
	v_add_f64 v[46:47], v[46:47], -v[56:57]
	;; [unrolled: 1-line block ×4, first 2 shown]
	v_add_f64 v[42:43], v[42:43], v[46:47]
	v_add_f64 v[46:47], v[48:49], -v[52:53]
	v_add_f64 v[42:43], v[46:47], v[42:43]
	v_add_f64 v[46:47], v[56:57], v[42:43]
	v_add_f64 v[48:49], v[56:57], -v[46:47]
	v_add_f64 v[42:43], v[42:43], v[48:49]
	v_mul_f64 v[48:49], v[50:51], v[46:47]
	v_mul_f64 v[52:53], v[40:41], v[48:49]
	v_fma_f64 v[40:41], v[48:49], v[40:41], -v[52:53]
	v_fmac_f64_e32 v[40:41], v[48:49], v[38:39]
	v_add_f64 v[38:39], v[52:53], v[40:41]
	v_add_f64 v[54:55], v[46:47], -v[38:39]
	v_add_f64 v[46:47], v[46:47], -v[54:55]
	;; [unrolled: 1-line block ×4, first 2 shown]
	v_add_f64 v[38:39], v[42:43], v[38:39]
	v_add_f64 v[40:41], v[52:53], -v[40:41]
	v_add_f64 v[38:39], v[40:41], v[38:39]
	v_add_f64 v[40:41], v[44:45], v[48:49]
	;; [unrolled: 1-line block ×3, first 2 shown]
	v_add_f64 v[42:43], v[40:41], -v[44:45]
	v_mul_f64 v[38:39], v[50:51], v[38:39]
	v_add_f64 v[42:43], v[48:49], -v[42:43]
	v_add_f64 v[38:39], v[42:43], v[38:39]
	v_add_f64 v[42:43], v[40:41], v[38:39]
	v_add_f64 v[40:41], v[42:43], -v[40:41]
	s_mov_b32 s20, 0xbf559e2b
	v_add_f64 v[38:39], v[38:39], -v[40:41]
	v_mul_f64 v[40:41], v[42:43], v[42:43]
	v_mov_b32_e32 v44, 0x6b47b09a
	v_mov_b32_e32 v45, 0x3fc38538
	s_mov_b32 s21, 0x3fc3ab76
	v_fmac_f64_e32 v[44:45], s[20:21], v[40:41]
	v_mov_b32_e32 v46, 0xd7f4df2e
	v_mov_b32_e32 v47, 0x3fc7474d
	v_fmac_f64_e32 v[46:47], v[40:41], v[44:45]
	v_mov_b32_e32 v44, 0x16291751
	v_mov_b32_e32 v45, 0x3fcc71c0
	;; [unrolled: 3-line block ×5, first 2 shown]
	v_fmac_f64_e32 v[46:47], v[40:41], v[44:45]
	v_cvt_f64_i32_e32 v[44:45], v59
	v_mul_f64 v[48:49], v[44:45], s[46:47]
	v_fma_f64 v[50:51], v[44:45], s[46:47], -v[48:49]
	v_fmac_f64_e32 v[50:51], s[48:49], v[44:45]
	v_add_f64 v[44:45], v[48:49], v[50:51]
	v_add_f64 v[48:49], v[44:45], -v[48:49]
	v_mul_f64 v[40:41], v[42:43], v[40:41]
	v_add_f64 v[48:49], v[50:51], -v[48:49]
	v_ldexp_f64 v[50:51], v[42:43], 1
	v_mul_f64 v[40:41], v[40:41], v[46:47]
	v_add_f64 v[42:43], v[50:51], v[40:41]
	v_add_f64 v[46:47], v[42:43], -v[50:51]
	v_ldexp_f64 v[38:39], v[38:39], 1
	v_add_f64 v[40:41], v[40:41], -v[46:47]
	v_add_f64 v[38:39], v[38:39], v[40:41]
	v_add_f64 v[40:41], v[42:43], v[38:39]
	v_add_f64 v[42:43], v[40:41], -v[42:43]
	v_add_f64 v[38:39], v[38:39], -v[42:43]
	v_add_f64 v[42:43], v[44:45], v[40:41]
	v_add_f64 v[46:47], v[42:43], -v[44:45]
	v_add_f64 v[50:51], v[42:43], -v[46:47]
	;; [unrolled: 1-line block ×4, first 2 shown]
	v_add_f64 v[40:41], v[40:41], v[44:45]
	v_add_f64 v[44:45], v[48:49], v[38:39]
	v_add_f64 v[46:47], v[44:45], -v[48:49]
	v_add_f64 v[40:41], v[44:45], v[40:41]
	v_add_f64 v[50:51], v[44:45], -v[46:47]
	;; [unrolled: 2-line block ×3, first 2 shown]
	v_add_f64 v[38:39], v[38:39], -v[46:47]
	v_add_f64 v[42:43], v[44:45], -v[42:43]
	v_add_f64 v[38:39], v[38:39], v[48:49]
	v_add_f64 v[40:41], v[40:41], -v[42:43]
	s_mov_b32 s20, 0
	v_add_f64 v[38:39], v[38:39], v[40:41]
	s_mov_b32 s21, 0x7ff00000
	v_add_f64 v[38:39], v[44:45], v[38:39]
	v_cmp_neq_f64_e64 s[20:21], s[20:21], v[8:9]
	v_mov_b32_e32 v40, 0x7ff80000
	s_nop 0
	v_cndmask_b32_e64 v39, v58, v39, s[20:21]
	v_cndmask_b32_e64 v39, v40, v39, s[22:23]
	v_cmp_nge_f64_e64 s[22:23], -1.0, v[8:9]
	s_and_b64 s[20:21], s[22:23], s[20:21]
	v_cndmask_b32_e64 v38, 0, v38, s[20:21]
	v_mov_b32_e32 v40, 0xfff00000
	v_cmp_neq_f64_e64 s[20:21], -1.0, v[8:9]
	s_nop 1
	v_cndmask_b32_e64 v39, v40, v39, s[20:21]
	v_add_f64 v[8:9], v[12:13], v[38:39]
.LBB66_36:
	s_or_b64 exec, exec, s[44:45]
	ds_read_b64 v[12:13], v31 offset:24
	v_max_f64 v[40:41], v[8:9], v[8:9]
	v_cmp_u_f64_e64 s[20:21], v[8:9], v[8:9]
	s_waitcnt lgkmcnt(0)
	v_max_f64 v[42:43], v[12:13], v[12:13]
	v_min_f64 v[38:39], v[40:41], v[42:43]
	v_max_f64 v[40:41], v[40:41], v[42:43]
	v_cndmask_b32_e64 v38, v38, v8, s[20:21]
	v_cndmask_b32_e64 v39, v39, v9, s[20:21]
	v_cmp_u_f64_e64 s[22:23], v[12:13], v[12:13]
	v_cndmask_b32_e64 v40, v40, v8, s[20:21]
	v_cndmask_b32_e64 v41, v41, v9, s[20:21]
	;; [unrolled: 1-line block ×6, first 2 shown]
	s_movk_i32 s22, 0x1f8
	v_cmp_neq_f64_e64 s[20:21], v[38:39], v[12:13]
	v_cmp_class_f64_e64 s[22:23], v[38:39], s22
	s_or_b64 s[20:21], s[20:21], s[22:23]
	s_and_saveexec_b64 s[44:45], s[20:21]
	s_cbranch_execz .LBB66_38
; %bb.37:
	s_mov_b32 s20, 0x652b82fe
	v_add_f64 v[8:9], v[38:39], -v[12:13]
	s_mov_b32 s21, 0x3ff71547
	v_mul_f64 v[38:39], v[8:9], s[20:21]
	v_rndne_f64_e32 v[38:39], v[38:39]
	s_mov_b32 s47, 0xbfe62e42
	s_mov_b32 s46, 0xfefa39ef
	v_fma_f64 v[40:41], s[46:47], v[38:39], v[8:9]
	s_mov_b32 s49, 0xbc7abc9e
	s_mov_b32 s48, 0x3b39803f
	;; [unrolled: 1-line block ×3, first 2 shown]
	v_fmac_f64_e32 v[40:41], s[48:49], v[38:39]
	v_mov_b32_e32 v42, 0xfca7ab0c
	v_mov_b32_e32 v43, 0x3e928af3
	s_mov_b32 s21, 0x3e5ade15
	v_fmac_f64_e32 v[42:43], s[20:21], v[40:41]
	v_mov_b32_e32 v44, 0x623fde64
	v_mov_b32_e32 v45, 0x3ec71dee
	v_fmac_f64_e32 v[44:45], v[40:41], v[42:43]
	v_mov_b32_e32 v42, 0x7c89e6b0
	v_mov_b32_e32 v43, 0x3efa0199
	;; [unrolled: 3-line block ×8, first 2 shown]
	v_fmac_f64_e32 v[42:43], v[40:41], v[44:45]
	v_fma_f64 v[42:43], v[40:41], v[42:43], 1.0
	s_mov_b32 s20, 0
	s_mov_b32 s22, 0
	v_fma_f64 v[40:41], v[40:41], v[42:43], 1.0
	v_cvt_i32_f64_e32 v38, v[38:39]
	s_mov_b32 s21, 0x40900000
	s_mov_b32 s23, 0xc090cc00
	v_ldexp_f64 v[38:39], v[40:41], v38
	v_mov_b32_e32 v58, 0x7ff00000
	v_cmp_nlt_f64_e64 s[20:21], s[20:21], v[8:9]
	v_cmp_ngt_f64_e64 s[22:23], s[22:23], v[8:9]
	s_mov_b32 s47, 0x3fe62e42
	v_cndmask_b32_e64 v39, v58, v39, s[20:21]
	s_and_b64 s[20:21], s[22:23], s[20:21]
	v_cndmask_b32_e64 v9, 0, v39, s[22:23]
	v_cndmask_b32_e64 v8, 0, v38, s[20:21]
	v_add_f64 v[38:39], v[8:9], 1.0
	v_add_f64 v[40:41], v[38:39], -1.0
	v_add_f64 v[42:43], v[40:41], -v[38:39]
	v_add_f64 v[42:43], v[42:43], 1.0
	v_add_f64 v[40:41], v[8:9], -v[40:41]
	s_mov_b32 s20, 0x55555555
	v_add_f64 v[40:41], v[40:41], v[42:43]
	v_frexp_mant_f64_e32 v[42:43], v[38:39]
	s_mov_b32 s21, 0x3fe55555
	v_frexp_exp_i32_f64_e32 v44, v[38:39]
	v_cmp_gt_f64_e64 s[20:21], s[20:21], v[42:43]
	s_mov_b32 s49, 0x3c7abc9e
	v_cmp_ngt_f64_e64 s[22:23], -1.0, v[8:9]
	v_subbrev_co_u32_e64 v59, s[20:21], 0, v44, s[20:21]
	v_sub_u32_e32 v42, 0, v59
	v_ldexp_f64 v[38:39], v[38:39], v42
	v_ldexp_f64 v[40:41], v[40:41], v42
	v_add_f64 v[42:43], v[38:39], -1.0
	v_add_f64 v[48:49], v[38:39], 1.0
	v_add_f64 v[44:45], v[42:43], 1.0
	v_add_f64 v[50:51], v[48:49], -1.0
	v_add_f64 v[44:45], v[38:39], -v[44:45]
	v_add_f64 v[38:39], v[38:39], -v[50:51]
	v_add_f64 v[38:39], v[40:41], v[38:39]
	v_add_f64 v[44:45], v[40:41], v[44:45]
	;; [unrolled: 1-line block ×3, first 2 shown]
	v_rcp_f64_e32 v[50:51], v[40:41]
	v_add_f64 v[46:47], v[42:43], v[44:45]
	v_add_f64 v[42:43], v[46:47], -v[42:43]
	v_add_f64 v[42:43], v[44:45], -v[42:43]
	;; [unrolled: 1-line block ×4, first 2 shown]
	v_fma_f64 v[44:45], -v[40:41], v[50:51], 1.0
	v_fmac_f64_e32 v[50:51], v[44:45], v[50:51]
	v_fma_f64 v[44:45], -v[40:41], v[50:51], 1.0
	v_fmac_f64_e32 v[50:51], v[44:45], v[50:51]
	v_mul_f64 v[44:45], v[46:47], v[50:51]
	v_mul_f64 v[48:49], v[40:41], v[44:45]
	v_fma_f64 v[52:53], v[44:45], v[40:41], -v[48:49]
	v_fmac_f64_e32 v[52:53], v[44:45], v[38:39]
	v_add_f64 v[54:55], v[48:49], v[52:53]
	v_add_f64 v[56:57], v[46:47], -v[54:55]
	v_add_f64 v[46:47], v[46:47], -v[56:57]
	;; [unrolled: 1-line block ×4, first 2 shown]
	v_add_f64 v[42:43], v[42:43], v[46:47]
	v_add_f64 v[46:47], v[48:49], -v[52:53]
	v_add_f64 v[42:43], v[46:47], v[42:43]
	v_add_f64 v[46:47], v[56:57], v[42:43]
	v_add_f64 v[48:49], v[56:57], -v[46:47]
	v_add_f64 v[42:43], v[42:43], v[48:49]
	v_mul_f64 v[48:49], v[50:51], v[46:47]
	v_mul_f64 v[52:53], v[40:41], v[48:49]
	v_fma_f64 v[40:41], v[48:49], v[40:41], -v[52:53]
	v_fmac_f64_e32 v[40:41], v[48:49], v[38:39]
	v_add_f64 v[38:39], v[52:53], v[40:41]
	v_add_f64 v[54:55], v[46:47], -v[38:39]
	v_add_f64 v[46:47], v[46:47], -v[54:55]
	;; [unrolled: 1-line block ×4, first 2 shown]
	v_add_f64 v[38:39], v[42:43], v[38:39]
	v_add_f64 v[40:41], v[52:53], -v[40:41]
	v_add_f64 v[38:39], v[40:41], v[38:39]
	v_add_f64 v[40:41], v[44:45], v[48:49]
	;; [unrolled: 1-line block ×3, first 2 shown]
	v_add_f64 v[42:43], v[40:41], -v[44:45]
	v_mul_f64 v[38:39], v[50:51], v[38:39]
	v_add_f64 v[42:43], v[48:49], -v[42:43]
	v_add_f64 v[38:39], v[42:43], v[38:39]
	v_add_f64 v[42:43], v[40:41], v[38:39]
	v_add_f64 v[40:41], v[42:43], -v[40:41]
	s_mov_b32 s20, 0xbf559e2b
	v_add_f64 v[38:39], v[38:39], -v[40:41]
	v_mul_f64 v[40:41], v[42:43], v[42:43]
	v_mov_b32_e32 v44, 0x6b47b09a
	v_mov_b32_e32 v45, 0x3fc38538
	s_mov_b32 s21, 0x3fc3ab76
	v_fmac_f64_e32 v[44:45], s[20:21], v[40:41]
	v_mov_b32_e32 v46, 0xd7f4df2e
	v_mov_b32_e32 v47, 0x3fc7474d
	v_fmac_f64_e32 v[46:47], v[40:41], v[44:45]
	v_mov_b32_e32 v44, 0x16291751
	v_mov_b32_e32 v45, 0x3fcc71c0
	;; [unrolled: 3-line block ×5, first 2 shown]
	v_fmac_f64_e32 v[46:47], v[40:41], v[44:45]
	v_cvt_f64_i32_e32 v[44:45], v59
	v_mul_f64 v[48:49], v[44:45], s[46:47]
	v_fma_f64 v[50:51], v[44:45], s[46:47], -v[48:49]
	v_fmac_f64_e32 v[50:51], s[48:49], v[44:45]
	v_add_f64 v[44:45], v[48:49], v[50:51]
	v_add_f64 v[48:49], v[44:45], -v[48:49]
	v_mul_f64 v[40:41], v[42:43], v[40:41]
	v_add_f64 v[48:49], v[50:51], -v[48:49]
	v_ldexp_f64 v[50:51], v[42:43], 1
	v_mul_f64 v[40:41], v[40:41], v[46:47]
	v_add_f64 v[42:43], v[50:51], v[40:41]
	v_add_f64 v[46:47], v[42:43], -v[50:51]
	v_ldexp_f64 v[38:39], v[38:39], 1
	v_add_f64 v[40:41], v[40:41], -v[46:47]
	v_add_f64 v[38:39], v[38:39], v[40:41]
	v_add_f64 v[40:41], v[42:43], v[38:39]
	v_add_f64 v[42:43], v[40:41], -v[42:43]
	v_add_f64 v[38:39], v[38:39], -v[42:43]
	v_add_f64 v[42:43], v[44:45], v[40:41]
	v_add_f64 v[46:47], v[42:43], -v[44:45]
	v_add_f64 v[50:51], v[42:43], -v[46:47]
	;; [unrolled: 1-line block ×4, first 2 shown]
	v_add_f64 v[40:41], v[40:41], v[44:45]
	v_add_f64 v[44:45], v[48:49], v[38:39]
	v_add_f64 v[46:47], v[44:45], -v[48:49]
	v_add_f64 v[40:41], v[44:45], v[40:41]
	v_add_f64 v[50:51], v[44:45], -v[46:47]
	;; [unrolled: 2-line block ×3, first 2 shown]
	v_add_f64 v[38:39], v[38:39], -v[46:47]
	v_add_f64 v[42:43], v[44:45], -v[42:43]
	v_add_f64 v[38:39], v[38:39], v[48:49]
	v_add_f64 v[40:41], v[40:41], -v[42:43]
	s_mov_b32 s20, 0
	v_add_f64 v[38:39], v[38:39], v[40:41]
	s_mov_b32 s21, 0x7ff00000
	v_add_f64 v[38:39], v[44:45], v[38:39]
	v_cmp_neq_f64_e64 s[20:21], s[20:21], v[8:9]
	v_mov_b32_e32 v40, 0x7ff80000
	s_nop 0
	v_cndmask_b32_e64 v39, v58, v39, s[20:21]
	v_cndmask_b32_e64 v39, v40, v39, s[22:23]
	v_cmp_nge_f64_e64 s[22:23], -1.0, v[8:9]
	s_and_b64 s[20:21], s[22:23], s[20:21]
	v_cndmask_b32_e64 v38, 0, v38, s[20:21]
	v_mov_b32_e32 v40, 0xfff00000
	v_cmp_neq_f64_e64 s[20:21], -1.0, v[8:9]
	s_nop 1
	v_cndmask_b32_e64 v39, v40, v39, s[20:21]
	v_add_f64 v[8:9], v[12:13], v[38:39]
.LBB66_38:
	s_or_b64 exec, exec, s[44:45]
	v_mbcnt_lo_u32_b32 v12, -1, 0
	v_mbcnt_hi_u32_b32 v40, -1, v12
	v_and_b32_e32 v41, 15, v40
	v_mov_b32_dpp v12, v8 row_shr:1 row_mask:0xf bank_mask:0xf
	v_mov_b32_dpp v13, v9 row_shr:1 row_mask:0xf bank_mask:0xf
	v_cmp_ne_u32_e64 s[20:21], 0, v41
	v_mov_b32_e32 v38, v8
	v_mov_b32_e32 v39, v9
	s_and_saveexec_b64 s[22:23], s[20:21]
	s_xor_b64 s[44:45], exec, s[22:23]
	s_cbranch_execz .LBB66_42
; %bb.39:
	v_max_f64 v[42:43], v[12:13], v[12:13]
	v_max_f64 v[44:45], v[8:9], v[8:9]
	v_min_f64 v[38:39], v[42:43], v[44:45]
	v_cmp_u_f64_e64 s[20:21], v[12:13], v[12:13]
	v_max_f64 v[42:43], v[42:43], v[44:45]
	v_cmp_u_f64_e64 s[22:23], v[8:9], v[8:9]
	v_cndmask_b32_e64 v39, v39, v13, s[20:21]
	v_cndmask_b32_e64 v38, v38, v12, s[20:21]
	;; [unrolled: 1-line block ×8, first 2 shown]
	s_movk_i32 s22, 0x1f8
	v_cmp_neq_f64_e64 s[20:21], v[38:39], v[8:9]
	v_cmp_class_f64_e64 s[22:23], v[38:39], s22
	s_or_b64 s[20:21], s[20:21], s[22:23]
	s_and_saveexec_b64 s[46:47], s[20:21]
	s_cbranch_execz .LBB66_41
; %bb.40:
	s_mov_b32 s20, 0x652b82fe
	v_add_f64 v[12:13], v[38:39], -v[8:9]
	s_mov_b32 s21, 0x3ff71547
	v_mul_f64 v[38:39], v[12:13], s[20:21]
	v_rndne_f64_e32 v[38:39], v[38:39]
	s_mov_b32 s49, 0xbfe62e42
	s_mov_b32 s48, 0xfefa39ef
	v_fma_f64 v[42:43], s[48:49], v[38:39], v[12:13]
	s_mov_b32 s51, 0xbc7abc9e
	s_mov_b32 s50, 0x3b39803f
	;; [unrolled: 1-line block ×3, first 2 shown]
	v_fmac_f64_e32 v[42:43], s[50:51], v[38:39]
	v_mov_b32_e32 v44, 0xfca7ab0c
	v_mov_b32_e32 v45, 0x3e928af3
	s_mov_b32 s21, 0x3e5ade15
	v_fmac_f64_e32 v[44:45], s[20:21], v[42:43]
	v_mov_b32_e32 v46, 0x623fde64
	v_mov_b32_e32 v47, 0x3ec71dee
	v_fmac_f64_e32 v[46:47], v[42:43], v[44:45]
	v_mov_b32_e32 v44, 0x7c89e6b0
	v_mov_b32_e32 v45, 0x3efa0199
	v_fmac_f64_e32 v[44:45], v[42:43], v[46:47]
	v_mov_b32_e32 v46, 0x14761f6e
	v_mov_b32_e32 v47, 0x3f2a01a0
	v_fmac_f64_e32 v[46:47], v[42:43], v[44:45]
	v_mov_b32_e32 v44, 0x1852b7b0
	v_mov_b32_e32 v45, 0x3f56c16c
	v_fmac_f64_e32 v[44:45], v[42:43], v[46:47]
	v_mov_b32_e32 v46, 0x11122322
	v_mov_b32_e32 v47, 0x3f811111
	v_fmac_f64_e32 v[46:47], v[42:43], v[44:45]
	v_mov_b32_e32 v44, 0x555502a1
	v_mov_b32_e32 v45, 0x3fa55555
	v_fmac_f64_e32 v[44:45], v[42:43], v[46:47]
	v_mov_b32_e32 v46, 0x55555511
	v_mov_b32_e32 v47, 0x3fc55555
	v_fmac_f64_e32 v[46:47], v[42:43], v[44:45]
	v_mov_b32_e32 v44, 11
	v_mov_b32_e32 v45, 0x3fe00000
	v_fmac_f64_e32 v[44:45], v[42:43], v[46:47]
	v_fma_f64 v[44:45], v[42:43], v[44:45], 1.0
	s_mov_b32 s20, 0
	s_mov_b32 s22, 0
	v_fma_f64 v[42:43], v[42:43], v[44:45], 1.0
	v_cvt_i32_f64_e32 v38, v[38:39]
	s_mov_b32 s21, 0x40900000
	s_mov_b32 s23, 0xc090cc00
	v_ldexp_f64 v[38:39], v[42:43], v38
	v_mov_b32_e32 v60, 0x7ff00000
	v_cmp_nlt_f64_e64 s[20:21], s[20:21], v[12:13]
	v_cmp_ngt_f64_e64 s[22:23], s[22:23], v[12:13]
	s_mov_b32 s49, 0x3fe62e42
	v_cndmask_b32_e64 v39, v60, v39, s[20:21]
	s_and_b64 s[20:21], s[22:23], s[20:21]
	v_cndmask_b32_e64 v13, 0, v39, s[22:23]
	v_cndmask_b32_e64 v12, 0, v38, s[20:21]
	v_add_f64 v[38:39], v[12:13], 1.0
	v_add_f64 v[42:43], v[38:39], -1.0
	v_add_f64 v[44:45], v[42:43], -v[38:39]
	v_add_f64 v[44:45], v[44:45], 1.0
	v_add_f64 v[42:43], v[12:13], -v[42:43]
	s_mov_b32 s20, 0x55555555
	v_add_f64 v[42:43], v[42:43], v[44:45]
	v_frexp_mant_f64_e32 v[44:45], v[38:39]
	s_mov_b32 s21, 0x3fe55555
	v_frexp_exp_i32_f64_e32 v46, v[38:39]
	v_cmp_gt_f64_e64 s[20:21], s[20:21], v[44:45]
	s_mov_b32 s51, 0x3c7abc9e
	v_cmp_ngt_f64_e64 s[22:23], -1.0, v[12:13]
	v_subbrev_co_u32_e64 v61, s[20:21], 0, v46, s[20:21]
	v_sub_u32_e32 v44, 0, v61
	v_ldexp_f64 v[38:39], v[38:39], v44
	v_ldexp_f64 v[42:43], v[42:43], v44
	v_add_f64 v[44:45], v[38:39], -1.0
	v_add_f64 v[50:51], v[38:39], 1.0
	v_add_f64 v[46:47], v[44:45], 1.0
	v_add_f64 v[52:53], v[50:51], -1.0
	v_add_f64 v[46:47], v[38:39], -v[46:47]
	v_add_f64 v[38:39], v[38:39], -v[52:53]
	v_add_f64 v[38:39], v[42:43], v[38:39]
	v_add_f64 v[46:47], v[42:43], v[46:47]
	;; [unrolled: 1-line block ×3, first 2 shown]
	v_rcp_f64_e32 v[52:53], v[42:43]
	v_add_f64 v[48:49], v[44:45], v[46:47]
	v_add_f64 v[44:45], v[48:49], -v[44:45]
	v_add_f64 v[44:45], v[46:47], -v[44:45]
	;; [unrolled: 1-line block ×4, first 2 shown]
	v_fma_f64 v[46:47], -v[42:43], v[52:53], 1.0
	v_fmac_f64_e32 v[52:53], v[46:47], v[52:53]
	v_fma_f64 v[46:47], -v[42:43], v[52:53], 1.0
	v_fmac_f64_e32 v[52:53], v[46:47], v[52:53]
	v_mul_f64 v[46:47], v[48:49], v[52:53]
	v_mul_f64 v[50:51], v[42:43], v[46:47]
	v_fma_f64 v[54:55], v[46:47], v[42:43], -v[50:51]
	v_fmac_f64_e32 v[54:55], v[46:47], v[38:39]
	v_add_f64 v[56:57], v[50:51], v[54:55]
	v_add_f64 v[58:59], v[48:49], -v[56:57]
	v_add_f64 v[48:49], v[48:49], -v[58:59]
	;; [unrolled: 1-line block ×4, first 2 shown]
	v_add_f64 v[44:45], v[44:45], v[48:49]
	v_add_f64 v[48:49], v[50:51], -v[54:55]
	v_add_f64 v[44:45], v[48:49], v[44:45]
	v_add_f64 v[48:49], v[58:59], v[44:45]
	v_add_f64 v[50:51], v[58:59], -v[48:49]
	v_add_f64 v[44:45], v[44:45], v[50:51]
	v_mul_f64 v[50:51], v[52:53], v[48:49]
	v_mul_f64 v[54:55], v[42:43], v[50:51]
	v_fma_f64 v[42:43], v[50:51], v[42:43], -v[54:55]
	v_fmac_f64_e32 v[42:43], v[50:51], v[38:39]
	v_add_f64 v[38:39], v[54:55], v[42:43]
	v_add_f64 v[56:57], v[48:49], -v[38:39]
	v_add_f64 v[48:49], v[48:49], -v[56:57]
	;; [unrolled: 1-line block ×4, first 2 shown]
	v_add_f64 v[38:39], v[44:45], v[38:39]
	v_add_f64 v[42:43], v[54:55], -v[42:43]
	v_add_f64 v[38:39], v[42:43], v[38:39]
	v_add_f64 v[42:43], v[46:47], v[50:51]
	;; [unrolled: 1-line block ×3, first 2 shown]
	v_add_f64 v[44:45], v[42:43], -v[46:47]
	v_mul_f64 v[38:39], v[52:53], v[38:39]
	v_add_f64 v[44:45], v[50:51], -v[44:45]
	v_add_f64 v[38:39], v[44:45], v[38:39]
	v_add_f64 v[44:45], v[42:43], v[38:39]
	v_add_f64 v[42:43], v[44:45], -v[42:43]
	s_mov_b32 s20, 0xbf559e2b
	v_add_f64 v[38:39], v[38:39], -v[42:43]
	v_mul_f64 v[42:43], v[44:45], v[44:45]
	v_mov_b32_e32 v46, 0x6b47b09a
	v_mov_b32_e32 v47, 0x3fc38538
	s_mov_b32 s21, 0x3fc3ab76
	v_fmac_f64_e32 v[46:47], s[20:21], v[42:43]
	v_mov_b32_e32 v48, 0xd7f4df2e
	v_mov_b32_e32 v49, 0x3fc7474d
	v_fmac_f64_e32 v[48:49], v[42:43], v[46:47]
	v_mov_b32_e32 v46, 0x16291751
	v_mov_b32_e32 v47, 0x3fcc71c0
	;; [unrolled: 3-line block ×5, first 2 shown]
	v_fmac_f64_e32 v[48:49], v[42:43], v[46:47]
	v_cvt_f64_i32_e32 v[46:47], v61
	v_mul_f64 v[50:51], v[46:47], s[48:49]
	v_fma_f64 v[52:53], v[46:47], s[48:49], -v[50:51]
	v_fmac_f64_e32 v[52:53], s[50:51], v[46:47]
	v_add_f64 v[46:47], v[50:51], v[52:53]
	v_add_f64 v[50:51], v[46:47], -v[50:51]
	v_mul_f64 v[42:43], v[44:45], v[42:43]
	v_add_f64 v[50:51], v[52:53], -v[50:51]
	v_ldexp_f64 v[52:53], v[44:45], 1
	v_mul_f64 v[42:43], v[42:43], v[48:49]
	v_add_f64 v[44:45], v[52:53], v[42:43]
	v_add_f64 v[48:49], v[44:45], -v[52:53]
	v_ldexp_f64 v[38:39], v[38:39], 1
	v_add_f64 v[42:43], v[42:43], -v[48:49]
	v_add_f64 v[38:39], v[38:39], v[42:43]
	v_add_f64 v[42:43], v[44:45], v[38:39]
	v_add_f64 v[44:45], v[42:43], -v[44:45]
	v_add_f64 v[38:39], v[38:39], -v[44:45]
	v_add_f64 v[44:45], v[46:47], v[42:43]
	v_add_f64 v[48:49], v[44:45], -v[46:47]
	v_add_f64 v[52:53], v[44:45], -v[48:49]
	;; [unrolled: 1-line block ×4, first 2 shown]
	v_add_f64 v[42:43], v[42:43], v[46:47]
	v_add_f64 v[46:47], v[50:51], v[38:39]
	v_add_f64 v[48:49], v[46:47], -v[50:51]
	v_add_f64 v[42:43], v[46:47], v[42:43]
	v_add_f64 v[52:53], v[46:47], -v[48:49]
	;; [unrolled: 2-line block ×3, first 2 shown]
	v_add_f64 v[38:39], v[38:39], -v[48:49]
	v_add_f64 v[44:45], v[46:47], -v[44:45]
	v_add_f64 v[38:39], v[38:39], v[50:51]
	v_add_f64 v[42:43], v[42:43], -v[44:45]
	s_mov_b32 s20, 0
	v_add_f64 v[38:39], v[38:39], v[42:43]
	s_mov_b32 s21, 0x7ff00000
	v_add_f64 v[38:39], v[46:47], v[38:39]
	v_cmp_neq_f64_e64 s[20:21], s[20:21], v[12:13]
	v_mov_b32_e32 v42, 0x7ff80000
	s_nop 0
	v_cndmask_b32_e64 v39, v60, v39, s[20:21]
	v_cndmask_b32_e64 v39, v42, v39, s[22:23]
	v_cmp_nge_f64_e64 s[22:23], -1.0, v[12:13]
	s_and_b64 s[20:21], s[22:23], s[20:21]
	v_cndmask_b32_e64 v38, 0, v38, s[20:21]
	v_mov_b32_e32 v42, 0xfff00000
	v_cmp_neq_f64_e64 s[20:21], -1.0, v[12:13]
	s_nop 1
	v_cndmask_b32_e64 v39, v42, v39, s[20:21]
	v_add_f64 v[12:13], v[8:9], v[38:39]
.LBB66_41:
	s_or_b64 exec, exec, s[46:47]
	v_mov_b32_e32 v38, v12
	v_mov_b32_e32 v39, v13
	v_mov_b64_e32 v[8:9], v[12:13]
.LBB66_42:
	s_or_b64 exec, exec, s[44:45]
	v_mov_b32_dpp v12, v38 row_shr:2 row_mask:0xf bank_mask:0xf
	v_mov_b32_dpp v13, v39 row_shr:2 row_mask:0xf bank_mask:0xf
	v_cmp_lt_u32_e64 s[20:21], 1, v41
	s_and_saveexec_b64 s[44:45], s[20:21]
	s_cbranch_execz .LBB66_46
; %bb.43:
	v_max_f64 v[42:43], v[12:13], v[12:13]
	v_max_f64 v[44:45], v[8:9], v[8:9]
	v_min_f64 v[38:39], v[42:43], v[44:45]
	v_cmp_u_f64_e64 s[20:21], v[12:13], v[12:13]
	v_max_f64 v[42:43], v[42:43], v[44:45]
	v_cmp_u_f64_e64 s[22:23], v[8:9], v[8:9]
	v_cndmask_b32_e64 v39, v39, v13, s[20:21]
	v_cndmask_b32_e64 v38, v38, v12, s[20:21]
	;; [unrolled: 1-line block ×8, first 2 shown]
	s_movk_i32 s22, 0x1f8
	v_cmp_neq_f64_e64 s[20:21], v[38:39], v[8:9]
	v_cmp_class_f64_e64 s[22:23], v[38:39], s22
	s_or_b64 s[20:21], s[20:21], s[22:23]
	s_and_saveexec_b64 s[46:47], s[20:21]
	s_cbranch_execz .LBB66_45
; %bb.44:
	s_mov_b32 s20, 0x652b82fe
	v_add_f64 v[12:13], v[38:39], -v[8:9]
	s_mov_b32 s21, 0x3ff71547
	v_mul_f64 v[38:39], v[12:13], s[20:21]
	v_rndne_f64_e32 v[38:39], v[38:39]
	s_mov_b32 s49, 0xbfe62e42
	s_mov_b32 s48, 0xfefa39ef
	v_fma_f64 v[42:43], s[48:49], v[38:39], v[12:13]
	s_mov_b32 s51, 0xbc7abc9e
	s_mov_b32 s50, 0x3b39803f
	;; [unrolled: 1-line block ×3, first 2 shown]
	v_fmac_f64_e32 v[42:43], s[50:51], v[38:39]
	v_mov_b32_e32 v44, 0xfca7ab0c
	v_mov_b32_e32 v45, 0x3e928af3
	s_mov_b32 s21, 0x3e5ade15
	v_fmac_f64_e32 v[44:45], s[20:21], v[42:43]
	v_mov_b32_e32 v46, 0x623fde64
	v_mov_b32_e32 v47, 0x3ec71dee
	v_fmac_f64_e32 v[46:47], v[42:43], v[44:45]
	v_mov_b32_e32 v44, 0x7c89e6b0
	v_mov_b32_e32 v45, 0x3efa0199
	;; [unrolled: 3-line block ×8, first 2 shown]
	v_fmac_f64_e32 v[44:45], v[42:43], v[46:47]
	v_fma_f64 v[44:45], v[42:43], v[44:45], 1.0
	s_mov_b32 s20, 0
	s_mov_b32 s22, 0
	v_fma_f64 v[42:43], v[42:43], v[44:45], 1.0
	v_cvt_i32_f64_e32 v38, v[38:39]
	s_mov_b32 s21, 0x40900000
	s_mov_b32 s23, 0xc090cc00
	v_ldexp_f64 v[38:39], v[42:43], v38
	v_mov_b32_e32 v60, 0x7ff00000
	v_cmp_nlt_f64_e64 s[20:21], s[20:21], v[12:13]
	v_cmp_ngt_f64_e64 s[22:23], s[22:23], v[12:13]
	s_mov_b32 s49, 0x3fe62e42
	v_cndmask_b32_e64 v39, v60, v39, s[20:21]
	s_and_b64 s[20:21], s[22:23], s[20:21]
	v_cndmask_b32_e64 v13, 0, v39, s[22:23]
	v_cndmask_b32_e64 v12, 0, v38, s[20:21]
	v_add_f64 v[38:39], v[12:13], 1.0
	v_add_f64 v[42:43], v[38:39], -1.0
	v_add_f64 v[44:45], v[42:43], -v[38:39]
	v_add_f64 v[44:45], v[44:45], 1.0
	v_add_f64 v[42:43], v[12:13], -v[42:43]
	s_mov_b32 s20, 0x55555555
	v_add_f64 v[42:43], v[42:43], v[44:45]
	v_frexp_mant_f64_e32 v[44:45], v[38:39]
	s_mov_b32 s21, 0x3fe55555
	v_frexp_exp_i32_f64_e32 v46, v[38:39]
	v_cmp_gt_f64_e64 s[20:21], s[20:21], v[44:45]
	s_mov_b32 s51, 0x3c7abc9e
	v_cmp_ngt_f64_e64 s[22:23], -1.0, v[12:13]
	v_subbrev_co_u32_e64 v61, s[20:21], 0, v46, s[20:21]
	v_sub_u32_e32 v44, 0, v61
	v_ldexp_f64 v[38:39], v[38:39], v44
	v_ldexp_f64 v[42:43], v[42:43], v44
	v_add_f64 v[44:45], v[38:39], -1.0
	v_add_f64 v[50:51], v[38:39], 1.0
	v_add_f64 v[46:47], v[44:45], 1.0
	v_add_f64 v[52:53], v[50:51], -1.0
	v_add_f64 v[46:47], v[38:39], -v[46:47]
	v_add_f64 v[38:39], v[38:39], -v[52:53]
	v_add_f64 v[38:39], v[42:43], v[38:39]
	v_add_f64 v[46:47], v[42:43], v[46:47]
	;; [unrolled: 1-line block ×3, first 2 shown]
	v_rcp_f64_e32 v[52:53], v[42:43]
	v_add_f64 v[48:49], v[44:45], v[46:47]
	v_add_f64 v[44:45], v[48:49], -v[44:45]
	v_add_f64 v[44:45], v[46:47], -v[44:45]
	;; [unrolled: 1-line block ×4, first 2 shown]
	v_fma_f64 v[46:47], -v[42:43], v[52:53], 1.0
	v_fmac_f64_e32 v[52:53], v[46:47], v[52:53]
	v_fma_f64 v[46:47], -v[42:43], v[52:53], 1.0
	v_fmac_f64_e32 v[52:53], v[46:47], v[52:53]
	v_mul_f64 v[46:47], v[48:49], v[52:53]
	v_mul_f64 v[50:51], v[42:43], v[46:47]
	v_fma_f64 v[54:55], v[46:47], v[42:43], -v[50:51]
	v_fmac_f64_e32 v[54:55], v[46:47], v[38:39]
	v_add_f64 v[56:57], v[50:51], v[54:55]
	v_add_f64 v[58:59], v[48:49], -v[56:57]
	v_add_f64 v[48:49], v[48:49], -v[58:59]
	;; [unrolled: 1-line block ×4, first 2 shown]
	v_add_f64 v[44:45], v[44:45], v[48:49]
	v_add_f64 v[48:49], v[50:51], -v[54:55]
	v_add_f64 v[44:45], v[48:49], v[44:45]
	v_add_f64 v[48:49], v[58:59], v[44:45]
	v_add_f64 v[50:51], v[58:59], -v[48:49]
	v_add_f64 v[44:45], v[44:45], v[50:51]
	v_mul_f64 v[50:51], v[52:53], v[48:49]
	v_mul_f64 v[54:55], v[42:43], v[50:51]
	v_fma_f64 v[42:43], v[50:51], v[42:43], -v[54:55]
	v_fmac_f64_e32 v[42:43], v[50:51], v[38:39]
	v_add_f64 v[38:39], v[54:55], v[42:43]
	v_add_f64 v[56:57], v[48:49], -v[38:39]
	v_add_f64 v[48:49], v[48:49], -v[56:57]
	;; [unrolled: 1-line block ×4, first 2 shown]
	v_add_f64 v[38:39], v[44:45], v[38:39]
	v_add_f64 v[42:43], v[54:55], -v[42:43]
	v_add_f64 v[38:39], v[42:43], v[38:39]
	v_add_f64 v[42:43], v[46:47], v[50:51]
	;; [unrolled: 1-line block ×3, first 2 shown]
	v_add_f64 v[44:45], v[42:43], -v[46:47]
	v_mul_f64 v[38:39], v[52:53], v[38:39]
	v_add_f64 v[44:45], v[50:51], -v[44:45]
	v_add_f64 v[38:39], v[44:45], v[38:39]
	v_add_f64 v[44:45], v[42:43], v[38:39]
	v_add_f64 v[42:43], v[44:45], -v[42:43]
	s_mov_b32 s20, 0xbf559e2b
	v_add_f64 v[38:39], v[38:39], -v[42:43]
	v_mul_f64 v[42:43], v[44:45], v[44:45]
	v_mov_b32_e32 v46, 0x6b47b09a
	v_mov_b32_e32 v47, 0x3fc38538
	s_mov_b32 s21, 0x3fc3ab76
	v_fmac_f64_e32 v[46:47], s[20:21], v[42:43]
	v_mov_b32_e32 v48, 0xd7f4df2e
	v_mov_b32_e32 v49, 0x3fc7474d
	v_fmac_f64_e32 v[48:49], v[42:43], v[46:47]
	v_mov_b32_e32 v46, 0x16291751
	v_mov_b32_e32 v47, 0x3fcc71c0
	v_fmac_f64_e32 v[46:47], v[42:43], v[48:49]
	v_mov_b32_e32 v48, 0x9b27acf1
	v_mov_b32_e32 v49, 0x3fd24924
	v_fmac_f64_e32 v[48:49], v[42:43], v[46:47]
	v_mov_b32_e32 v46, 0x998ef7b6
	v_mov_b32_e32 v47, 0x3fd99999
	v_fmac_f64_e32 v[46:47], v[42:43], v[48:49]
	v_mov_b32_e32 v48, 0x55555780
	v_mov_b32_e32 v49, 0x3fe55555
	v_fmac_f64_e32 v[48:49], v[42:43], v[46:47]
	v_cvt_f64_i32_e32 v[46:47], v61
	v_mul_f64 v[50:51], v[46:47], s[48:49]
	v_fma_f64 v[52:53], v[46:47], s[48:49], -v[50:51]
	v_fmac_f64_e32 v[52:53], s[50:51], v[46:47]
	v_add_f64 v[46:47], v[50:51], v[52:53]
	v_add_f64 v[50:51], v[46:47], -v[50:51]
	v_mul_f64 v[42:43], v[44:45], v[42:43]
	v_add_f64 v[50:51], v[52:53], -v[50:51]
	v_ldexp_f64 v[52:53], v[44:45], 1
	v_mul_f64 v[42:43], v[42:43], v[48:49]
	v_add_f64 v[44:45], v[52:53], v[42:43]
	v_add_f64 v[48:49], v[44:45], -v[52:53]
	v_ldexp_f64 v[38:39], v[38:39], 1
	v_add_f64 v[42:43], v[42:43], -v[48:49]
	v_add_f64 v[38:39], v[38:39], v[42:43]
	v_add_f64 v[42:43], v[44:45], v[38:39]
	v_add_f64 v[44:45], v[42:43], -v[44:45]
	v_add_f64 v[38:39], v[38:39], -v[44:45]
	v_add_f64 v[44:45], v[46:47], v[42:43]
	v_add_f64 v[48:49], v[44:45], -v[46:47]
	v_add_f64 v[52:53], v[44:45], -v[48:49]
	v_add_f64 v[46:47], v[46:47], -v[52:53]
	v_add_f64 v[42:43], v[42:43], -v[48:49]
	v_add_f64 v[42:43], v[42:43], v[46:47]
	v_add_f64 v[46:47], v[50:51], v[38:39]
	v_add_f64 v[48:49], v[46:47], -v[50:51]
	v_add_f64 v[42:43], v[46:47], v[42:43]
	v_add_f64 v[52:53], v[46:47], -v[48:49]
	;; [unrolled: 2-line block ×3, first 2 shown]
	v_add_f64 v[38:39], v[38:39], -v[48:49]
	v_add_f64 v[44:45], v[46:47], -v[44:45]
	v_add_f64 v[38:39], v[38:39], v[50:51]
	v_add_f64 v[42:43], v[42:43], -v[44:45]
	s_mov_b32 s20, 0
	v_add_f64 v[38:39], v[38:39], v[42:43]
	s_mov_b32 s21, 0x7ff00000
	v_add_f64 v[38:39], v[46:47], v[38:39]
	v_cmp_neq_f64_e64 s[20:21], s[20:21], v[12:13]
	v_mov_b32_e32 v42, 0x7ff80000
	s_nop 0
	v_cndmask_b32_e64 v39, v60, v39, s[20:21]
	v_cndmask_b32_e64 v39, v42, v39, s[22:23]
	v_cmp_nge_f64_e64 s[22:23], -1.0, v[12:13]
	s_and_b64 s[20:21], s[22:23], s[20:21]
	v_cndmask_b32_e64 v38, 0, v38, s[20:21]
	v_mov_b32_e32 v42, 0xfff00000
	v_cmp_neq_f64_e64 s[20:21], -1.0, v[12:13]
	s_nop 1
	v_cndmask_b32_e64 v39, v42, v39, s[20:21]
	v_add_f64 v[12:13], v[8:9], v[38:39]
.LBB66_45:
	s_or_b64 exec, exec, s[46:47]
	v_mov_b64_e32 v[8:9], v[12:13]
	v_mov_b32_e32 v38, v12
	v_mov_b32_e32 v39, v13
.LBB66_46:
	s_or_b64 exec, exec, s[44:45]
	v_mov_b32_dpp v12, v38 row_shr:4 row_mask:0xf bank_mask:0xf
	v_mov_b32_dpp v13, v39 row_shr:4 row_mask:0xf bank_mask:0xf
	v_cmp_lt_u32_e64 s[20:21], 3, v41
	s_and_saveexec_b64 s[44:45], s[20:21]
	s_cbranch_execz .LBB66_50
; %bb.47:
	v_max_f64 v[42:43], v[12:13], v[12:13]
	v_max_f64 v[44:45], v[8:9], v[8:9]
	v_min_f64 v[38:39], v[42:43], v[44:45]
	v_cmp_u_f64_e64 s[20:21], v[12:13], v[12:13]
	v_max_f64 v[42:43], v[42:43], v[44:45]
	v_cmp_u_f64_e64 s[22:23], v[8:9], v[8:9]
	v_cndmask_b32_e64 v39, v39, v13, s[20:21]
	v_cndmask_b32_e64 v38, v38, v12, s[20:21]
	;; [unrolled: 1-line block ×8, first 2 shown]
	s_movk_i32 s22, 0x1f8
	v_cmp_neq_f64_e64 s[20:21], v[38:39], v[8:9]
	v_cmp_class_f64_e64 s[22:23], v[38:39], s22
	s_or_b64 s[20:21], s[20:21], s[22:23]
	s_and_saveexec_b64 s[46:47], s[20:21]
	s_cbranch_execz .LBB66_49
; %bb.48:
	s_mov_b32 s20, 0x652b82fe
	v_add_f64 v[12:13], v[38:39], -v[8:9]
	s_mov_b32 s21, 0x3ff71547
	v_mul_f64 v[38:39], v[12:13], s[20:21]
	v_rndne_f64_e32 v[38:39], v[38:39]
	s_mov_b32 s49, 0xbfe62e42
	s_mov_b32 s48, 0xfefa39ef
	v_fma_f64 v[42:43], s[48:49], v[38:39], v[12:13]
	s_mov_b32 s51, 0xbc7abc9e
	s_mov_b32 s50, 0x3b39803f
	;; [unrolled: 1-line block ×3, first 2 shown]
	v_fmac_f64_e32 v[42:43], s[50:51], v[38:39]
	v_mov_b32_e32 v44, 0xfca7ab0c
	v_mov_b32_e32 v45, 0x3e928af3
	s_mov_b32 s21, 0x3e5ade15
	v_fmac_f64_e32 v[44:45], s[20:21], v[42:43]
	v_mov_b32_e32 v46, 0x623fde64
	v_mov_b32_e32 v47, 0x3ec71dee
	v_fmac_f64_e32 v[46:47], v[42:43], v[44:45]
	v_mov_b32_e32 v44, 0x7c89e6b0
	v_mov_b32_e32 v45, 0x3efa0199
	v_fmac_f64_e32 v[44:45], v[42:43], v[46:47]
	v_mov_b32_e32 v46, 0x14761f6e
	v_mov_b32_e32 v47, 0x3f2a01a0
	v_fmac_f64_e32 v[46:47], v[42:43], v[44:45]
	v_mov_b32_e32 v44, 0x1852b7b0
	v_mov_b32_e32 v45, 0x3f56c16c
	v_fmac_f64_e32 v[44:45], v[42:43], v[46:47]
	v_mov_b32_e32 v46, 0x11122322
	v_mov_b32_e32 v47, 0x3f811111
	v_fmac_f64_e32 v[46:47], v[42:43], v[44:45]
	v_mov_b32_e32 v44, 0x555502a1
	v_mov_b32_e32 v45, 0x3fa55555
	v_fmac_f64_e32 v[44:45], v[42:43], v[46:47]
	v_mov_b32_e32 v46, 0x55555511
	v_mov_b32_e32 v47, 0x3fc55555
	v_fmac_f64_e32 v[46:47], v[42:43], v[44:45]
	v_mov_b32_e32 v44, 11
	v_mov_b32_e32 v45, 0x3fe00000
	v_fmac_f64_e32 v[44:45], v[42:43], v[46:47]
	v_fma_f64 v[44:45], v[42:43], v[44:45], 1.0
	s_mov_b32 s20, 0
	s_mov_b32 s22, 0
	v_fma_f64 v[42:43], v[42:43], v[44:45], 1.0
	v_cvt_i32_f64_e32 v38, v[38:39]
	s_mov_b32 s21, 0x40900000
	s_mov_b32 s23, 0xc090cc00
	v_ldexp_f64 v[38:39], v[42:43], v38
	v_mov_b32_e32 v60, 0x7ff00000
	v_cmp_nlt_f64_e64 s[20:21], s[20:21], v[12:13]
	v_cmp_ngt_f64_e64 s[22:23], s[22:23], v[12:13]
	s_mov_b32 s49, 0x3fe62e42
	v_cndmask_b32_e64 v39, v60, v39, s[20:21]
	s_and_b64 s[20:21], s[22:23], s[20:21]
	v_cndmask_b32_e64 v13, 0, v39, s[22:23]
	v_cndmask_b32_e64 v12, 0, v38, s[20:21]
	v_add_f64 v[38:39], v[12:13], 1.0
	v_add_f64 v[42:43], v[38:39], -1.0
	v_add_f64 v[44:45], v[42:43], -v[38:39]
	v_add_f64 v[44:45], v[44:45], 1.0
	v_add_f64 v[42:43], v[12:13], -v[42:43]
	s_mov_b32 s20, 0x55555555
	v_add_f64 v[42:43], v[42:43], v[44:45]
	v_frexp_mant_f64_e32 v[44:45], v[38:39]
	s_mov_b32 s21, 0x3fe55555
	v_frexp_exp_i32_f64_e32 v46, v[38:39]
	v_cmp_gt_f64_e64 s[20:21], s[20:21], v[44:45]
	s_mov_b32 s51, 0x3c7abc9e
	v_cmp_ngt_f64_e64 s[22:23], -1.0, v[12:13]
	v_subbrev_co_u32_e64 v61, s[20:21], 0, v46, s[20:21]
	v_sub_u32_e32 v44, 0, v61
	v_ldexp_f64 v[38:39], v[38:39], v44
	v_ldexp_f64 v[42:43], v[42:43], v44
	v_add_f64 v[44:45], v[38:39], -1.0
	v_add_f64 v[50:51], v[38:39], 1.0
	v_add_f64 v[46:47], v[44:45], 1.0
	v_add_f64 v[52:53], v[50:51], -1.0
	v_add_f64 v[46:47], v[38:39], -v[46:47]
	v_add_f64 v[38:39], v[38:39], -v[52:53]
	v_add_f64 v[38:39], v[42:43], v[38:39]
	v_add_f64 v[46:47], v[42:43], v[46:47]
	;; [unrolled: 1-line block ×3, first 2 shown]
	v_rcp_f64_e32 v[52:53], v[42:43]
	v_add_f64 v[48:49], v[44:45], v[46:47]
	v_add_f64 v[44:45], v[48:49], -v[44:45]
	v_add_f64 v[44:45], v[46:47], -v[44:45]
	;; [unrolled: 1-line block ×4, first 2 shown]
	v_fma_f64 v[46:47], -v[42:43], v[52:53], 1.0
	v_fmac_f64_e32 v[52:53], v[46:47], v[52:53]
	v_fma_f64 v[46:47], -v[42:43], v[52:53], 1.0
	v_fmac_f64_e32 v[52:53], v[46:47], v[52:53]
	v_mul_f64 v[46:47], v[48:49], v[52:53]
	v_mul_f64 v[50:51], v[42:43], v[46:47]
	v_fma_f64 v[54:55], v[46:47], v[42:43], -v[50:51]
	v_fmac_f64_e32 v[54:55], v[46:47], v[38:39]
	v_add_f64 v[56:57], v[50:51], v[54:55]
	v_add_f64 v[58:59], v[48:49], -v[56:57]
	v_add_f64 v[48:49], v[48:49], -v[58:59]
	v_add_f64 v[50:51], v[56:57], -v[50:51]
	v_add_f64 v[48:49], v[48:49], -v[56:57]
	v_add_f64 v[44:45], v[44:45], v[48:49]
	v_add_f64 v[48:49], v[50:51], -v[54:55]
	v_add_f64 v[44:45], v[48:49], v[44:45]
	v_add_f64 v[48:49], v[58:59], v[44:45]
	v_add_f64 v[50:51], v[58:59], -v[48:49]
	v_add_f64 v[44:45], v[44:45], v[50:51]
	v_mul_f64 v[50:51], v[52:53], v[48:49]
	v_mul_f64 v[54:55], v[42:43], v[50:51]
	v_fma_f64 v[42:43], v[50:51], v[42:43], -v[54:55]
	v_fmac_f64_e32 v[42:43], v[50:51], v[38:39]
	v_add_f64 v[38:39], v[54:55], v[42:43]
	v_add_f64 v[56:57], v[48:49], -v[38:39]
	v_add_f64 v[48:49], v[48:49], -v[56:57]
	v_add_f64 v[54:55], v[38:39], -v[54:55]
	v_add_f64 v[38:39], v[48:49], -v[38:39]
	v_add_f64 v[38:39], v[44:45], v[38:39]
	v_add_f64 v[42:43], v[54:55], -v[42:43]
	v_add_f64 v[38:39], v[42:43], v[38:39]
	v_add_f64 v[42:43], v[46:47], v[50:51]
	;; [unrolled: 1-line block ×3, first 2 shown]
	v_add_f64 v[44:45], v[42:43], -v[46:47]
	v_mul_f64 v[38:39], v[52:53], v[38:39]
	v_add_f64 v[44:45], v[50:51], -v[44:45]
	v_add_f64 v[38:39], v[44:45], v[38:39]
	v_add_f64 v[44:45], v[42:43], v[38:39]
	v_add_f64 v[42:43], v[44:45], -v[42:43]
	s_mov_b32 s20, 0xbf559e2b
	v_add_f64 v[38:39], v[38:39], -v[42:43]
	v_mul_f64 v[42:43], v[44:45], v[44:45]
	v_mov_b32_e32 v46, 0x6b47b09a
	v_mov_b32_e32 v47, 0x3fc38538
	s_mov_b32 s21, 0x3fc3ab76
	v_fmac_f64_e32 v[46:47], s[20:21], v[42:43]
	v_mov_b32_e32 v48, 0xd7f4df2e
	v_mov_b32_e32 v49, 0x3fc7474d
	v_fmac_f64_e32 v[48:49], v[42:43], v[46:47]
	v_mov_b32_e32 v46, 0x16291751
	v_mov_b32_e32 v47, 0x3fcc71c0
	;; [unrolled: 3-line block ×5, first 2 shown]
	v_fmac_f64_e32 v[48:49], v[42:43], v[46:47]
	v_cvt_f64_i32_e32 v[46:47], v61
	v_mul_f64 v[50:51], v[46:47], s[48:49]
	v_fma_f64 v[52:53], v[46:47], s[48:49], -v[50:51]
	v_fmac_f64_e32 v[52:53], s[50:51], v[46:47]
	v_add_f64 v[46:47], v[50:51], v[52:53]
	v_add_f64 v[50:51], v[46:47], -v[50:51]
	v_mul_f64 v[42:43], v[44:45], v[42:43]
	v_add_f64 v[50:51], v[52:53], -v[50:51]
	v_ldexp_f64 v[52:53], v[44:45], 1
	v_mul_f64 v[42:43], v[42:43], v[48:49]
	v_add_f64 v[44:45], v[52:53], v[42:43]
	v_add_f64 v[48:49], v[44:45], -v[52:53]
	v_ldexp_f64 v[38:39], v[38:39], 1
	v_add_f64 v[42:43], v[42:43], -v[48:49]
	v_add_f64 v[38:39], v[38:39], v[42:43]
	v_add_f64 v[42:43], v[44:45], v[38:39]
	v_add_f64 v[44:45], v[42:43], -v[44:45]
	v_add_f64 v[38:39], v[38:39], -v[44:45]
	v_add_f64 v[44:45], v[46:47], v[42:43]
	v_add_f64 v[48:49], v[44:45], -v[46:47]
	v_add_f64 v[52:53], v[44:45], -v[48:49]
	v_add_f64 v[46:47], v[46:47], -v[52:53]
	v_add_f64 v[42:43], v[42:43], -v[48:49]
	v_add_f64 v[42:43], v[42:43], v[46:47]
	v_add_f64 v[46:47], v[50:51], v[38:39]
	v_add_f64 v[48:49], v[46:47], -v[50:51]
	v_add_f64 v[42:43], v[46:47], v[42:43]
	v_add_f64 v[52:53], v[46:47], -v[48:49]
	;; [unrolled: 2-line block ×3, first 2 shown]
	v_add_f64 v[38:39], v[38:39], -v[48:49]
	v_add_f64 v[44:45], v[46:47], -v[44:45]
	v_add_f64 v[38:39], v[38:39], v[50:51]
	v_add_f64 v[42:43], v[42:43], -v[44:45]
	s_mov_b32 s20, 0
	v_add_f64 v[38:39], v[38:39], v[42:43]
	s_mov_b32 s21, 0x7ff00000
	v_add_f64 v[38:39], v[46:47], v[38:39]
	v_cmp_neq_f64_e64 s[20:21], s[20:21], v[12:13]
	v_mov_b32_e32 v42, 0x7ff80000
	s_nop 0
	v_cndmask_b32_e64 v39, v60, v39, s[20:21]
	v_cndmask_b32_e64 v39, v42, v39, s[22:23]
	v_cmp_nge_f64_e64 s[22:23], -1.0, v[12:13]
	s_and_b64 s[20:21], s[22:23], s[20:21]
	v_cndmask_b32_e64 v38, 0, v38, s[20:21]
	v_mov_b32_e32 v42, 0xfff00000
	v_cmp_neq_f64_e64 s[20:21], -1.0, v[12:13]
	s_nop 1
	v_cndmask_b32_e64 v39, v42, v39, s[20:21]
	v_add_f64 v[12:13], v[8:9], v[38:39]
.LBB66_49:
	s_or_b64 exec, exec, s[46:47]
	v_mov_b64_e32 v[8:9], v[12:13]
	v_mov_b32_e32 v38, v12
	v_mov_b32_e32 v39, v13
.LBB66_50:
	s_or_b64 exec, exec, s[44:45]
	v_mov_b32_dpp v12, v38 row_shr:8 row_mask:0xf bank_mask:0xf
	v_mov_b32_dpp v13, v39 row_shr:8 row_mask:0xf bank_mask:0xf
	v_cmp_lt_u32_e64 s[20:21], 7, v41
	s_and_saveexec_b64 s[44:45], s[20:21]
	s_cbranch_execz .LBB66_54
; %bb.51:
	v_max_f64 v[42:43], v[12:13], v[12:13]
	v_max_f64 v[44:45], v[8:9], v[8:9]
	v_min_f64 v[38:39], v[42:43], v[44:45]
	v_cmp_u_f64_e64 s[20:21], v[12:13], v[12:13]
	v_max_f64 v[42:43], v[42:43], v[44:45]
	v_cmp_u_f64_e64 s[22:23], v[8:9], v[8:9]
	v_cndmask_b32_e64 v39, v39, v13, s[20:21]
	v_cndmask_b32_e64 v38, v38, v12, s[20:21]
	;; [unrolled: 1-line block ×8, first 2 shown]
	s_movk_i32 s22, 0x1f8
	v_cmp_neq_f64_e64 s[20:21], v[38:39], v[8:9]
	v_cmp_class_f64_e64 s[22:23], v[38:39], s22
	s_or_b64 s[20:21], s[20:21], s[22:23]
	s_and_saveexec_b64 s[46:47], s[20:21]
	s_cbranch_execz .LBB66_53
; %bb.52:
	s_mov_b32 s20, 0x652b82fe
	v_add_f64 v[12:13], v[38:39], -v[8:9]
	s_mov_b32 s21, 0x3ff71547
	v_mul_f64 v[38:39], v[12:13], s[20:21]
	v_rndne_f64_e32 v[38:39], v[38:39]
	s_mov_b32 s49, 0xbfe62e42
	s_mov_b32 s48, 0xfefa39ef
	v_fma_f64 v[42:43], s[48:49], v[38:39], v[12:13]
	s_mov_b32 s51, 0xbc7abc9e
	s_mov_b32 s50, 0x3b39803f
	;; [unrolled: 1-line block ×3, first 2 shown]
	v_fmac_f64_e32 v[42:43], s[50:51], v[38:39]
	v_mov_b32_e32 v44, 0xfca7ab0c
	v_mov_b32_e32 v45, 0x3e928af3
	s_mov_b32 s21, 0x3e5ade15
	v_fmac_f64_e32 v[44:45], s[20:21], v[42:43]
	v_mov_b32_e32 v46, 0x623fde64
	v_mov_b32_e32 v47, 0x3ec71dee
	v_fmac_f64_e32 v[46:47], v[42:43], v[44:45]
	v_mov_b32_e32 v44, 0x7c89e6b0
	v_mov_b32_e32 v45, 0x3efa0199
	;; [unrolled: 3-line block ×8, first 2 shown]
	v_fmac_f64_e32 v[44:45], v[42:43], v[46:47]
	v_fma_f64 v[44:45], v[42:43], v[44:45], 1.0
	s_mov_b32 s20, 0
	s_mov_b32 s22, 0
	v_fma_f64 v[42:43], v[42:43], v[44:45], 1.0
	v_cvt_i32_f64_e32 v38, v[38:39]
	s_mov_b32 s21, 0x40900000
	s_mov_b32 s23, 0xc090cc00
	v_ldexp_f64 v[38:39], v[42:43], v38
	v_mov_b32_e32 v41, 0x7ff00000
	v_cmp_nlt_f64_e64 s[20:21], s[20:21], v[12:13]
	v_cmp_ngt_f64_e64 s[22:23], s[22:23], v[12:13]
	s_mov_b32 s49, 0x3fe62e42
	v_cndmask_b32_e64 v39, v41, v39, s[20:21]
	s_and_b64 s[20:21], s[22:23], s[20:21]
	v_cndmask_b32_e64 v13, 0, v39, s[22:23]
	v_cndmask_b32_e64 v12, 0, v38, s[20:21]
	v_add_f64 v[38:39], v[12:13], 1.0
	v_add_f64 v[42:43], v[38:39], -1.0
	v_add_f64 v[44:45], v[42:43], -v[38:39]
	v_add_f64 v[44:45], v[44:45], 1.0
	v_add_f64 v[42:43], v[12:13], -v[42:43]
	s_mov_b32 s20, 0x55555555
	v_add_f64 v[42:43], v[42:43], v[44:45]
	v_frexp_mant_f64_e32 v[44:45], v[38:39]
	s_mov_b32 s21, 0x3fe55555
	v_frexp_exp_i32_f64_e32 v46, v[38:39]
	v_cmp_gt_f64_e64 s[20:21], s[20:21], v[44:45]
	s_mov_b32 s51, 0x3c7abc9e
	v_cmp_ngt_f64_e64 s[22:23], -1.0, v[12:13]
	v_subbrev_co_u32_e64 v60, s[20:21], 0, v46, s[20:21]
	v_sub_u32_e32 v44, 0, v60
	v_ldexp_f64 v[38:39], v[38:39], v44
	v_ldexp_f64 v[42:43], v[42:43], v44
	v_add_f64 v[44:45], v[38:39], -1.0
	v_add_f64 v[50:51], v[38:39], 1.0
	v_add_f64 v[46:47], v[44:45], 1.0
	v_add_f64 v[52:53], v[50:51], -1.0
	v_add_f64 v[46:47], v[38:39], -v[46:47]
	v_add_f64 v[38:39], v[38:39], -v[52:53]
	v_add_f64 v[38:39], v[42:43], v[38:39]
	v_add_f64 v[46:47], v[42:43], v[46:47]
	;; [unrolled: 1-line block ×3, first 2 shown]
	v_rcp_f64_e32 v[52:53], v[42:43]
	v_add_f64 v[48:49], v[44:45], v[46:47]
	v_add_f64 v[44:45], v[48:49], -v[44:45]
	v_add_f64 v[44:45], v[46:47], -v[44:45]
	;; [unrolled: 1-line block ×4, first 2 shown]
	v_fma_f64 v[46:47], -v[42:43], v[52:53], 1.0
	v_fmac_f64_e32 v[52:53], v[46:47], v[52:53]
	v_fma_f64 v[46:47], -v[42:43], v[52:53], 1.0
	v_fmac_f64_e32 v[52:53], v[46:47], v[52:53]
	v_mul_f64 v[46:47], v[48:49], v[52:53]
	v_mul_f64 v[50:51], v[42:43], v[46:47]
	v_fma_f64 v[54:55], v[46:47], v[42:43], -v[50:51]
	v_fmac_f64_e32 v[54:55], v[46:47], v[38:39]
	v_add_f64 v[56:57], v[50:51], v[54:55]
	v_add_f64 v[58:59], v[48:49], -v[56:57]
	v_add_f64 v[48:49], v[48:49], -v[58:59]
	;; [unrolled: 1-line block ×4, first 2 shown]
	v_add_f64 v[44:45], v[44:45], v[48:49]
	v_add_f64 v[48:49], v[50:51], -v[54:55]
	v_add_f64 v[44:45], v[48:49], v[44:45]
	v_add_f64 v[48:49], v[58:59], v[44:45]
	v_add_f64 v[50:51], v[58:59], -v[48:49]
	v_add_f64 v[44:45], v[44:45], v[50:51]
	v_mul_f64 v[50:51], v[52:53], v[48:49]
	v_mul_f64 v[54:55], v[42:43], v[50:51]
	v_fma_f64 v[42:43], v[50:51], v[42:43], -v[54:55]
	v_fmac_f64_e32 v[42:43], v[50:51], v[38:39]
	v_add_f64 v[38:39], v[54:55], v[42:43]
	v_add_f64 v[56:57], v[48:49], -v[38:39]
	v_add_f64 v[48:49], v[48:49], -v[56:57]
	;; [unrolled: 1-line block ×4, first 2 shown]
	v_add_f64 v[38:39], v[44:45], v[38:39]
	v_add_f64 v[42:43], v[54:55], -v[42:43]
	v_add_f64 v[38:39], v[42:43], v[38:39]
	v_add_f64 v[42:43], v[46:47], v[50:51]
	;; [unrolled: 1-line block ×3, first 2 shown]
	v_add_f64 v[44:45], v[42:43], -v[46:47]
	v_mul_f64 v[38:39], v[52:53], v[38:39]
	v_add_f64 v[44:45], v[50:51], -v[44:45]
	v_add_f64 v[38:39], v[44:45], v[38:39]
	v_add_f64 v[44:45], v[42:43], v[38:39]
	v_add_f64 v[42:43], v[44:45], -v[42:43]
	s_mov_b32 s20, 0xbf559e2b
	v_add_f64 v[38:39], v[38:39], -v[42:43]
	v_mul_f64 v[42:43], v[44:45], v[44:45]
	v_mov_b32_e32 v46, 0x6b47b09a
	v_mov_b32_e32 v47, 0x3fc38538
	s_mov_b32 s21, 0x3fc3ab76
	v_fmac_f64_e32 v[46:47], s[20:21], v[42:43]
	v_mov_b32_e32 v48, 0xd7f4df2e
	v_mov_b32_e32 v49, 0x3fc7474d
	v_fmac_f64_e32 v[48:49], v[42:43], v[46:47]
	v_mov_b32_e32 v46, 0x16291751
	v_mov_b32_e32 v47, 0x3fcc71c0
	;; [unrolled: 3-line block ×5, first 2 shown]
	v_fmac_f64_e32 v[48:49], v[42:43], v[46:47]
	v_cvt_f64_i32_e32 v[46:47], v60
	v_mul_f64 v[50:51], v[46:47], s[48:49]
	v_fma_f64 v[52:53], v[46:47], s[48:49], -v[50:51]
	v_fmac_f64_e32 v[52:53], s[50:51], v[46:47]
	v_add_f64 v[46:47], v[50:51], v[52:53]
	v_add_f64 v[50:51], v[46:47], -v[50:51]
	v_mul_f64 v[42:43], v[44:45], v[42:43]
	v_add_f64 v[50:51], v[52:53], -v[50:51]
	v_ldexp_f64 v[52:53], v[44:45], 1
	v_mul_f64 v[42:43], v[42:43], v[48:49]
	v_add_f64 v[44:45], v[52:53], v[42:43]
	v_add_f64 v[48:49], v[44:45], -v[52:53]
	v_ldexp_f64 v[38:39], v[38:39], 1
	v_add_f64 v[42:43], v[42:43], -v[48:49]
	v_add_f64 v[38:39], v[38:39], v[42:43]
	v_add_f64 v[42:43], v[44:45], v[38:39]
	v_add_f64 v[44:45], v[42:43], -v[44:45]
	v_add_f64 v[38:39], v[38:39], -v[44:45]
	v_add_f64 v[44:45], v[46:47], v[42:43]
	v_add_f64 v[48:49], v[44:45], -v[46:47]
	v_add_f64 v[52:53], v[44:45], -v[48:49]
	;; [unrolled: 1-line block ×4, first 2 shown]
	v_add_f64 v[42:43], v[42:43], v[46:47]
	v_add_f64 v[46:47], v[50:51], v[38:39]
	v_add_f64 v[48:49], v[46:47], -v[50:51]
	v_add_f64 v[42:43], v[46:47], v[42:43]
	v_add_f64 v[52:53], v[46:47], -v[48:49]
	;; [unrolled: 2-line block ×3, first 2 shown]
	v_add_f64 v[38:39], v[38:39], -v[48:49]
	v_add_f64 v[44:45], v[46:47], -v[44:45]
	v_add_f64 v[38:39], v[38:39], v[50:51]
	v_add_f64 v[42:43], v[42:43], -v[44:45]
	s_mov_b32 s20, 0
	v_add_f64 v[38:39], v[38:39], v[42:43]
	s_mov_b32 s21, 0x7ff00000
	v_add_f64 v[38:39], v[46:47], v[38:39]
	v_cmp_neq_f64_e64 s[20:21], s[20:21], v[12:13]
	s_nop 1
	v_cndmask_b32_e64 v39, v41, v39, s[20:21]
	v_mov_b32_e32 v41, 0x7ff80000
	v_cndmask_b32_e64 v39, v41, v39, s[22:23]
	v_cmp_nge_f64_e64 s[22:23], -1.0, v[12:13]
	s_and_b64 s[20:21], s[22:23], s[20:21]
	v_cndmask_b32_e64 v38, 0, v38, s[20:21]
	v_mov_b32_e32 v41, 0xfff00000
	v_cmp_neq_f64_e64 s[20:21], -1.0, v[12:13]
	s_nop 1
	v_cndmask_b32_e64 v39, v41, v39, s[20:21]
	v_add_f64 v[12:13], v[8:9], v[38:39]
.LBB66_53:
	s_or_b64 exec, exec, s[46:47]
	v_mov_b64_e32 v[8:9], v[12:13]
	v_mov_b32_e32 v38, v12
	v_mov_b32_e32 v39, v13
.LBB66_54:
	s_or_b64 exec, exec, s[44:45]
	v_and_b32_e32 v41, 16, v40
	v_mov_b32_dpp v12, v38 row_bcast:15 row_mask:0xf bank_mask:0xf
	v_mov_b32_dpp v13, v39 row_bcast:15 row_mask:0xf bank_mask:0xf
	v_cmp_ne_u32_e64 s[20:21], 0, v41
	s_and_saveexec_b64 s[44:45], s[20:21]
	s_cbranch_execz .LBB66_58
; %bb.55:
	v_max_f64 v[42:43], v[12:13], v[12:13]
	v_max_f64 v[44:45], v[8:9], v[8:9]
	v_min_f64 v[38:39], v[42:43], v[44:45]
	v_cmp_u_f64_e64 s[20:21], v[12:13], v[12:13]
	v_max_f64 v[42:43], v[42:43], v[44:45]
	v_cmp_u_f64_e64 s[22:23], v[8:9], v[8:9]
	v_cndmask_b32_e64 v39, v39, v13, s[20:21]
	v_cndmask_b32_e64 v38, v38, v12, s[20:21]
	;; [unrolled: 1-line block ×8, first 2 shown]
	s_movk_i32 s22, 0x1f8
	v_cmp_neq_f64_e64 s[20:21], v[38:39], v[8:9]
	v_cmp_class_f64_e64 s[22:23], v[38:39], s22
	s_or_b64 s[20:21], s[20:21], s[22:23]
	s_and_saveexec_b64 s[46:47], s[20:21]
	s_cbranch_execz .LBB66_57
; %bb.56:
	s_mov_b32 s20, 0x652b82fe
	v_add_f64 v[12:13], v[38:39], -v[8:9]
	s_mov_b32 s21, 0x3ff71547
	v_mul_f64 v[38:39], v[12:13], s[20:21]
	v_rndne_f64_e32 v[38:39], v[38:39]
	s_mov_b32 s49, 0xbfe62e42
	s_mov_b32 s48, 0xfefa39ef
	v_fma_f64 v[42:43], s[48:49], v[38:39], v[12:13]
	s_mov_b32 s51, 0xbc7abc9e
	s_mov_b32 s50, 0x3b39803f
	;; [unrolled: 1-line block ×3, first 2 shown]
	v_fmac_f64_e32 v[42:43], s[50:51], v[38:39]
	v_mov_b32_e32 v44, 0xfca7ab0c
	v_mov_b32_e32 v45, 0x3e928af3
	s_mov_b32 s21, 0x3e5ade15
	v_fmac_f64_e32 v[44:45], s[20:21], v[42:43]
	v_mov_b32_e32 v46, 0x623fde64
	v_mov_b32_e32 v47, 0x3ec71dee
	v_fmac_f64_e32 v[46:47], v[42:43], v[44:45]
	v_mov_b32_e32 v44, 0x7c89e6b0
	v_mov_b32_e32 v45, 0x3efa0199
	;; [unrolled: 3-line block ×8, first 2 shown]
	v_fmac_f64_e32 v[44:45], v[42:43], v[46:47]
	v_fma_f64 v[44:45], v[42:43], v[44:45], 1.0
	s_mov_b32 s20, 0
	s_mov_b32 s22, 0
	v_fma_f64 v[42:43], v[42:43], v[44:45], 1.0
	v_cvt_i32_f64_e32 v38, v[38:39]
	s_mov_b32 s21, 0x40900000
	s_mov_b32 s23, 0xc090cc00
	v_ldexp_f64 v[38:39], v[42:43], v38
	v_mov_b32_e32 v41, 0x7ff00000
	v_cmp_nlt_f64_e64 s[20:21], s[20:21], v[12:13]
	v_cmp_ngt_f64_e64 s[22:23], s[22:23], v[12:13]
	s_mov_b32 s49, 0x3fe62e42
	v_cndmask_b32_e64 v39, v41, v39, s[20:21]
	s_and_b64 s[20:21], s[22:23], s[20:21]
	v_cndmask_b32_e64 v13, 0, v39, s[22:23]
	v_cndmask_b32_e64 v12, 0, v38, s[20:21]
	v_add_f64 v[38:39], v[12:13], 1.0
	v_add_f64 v[42:43], v[38:39], -1.0
	v_add_f64 v[44:45], v[42:43], -v[38:39]
	v_add_f64 v[44:45], v[44:45], 1.0
	v_add_f64 v[42:43], v[12:13], -v[42:43]
	s_mov_b32 s20, 0x55555555
	v_add_f64 v[42:43], v[42:43], v[44:45]
	v_frexp_mant_f64_e32 v[44:45], v[38:39]
	s_mov_b32 s21, 0x3fe55555
	v_frexp_exp_i32_f64_e32 v46, v[38:39]
	v_cmp_gt_f64_e64 s[20:21], s[20:21], v[44:45]
	s_mov_b32 s51, 0x3c7abc9e
	v_cmp_ngt_f64_e64 s[22:23], -1.0, v[12:13]
	v_subbrev_co_u32_e64 v60, s[20:21], 0, v46, s[20:21]
	v_sub_u32_e32 v44, 0, v60
	v_ldexp_f64 v[38:39], v[38:39], v44
	v_ldexp_f64 v[42:43], v[42:43], v44
	v_add_f64 v[44:45], v[38:39], -1.0
	v_add_f64 v[50:51], v[38:39], 1.0
	v_add_f64 v[46:47], v[44:45], 1.0
	v_add_f64 v[52:53], v[50:51], -1.0
	v_add_f64 v[46:47], v[38:39], -v[46:47]
	v_add_f64 v[38:39], v[38:39], -v[52:53]
	v_add_f64 v[38:39], v[42:43], v[38:39]
	v_add_f64 v[46:47], v[42:43], v[46:47]
	v_add_f64 v[42:43], v[50:51], v[38:39]
	v_rcp_f64_e32 v[52:53], v[42:43]
	v_add_f64 v[48:49], v[44:45], v[46:47]
	v_add_f64 v[44:45], v[48:49], -v[44:45]
	v_add_f64 v[44:45], v[46:47], -v[44:45]
	;; [unrolled: 1-line block ×4, first 2 shown]
	v_fma_f64 v[46:47], -v[42:43], v[52:53], 1.0
	v_fmac_f64_e32 v[52:53], v[46:47], v[52:53]
	v_fma_f64 v[46:47], -v[42:43], v[52:53], 1.0
	v_fmac_f64_e32 v[52:53], v[46:47], v[52:53]
	v_mul_f64 v[46:47], v[48:49], v[52:53]
	v_mul_f64 v[50:51], v[42:43], v[46:47]
	v_fma_f64 v[54:55], v[46:47], v[42:43], -v[50:51]
	v_fmac_f64_e32 v[54:55], v[46:47], v[38:39]
	v_add_f64 v[56:57], v[50:51], v[54:55]
	v_add_f64 v[58:59], v[48:49], -v[56:57]
	v_add_f64 v[48:49], v[48:49], -v[58:59]
	;; [unrolled: 1-line block ×4, first 2 shown]
	v_add_f64 v[44:45], v[44:45], v[48:49]
	v_add_f64 v[48:49], v[50:51], -v[54:55]
	v_add_f64 v[44:45], v[48:49], v[44:45]
	v_add_f64 v[48:49], v[58:59], v[44:45]
	v_add_f64 v[50:51], v[58:59], -v[48:49]
	v_add_f64 v[44:45], v[44:45], v[50:51]
	v_mul_f64 v[50:51], v[52:53], v[48:49]
	v_mul_f64 v[54:55], v[42:43], v[50:51]
	v_fma_f64 v[42:43], v[50:51], v[42:43], -v[54:55]
	v_fmac_f64_e32 v[42:43], v[50:51], v[38:39]
	v_add_f64 v[38:39], v[54:55], v[42:43]
	v_add_f64 v[56:57], v[48:49], -v[38:39]
	v_add_f64 v[48:49], v[48:49], -v[56:57]
	;; [unrolled: 1-line block ×4, first 2 shown]
	v_add_f64 v[38:39], v[44:45], v[38:39]
	v_add_f64 v[42:43], v[54:55], -v[42:43]
	v_add_f64 v[38:39], v[42:43], v[38:39]
	v_add_f64 v[42:43], v[46:47], v[50:51]
	;; [unrolled: 1-line block ×3, first 2 shown]
	v_add_f64 v[44:45], v[42:43], -v[46:47]
	v_mul_f64 v[38:39], v[52:53], v[38:39]
	v_add_f64 v[44:45], v[50:51], -v[44:45]
	v_add_f64 v[38:39], v[44:45], v[38:39]
	v_add_f64 v[44:45], v[42:43], v[38:39]
	v_add_f64 v[42:43], v[44:45], -v[42:43]
	s_mov_b32 s20, 0xbf559e2b
	v_add_f64 v[38:39], v[38:39], -v[42:43]
	v_mul_f64 v[42:43], v[44:45], v[44:45]
	v_mov_b32_e32 v46, 0x6b47b09a
	v_mov_b32_e32 v47, 0x3fc38538
	s_mov_b32 s21, 0x3fc3ab76
	v_fmac_f64_e32 v[46:47], s[20:21], v[42:43]
	v_mov_b32_e32 v48, 0xd7f4df2e
	v_mov_b32_e32 v49, 0x3fc7474d
	v_fmac_f64_e32 v[48:49], v[42:43], v[46:47]
	v_mov_b32_e32 v46, 0x16291751
	v_mov_b32_e32 v47, 0x3fcc71c0
	;; [unrolled: 3-line block ×5, first 2 shown]
	v_fmac_f64_e32 v[48:49], v[42:43], v[46:47]
	v_cvt_f64_i32_e32 v[46:47], v60
	v_mul_f64 v[50:51], v[46:47], s[48:49]
	v_fma_f64 v[52:53], v[46:47], s[48:49], -v[50:51]
	v_fmac_f64_e32 v[52:53], s[50:51], v[46:47]
	v_add_f64 v[46:47], v[50:51], v[52:53]
	v_add_f64 v[50:51], v[46:47], -v[50:51]
	v_mul_f64 v[42:43], v[44:45], v[42:43]
	v_add_f64 v[50:51], v[52:53], -v[50:51]
	v_ldexp_f64 v[52:53], v[44:45], 1
	v_mul_f64 v[42:43], v[42:43], v[48:49]
	v_add_f64 v[44:45], v[52:53], v[42:43]
	v_add_f64 v[48:49], v[44:45], -v[52:53]
	v_ldexp_f64 v[38:39], v[38:39], 1
	v_add_f64 v[42:43], v[42:43], -v[48:49]
	v_add_f64 v[38:39], v[38:39], v[42:43]
	v_add_f64 v[42:43], v[44:45], v[38:39]
	v_add_f64 v[44:45], v[42:43], -v[44:45]
	v_add_f64 v[38:39], v[38:39], -v[44:45]
	v_add_f64 v[44:45], v[46:47], v[42:43]
	v_add_f64 v[48:49], v[44:45], -v[46:47]
	v_add_f64 v[52:53], v[44:45], -v[48:49]
	v_add_f64 v[46:47], v[46:47], -v[52:53]
	v_add_f64 v[42:43], v[42:43], -v[48:49]
	v_add_f64 v[42:43], v[42:43], v[46:47]
	v_add_f64 v[46:47], v[50:51], v[38:39]
	v_add_f64 v[48:49], v[46:47], -v[50:51]
	v_add_f64 v[42:43], v[46:47], v[42:43]
	v_add_f64 v[52:53], v[46:47], -v[48:49]
	;; [unrolled: 2-line block ×3, first 2 shown]
	v_add_f64 v[38:39], v[38:39], -v[48:49]
	v_add_f64 v[44:45], v[46:47], -v[44:45]
	v_add_f64 v[38:39], v[38:39], v[50:51]
	v_add_f64 v[42:43], v[42:43], -v[44:45]
	s_mov_b32 s20, 0
	v_add_f64 v[38:39], v[38:39], v[42:43]
	s_mov_b32 s21, 0x7ff00000
	v_add_f64 v[38:39], v[46:47], v[38:39]
	v_cmp_neq_f64_e64 s[20:21], s[20:21], v[12:13]
	s_nop 1
	v_cndmask_b32_e64 v39, v41, v39, s[20:21]
	v_mov_b32_e32 v41, 0x7ff80000
	v_cndmask_b32_e64 v39, v41, v39, s[22:23]
	v_cmp_nge_f64_e64 s[22:23], -1.0, v[12:13]
	s_and_b64 s[20:21], s[22:23], s[20:21]
	v_cndmask_b32_e64 v38, 0, v38, s[20:21]
	v_mov_b32_e32 v41, 0xfff00000
	v_cmp_neq_f64_e64 s[20:21], -1.0, v[12:13]
	s_nop 1
	v_cndmask_b32_e64 v39, v41, v39, s[20:21]
	v_add_f64 v[12:13], v[8:9], v[38:39]
.LBB66_57:
	s_or_b64 exec, exec, s[46:47]
	v_mov_b32_e32 v38, v12
	v_mov_b32_e32 v39, v13
	v_mov_b64_e32 v[8:9], v[12:13]
.LBB66_58:
	s_or_b64 exec, exec, s[44:45]
	v_mov_b32_dpp v12, v38 row_bcast:31 row_mask:0xf bank_mask:0xf
	v_mov_b32_dpp v13, v39 row_bcast:31 row_mask:0xf bank_mask:0xf
	v_cmp_lt_u32_e64 s[20:21], 31, v40
	s_and_saveexec_b64 s[44:45], s[20:21]
	s_cbranch_execz .LBB66_62
; %bb.59:
	v_max_f64 v[42:43], v[12:13], v[12:13]
	v_max_f64 v[44:45], v[8:9], v[8:9]
	v_min_f64 v[38:39], v[42:43], v[44:45]
	v_cmp_u_f64_e64 s[20:21], v[12:13], v[12:13]
	v_max_f64 v[42:43], v[42:43], v[44:45]
	v_cmp_u_f64_e64 s[22:23], v[8:9], v[8:9]
	v_cndmask_b32_e64 v39, v39, v13, s[20:21]
	v_cndmask_b32_e64 v38, v38, v12, s[20:21]
	;; [unrolled: 1-line block ×8, first 2 shown]
	s_movk_i32 s22, 0x1f8
	v_cmp_neq_f64_e64 s[20:21], v[38:39], v[8:9]
	v_cmp_class_f64_e64 s[22:23], v[38:39], s22
	s_or_b64 s[20:21], s[20:21], s[22:23]
	s_and_saveexec_b64 s[46:47], s[20:21]
	s_cbranch_execz .LBB66_61
; %bb.60:
	s_mov_b32 s20, 0x652b82fe
	v_add_f64 v[12:13], v[38:39], -v[8:9]
	s_mov_b32 s21, 0x3ff71547
	v_mul_f64 v[38:39], v[12:13], s[20:21]
	v_rndne_f64_e32 v[38:39], v[38:39]
	s_mov_b32 s49, 0xbfe62e42
	s_mov_b32 s48, 0xfefa39ef
	v_fma_f64 v[42:43], s[48:49], v[38:39], v[12:13]
	s_mov_b32 s51, 0xbc7abc9e
	s_mov_b32 s50, 0x3b39803f
	;; [unrolled: 1-line block ×3, first 2 shown]
	v_fmac_f64_e32 v[42:43], s[50:51], v[38:39]
	v_mov_b32_e32 v44, 0xfca7ab0c
	v_mov_b32_e32 v45, 0x3e928af3
	s_mov_b32 s21, 0x3e5ade15
	v_fmac_f64_e32 v[44:45], s[20:21], v[42:43]
	v_mov_b32_e32 v46, 0x623fde64
	v_mov_b32_e32 v47, 0x3ec71dee
	v_fmac_f64_e32 v[46:47], v[42:43], v[44:45]
	v_mov_b32_e32 v44, 0x7c89e6b0
	v_mov_b32_e32 v45, 0x3efa0199
	;; [unrolled: 3-line block ×8, first 2 shown]
	v_fmac_f64_e32 v[44:45], v[42:43], v[46:47]
	v_fma_f64 v[44:45], v[42:43], v[44:45], 1.0
	s_mov_b32 s20, 0
	s_mov_b32 s22, 0
	v_fma_f64 v[42:43], v[42:43], v[44:45], 1.0
	v_cvt_i32_f64_e32 v38, v[38:39]
	s_mov_b32 s21, 0x40900000
	s_mov_b32 s23, 0xc090cc00
	v_ldexp_f64 v[38:39], v[42:43], v38
	v_mov_b32_e32 v41, 0x7ff00000
	v_cmp_nlt_f64_e64 s[20:21], s[20:21], v[12:13]
	v_cmp_ngt_f64_e64 s[22:23], s[22:23], v[12:13]
	s_mov_b32 s49, 0x3fe62e42
	v_cndmask_b32_e64 v39, v41, v39, s[20:21]
	s_and_b64 s[20:21], s[22:23], s[20:21]
	v_cndmask_b32_e64 v13, 0, v39, s[22:23]
	v_cndmask_b32_e64 v12, 0, v38, s[20:21]
	v_add_f64 v[38:39], v[12:13], 1.0
	v_add_f64 v[42:43], v[38:39], -1.0
	v_add_f64 v[44:45], v[42:43], -v[38:39]
	v_add_f64 v[44:45], v[44:45], 1.0
	v_add_f64 v[42:43], v[12:13], -v[42:43]
	s_mov_b32 s20, 0x55555555
	v_add_f64 v[42:43], v[42:43], v[44:45]
	v_frexp_mant_f64_e32 v[44:45], v[38:39]
	s_mov_b32 s21, 0x3fe55555
	v_frexp_exp_i32_f64_e32 v46, v[38:39]
	v_cmp_gt_f64_e64 s[20:21], s[20:21], v[44:45]
	s_mov_b32 s51, 0x3c7abc9e
	v_cmp_ngt_f64_e64 s[22:23], -1.0, v[12:13]
	v_subbrev_co_u32_e64 v60, s[20:21], 0, v46, s[20:21]
	v_sub_u32_e32 v44, 0, v60
	v_ldexp_f64 v[38:39], v[38:39], v44
	v_ldexp_f64 v[42:43], v[42:43], v44
	v_add_f64 v[44:45], v[38:39], -1.0
	v_add_f64 v[50:51], v[38:39], 1.0
	v_add_f64 v[46:47], v[44:45], 1.0
	v_add_f64 v[52:53], v[50:51], -1.0
	v_add_f64 v[46:47], v[38:39], -v[46:47]
	v_add_f64 v[38:39], v[38:39], -v[52:53]
	v_add_f64 v[38:39], v[42:43], v[38:39]
	v_add_f64 v[46:47], v[42:43], v[46:47]
	;; [unrolled: 1-line block ×3, first 2 shown]
	v_rcp_f64_e32 v[52:53], v[42:43]
	v_add_f64 v[48:49], v[44:45], v[46:47]
	v_add_f64 v[44:45], v[48:49], -v[44:45]
	v_add_f64 v[44:45], v[46:47], -v[44:45]
	;; [unrolled: 1-line block ×4, first 2 shown]
	v_fma_f64 v[46:47], -v[42:43], v[52:53], 1.0
	v_fmac_f64_e32 v[52:53], v[46:47], v[52:53]
	v_fma_f64 v[46:47], -v[42:43], v[52:53], 1.0
	v_fmac_f64_e32 v[52:53], v[46:47], v[52:53]
	v_mul_f64 v[46:47], v[48:49], v[52:53]
	v_mul_f64 v[50:51], v[42:43], v[46:47]
	v_fma_f64 v[54:55], v[46:47], v[42:43], -v[50:51]
	v_fmac_f64_e32 v[54:55], v[46:47], v[38:39]
	v_add_f64 v[56:57], v[50:51], v[54:55]
	v_add_f64 v[58:59], v[48:49], -v[56:57]
	v_add_f64 v[48:49], v[48:49], -v[58:59]
	;; [unrolled: 1-line block ×4, first 2 shown]
	v_add_f64 v[44:45], v[44:45], v[48:49]
	v_add_f64 v[48:49], v[50:51], -v[54:55]
	v_add_f64 v[44:45], v[48:49], v[44:45]
	v_add_f64 v[48:49], v[58:59], v[44:45]
	v_add_f64 v[50:51], v[58:59], -v[48:49]
	v_add_f64 v[44:45], v[44:45], v[50:51]
	v_mul_f64 v[50:51], v[52:53], v[48:49]
	v_mul_f64 v[54:55], v[42:43], v[50:51]
	v_fma_f64 v[42:43], v[50:51], v[42:43], -v[54:55]
	v_fmac_f64_e32 v[42:43], v[50:51], v[38:39]
	v_add_f64 v[38:39], v[54:55], v[42:43]
	v_add_f64 v[56:57], v[48:49], -v[38:39]
	v_add_f64 v[48:49], v[48:49], -v[56:57]
	;; [unrolled: 1-line block ×4, first 2 shown]
	v_add_f64 v[38:39], v[44:45], v[38:39]
	v_add_f64 v[42:43], v[54:55], -v[42:43]
	v_add_f64 v[38:39], v[42:43], v[38:39]
	v_add_f64 v[42:43], v[46:47], v[50:51]
	;; [unrolled: 1-line block ×3, first 2 shown]
	v_add_f64 v[44:45], v[42:43], -v[46:47]
	v_mul_f64 v[38:39], v[52:53], v[38:39]
	v_add_f64 v[44:45], v[50:51], -v[44:45]
	v_add_f64 v[38:39], v[44:45], v[38:39]
	v_add_f64 v[44:45], v[42:43], v[38:39]
	v_add_f64 v[42:43], v[44:45], -v[42:43]
	s_mov_b32 s20, 0xbf559e2b
	v_add_f64 v[38:39], v[38:39], -v[42:43]
	v_mul_f64 v[42:43], v[44:45], v[44:45]
	v_mov_b32_e32 v46, 0x6b47b09a
	v_mov_b32_e32 v47, 0x3fc38538
	s_mov_b32 s21, 0x3fc3ab76
	v_fmac_f64_e32 v[46:47], s[20:21], v[42:43]
	v_mov_b32_e32 v48, 0xd7f4df2e
	v_mov_b32_e32 v49, 0x3fc7474d
	v_fmac_f64_e32 v[48:49], v[42:43], v[46:47]
	v_mov_b32_e32 v46, 0x16291751
	v_mov_b32_e32 v47, 0x3fcc71c0
	;; [unrolled: 3-line block ×5, first 2 shown]
	v_fmac_f64_e32 v[48:49], v[42:43], v[46:47]
	v_cvt_f64_i32_e32 v[46:47], v60
	v_mul_f64 v[50:51], v[46:47], s[48:49]
	v_fma_f64 v[52:53], v[46:47], s[48:49], -v[50:51]
	v_fmac_f64_e32 v[52:53], s[50:51], v[46:47]
	v_add_f64 v[46:47], v[50:51], v[52:53]
	v_add_f64 v[50:51], v[46:47], -v[50:51]
	v_mul_f64 v[42:43], v[44:45], v[42:43]
	v_add_f64 v[50:51], v[52:53], -v[50:51]
	v_ldexp_f64 v[52:53], v[44:45], 1
	v_mul_f64 v[42:43], v[42:43], v[48:49]
	v_add_f64 v[44:45], v[52:53], v[42:43]
	v_add_f64 v[48:49], v[44:45], -v[52:53]
	v_ldexp_f64 v[38:39], v[38:39], 1
	v_add_f64 v[42:43], v[42:43], -v[48:49]
	v_add_f64 v[38:39], v[38:39], v[42:43]
	v_add_f64 v[42:43], v[44:45], v[38:39]
	v_add_f64 v[44:45], v[42:43], -v[44:45]
	v_add_f64 v[38:39], v[38:39], -v[44:45]
	v_add_f64 v[44:45], v[46:47], v[42:43]
	v_add_f64 v[48:49], v[44:45], -v[46:47]
	v_add_f64 v[52:53], v[44:45], -v[48:49]
	;; [unrolled: 1-line block ×4, first 2 shown]
	v_add_f64 v[42:43], v[42:43], v[46:47]
	v_add_f64 v[46:47], v[50:51], v[38:39]
	v_add_f64 v[48:49], v[46:47], -v[50:51]
	v_add_f64 v[42:43], v[46:47], v[42:43]
	v_add_f64 v[52:53], v[46:47], -v[48:49]
	;; [unrolled: 2-line block ×3, first 2 shown]
	v_add_f64 v[38:39], v[38:39], -v[48:49]
	v_add_f64 v[44:45], v[46:47], -v[44:45]
	v_add_f64 v[38:39], v[38:39], v[50:51]
	v_add_f64 v[42:43], v[42:43], -v[44:45]
	s_mov_b32 s20, 0
	v_add_f64 v[38:39], v[38:39], v[42:43]
	s_mov_b32 s21, 0x7ff00000
	v_add_f64 v[38:39], v[46:47], v[38:39]
	v_cmp_neq_f64_e64 s[20:21], s[20:21], v[12:13]
	s_nop 1
	v_cndmask_b32_e64 v39, v41, v39, s[20:21]
	v_mov_b32_e32 v41, 0x7ff80000
	v_cndmask_b32_e64 v39, v41, v39, s[22:23]
	v_cmp_nge_f64_e64 s[22:23], -1.0, v[12:13]
	s_and_b64 s[20:21], s[22:23], s[20:21]
	v_cndmask_b32_e64 v38, 0, v38, s[20:21]
	v_mov_b32_e32 v41, 0xfff00000
	v_cmp_neq_f64_e64 s[20:21], -1.0, v[12:13]
	s_nop 1
	v_cndmask_b32_e64 v39, v41, v39, s[20:21]
	v_add_f64 v[12:13], v[8:9], v[38:39]
.LBB66_61:
	s_or_b64 exec, exec, s[46:47]
	v_mov_b64_e32 v[8:9], v[12:13]
.LBB66_62:
	s_or_b64 exec, exec, s[44:45]
	v_add_u32_e32 v12, -1, v40
	v_and_b32_e32 v13, 64, v40
	v_cmp_lt_i32_e64 s[20:21], v12, v13
	s_movk_i32 s48, 0x1f8
	s_nop 0
	v_cndmask_b32_e64 v12, v12, v40, s[20:21]
	v_lshlrev_b32_e32 v12, 2, v12
	ds_bpermute_b32 v8, v12, v8
	ds_bpermute_b32 v9, v12, v9
	s_waitcnt lgkmcnt(0)
	v_max_f64 v[38:39], v[8:9], v[8:9]
	v_min_f64 v[12:13], v[38:39], v[10:11]
	v_cmp_u_f64_e64 s[20:21], v[8:9], v[8:9]
	v_max_f64 v[10:11], v[38:39], v[10:11]
	s_nop 0
	v_cndmask_b32_e64 v12, v12, v8, s[20:21]
	v_cndmask_b32_e64 v13, v13, v9, s[20:21]
	v_cndmask_b32_e64 v10, v10, v8, s[20:21]
	v_cndmask_b32_e64 v11, v11, v9, s[20:21]
	v_cndmask_b32_e64 v13, v13, v7, s[18:19]
	v_cndmask_b32_e64 v12, v12, v6, s[18:19]
	v_cndmask_b32_e64 v7, v11, v7, s[18:19]
	v_cndmask_b32_e64 v6, v10, v6, s[18:19]
	v_cmp_neq_f64_e64 s[18:19], v[12:13], v[6:7]
	v_cmp_class_f64_e64 s[20:21], v[12:13], s48
	s_or_b64 s[18:19], s[18:19], s[20:21]
	s_and_saveexec_b64 s[22:23], s[18:19]
	s_cbranch_execz .LBB66_64
; %bb.63:
	s_mov_b32 s18, 0x652b82fe
	v_add_f64 v[8:9], v[12:13], -v[6:7]
	s_mov_b32 s19, 0x3ff71547
	v_mul_f64 v[10:11], v[8:9], s[18:19]
	v_rndne_f64_e32 v[10:11], v[10:11]
	s_mov_b32 s45, 0xbfe62e42
	s_mov_b32 s44, 0xfefa39ef
	v_fma_f64 v[12:13], s[44:45], v[10:11], v[8:9]
	s_mov_b32 s47, 0xbc7abc9e
	s_mov_b32 s46, 0x3b39803f
	;; [unrolled: 1-line block ×3, first 2 shown]
	v_fmac_f64_e32 v[12:13], s[46:47], v[10:11]
	v_mov_b32_e32 v38, 0xfca7ab0c
	v_mov_b32_e32 v39, 0x3e928af3
	s_mov_b32 s19, 0x3e5ade15
	v_fmac_f64_e32 v[38:39], s[18:19], v[12:13]
	v_mov_b32_e32 v40, 0x623fde64
	v_mov_b32_e32 v41, 0x3ec71dee
	v_fmac_f64_e32 v[40:41], v[12:13], v[38:39]
	v_mov_b32_e32 v38, 0x7c89e6b0
	v_mov_b32_e32 v39, 0x3efa0199
	v_fmac_f64_e32 v[38:39], v[12:13], v[40:41]
	v_mov_b32_e32 v40, 0x14761f6e
	v_mov_b32_e32 v41, 0x3f2a01a0
	v_fmac_f64_e32 v[40:41], v[12:13], v[38:39]
	v_mov_b32_e32 v38, 0x1852b7b0
	v_mov_b32_e32 v39, 0x3f56c16c
	v_fmac_f64_e32 v[38:39], v[12:13], v[40:41]
	v_mov_b32_e32 v40, 0x11122322
	v_mov_b32_e32 v41, 0x3f811111
	v_fmac_f64_e32 v[40:41], v[12:13], v[38:39]
	v_mov_b32_e32 v38, 0x555502a1
	v_mov_b32_e32 v39, 0x3fa55555
	v_fmac_f64_e32 v[38:39], v[12:13], v[40:41]
	v_mov_b32_e32 v40, 0x55555511
	v_mov_b32_e32 v41, 0x3fc55555
	v_fmac_f64_e32 v[40:41], v[12:13], v[38:39]
	v_mov_b32_e32 v38, 11
	v_mov_b32_e32 v39, 0x3fe00000
	v_fmac_f64_e32 v[38:39], v[12:13], v[40:41]
	v_fma_f64 v[38:39], v[12:13], v[38:39], 1.0
	s_mov_b32 s18, 0
	s_mov_b32 s20, 0
	v_fma_f64 v[12:13], v[12:13], v[38:39], 1.0
	v_cvt_i32_f64_e32 v10, v[10:11]
	s_mov_b32 s19, 0x40900000
	s_mov_b32 s21, 0xc090cc00
	v_ldexp_f64 v[10:11], v[12:13], v10
	v_mov_b32_e32 v54, 0x7ff00000
	v_cmp_nlt_f64_e64 s[18:19], s[18:19], v[8:9]
	v_cmp_ngt_f64_e64 s[20:21], s[20:21], v[8:9]
	s_mov_b32 s45, 0x3fe62e42
	v_cndmask_b32_e64 v11, v54, v11, s[18:19]
	s_and_b64 s[18:19], s[20:21], s[18:19]
	v_cndmask_b32_e64 v9, 0, v11, s[20:21]
	v_cndmask_b32_e64 v8, 0, v10, s[18:19]
	v_add_f64 v[10:11], v[8:9], 1.0
	v_add_f64 v[12:13], v[10:11], -1.0
	v_add_f64 v[38:39], v[12:13], -v[10:11]
	v_add_f64 v[38:39], v[38:39], 1.0
	v_add_f64 v[12:13], v[8:9], -v[12:13]
	s_mov_b32 s18, 0x55555555
	v_add_f64 v[12:13], v[12:13], v[38:39]
	v_frexp_mant_f64_e32 v[38:39], v[10:11]
	s_mov_b32 s19, 0x3fe55555
	v_frexp_exp_i32_f64_e32 v40, v[10:11]
	v_cmp_gt_f64_e64 s[18:19], s[18:19], v[38:39]
	s_mov_b32 s47, 0x3c7abc9e
	v_cmp_ngt_f64_e64 s[20:21], -1.0, v[8:9]
	v_subbrev_co_u32_e64 v55, s[18:19], 0, v40, s[18:19]
	v_sub_u32_e32 v38, 0, v55
	v_ldexp_f64 v[10:11], v[10:11], v38
	v_ldexp_f64 v[12:13], v[12:13], v38
	v_add_f64 v[38:39], v[10:11], -1.0
	v_add_f64 v[44:45], v[10:11], 1.0
	v_add_f64 v[40:41], v[38:39], 1.0
	v_add_f64 v[46:47], v[44:45], -1.0
	v_add_f64 v[40:41], v[10:11], -v[40:41]
	v_add_f64 v[10:11], v[10:11], -v[46:47]
	v_add_f64 v[10:11], v[12:13], v[10:11]
	v_add_f64 v[40:41], v[12:13], v[40:41]
	;; [unrolled: 1-line block ×3, first 2 shown]
	v_rcp_f64_e32 v[46:47], v[12:13]
	v_add_f64 v[42:43], v[38:39], v[40:41]
	v_add_f64 v[38:39], v[42:43], -v[38:39]
	v_add_f64 v[38:39], v[40:41], -v[38:39]
	;; [unrolled: 1-line block ×4, first 2 shown]
	v_fma_f64 v[40:41], -v[12:13], v[46:47], 1.0
	v_fmac_f64_e32 v[46:47], v[40:41], v[46:47]
	v_fma_f64 v[40:41], -v[12:13], v[46:47], 1.0
	v_fmac_f64_e32 v[46:47], v[40:41], v[46:47]
	v_mul_f64 v[40:41], v[42:43], v[46:47]
	v_mul_f64 v[44:45], v[12:13], v[40:41]
	v_fma_f64 v[48:49], v[40:41], v[12:13], -v[44:45]
	v_fmac_f64_e32 v[48:49], v[40:41], v[10:11]
	v_add_f64 v[50:51], v[44:45], v[48:49]
	v_add_f64 v[52:53], v[42:43], -v[50:51]
	v_add_f64 v[42:43], v[42:43], -v[52:53]
	;; [unrolled: 1-line block ×4, first 2 shown]
	v_add_f64 v[38:39], v[38:39], v[42:43]
	v_add_f64 v[42:43], v[44:45], -v[48:49]
	v_add_f64 v[38:39], v[42:43], v[38:39]
	v_add_f64 v[42:43], v[52:53], v[38:39]
	v_add_f64 v[44:45], v[52:53], -v[42:43]
	v_add_f64 v[38:39], v[38:39], v[44:45]
	v_mul_f64 v[44:45], v[46:47], v[42:43]
	v_mul_f64 v[48:49], v[12:13], v[44:45]
	v_fma_f64 v[12:13], v[44:45], v[12:13], -v[48:49]
	v_fmac_f64_e32 v[12:13], v[44:45], v[10:11]
	v_add_f64 v[10:11], v[48:49], v[12:13]
	v_add_f64 v[50:51], v[42:43], -v[10:11]
	v_add_f64 v[42:43], v[42:43], -v[50:51]
	;; [unrolled: 1-line block ×4, first 2 shown]
	v_add_f64 v[10:11], v[38:39], v[10:11]
	v_add_f64 v[12:13], v[48:49], -v[12:13]
	v_add_f64 v[10:11], v[12:13], v[10:11]
	v_add_f64 v[12:13], v[40:41], v[44:45]
	;; [unrolled: 1-line block ×3, first 2 shown]
	v_add_f64 v[38:39], v[12:13], -v[40:41]
	v_mul_f64 v[10:11], v[46:47], v[10:11]
	v_add_f64 v[38:39], v[44:45], -v[38:39]
	v_add_f64 v[10:11], v[38:39], v[10:11]
	v_add_f64 v[38:39], v[12:13], v[10:11]
	v_add_f64 v[12:13], v[38:39], -v[12:13]
	s_mov_b32 s18, 0xbf559e2b
	v_add_f64 v[10:11], v[10:11], -v[12:13]
	v_mul_f64 v[12:13], v[38:39], v[38:39]
	v_mov_b32_e32 v40, 0x6b47b09a
	v_mov_b32_e32 v41, 0x3fc38538
	s_mov_b32 s19, 0x3fc3ab76
	v_fmac_f64_e32 v[40:41], s[18:19], v[12:13]
	v_mov_b32_e32 v42, 0xd7f4df2e
	v_mov_b32_e32 v43, 0x3fc7474d
	v_fmac_f64_e32 v[42:43], v[12:13], v[40:41]
	v_mov_b32_e32 v40, 0x16291751
	v_mov_b32_e32 v41, 0x3fcc71c0
	;; [unrolled: 3-line block ×5, first 2 shown]
	v_fmac_f64_e32 v[42:43], v[12:13], v[40:41]
	v_cvt_f64_i32_e32 v[40:41], v55
	v_mul_f64 v[44:45], v[40:41], s[44:45]
	v_fma_f64 v[46:47], v[40:41], s[44:45], -v[44:45]
	v_fmac_f64_e32 v[46:47], s[46:47], v[40:41]
	v_add_f64 v[40:41], v[44:45], v[46:47]
	v_add_f64 v[44:45], v[40:41], -v[44:45]
	v_mul_f64 v[12:13], v[38:39], v[12:13]
	v_add_f64 v[44:45], v[46:47], -v[44:45]
	v_ldexp_f64 v[46:47], v[38:39], 1
	v_mul_f64 v[12:13], v[12:13], v[42:43]
	v_add_f64 v[38:39], v[46:47], v[12:13]
	v_add_f64 v[42:43], v[38:39], -v[46:47]
	v_ldexp_f64 v[10:11], v[10:11], 1
	v_add_f64 v[12:13], v[12:13], -v[42:43]
	v_add_f64 v[10:11], v[10:11], v[12:13]
	v_add_f64 v[12:13], v[38:39], v[10:11]
	v_add_f64 v[38:39], v[12:13], -v[38:39]
	v_add_f64 v[10:11], v[10:11], -v[38:39]
	v_add_f64 v[38:39], v[40:41], v[12:13]
	v_add_f64 v[42:43], v[38:39], -v[40:41]
	v_add_f64 v[46:47], v[38:39], -v[42:43]
	;; [unrolled: 1-line block ×4, first 2 shown]
	v_add_f64 v[12:13], v[12:13], v[40:41]
	v_add_f64 v[40:41], v[44:45], v[10:11]
	v_add_f64 v[42:43], v[40:41], -v[44:45]
	v_add_f64 v[12:13], v[40:41], v[12:13]
	v_add_f64 v[46:47], v[40:41], -v[42:43]
	;; [unrolled: 2-line block ×3, first 2 shown]
	v_add_f64 v[10:11], v[10:11], -v[42:43]
	v_add_f64 v[38:39], v[40:41], -v[38:39]
	v_add_f64 v[10:11], v[10:11], v[44:45]
	v_add_f64 v[12:13], v[12:13], -v[38:39]
	s_mov_b32 s18, 0
	v_add_f64 v[10:11], v[10:11], v[12:13]
	s_mov_b32 s19, 0x7ff00000
	v_add_f64 v[10:11], v[40:41], v[10:11]
	v_cmp_neq_f64_e64 s[18:19], s[18:19], v[8:9]
	v_mov_b32_e32 v12, 0x7ff80000
	s_nop 0
	v_cndmask_b32_e64 v11, v54, v11, s[18:19]
	v_cndmask_b32_e64 v11, v12, v11, s[20:21]
	v_cmp_nge_f64_e64 s[20:21], -1.0, v[8:9]
	s_and_b64 s[18:19], s[20:21], s[18:19]
	v_cndmask_b32_e64 v10, 0, v10, s[18:19]
	v_mov_b32_e32 v12, 0xfff00000
	v_cmp_neq_f64_e64 s[18:19], -1.0, v[8:9]
	s_nop 1
	v_cndmask_b32_e64 v11, v12, v11, s[18:19]
	v_add_f64 v[8:9], v[6:7], v[10:11]
.LBB66_64:
	s_or_b64 exec, exec, s[22:23]
	v_cndmask_b32_e64 v9, v9, v37, s[4:5]
	v_cndmask_b32_e64 v8, v8, v36, s[4:5]
	; wave barrier
	ds_write_b64 v31, v[8:9]
	; wave barrier
	ds_read_b64 v[6:7], v31 offset:8
	v_max_f64 v[12:13], v[8:9], v[8:9]
	v_cmp_u_f64_e64 s[18:19], v[8:9], v[8:9]
	s_waitcnt lgkmcnt(0)
	v_max_f64 v[38:39], v[6:7], v[6:7]
	v_min_f64 v[10:11], v[12:13], v[38:39]
	v_max_f64 v[12:13], v[12:13], v[38:39]
	v_cndmask_b32_e64 v10, v10, v8, s[18:19]
	v_cndmask_b32_e64 v11, v11, v9, s[18:19]
	v_cmp_u_f64_e64 s[20:21], v[6:7], v[6:7]
	v_cndmask_b32_e64 v12, v12, v8, s[18:19]
	v_cndmask_b32_e64 v13, v13, v9, s[18:19]
	;; [unrolled: 1-line block ×6, first 2 shown]
	v_cmp_neq_f64_e64 s[18:19], v[10:11], v[6:7]
	v_cmp_class_f64_e64 s[20:21], v[10:11], s48
	s_or_b64 s[18:19], s[18:19], s[20:21]
	s_and_saveexec_b64 s[22:23], s[18:19]
	s_cbranch_execz .LBB66_66
; %bb.65:
	s_mov_b32 s18, 0x652b82fe
	v_add_f64 v[8:9], v[10:11], -v[6:7]
	s_mov_b32 s19, 0x3ff71547
	v_mul_f64 v[10:11], v[8:9], s[18:19]
	v_rndne_f64_e32 v[10:11], v[10:11]
	s_mov_b32 s45, 0xbfe62e42
	s_mov_b32 s44, 0xfefa39ef
	v_fma_f64 v[12:13], s[44:45], v[10:11], v[8:9]
	s_mov_b32 s47, 0xbc7abc9e
	s_mov_b32 s46, 0x3b39803f
	;; [unrolled: 1-line block ×3, first 2 shown]
	v_fmac_f64_e32 v[12:13], s[46:47], v[10:11]
	v_mov_b32_e32 v38, 0xfca7ab0c
	v_mov_b32_e32 v39, 0x3e928af3
	s_mov_b32 s19, 0x3e5ade15
	v_fmac_f64_e32 v[38:39], s[18:19], v[12:13]
	v_mov_b32_e32 v40, 0x623fde64
	v_mov_b32_e32 v41, 0x3ec71dee
	v_fmac_f64_e32 v[40:41], v[12:13], v[38:39]
	v_mov_b32_e32 v38, 0x7c89e6b0
	v_mov_b32_e32 v39, 0x3efa0199
	;; [unrolled: 3-line block ×8, first 2 shown]
	v_fmac_f64_e32 v[38:39], v[12:13], v[40:41]
	v_fma_f64 v[38:39], v[12:13], v[38:39], 1.0
	s_mov_b32 s18, 0
	s_mov_b32 s20, 0
	v_fma_f64 v[12:13], v[12:13], v[38:39], 1.0
	v_cvt_i32_f64_e32 v10, v[10:11]
	s_mov_b32 s19, 0x40900000
	s_mov_b32 s21, 0xc090cc00
	v_ldexp_f64 v[10:11], v[12:13], v10
	v_mov_b32_e32 v54, 0x7ff00000
	v_cmp_nlt_f64_e64 s[18:19], s[18:19], v[8:9]
	v_cmp_ngt_f64_e64 s[20:21], s[20:21], v[8:9]
	s_mov_b32 s45, 0x3fe62e42
	v_cndmask_b32_e64 v11, v54, v11, s[18:19]
	s_and_b64 s[18:19], s[20:21], s[18:19]
	v_cndmask_b32_e64 v9, 0, v11, s[20:21]
	v_cndmask_b32_e64 v8, 0, v10, s[18:19]
	v_add_f64 v[10:11], v[8:9], 1.0
	v_add_f64 v[12:13], v[10:11], -1.0
	v_add_f64 v[38:39], v[12:13], -v[10:11]
	v_add_f64 v[38:39], v[38:39], 1.0
	v_add_f64 v[12:13], v[8:9], -v[12:13]
	s_mov_b32 s18, 0x55555555
	v_add_f64 v[12:13], v[12:13], v[38:39]
	v_frexp_mant_f64_e32 v[38:39], v[10:11]
	s_mov_b32 s19, 0x3fe55555
	v_frexp_exp_i32_f64_e32 v40, v[10:11]
	v_cmp_gt_f64_e64 s[18:19], s[18:19], v[38:39]
	s_mov_b32 s47, 0x3c7abc9e
	v_cmp_ngt_f64_e64 s[20:21], -1.0, v[8:9]
	v_subbrev_co_u32_e64 v55, s[18:19], 0, v40, s[18:19]
	v_sub_u32_e32 v38, 0, v55
	v_ldexp_f64 v[10:11], v[10:11], v38
	v_ldexp_f64 v[12:13], v[12:13], v38
	v_add_f64 v[38:39], v[10:11], -1.0
	v_add_f64 v[44:45], v[10:11], 1.0
	v_add_f64 v[40:41], v[38:39], 1.0
	v_add_f64 v[46:47], v[44:45], -1.0
	v_add_f64 v[40:41], v[10:11], -v[40:41]
	v_add_f64 v[10:11], v[10:11], -v[46:47]
	v_add_f64 v[10:11], v[12:13], v[10:11]
	v_add_f64 v[40:41], v[12:13], v[40:41]
	;; [unrolled: 1-line block ×3, first 2 shown]
	v_rcp_f64_e32 v[46:47], v[12:13]
	v_add_f64 v[42:43], v[38:39], v[40:41]
	v_add_f64 v[38:39], v[42:43], -v[38:39]
	v_add_f64 v[38:39], v[40:41], -v[38:39]
	;; [unrolled: 1-line block ×4, first 2 shown]
	v_fma_f64 v[40:41], -v[12:13], v[46:47], 1.0
	v_fmac_f64_e32 v[46:47], v[40:41], v[46:47]
	v_fma_f64 v[40:41], -v[12:13], v[46:47], 1.0
	v_fmac_f64_e32 v[46:47], v[40:41], v[46:47]
	v_mul_f64 v[40:41], v[42:43], v[46:47]
	v_mul_f64 v[44:45], v[12:13], v[40:41]
	v_fma_f64 v[48:49], v[40:41], v[12:13], -v[44:45]
	v_fmac_f64_e32 v[48:49], v[40:41], v[10:11]
	v_add_f64 v[50:51], v[44:45], v[48:49]
	v_add_f64 v[52:53], v[42:43], -v[50:51]
	v_add_f64 v[42:43], v[42:43], -v[52:53]
	;; [unrolled: 1-line block ×4, first 2 shown]
	v_add_f64 v[38:39], v[38:39], v[42:43]
	v_add_f64 v[42:43], v[44:45], -v[48:49]
	v_add_f64 v[38:39], v[42:43], v[38:39]
	v_add_f64 v[42:43], v[52:53], v[38:39]
	v_add_f64 v[44:45], v[52:53], -v[42:43]
	v_add_f64 v[38:39], v[38:39], v[44:45]
	v_mul_f64 v[44:45], v[46:47], v[42:43]
	v_mul_f64 v[48:49], v[12:13], v[44:45]
	v_fma_f64 v[12:13], v[44:45], v[12:13], -v[48:49]
	v_fmac_f64_e32 v[12:13], v[44:45], v[10:11]
	v_add_f64 v[10:11], v[48:49], v[12:13]
	v_add_f64 v[50:51], v[42:43], -v[10:11]
	v_add_f64 v[42:43], v[42:43], -v[50:51]
	v_add_f64 v[48:49], v[10:11], -v[48:49]
	v_add_f64 v[10:11], v[42:43], -v[10:11]
	v_add_f64 v[10:11], v[38:39], v[10:11]
	v_add_f64 v[12:13], v[48:49], -v[12:13]
	v_add_f64 v[10:11], v[12:13], v[10:11]
	v_add_f64 v[12:13], v[40:41], v[44:45]
	;; [unrolled: 1-line block ×3, first 2 shown]
	v_add_f64 v[38:39], v[12:13], -v[40:41]
	v_mul_f64 v[10:11], v[46:47], v[10:11]
	v_add_f64 v[38:39], v[44:45], -v[38:39]
	v_add_f64 v[10:11], v[38:39], v[10:11]
	v_add_f64 v[38:39], v[12:13], v[10:11]
	v_add_f64 v[12:13], v[38:39], -v[12:13]
	s_mov_b32 s18, 0xbf559e2b
	v_add_f64 v[10:11], v[10:11], -v[12:13]
	v_mul_f64 v[12:13], v[38:39], v[38:39]
	v_mov_b32_e32 v40, 0x6b47b09a
	v_mov_b32_e32 v41, 0x3fc38538
	s_mov_b32 s19, 0x3fc3ab76
	v_fmac_f64_e32 v[40:41], s[18:19], v[12:13]
	v_mov_b32_e32 v42, 0xd7f4df2e
	v_mov_b32_e32 v43, 0x3fc7474d
	v_fmac_f64_e32 v[42:43], v[12:13], v[40:41]
	v_mov_b32_e32 v40, 0x16291751
	v_mov_b32_e32 v41, 0x3fcc71c0
	;; [unrolled: 3-line block ×5, first 2 shown]
	v_fmac_f64_e32 v[42:43], v[12:13], v[40:41]
	v_cvt_f64_i32_e32 v[40:41], v55
	v_mul_f64 v[44:45], v[40:41], s[44:45]
	v_fma_f64 v[46:47], v[40:41], s[44:45], -v[44:45]
	v_fmac_f64_e32 v[46:47], s[46:47], v[40:41]
	v_add_f64 v[40:41], v[44:45], v[46:47]
	v_add_f64 v[44:45], v[40:41], -v[44:45]
	v_mul_f64 v[12:13], v[38:39], v[12:13]
	v_add_f64 v[44:45], v[46:47], -v[44:45]
	v_ldexp_f64 v[46:47], v[38:39], 1
	v_mul_f64 v[12:13], v[12:13], v[42:43]
	v_add_f64 v[38:39], v[46:47], v[12:13]
	v_add_f64 v[42:43], v[38:39], -v[46:47]
	v_ldexp_f64 v[10:11], v[10:11], 1
	v_add_f64 v[12:13], v[12:13], -v[42:43]
	v_add_f64 v[10:11], v[10:11], v[12:13]
	v_add_f64 v[12:13], v[38:39], v[10:11]
	v_add_f64 v[38:39], v[12:13], -v[38:39]
	v_add_f64 v[10:11], v[10:11], -v[38:39]
	v_add_f64 v[38:39], v[40:41], v[12:13]
	v_add_f64 v[42:43], v[38:39], -v[40:41]
	v_add_f64 v[46:47], v[38:39], -v[42:43]
	;; [unrolled: 1-line block ×4, first 2 shown]
	v_add_f64 v[12:13], v[12:13], v[40:41]
	v_add_f64 v[40:41], v[44:45], v[10:11]
	v_add_f64 v[42:43], v[40:41], -v[44:45]
	v_add_f64 v[12:13], v[40:41], v[12:13]
	v_add_f64 v[46:47], v[40:41], -v[42:43]
	;; [unrolled: 2-line block ×3, first 2 shown]
	v_add_f64 v[10:11], v[10:11], -v[42:43]
	v_add_f64 v[38:39], v[40:41], -v[38:39]
	v_add_f64 v[10:11], v[10:11], v[44:45]
	v_add_f64 v[12:13], v[12:13], -v[38:39]
	s_mov_b32 s18, 0
	v_add_f64 v[10:11], v[10:11], v[12:13]
	s_mov_b32 s19, 0x7ff00000
	v_add_f64 v[10:11], v[40:41], v[10:11]
	v_cmp_neq_f64_e64 s[18:19], s[18:19], v[8:9]
	v_mov_b32_e32 v12, 0x7ff80000
	s_nop 0
	v_cndmask_b32_e64 v11, v54, v11, s[18:19]
	v_cndmask_b32_e64 v11, v12, v11, s[20:21]
	v_cmp_nge_f64_e64 s[20:21], -1.0, v[8:9]
	s_and_b64 s[18:19], s[20:21], s[18:19]
	v_cndmask_b32_e64 v10, 0, v10, s[18:19]
	v_mov_b32_e32 v12, 0xfff00000
	v_cmp_neq_f64_e64 s[18:19], -1.0, v[8:9]
	s_nop 1
	v_cndmask_b32_e64 v11, v12, v11, s[18:19]
	v_add_f64 v[8:9], v[6:7], v[10:11]
.LBB66_66:
	s_or_b64 exec, exec, s[22:23]
	ds_read_b64 v[6:7], v31 offset:16
	v_max_f64 v[12:13], v[8:9], v[8:9]
	v_cmp_u_f64_e64 s[18:19], v[8:9], v[8:9]
	ds_write_b64 v31, v[8:9] offset:8
	s_waitcnt lgkmcnt(1)
	v_max_f64 v[38:39], v[6:7], v[6:7]
	v_min_f64 v[10:11], v[12:13], v[38:39]
	v_max_f64 v[12:13], v[12:13], v[38:39]
	v_cndmask_b32_e64 v10, v10, v8, s[18:19]
	v_cndmask_b32_e64 v11, v11, v9, s[18:19]
	v_cmp_u_f64_e64 s[20:21], v[6:7], v[6:7]
	v_cndmask_b32_e64 v12, v12, v8, s[18:19]
	v_cndmask_b32_e64 v13, v13, v9, s[18:19]
	;; [unrolled: 1-line block ×6, first 2 shown]
	v_cmp_neq_f64_e64 s[18:19], v[10:11], v[6:7]
	v_cmp_class_f64_e64 s[20:21], v[10:11], s48
	s_or_b64 s[18:19], s[18:19], s[20:21]
	s_and_saveexec_b64 s[22:23], s[18:19]
	s_cbranch_execz .LBB66_68
; %bb.67:
	s_mov_b32 s18, 0x652b82fe
	v_add_f64 v[8:9], v[10:11], -v[6:7]
	s_mov_b32 s19, 0x3ff71547
	v_mul_f64 v[10:11], v[8:9], s[18:19]
	v_rndne_f64_e32 v[10:11], v[10:11]
	s_mov_b32 s45, 0xbfe62e42
	s_mov_b32 s44, 0xfefa39ef
	v_fma_f64 v[12:13], s[44:45], v[10:11], v[8:9]
	s_mov_b32 s47, 0xbc7abc9e
	s_mov_b32 s46, 0x3b39803f
	;; [unrolled: 1-line block ×3, first 2 shown]
	v_fmac_f64_e32 v[12:13], s[46:47], v[10:11]
	v_mov_b32_e32 v38, 0xfca7ab0c
	v_mov_b32_e32 v39, 0x3e928af3
	s_mov_b32 s19, 0x3e5ade15
	v_fmac_f64_e32 v[38:39], s[18:19], v[12:13]
	v_mov_b32_e32 v40, 0x623fde64
	v_mov_b32_e32 v41, 0x3ec71dee
	v_fmac_f64_e32 v[40:41], v[12:13], v[38:39]
	v_mov_b32_e32 v38, 0x7c89e6b0
	v_mov_b32_e32 v39, 0x3efa0199
	;; [unrolled: 3-line block ×8, first 2 shown]
	v_fmac_f64_e32 v[38:39], v[12:13], v[40:41]
	v_fma_f64 v[38:39], v[12:13], v[38:39], 1.0
	s_mov_b32 s18, 0
	s_mov_b32 s20, 0
	v_fma_f64 v[12:13], v[12:13], v[38:39], 1.0
	v_cvt_i32_f64_e32 v10, v[10:11]
	s_mov_b32 s19, 0x40900000
	s_mov_b32 s21, 0xc090cc00
	v_ldexp_f64 v[10:11], v[12:13], v10
	v_mov_b32_e32 v54, 0x7ff00000
	v_cmp_nlt_f64_e64 s[18:19], s[18:19], v[8:9]
	v_cmp_ngt_f64_e64 s[20:21], s[20:21], v[8:9]
	s_mov_b32 s45, 0x3fe62e42
	v_cndmask_b32_e64 v11, v54, v11, s[18:19]
	s_and_b64 s[18:19], s[20:21], s[18:19]
	v_cndmask_b32_e64 v9, 0, v11, s[20:21]
	v_cndmask_b32_e64 v8, 0, v10, s[18:19]
	v_add_f64 v[10:11], v[8:9], 1.0
	v_add_f64 v[12:13], v[10:11], -1.0
	v_add_f64 v[38:39], v[12:13], -v[10:11]
	v_add_f64 v[38:39], v[38:39], 1.0
	v_add_f64 v[12:13], v[8:9], -v[12:13]
	s_mov_b32 s18, 0x55555555
	v_add_f64 v[12:13], v[12:13], v[38:39]
	v_frexp_mant_f64_e32 v[38:39], v[10:11]
	s_mov_b32 s19, 0x3fe55555
	v_frexp_exp_i32_f64_e32 v40, v[10:11]
	v_cmp_gt_f64_e64 s[18:19], s[18:19], v[38:39]
	s_mov_b32 s47, 0x3c7abc9e
	v_cmp_ngt_f64_e64 s[20:21], -1.0, v[8:9]
	v_subbrev_co_u32_e64 v55, s[18:19], 0, v40, s[18:19]
	v_sub_u32_e32 v38, 0, v55
	v_ldexp_f64 v[10:11], v[10:11], v38
	v_ldexp_f64 v[12:13], v[12:13], v38
	v_add_f64 v[38:39], v[10:11], -1.0
	v_add_f64 v[44:45], v[10:11], 1.0
	v_add_f64 v[40:41], v[38:39], 1.0
	v_add_f64 v[46:47], v[44:45], -1.0
	v_add_f64 v[40:41], v[10:11], -v[40:41]
	v_add_f64 v[10:11], v[10:11], -v[46:47]
	v_add_f64 v[10:11], v[12:13], v[10:11]
	v_add_f64 v[40:41], v[12:13], v[40:41]
	;; [unrolled: 1-line block ×3, first 2 shown]
	v_rcp_f64_e32 v[46:47], v[12:13]
	v_add_f64 v[42:43], v[38:39], v[40:41]
	v_add_f64 v[38:39], v[42:43], -v[38:39]
	v_add_f64 v[38:39], v[40:41], -v[38:39]
	v_add_f64 v[40:41], v[12:13], -v[44:45]
	v_add_f64 v[10:11], v[10:11], -v[40:41]
	v_fma_f64 v[40:41], -v[12:13], v[46:47], 1.0
	v_fmac_f64_e32 v[46:47], v[40:41], v[46:47]
	v_fma_f64 v[40:41], -v[12:13], v[46:47], 1.0
	v_fmac_f64_e32 v[46:47], v[40:41], v[46:47]
	v_mul_f64 v[40:41], v[42:43], v[46:47]
	v_mul_f64 v[44:45], v[12:13], v[40:41]
	v_fma_f64 v[48:49], v[40:41], v[12:13], -v[44:45]
	v_fmac_f64_e32 v[48:49], v[40:41], v[10:11]
	v_add_f64 v[50:51], v[44:45], v[48:49]
	v_add_f64 v[52:53], v[42:43], -v[50:51]
	v_add_f64 v[42:43], v[42:43], -v[52:53]
	;; [unrolled: 1-line block ×4, first 2 shown]
	v_add_f64 v[38:39], v[38:39], v[42:43]
	v_add_f64 v[42:43], v[44:45], -v[48:49]
	v_add_f64 v[38:39], v[42:43], v[38:39]
	v_add_f64 v[42:43], v[52:53], v[38:39]
	v_add_f64 v[44:45], v[52:53], -v[42:43]
	v_add_f64 v[38:39], v[38:39], v[44:45]
	v_mul_f64 v[44:45], v[46:47], v[42:43]
	v_mul_f64 v[48:49], v[12:13], v[44:45]
	v_fma_f64 v[12:13], v[44:45], v[12:13], -v[48:49]
	v_fmac_f64_e32 v[12:13], v[44:45], v[10:11]
	v_add_f64 v[10:11], v[48:49], v[12:13]
	v_add_f64 v[50:51], v[42:43], -v[10:11]
	v_add_f64 v[42:43], v[42:43], -v[50:51]
	;; [unrolled: 1-line block ×4, first 2 shown]
	v_add_f64 v[10:11], v[38:39], v[10:11]
	v_add_f64 v[12:13], v[48:49], -v[12:13]
	v_add_f64 v[10:11], v[12:13], v[10:11]
	v_add_f64 v[12:13], v[40:41], v[44:45]
	v_add_f64 v[10:11], v[50:51], v[10:11]
	v_add_f64 v[38:39], v[12:13], -v[40:41]
	v_mul_f64 v[10:11], v[46:47], v[10:11]
	v_add_f64 v[38:39], v[44:45], -v[38:39]
	v_add_f64 v[10:11], v[38:39], v[10:11]
	v_add_f64 v[38:39], v[12:13], v[10:11]
	v_add_f64 v[12:13], v[38:39], -v[12:13]
	s_mov_b32 s18, 0xbf559e2b
	v_add_f64 v[10:11], v[10:11], -v[12:13]
	v_mul_f64 v[12:13], v[38:39], v[38:39]
	v_mov_b32_e32 v40, 0x6b47b09a
	v_mov_b32_e32 v41, 0x3fc38538
	s_mov_b32 s19, 0x3fc3ab76
	v_fmac_f64_e32 v[40:41], s[18:19], v[12:13]
	v_mov_b32_e32 v42, 0xd7f4df2e
	v_mov_b32_e32 v43, 0x3fc7474d
	v_fmac_f64_e32 v[42:43], v[12:13], v[40:41]
	v_mov_b32_e32 v40, 0x16291751
	v_mov_b32_e32 v41, 0x3fcc71c0
	;; [unrolled: 3-line block ×5, first 2 shown]
	v_fmac_f64_e32 v[42:43], v[12:13], v[40:41]
	v_cvt_f64_i32_e32 v[40:41], v55
	v_mul_f64 v[44:45], v[40:41], s[44:45]
	v_fma_f64 v[46:47], v[40:41], s[44:45], -v[44:45]
	v_fmac_f64_e32 v[46:47], s[46:47], v[40:41]
	v_add_f64 v[40:41], v[44:45], v[46:47]
	v_add_f64 v[44:45], v[40:41], -v[44:45]
	v_mul_f64 v[12:13], v[38:39], v[12:13]
	v_add_f64 v[44:45], v[46:47], -v[44:45]
	v_ldexp_f64 v[46:47], v[38:39], 1
	v_mul_f64 v[12:13], v[12:13], v[42:43]
	v_add_f64 v[38:39], v[46:47], v[12:13]
	v_add_f64 v[42:43], v[38:39], -v[46:47]
	v_ldexp_f64 v[10:11], v[10:11], 1
	v_add_f64 v[12:13], v[12:13], -v[42:43]
	v_add_f64 v[10:11], v[10:11], v[12:13]
	v_add_f64 v[12:13], v[38:39], v[10:11]
	v_add_f64 v[38:39], v[12:13], -v[38:39]
	v_add_f64 v[10:11], v[10:11], -v[38:39]
	v_add_f64 v[38:39], v[40:41], v[12:13]
	v_add_f64 v[42:43], v[38:39], -v[40:41]
	v_add_f64 v[46:47], v[38:39], -v[42:43]
	;; [unrolled: 1-line block ×4, first 2 shown]
	v_add_f64 v[12:13], v[12:13], v[40:41]
	v_add_f64 v[40:41], v[44:45], v[10:11]
	v_add_f64 v[42:43], v[40:41], -v[44:45]
	v_add_f64 v[12:13], v[40:41], v[12:13]
	v_add_f64 v[46:47], v[40:41], -v[42:43]
	;; [unrolled: 2-line block ×3, first 2 shown]
	v_add_f64 v[10:11], v[10:11], -v[42:43]
	v_add_f64 v[38:39], v[40:41], -v[38:39]
	v_add_f64 v[10:11], v[10:11], v[44:45]
	v_add_f64 v[12:13], v[12:13], -v[38:39]
	s_mov_b32 s18, 0
	v_add_f64 v[10:11], v[10:11], v[12:13]
	s_mov_b32 s19, 0x7ff00000
	v_add_f64 v[10:11], v[40:41], v[10:11]
	v_cmp_neq_f64_e64 s[18:19], s[18:19], v[8:9]
	v_mov_b32_e32 v12, 0x7ff80000
	s_nop 0
	v_cndmask_b32_e64 v11, v54, v11, s[18:19]
	v_cndmask_b32_e64 v11, v12, v11, s[20:21]
	v_cmp_nge_f64_e64 s[20:21], -1.0, v[8:9]
	s_and_b64 s[18:19], s[20:21], s[18:19]
	v_cndmask_b32_e64 v10, 0, v10, s[18:19]
	v_mov_b32_e32 v12, 0xfff00000
	v_cmp_neq_f64_e64 s[18:19], -1.0, v[8:9]
	s_nop 1
	v_cndmask_b32_e64 v11, v12, v11, s[18:19]
	v_add_f64 v[8:9], v[6:7], v[10:11]
.LBB66_68:
	s_or_b64 exec, exec, s[22:23]
	ds_read_b64 v[6:7], v31 offset:24
	v_max_f64 v[12:13], v[8:9], v[8:9]
	v_cmp_u_f64_e64 s[18:19], v[8:9], v[8:9]
	ds_write_b64 v31, v[8:9] offset:16
	s_waitcnt lgkmcnt(1)
	v_max_f64 v[38:39], v[6:7], v[6:7]
	v_min_f64 v[10:11], v[12:13], v[38:39]
	v_max_f64 v[12:13], v[12:13], v[38:39]
	v_cndmask_b32_e64 v10, v10, v8, s[18:19]
	v_cndmask_b32_e64 v11, v11, v9, s[18:19]
	v_cmp_u_f64_e64 s[20:21], v[6:7], v[6:7]
	v_cndmask_b32_e64 v12, v12, v8, s[18:19]
	v_cndmask_b32_e64 v13, v13, v9, s[18:19]
	;; [unrolled: 1-line block ×6, first 2 shown]
	v_cmp_neq_f64_e64 s[18:19], v[10:11], v[6:7]
	v_cmp_class_f64_e64 s[20:21], v[10:11], s48
	s_or_b64 s[18:19], s[18:19], s[20:21]
	s_and_saveexec_b64 s[22:23], s[18:19]
	s_cbranch_execz .LBB66_70
; %bb.69:
	s_mov_b32 s18, 0x652b82fe
	v_add_f64 v[8:9], v[10:11], -v[6:7]
	s_mov_b32 s19, 0x3ff71547
	v_mul_f64 v[10:11], v[8:9], s[18:19]
	v_rndne_f64_e32 v[10:11], v[10:11]
	s_mov_b32 s45, 0xbfe62e42
	s_mov_b32 s44, 0xfefa39ef
	v_fma_f64 v[12:13], s[44:45], v[10:11], v[8:9]
	s_mov_b32 s47, 0xbc7abc9e
	s_mov_b32 s46, 0x3b39803f
	;; [unrolled: 1-line block ×3, first 2 shown]
	v_fmac_f64_e32 v[12:13], s[46:47], v[10:11]
	v_mov_b32_e32 v38, 0xfca7ab0c
	v_mov_b32_e32 v39, 0x3e928af3
	s_mov_b32 s19, 0x3e5ade15
	v_fmac_f64_e32 v[38:39], s[18:19], v[12:13]
	v_mov_b32_e32 v40, 0x623fde64
	v_mov_b32_e32 v41, 0x3ec71dee
	v_fmac_f64_e32 v[40:41], v[12:13], v[38:39]
	v_mov_b32_e32 v38, 0x7c89e6b0
	v_mov_b32_e32 v39, 0x3efa0199
	;; [unrolled: 3-line block ×8, first 2 shown]
	v_fmac_f64_e32 v[38:39], v[12:13], v[40:41]
	v_fma_f64 v[38:39], v[12:13], v[38:39], 1.0
	s_mov_b32 s18, 0
	s_mov_b32 s20, 0
	v_fma_f64 v[12:13], v[12:13], v[38:39], 1.0
	v_cvt_i32_f64_e32 v10, v[10:11]
	s_mov_b32 s19, 0x40900000
	s_mov_b32 s21, 0xc090cc00
	v_ldexp_f64 v[10:11], v[12:13], v10
	v_mov_b32_e32 v54, 0x7ff00000
	v_cmp_nlt_f64_e64 s[18:19], s[18:19], v[8:9]
	v_cmp_ngt_f64_e64 s[20:21], s[20:21], v[8:9]
	s_mov_b32 s45, 0x3fe62e42
	v_cndmask_b32_e64 v11, v54, v11, s[18:19]
	s_and_b64 s[18:19], s[20:21], s[18:19]
	v_cndmask_b32_e64 v9, 0, v11, s[20:21]
	v_cndmask_b32_e64 v8, 0, v10, s[18:19]
	v_add_f64 v[10:11], v[8:9], 1.0
	v_add_f64 v[12:13], v[10:11], -1.0
	v_add_f64 v[38:39], v[12:13], -v[10:11]
	v_add_f64 v[38:39], v[38:39], 1.0
	v_add_f64 v[12:13], v[8:9], -v[12:13]
	s_mov_b32 s18, 0x55555555
	v_add_f64 v[12:13], v[12:13], v[38:39]
	v_frexp_mant_f64_e32 v[38:39], v[10:11]
	s_mov_b32 s19, 0x3fe55555
	v_frexp_exp_i32_f64_e32 v40, v[10:11]
	v_cmp_gt_f64_e64 s[18:19], s[18:19], v[38:39]
	s_mov_b32 s47, 0x3c7abc9e
	v_cmp_ngt_f64_e64 s[20:21], -1.0, v[8:9]
	v_subbrev_co_u32_e64 v55, s[18:19], 0, v40, s[18:19]
	v_sub_u32_e32 v38, 0, v55
	v_ldexp_f64 v[10:11], v[10:11], v38
	v_ldexp_f64 v[12:13], v[12:13], v38
	v_add_f64 v[38:39], v[10:11], -1.0
	v_add_f64 v[44:45], v[10:11], 1.0
	v_add_f64 v[40:41], v[38:39], 1.0
	v_add_f64 v[46:47], v[44:45], -1.0
	v_add_f64 v[40:41], v[10:11], -v[40:41]
	v_add_f64 v[10:11], v[10:11], -v[46:47]
	v_add_f64 v[10:11], v[12:13], v[10:11]
	v_add_f64 v[40:41], v[12:13], v[40:41]
	;; [unrolled: 1-line block ×3, first 2 shown]
	v_rcp_f64_e32 v[46:47], v[12:13]
	v_add_f64 v[42:43], v[38:39], v[40:41]
	v_add_f64 v[38:39], v[42:43], -v[38:39]
	v_add_f64 v[38:39], v[40:41], -v[38:39]
	;; [unrolled: 1-line block ×4, first 2 shown]
	v_fma_f64 v[40:41], -v[12:13], v[46:47], 1.0
	v_fmac_f64_e32 v[46:47], v[40:41], v[46:47]
	v_fma_f64 v[40:41], -v[12:13], v[46:47], 1.0
	v_fmac_f64_e32 v[46:47], v[40:41], v[46:47]
	v_mul_f64 v[40:41], v[42:43], v[46:47]
	v_mul_f64 v[44:45], v[12:13], v[40:41]
	v_fma_f64 v[48:49], v[40:41], v[12:13], -v[44:45]
	v_fmac_f64_e32 v[48:49], v[40:41], v[10:11]
	v_add_f64 v[50:51], v[44:45], v[48:49]
	v_add_f64 v[52:53], v[42:43], -v[50:51]
	v_add_f64 v[42:43], v[42:43], -v[52:53]
	;; [unrolled: 1-line block ×4, first 2 shown]
	v_add_f64 v[38:39], v[38:39], v[42:43]
	v_add_f64 v[42:43], v[44:45], -v[48:49]
	v_add_f64 v[38:39], v[42:43], v[38:39]
	v_add_f64 v[42:43], v[52:53], v[38:39]
	v_add_f64 v[44:45], v[52:53], -v[42:43]
	v_add_f64 v[38:39], v[38:39], v[44:45]
	v_mul_f64 v[44:45], v[46:47], v[42:43]
	v_mul_f64 v[48:49], v[12:13], v[44:45]
	v_fma_f64 v[12:13], v[44:45], v[12:13], -v[48:49]
	v_fmac_f64_e32 v[12:13], v[44:45], v[10:11]
	v_add_f64 v[10:11], v[48:49], v[12:13]
	v_add_f64 v[50:51], v[42:43], -v[10:11]
	v_add_f64 v[42:43], v[42:43], -v[50:51]
	;; [unrolled: 1-line block ×4, first 2 shown]
	v_add_f64 v[10:11], v[38:39], v[10:11]
	v_add_f64 v[12:13], v[48:49], -v[12:13]
	v_add_f64 v[10:11], v[12:13], v[10:11]
	v_add_f64 v[12:13], v[40:41], v[44:45]
	;; [unrolled: 1-line block ×3, first 2 shown]
	v_add_f64 v[38:39], v[12:13], -v[40:41]
	v_mul_f64 v[10:11], v[46:47], v[10:11]
	v_add_f64 v[38:39], v[44:45], -v[38:39]
	v_add_f64 v[10:11], v[38:39], v[10:11]
	v_add_f64 v[38:39], v[12:13], v[10:11]
	v_add_f64 v[12:13], v[38:39], -v[12:13]
	s_mov_b32 s18, 0xbf559e2b
	v_add_f64 v[10:11], v[10:11], -v[12:13]
	v_mul_f64 v[12:13], v[38:39], v[38:39]
	v_mov_b32_e32 v40, 0x6b47b09a
	v_mov_b32_e32 v41, 0x3fc38538
	s_mov_b32 s19, 0x3fc3ab76
	v_fmac_f64_e32 v[40:41], s[18:19], v[12:13]
	v_mov_b32_e32 v42, 0xd7f4df2e
	v_mov_b32_e32 v43, 0x3fc7474d
	v_fmac_f64_e32 v[42:43], v[12:13], v[40:41]
	v_mov_b32_e32 v40, 0x16291751
	v_mov_b32_e32 v41, 0x3fcc71c0
	;; [unrolled: 3-line block ×5, first 2 shown]
	v_fmac_f64_e32 v[42:43], v[12:13], v[40:41]
	v_cvt_f64_i32_e32 v[40:41], v55
	v_mul_f64 v[44:45], v[40:41], s[44:45]
	v_fma_f64 v[46:47], v[40:41], s[44:45], -v[44:45]
	v_fmac_f64_e32 v[46:47], s[46:47], v[40:41]
	v_add_f64 v[40:41], v[44:45], v[46:47]
	v_add_f64 v[44:45], v[40:41], -v[44:45]
	v_mul_f64 v[12:13], v[38:39], v[12:13]
	v_add_f64 v[44:45], v[46:47], -v[44:45]
	v_ldexp_f64 v[46:47], v[38:39], 1
	v_mul_f64 v[12:13], v[12:13], v[42:43]
	v_add_f64 v[38:39], v[46:47], v[12:13]
	v_add_f64 v[42:43], v[38:39], -v[46:47]
	v_ldexp_f64 v[10:11], v[10:11], 1
	v_add_f64 v[12:13], v[12:13], -v[42:43]
	v_add_f64 v[10:11], v[10:11], v[12:13]
	v_add_f64 v[12:13], v[38:39], v[10:11]
	v_add_f64 v[38:39], v[12:13], -v[38:39]
	v_add_f64 v[10:11], v[10:11], -v[38:39]
	v_add_f64 v[38:39], v[40:41], v[12:13]
	v_add_f64 v[42:43], v[38:39], -v[40:41]
	v_add_f64 v[46:47], v[38:39], -v[42:43]
	;; [unrolled: 1-line block ×4, first 2 shown]
	v_add_f64 v[12:13], v[12:13], v[40:41]
	v_add_f64 v[40:41], v[44:45], v[10:11]
	v_add_f64 v[42:43], v[40:41], -v[44:45]
	v_add_f64 v[12:13], v[40:41], v[12:13]
	v_add_f64 v[46:47], v[40:41], -v[42:43]
	;; [unrolled: 2-line block ×3, first 2 shown]
	v_add_f64 v[10:11], v[10:11], -v[42:43]
	v_add_f64 v[38:39], v[40:41], -v[38:39]
	v_add_f64 v[10:11], v[10:11], v[44:45]
	v_add_f64 v[12:13], v[12:13], -v[38:39]
	s_mov_b32 s18, 0
	v_add_f64 v[10:11], v[10:11], v[12:13]
	s_mov_b32 s19, 0x7ff00000
	v_add_f64 v[10:11], v[40:41], v[10:11]
	v_cmp_neq_f64_e64 s[18:19], s[18:19], v[8:9]
	v_mov_b32_e32 v12, 0x7ff80000
	s_nop 0
	v_cndmask_b32_e64 v11, v54, v11, s[18:19]
	v_cndmask_b32_e64 v11, v12, v11, s[20:21]
	v_cmp_nge_f64_e64 s[20:21], -1.0, v[8:9]
	s_and_b64 s[18:19], s[20:21], s[18:19]
	v_cndmask_b32_e64 v10, 0, v10, s[18:19]
	v_mov_b32_e32 v12, 0xfff00000
	v_cmp_neq_f64_e64 s[18:19], -1.0, v[8:9]
	s_nop 1
	v_cndmask_b32_e64 v11, v12, v11, s[18:19]
	v_add_f64 v[8:9], v[6:7], v[10:11]
.LBB66_70:
	s_or_b64 exec, exec, s[22:23]
	ds_write_b64 v31, v[8:9] offset:24
.LBB66_71:
	s_or_b64 exec, exec, s[42:43]
	s_waitcnt lgkmcnt(0)
	s_barrier
	s_and_saveexec_b64 s[18:19], s[2:3]
; %bb.72:
	v_add_u32_e32 v6, -1, v0
	v_lshrrev_b32_e32 v7, 2, v6
	v_and_b32_e32 v7, 0x3ffffff8, v7
	v_lshl_add_u32 v6, v6, 3, v7
	ds_read_b64 v[36:37], v6
; %bb.73:
	s_or_b64 exec, exec, s[18:19]
	s_and_saveexec_b64 s[22:23], vcc
	s_cbranch_execz .LBB66_145
; %bb.74:
	v_mov_b32_e32 v9, 0
	ds_read_b64 v[6:7], v9 offset:2096
	v_mbcnt_lo_u32_b32 v8, -1, 0
	v_mbcnt_hi_u32_b32 v39, -1, v8
	s_mov_b32 s43, 0
	v_cmp_eq_u32_e64 s[18:19], 0, v39
	s_and_saveexec_b64 s[20:21], s[18:19]
	s_cbranch_execz .LBB66_76
; %bb.75:
	s_add_i32 s42, s69, 64
	s_lshl_b64 s[42:43], s[42:43], 4
	s_add_u32 s42, s34, s42
	s_addc_u32 s43, s35, s43
	v_mov_b32_e32 v8, 1
	v_mov_b64_e32 v[10:11], s[42:43]
	s_waitcnt lgkmcnt(0)
	;;#ASMSTART
	global_store_dwordx4 v[10:11], v[6:9] off sc1	
s_waitcnt vmcnt(0)
	;;#ASMEND
.LBB66_76:
	s_or_b64 exec, exec, s[20:21]
	v_xad_u32 v38, v39, -1, s69
	v_add_u32_e32 v8, 64, v38
	v_lshl_add_u64 v[40:41], v[8:9], 4, s[34:35]
	;;#ASMSTART
	global_load_dwordx4 v[10:13], v[40:41] off sc1	
s_waitcnt vmcnt(0)
	;;#ASMEND
	s_nop 0
	v_cmp_eq_u16_sdwa s[42:43], v12, v9 src0_sel:BYTE_0 src1_sel:DWORD
	s_and_saveexec_b64 s[20:21], s[42:43]
	s_cbranch_execz .LBB66_80
; %bb.77:
	s_mov_b64 s[42:43], 0
	v_mov_b32_e32 v8, 0
.LBB66_78:                              ; =>This Inner Loop Header: Depth=1
	;;#ASMSTART
	global_load_dwordx4 v[10:13], v[40:41] off sc1	
s_waitcnt vmcnt(0)
	;;#ASMEND
	s_nop 0
	v_cmp_ne_u16_sdwa s[44:45], v12, v8 src0_sel:BYTE_0 src1_sel:DWORD
	s_or_b64 s[42:43], s[44:45], s[42:43]
	s_andn2_b64 exec, exec, s[42:43]
	s_cbranch_execnz .LBB66_78
; %bb.79:
	s_or_b64 exec, exec, s[42:43]
.LBB66_80:
	s_or_b64 exec, exec, s[20:21]
	v_and_b32_e32 v31, 63, v39
	v_mov_b32_e32 v8, 2
	v_cmp_ne_u32_e32 vcc, 63, v31
	v_cmp_eq_u16_sdwa s[20:21], v12, v8 src0_sel:BYTE_0 src1_sel:DWORD
	v_lshlrev_b64 v[8:9], v39, -1
	v_addc_co_u32_e32 v40, vcc, 0, v39, vcc
	v_and_b32_e32 v13, s21, v9
	v_lshlrev_b32_e32 v78, 2, v40
	v_or_b32_e32 v13, 0x80000000, v13
	ds_bpermute_b32 v40, v78, v10
	ds_bpermute_b32 v41, v78, v11
	v_and_b32_e32 v42, s20, v8
	v_ffbl_b32_e32 v13, v13
	v_add_u32_e32 v13, 32, v13
	v_ffbl_b32_e32 v42, v42
	v_min_u32_e32 v13, v42, v13
	v_cmp_lt_u32_e32 vcc, v31, v13
	v_mov_b64_e32 v[72:73], v[10:11]
	s_and_saveexec_b64 s[42:43], vcc
	s_cbranch_execz .LBB66_84
; %bb.81:
	s_waitcnt lgkmcnt(0)
	v_max_f64 v[44:45], v[40:41], v[40:41]
	v_max_f64 v[46:47], v[10:11], v[10:11]
	v_min_f64 v[42:43], v[44:45], v[46:47]
	v_cmp_u_f64_e32 vcc, v[40:41], v[40:41]
	v_max_f64 v[44:45], v[44:45], v[46:47]
	v_cmp_u_f64_e64 s[20:21], v[10:11], v[10:11]
	v_cndmask_b32_e32 v43, v43, v41, vcc
	v_cndmask_b32_e32 v42, v42, v40, vcc
	;; [unrolled: 1-line block ×4, first 2 shown]
	v_cndmask_b32_e64 v43, v43, v11, s[20:21]
	v_cndmask_b32_e64 v42, v42, v10, s[20:21]
	v_cndmask_b32_e64 v11, v45, v11, s[20:21]
	v_cndmask_b32_e64 v10, v44, v10, s[20:21]
	s_movk_i32 s20, 0x1f8
	v_cmp_neq_f64_e32 vcc, v[42:43], v[10:11]
	v_cmp_class_f64_e64 s[20:21], v[42:43], s20
	s_or_b64 s[20:21], vcc, s[20:21]
	s_and_saveexec_b64 s[44:45], s[20:21]
	s_cbranch_execz .LBB66_83
; %bb.82:
	s_mov_b32 s20, 0x652b82fe
	v_add_f64 v[40:41], v[42:43], -v[10:11]
	s_mov_b32 s21, 0x3ff71547
	v_mul_f64 v[42:43], v[40:41], s[20:21]
	v_rndne_f64_e32 v[42:43], v[42:43]
	s_mov_b32 s47, 0xbfe62e42
	s_mov_b32 s46, 0xfefa39ef
	v_fma_f64 v[44:45], s[46:47], v[42:43], v[40:41]
	s_mov_b32 s49, 0xbc7abc9e
	s_mov_b32 s48, 0x3b39803f
	;; [unrolled: 1-line block ×3, first 2 shown]
	v_fmac_f64_e32 v[44:45], s[48:49], v[42:43]
	v_mov_b32_e32 v46, 0xfca7ab0c
	v_mov_b32_e32 v47, 0x3e928af3
	s_mov_b32 s21, 0x3e5ade15
	v_fmac_f64_e32 v[46:47], s[20:21], v[44:45]
	v_mov_b32_e32 v48, 0x623fde64
	v_mov_b32_e32 v49, 0x3ec71dee
	v_fmac_f64_e32 v[48:49], v[44:45], v[46:47]
	v_mov_b32_e32 v46, 0x7c89e6b0
	v_mov_b32_e32 v47, 0x3efa0199
	;; [unrolled: 3-line block ×8, first 2 shown]
	s_mov_b32 s20, 0
	v_fmac_f64_e32 v[46:47], v[44:45], v[48:49]
	s_mov_b32 s21, 0x40900000
	v_fma_f64 v[46:47], v[44:45], v[46:47], 1.0
	v_cmp_nlt_f64_e32 vcc, s[20:21], v[40:41]
	s_mov_b32 s20, 0
	v_fma_f64 v[44:45], v[44:45], v[46:47], 1.0
	v_cvt_i32_f64_e32 v42, v[42:43]
	s_mov_b32 s21, 0xc090cc00
	v_ldexp_f64 v[42:43], v[44:45], v42
	v_mov_b32_e32 v62, 0x7ff00000
	v_cmp_ngt_f64_e64 s[20:21], s[20:21], v[40:41]
	v_cndmask_b32_e32 v43, v62, v43, vcc
	s_and_b64 vcc, s[20:21], vcc
	v_cndmask_b32_e64 v41, 0, v43, s[20:21]
	v_cndmask_b32_e32 v40, 0, v42, vcc
	v_add_f64 v[42:43], v[40:41], 1.0
	v_add_f64 v[44:45], v[42:43], -1.0
	v_add_f64 v[46:47], v[44:45], -v[42:43]
	v_add_f64 v[46:47], v[46:47], 1.0
	v_add_f64 v[44:45], v[40:41], -v[44:45]
	s_mov_b32 s20, 0x55555555
	v_add_f64 v[44:45], v[44:45], v[46:47]
	v_frexp_mant_f64_e32 v[46:47], v[42:43]
	s_mov_b32 s21, 0x3fe55555
	v_frexp_exp_i32_f64_e32 v48, v[42:43]
	v_cmp_gt_f64_e32 vcc, s[20:21], v[46:47]
	s_mov_b32 s20, 0xbf559e2b
	s_mov_b32 s21, 0x3fc3ab76
	v_subbrev_co_u32_e32 v63, vcc, 0, v48, vcc
	v_sub_u32_e32 v46, 0, v63
	v_ldexp_f64 v[42:43], v[42:43], v46
	v_ldexp_f64 v[44:45], v[44:45], v46
	v_add_f64 v[46:47], v[42:43], -1.0
	v_add_f64 v[52:53], v[42:43], 1.0
	v_add_f64 v[48:49], v[46:47], 1.0
	v_add_f64 v[54:55], v[52:53], -1.0
	v_add_f64 v[48:49], v[42:43], -v[48:49]
	v_add_f64 v[42:43], v[42:43], -v[54:55]
	v_add_f64 v[42:43], v[44:45], v[42:43]
	v_add_f64 v[48:49], v[44:45], v[48:49]
	;; [unrolled: 1-line block ×3, first 2 shown]
	v_rcp_f64_e32 v[54:55], v[44:45]
	v_add_f64 v[50:51], v[46:47], v[48:49]
	v_add_f64 v[46:47], v[50:51], -v[46:47]
	v_add_f64 v[46:47], v[48:49], -v[46:47]
	;; [unrolled: 1-line block ×4, first 2 shown]
	v_fma_f64 v[48:49], -v[44:45], v[54:55], 1.0
	v_fmac_f64_e32 v[54:55], v[48:49], v[54:55]
	v_fma_f64 v[48:49], -v[44:45], v[54:55], 1.0
	v_fmac_f64_e32 v[54:55], v[48:49], v[54:55]
	v_mul_f64 v[48:49], v[50:51], v[54:55]
	v_mul_f64 v[52:53], v[44:45], v[48:49]
	v_fma_f64 v[56:57], v[48:49], v[44:45], -v[52:53]
	v_fmac_f64_e32 v[56:57], v[48:49], v[42:43]
	v_add_f64 v[58:59], v[52:53], v[56:57]
	v_add_f64 v[60:61], v[50:51], -v[58:59]
	v_add_f64 v[50:51], v[50:51], -v[60:61]
	;; [unrolled: 1-line block ×4, first 2 shown]
	v_add_f64 v[46:47], v[46:47], v[50:51]
	v_add_f64 v[50:51], v[52:53], -v[56:57]
	v_add_f64 v[46:47], v[50:51], v[46:47]
	v_add_f64 v[50:51], v[60:61], v[46:47]
	v_add_f64 v[52:53], v[60:61], -v[50:51]
	v_add_f64 v[46:47], v[46:47], v[52:53]
	v_mul_f64 v[52:53], v[54:55], v[50:51]
	v_mul_f64 v[56:57], v[44:45], v[52:53]
	v_fma_f64 v[44:45], v[52:53], v[44:45], -v[56:57]
	v_fmac_f64_e32 v[44:45], v[52:53], v[42:43]
	v_add_f64 v[42:43], v[56:57], v[44:45]
	v_add_f64 v[58:59], v[50:51], -v[42:43]
	v_add_f64 v[50:51], v[50:51], -v[58:59]
	;; [unrolled: 1-line block ×4, first 2 shown]
	v_add_f64 v[42:43], v[46:47], v[42:43]
	v_add_f64 v[44:45], v[56:57], -v[44:45]
	v_add_f64 v[42:43], v[44:45], v[42:43]
	v_add_f64 v[44:45], v[48:49], v[52:53]
	;; [unrolled: 1-line block ×3, first 2 shown]
	v_add_f64 v[46:47], v[44:45], -v[48:49]
	v_mul_f64 v[42:43], v[54:55], v[42:43]
	v_add_f64 v[46:47], v[52:53], -v[46:47]
	v_add_f64 v[42:43], v[46:47], v[42:43]
	v_add_f64 v[46:47], v[44:45], v[42:43]
	v_add_f64 v[44:45], v[46:47], -v[44:45]
	v_add_f64 v[42:43], v[42:43], -v[44:45]
	v_mul_f64 v[44:45], v[46:47], v[46:47]
	v_mov_b32_e32 v48, 0x6b47b09a
	v_mov_b32_e32 v49, 0x3fc38538
	v_fmac_f64_e32 v[48:49], s[20:21], v[44:45]
	v_mov_b32_e32 v50, 0xd7f4df2e
	v_mov_b32_e32 v51, 0x3fc7474d
	v_fmac_f64_e32 v[50:51], v[44:45], v[48:49]
	;; [unrolled: 3-line block ×6, first 2 shown]
	v_cvt_f64_i32_e32 v[48:49], v63
	s_mov_b32 s47, 0x3fe62e42
	v_mul_f64 v[52:53], v[48:49], s[46:47]
	v_fma_f64 v[54:55], v[48:49], s[46:47], -v[52:53]
	s_mov_b32 s49, 0x3c7abc9e
	v_fmac_f64_e32 v[54:55], s[48:49], v[48:49]
	v_add_f64 v[48:49], v[52:53], v[54:55]
	v_add_f64 v[52:53], v[48:49], -v[52:53]
	v_mul_f64 v[44:45], v[46:47], v[44:45]
	v_add_f64 v[52:53], v[54:55], -v[52:53]
	v_ldexp_f64 v[54:55], v[46:47], 1
	v_mul_f64 v[44:45], v[44:45], v[50:51]
	v_add_f64 v[46:47], v[54:55], v[44:45]
	v_add_f64 v[50:51], v[46:47], -v[54:55]
	v_ldexp_f64 v[42:43], v[42:43], 1
	v_add_f64 v[44:45], v[44:45], -v[50:51]
	v_add_f64 v[42:43], v[42:43], v[44:45]
	v_add_f64 v[44:45], v[46:47], v[42:43]
	v_add_f64 v[46:47], v[44:45], -v[46:47]
	v_add_f64 v[42:43], v[42:43], -v[46:47]
	v_add_f64 v[46:47], v[48:49], v[44:45]
	v_add_f64 v[50:51], v[46:47], -v[48:49]
	v_add_f64 v[54:55], v[46:47], -v[50:51]
	;; [unrolled: 1-line block ×4, first 2 shown]
	v_add_f64 v[44:45], v[44:45], v[48:49]
	v_add_f64 v[48:49], v[52:53], v[42:43]
	v_add_f64 v[50:51], v[48:49], -v[52:53]
	v_add_f64 v[44:45], v[48:49], v[44:45]
	v_add_f64 v[54:55], v[48:49], -v[50:51]
	;; [unrolled: 2-line block ×3, first 2 shown]
	v_add_f64 v[42:43], v[42:43], -v[50:51]
	v_add_f64 v[46:47], v[48:49], -v[46:47]
	v_add_f64 v[42:43], v[42:43], v[52:53]
	v_add_f64 v[44:45], v[44:45], -v[46:47]
	s_mov_b32 s20, 0
	v_add_f64 v[42:43], v[42:43], v[44:45]
	s_mov_b32 s21, 0x7ff00000
	v_add_f64 v[42:43], v[48:49], v[42:43]
	v_cmp_neq_f64_e32 vcc, s[20:21], v[40:41]
	v_mov_b32_e32 v44, 0x7ff80000
	v_cmp_ngt_f64_e64 s[20:21], -1.0, v[40:41]
	v_cndmask_b32_e32 v43, v62, v43, vcc
	s_nop 0
	v_cndmask_b32_e64 v43, v44, v43, s[20:21]
	v_cmp_nge_f64_e64 s[20:21], -1.0, v[40:41]
	s_and_b64 vcc, s[20:21], vcc
	v_cndmask_b32_e32 v42, 0, v42, vcc
	v_mov_b32_e32 v44, 0xfff00000
	v_cmp_neq_f64_e32 vcc, -1.0, v[40:41]
	s_nop 1
	v_cndmask_b32_e32 v43, v44, v43, vcc
	v_add_f64 v[40:41], v[10:11], v[42:43]
.LBB66_83:
	s_or_b64 exec, exec, s[44:45]
	v_mov_b32_e32 v10, v40
	v_mov_b32_e32 v11, v41
	v_mov_b64_e32 v[72:73], v[40:41]
.LBB66_84:
	s_or_b64 exec, exec, s[42:43]
	v_cmp_gt_u32_e32 vcc, 62, v31
	v_add_u32_e32 v80, 2, v31
	s_waitcnt lgkmcnt(1)
	v_cndmask_b32_e64 v40, 0, 2, vcc
	v_add_lshl_u32 v79, v40, v39, 2
	ds_bpermute_b32 v40, v79, v10
	s_waitcnt lgkmcnt(1)
	ds_bpermute_b32 v41, v79, v11
	v_cmp_le_u32_e32 vcc, v80, v13
	s_and_saveexec_b64 s[42:43], vcc
	s_cbranch_execz .LBB66_88
; %bb.85:
	s_waitcnt lgkmcnt(0)
	v_max_f64 v[10:11], v[40:41], v[40:41]
	v_max_f64 v[44:45], v[72:73], v[72:73]
	v_min_f64 v[42:43], v[10:11], v[44:45]
	v_cmp_u_f64_e32 vcc, v[40:41], v[40:41]
	v_max_f64 v[10:11], v[10:11], v[44:45]
	v_cmp_u_f64_e64 s[20:21], v[72:73], v[72:73]
	v_cndmask_b32_e32 v43, v43, v41, vcc
	v_cndmask_b32_e32 v42, v42, v40, vcc
	;; [unrolled: 1-line block ×4, first 2 shown]
	v_cndmask_b32_e64 v43, v43, v73, s[20:21]
	v_cndmask_b32_e64 v42, v42, v72, s[20:21]
	;; [unrolled: 1-line block ×4, first 2 shown]
	s_movk_i32 s20, 0x1f8
	v_cmp_neq_f64_e32 vcc, v[42:43], v[10:11]
	v_cmp_class_f64_e64 s[20:21], v[42:43], s20
	s_or_b64 s[20:21], vcc, s[20:21]
	s_and_saveexec_b64 s[44:45], s[20:21]
	s_cbranch_execz .LBB66_87
; %bb.86:
	s_mov_b32 s20, 0x652b82fe
	v_add_f64 v[40:41], v[42:43], -v[10:11]
	s_mov_b32 s21, 0x3ff71547
	v_mul_f64 v[42:43], v[40:41], s[20:21]
	v_rndne_f64_e32 v[42:43], v[42:43]
	s_mov_b32 s47, 0xbfe62e42
	s_mov_b32 s46, 0xfefa39ef
	v_fma_f64 v[44:45], s[46:47], v[42:43], v[40:41]
	s_mov_b32 s49, 0xbc7abc9e
	s_mov_b32 s48, 0x3b39803f
	;; [unrolled: 1-line block ×3, first 2 shown]
	v_fmac_f64_e32 v[44:45], s[48:49], v[42:43]
	v_mov_b32_e32 v46, 0xfca7ab0c
	v_mov_b32_e32 v47, 0x3e928af3
	s_mov_b32 s21, 0x3e5ade15
	v_fmac_f64_e32 v[46:47], s[20:21], v[44:45]
	v_mov_b32_e32 v48, 0x623fde64
	v_mov_b32_e32 v49, 0x3ec71dee
	v_fmac_f64_e32 v[48:49], v[44:45], v[46:47]
	v_mov_b32_e32 v46, 0x7c89e6b0
	v_mov_b32_e32 v47, 0x3efa0199
	;; [unrolled: 3-line block ×8, first 2 shown]
	s_mov_b32 s20, 0
	v_fmac_f64_e32 v[46:47], v[44:45], v[48:49]
	s_mov_b32 s21, 0x40900000
	v_fma_f64 v[46:47], v[44:45], v[46:47], 1.0
	v_cmp_nlt_f64_e32 vcc, s[20:21], v[40:41]
	s_mov_b32 s20, 0
	v_fma_f64 v[44:45], v[44:45], v[46:47], 1.0
	v_cvt_i32_f64_e32 v42, v[42:43]
	s_mov_b32 s21, 0xc090cc00
	v_ldexp_f64 v[42:43], v[44:45], v42
	v_mov_b32_e32 v62, 0x7ff00000
	v_cmp_ngt_f64_e64 s[20:21], s[20:21], v[40:41]
	v_cndmask_b32_e32 v43, v62, v43, vcc
	s_and_b64 vcc, s[20:21], vcc
	v_cndmask_b32_e64 v41, 0, v43, s[20:21]
	v_cndmask_b32_e32 v40, 0, v42, vcc
	v_add_f64 v[42:43], v[40:41], 1.0
	v_add_f64 v[44:45], v[42:43], -1.0
	v_add_f64 v[46:47], v[44:45], -v[42:43]
	v_add_f64 v[46:47], v[46:47], 1.0
	v_add_f64 v[44:45], v[40:41], -v[44:45]
	s_mov_b32 s20, 0x55555555
	v_add_f64 v[44:45], v[44:45], v[46:47]
	v_frexp_mant_f64_e32 v[46:47], v[42:43]
	s_mov_b32 s21, 0x3fe55555
	v_frexp_exp_i32_f64_e32 v48, v[42:43]
	v_cmp_gt_f64_e32 vcc, s[20:21], v[46:47]
	s_mov_b32 s20, 0xbf559e2b
	s_mov_b32 s21, 0x3fc3ab76
	v_subbrev_co_u32_e32 v63, vcc, 0, v48, vcc
	v_sub_u32_e32 v46, 0, v63
	v_ldexp_f64 v[42:43], v[42:43], v46
	v_ldexp_f64 v[44:45], v[44:45], v46
	v_add_f64 v[46:47], v[42:43], -1.0
	v_add_f64 v[52:53], v[42:43], 1.0
	v_add_f64 v[48:49], v[46:47], 1.0
	v_add_f64 v[54:55], v[52:53], -1.0
	v_add_f64 v[48:49], v[42:43], -v[48:49]
	v_add_f64 v[42:43], v[42:43], -v[54:55]
	v_add_f64 v[42:43], v[44:45], v[42:43]
	v_add_f64 v[48:49], v[44:45], v[48:49]
	;; [unrolled: 1-line block ×3, first 2 shown]
	v_rcp_f64_e32 v[54:55], v[44:45]
	v_add_f64 v[50:51], v[46:47], v[48:49]
	v_add_f64 v[46:47], v[50:51], -v[46:47]
	v_add_f64 v[46:47], v[48:49], -v[46:47]
	v_add_f64 v[48:49], v[44:45], -v[52:53]
	v_add_f64 v[42:43], v[42:43], -v[48:49]
	v_fma_f64 v[48:49], -v[44:45], v[54:55], 1.0
	v_fmac_f64_e32 v[54:55], v[48:49], v[54:55]
	v_fma_f64 v[48:49], -v[44:45], v[54:55], 1.0
	v_fmac_f64_e32 v[54:55], v[48:49], v[54:55]
	v_mul_f64 v[48:49], v[50:51], v[54:55]
	v_mul_f64 v[52:53], v[44:45], v[48:49]
	v_fma_f64 v[56:57], v[48:49], v[44:45], -v[52:53]
	v_fmac_f64_e32 v[56:57], v[48:49], v[42:43]
	v_add_f64 v[58:59], v[52:53], v[56:57]
	v_add_f64 v[60:61], v[50:51], -v[58:59]
	v_add_f64 v[50:51], v[50:51], -v[60:61]
	;; [unrolled: 1-line block ×4, first 2 shown]
	v_add_f64 v[46:47], v[46:47], v[50:51]
	v_add_f64 v[50:51], v[52:53], -v[56:57]
	v_add_f64 v[46:47], v[50:51], v[46:47]
	v_add_f64 v[50:51], v[60:61], v[46:47]
	v_add_f64 v[52:53], v[60:61], -v[50:51]
	v_add_f64 v[46:47], v[46:47], v[52:53]
	v_mul_f64 v[52:53], v[54:55], v[50:51]
	v_mul_f64 v[56:57], v[44:45], v[52:53]
	v_fma_f64 v[44:45], v[52:53], v[44:45], -v[56:57]
	v_fmac_f64_e32 v[44:45], v[52:53], v[42:43]
	v_add_f64 v[42:43], v[56:57], v[44:45]
	v_add_f64 v[58:59], v[50:51], -v[42:43]
	v_add_f64 v[50:51], v[50:51], -v[58:59]
	;; [unrolled: 1-line block ×4, first 2 shown]
	v_add_f64 v[42:43], v[46:47], v[42:43]
	v_add_f64 v[44:45], v[56:57], -v[44:45]
	v_add_f64 v[42:43], v[44:45], v[42:43]
	v_add_f64 v[44:45], v[48:49], v[52:53]
	;; [unrolled: 1-line block ×3, first 2 shown]
	v_add_f64 v[46:47], v[44:45], -v[48:49]
	v_mul_f64 v[42:43], v[54:55], v[42:43]
	v_add_f64 v[46:47], v[52:53], -v[46:47]
	v_add_f64 v[42:43], v[46:47], v[42:43]
	v_add_f64 v[46:47], v[44:45], v[42:43]
	v_add_f64 v[44:45], v[46:47], -v[44:45]
	v_add_f64 v[42:43], v[42:43], -v[44:45]
	v_mul_f64 v[44:45], v[46:47], v[46:47]
	v_mov_b32_e32 v48, 0x6b47b09a
	v_mov_b32_e32 v49, 0x3fc38538
	v_fmac_f64_e32 v[48:49], s[20:21], v[44:45]
	v_mov_b32_e32 v50, 0xd7f4df2e
	v_mov_b32_e32 v51, 0x3fc7474d
	v_fmac_f64_e32 v[50:51], v[44:45], v[48:49]
	;; [unrolled: 3-line block ×6, first 2 shown]
	v_cvt_f64_i32_e32 v[48:49], v63
	s_mov_b32 s47, 0x3fe62e42
	v_mul_f64 v[52:53], v[48:49], s[46:47]
	v_fma_f64 v[54:55], v[48:49], s[46:47], -v[52:53]
	s_mov_b32 s49, 0x3c7abc9e
	v_fmac_f64_e32 v[54:55], s[48:49], v[48:49]
	v_add_f64 v[48:49], v[52:53], v[54:55]
	v_add_f64 v[52:53], v[48:49], -v[52:53]
	v_mul_f64 v[44:45], v[46:47], v[44:45]
	v_add_f64 v[52:53], v[54:55], -v[52:53]
	v_ldexp_f64 v[54:55], v[46:47], 1
	v_mul_f64 v[44:45], v[44:45], v[50:51]
	v_add_f64 v[46:47], v[54:55], v[44:45]
	v_add_f64 v[50:51], v[46:47], -v[54:55]
	v_ldexp_f64 v[42:43], v[42:43], 1
	v_add_f64 v[44:45], v[44:45], -v[50:51]
	v_add_f64 v[42:43], v[42:43], v[44:45]
	v_add_f64 v[44:45], v[46:47], v[42:43]
	v_add_f64 v[46:47], v[44:45], -v[46:47]
	v_add_f64 v[42:43], v[42:43], -v[46:47]
	v_add_f64 v[46:47], v[48:49], v[44:45]
	v_add_f64 v[50:51], v[46:47], -v[48:49]
	v_add_f64 v[54:55], v[46:47], -v[50:51]
	;; [unrolled: 1-line block ×4, first 2 shown]
	v_add_f64 v[44:45], v[44:45], v[48:49]
	v_add_f64 v[48:49], v[52:53], v[42:43]
	v_add_f64 v[50:51], v[48:49], -v[52:53]
	v_add_f64 v[44:45], v[48:49], v[44:45]
	v_add_f64 v[54:55], v[48:49], -v[50:51]
	;; [unrolled: 2-line block ×3, first 2 shown]
	v_add_f64 v[42:43], v[42:43], -v[50:51]
	v_add_f64 v[46:47], v[48:49], -v[46:47]
	v_add_f64 v[42:43], v[42:43], v[52:53]
	v_add_f64 v[44:45], v[44:45], -v[46:47]
	s_mov_b32 s20, 0
	v_add_f64 v[42:43], v[42:43], v[44:45]
	s_mov_b32 s21, 0x7ff00000
	v_add_f64 v[42:43], v[48:49], v[42:43]
	v_cmp_neq_f64_e32 vcc, s[20:21], v[40:41]
	v_mov_b32_e32 v44, 0x7ff80000
	v_cmp_ngt_f64_e64 s[20:21], -1.0, v[40:41]
	v_cndmask_b32_e32 v43, v62, v43, vcc
	s_nop 0
	v_cndmask_b32_e64 v43, v44, v43, s[20:21]
	v_cmp_nge_f64_e64 s[20:21], -1.0, v[40:41]
	s_and_b64 vcc, s[20:21], vcc
	v_cndmask_b32_e32 v42, 0, v42, vcc
	v_mov_b32_e32 v44, 0xfff00000
	v_cmp_neq_f64_e32 vcc, -1.0, v[40:41]
	s_nop 1
	v_cndmask_b32_e32 v43, v44, v43, vcc
	v_add_f64 v[40:41], v[10:11], v[42:43]
.LBB66_87:
	s_or_b64 exec, exec, s[44:45]
	v_mov_b32_e32 v10, v40
	v_mov_b32_e32 v11, v41
	v_mov_b64_e32 v[72:73], v[40:41]
.LBB66_88:
	s_or_b64 exec, exec, s[42:43]
	v_cmp_gt_u32_e32 vcc, 60, v31
	v_add_u32_e32 v82, 4, v31
	s_waitcnt lgkmcnt(1)
	v_cndmask_b32_e64 v40, 0, 4, vcc
	v_add_lshl_u32 v81, v40, v39, 2
	ds_bpermute_b32 v40, v81, v10
	s_waitcnt lgkmcnt(1)
	ds_bpermute_b32 v41, v81, v11
	v_cmp_le_u32_e32 vcc, v82, v13
	s_and_saveexec_b64 s[42:43], vcc
	s_cbranch_execz .LBB66_92
; %bb.89:
	s_waitcnt lgkmcnt(0)
	v_max_f64 v[10:11], v[40:41], v[40:41]
	v_max_f64 v[44:45], v[72:73], v[72:73]
	v_min_f64 v[42:43], v[10:11], v[44:45]
	v_cmp_u_f64_e32 vcc, v[40:41], v[40:41]
	v_max_f64 v[10:11], v[10:11], v[44:45]
	v_cmp_u_f64_e64 s[20:21], v[72:73], v[72:73]
	v_cndmask_b32_e32 v43, v43, v41, vcc
	v_cndmask_b32_e32 v42, v42, v40, vcc
	;; [unrolled: 1-line block ×4, first 2 shown]
	v_cndmask_b32_e64 v43, v43, v73, s[20:21]
	v_cndmask_b32_e64 v42, v42, v72, s[20:21]
	;; [unrolled: 1-line block ×4, first 2 shown]
	s_movk_i32 s20, 0x1f8
	v_cmp_neq_f64_e32 vcc, v[42:43], v[10:11]
	v_cmp_class_f64_e64 s[20:21], v[42:43], s20
	s_or_b64 s[20:21], vcc, s[20:21]
	s_and_saveexec_b64 s[44:45], s[20:21]
	s_cbranch_execz .LBB66_91
; %bb.90:
	s_mov_b32 s20, 0x652b82fe
	v_add_f64 v[40:41], v[42:43], -v[10:11]
	s_mov_b32 s21, 0x3ff71547
	v_mul_f64 v[42:43], v[40:41], s[20:21]
	v_rndne_f64_e32 v[42:43], v[42:43]
	s_mov_b32 s47, 0xbfe62e42
	s_mov_b32 s46, 0xfefa39ef
	v_fma_f64 v[44:45], s[46:47], v[42:43], v[40:41]
	s_mov_b32 s49, 0xbc7abc9e
	s_mov_b32 s48, 0x3b39803f
	;; [unrolled: 1-line block ×3, first 2 shown]
	v_fmac_f64_e32 v[44:45], s[48:49], v[42:43]
	v_mov_b32_e32 v46, 0xfca7ab0c
	v_mov_b32_e32 v47, 0x3e928af3
	s_mov_b32 s21, 0x3e5ade15
	v_fmac_f64_e32 v[46:47], s[20:21], v[44:45]
	v_mov_b32_e32 v48, 0x623fde64
	v_mov_b32_e32 v49, 0x3ec71dee
	v_fmac_f64_e32 v[48:49], v[44:45], v[46:47]
	v_mov_b32_e32 v46, 0x7c89e6b0
	v_mov_b32_e32 v47, 0x3efa0199
	;; [unrolled: 3-line block ×8, first 2 shown]
	s_mov_b32 s20, 0
	v_fmac_f64_e32 v[46:47], v[44:45], v[48:49]
	s_mov_b32 s21, 0x40900000
	v_fma_f64 v[46:47], v[44:45], v[46:47], 1.0
	v_cmp_nlt_f64_e32 vcc, s[20:21], v[40:41]
	s_mov_b32 s20, 0
	v_fma_f64 v[44:45], v[44:45], v[46:47], 1.0
	v_cvt_i32_f64_e32 v42, v[42:43]
	s_mov_b32 s21, 0xc090cc00
	v_ldexp_f64 v[42:43], v[44:45], v42
	v_mov_b32_e32 v62, 0x7ff00000
	v_cmp_ngt_f64_e64 s[20:21], s[20:21], v[40:41]
	v_cndmask_b32_e32 v43, v62, v43, vcc
	s_and_b64 vcc, s[20:21], vcc
	v_cndmask_b32_e64 v41, 0, v43, s[20:21]
	v_cndmask_b32_e32 v40, 0, v42, vcc
	v_add_f64 v[42:43], v[40:41], 1.0
	v_add_f64 v[44:45], v[42:43], -1.0
	v_add_f64 v[46:47], v[44:45], -v[42:43]
	v_add_f64 v[46:47], v[46:47], 1.0
	v_add_f64 v[44:45], v[40:41], -v[44:45]
	s_mov_b32 s20, 0x55555555
	v_add_f64 v[44:45], v[44:45], v[46:47]
	v_frexp_mant_f64_e32 v[46:47], v[42:43]
	s_mov_b32 s21, 0x3fe55555
	v_frexp_exp_i32_f64_e32 v48, v[42:43]
	v_cmp_gt_f64_e32 vcc, s[20:21], v[46:47]
	s_mov_b32 s20, 0xbf559e2b
	s_mov_b32 s21, 0x3fc3ab76
	v_subbrev_co_u32_e32 v63, vcc, 0, v48, vcc
	v_sub_u32_e32 v46, 0, v63
	v_ldexp_f64 v[42:43], v[42:43], v46
	v_ldexp_f64 v[44:45], v[44:45], v46
	v_add_f64 v[46:47], v[42:43], -1.0
	v_add_f64 v[52:53], v[42:43], 1.0
	v_add_f64 v[48:49], v[46:47], 1.0
	v_add_f64 v[54:55], v[52:53], -1.0
	v_add_f64 v[48:49], v[42:43], -v[48:49]
	v_add_f64 v[42:43], v[42:43], -v[54:55]
	v_add_f64 v[42:43], v[44:45], v[42:43]
	v_add_f64 v[48:49], v[44:45], v[48:49]
	v_add_f64 v[44:45], v[52:53], v[42:43]
	v_rcp_f64_e32 v[54:55], v[44:45]
	v_add_f64 v[50:51], v[46:47], v[48:49]
	v_add_f64 v[46:47], v[50:51], -v[46:47]
	v_add_f64 v[46:47], v[48:49], -v[46:47]
	v_add_f64 v[48:49], v[44:45], -v[52:53]
	v_add_f64 v[42:43], v[42:43], -v[48:49]
	v_fma_f64 v[48:49], -v[44:45], v[54:55], 1.0
	v_fmac_f64_e32 v[54:55], v[48:49], v[54:55]
	v_fma_f64 v[48:49], -v[44:45], v[54:55], 1.0
	v_fmac_f64_e32 v[54:55], v[48:49], v[54:55]
	v_mul_f64 v[48:49], v[50:51], v[54:55]
	v_mul_f64 v[52:53], v[44:45], v[48:49]
	v_fma_f64 v[56:57], v[48:49], v[44:45], -v[52:53]
	v_fmac_f64_e32 v[56:57], v[48:49], v[42:43]
	v_add_f64 v[58:59], v[52:53], v[56:57]
	v_add_f64 v[60:61], v[50:51], -v[58:59]
	v_add_f64 v[50:51], v[50:51], -v[60:61]
	;; [unrolled: 1-line block ×4, first 2 shown]
	v_add_f64 v[46:47], v[46:47], v[50:51]
	v_add_f64 v[50:51], v[52:53], -v[56:57]
	v_add_f64 v[46:47], v[50:51], v[46:47]
	v_add_f64 v[50:51], v[60:61], v[46:47]
	v_add_f64 v[52:53], v[60:61], -v[50:51]
	v_add_f64 v[46:47], v[46:47], v[52:53]
	v_mul_f64 v[52:53], v[54:55], v[50:51]
	v_mul_f64 v[56:57], v[44:45], v[52:53]
	v_fma_f64 v[44:45], v[52:53], v[44:45], -v[56:57]
	v_fmac_f64_e32 v[44:45], v[52:53], v[42:43]
	v_add_f64 v[42:43], v[56:57], v[44:45]
	v_add_f64 v[58:59], v[50:51], -v[42:43]
	v_add_f64 v[50:51], v[50:51], -v[58:59]
	;; [unrolled: 1-line block ×4, first 2 shown]
	v_add_f64 v[42:43], v[46:47], v[42:43]
	v_add_f64 v[44:45], v[56:57], -v[44:45]
	v_add_f64 v[42:43], v[44:45], v[42:43]
	v_add_f64 v[44:45], v[48:49], v[52:53]
	;; [unrolled: 1-line block ×3, first 2 shown]
	v_add_f64 v[46:47], v[44:45], -v[48:49]
	v_mul_f64 v[42:43], v[54:55], v[42:43]
	v_add_f64 v[46:47], v[52:53], -v[46:47]
	v_add_f64 v[42:43], v[46:47], v[42:43]
	v_add_f64 v[46:47], v[44:45], v[42:43]
	v_add_f64 v[44:45], v[46:47], -v[44:45]
	v_add_f64 v[42:43], v[42:43], -v[44:45]
	v_mul_f64 v[44:45], v[46:47], v[46:47]
	v_mov_b32_e32 v48, 0x6b47b09a
	v_mov_b32_e32 v49, 0x3fc38538
	v_fmac_f64_e32 v[48:49], s[20:21], v[44:45]
	v_mov_b32_e32 v50, 0xd7f4df2e
	v_mov_b32_e32 v51, 0x3fc7474d
	v_fmac_f64_e32 v[50:51], v[44:45], v[48:49]
	;; [unrolled: 3-line block ×6, first 2 shown]
	v_cvt_f64_i32_e32 v[48:49], v63
	s_mov_b32 s47, 0x3fe62e42
	v_mul_f64 v[52:53], v[48:49], s[46:47]
	v_fma_f64 v[54:55], v[48:49], s[46:47], -v[52:53]
	s_mov_b32 s49, 0x3c7abc9e
	v_fmac_f64_e32 v[54:55], s[48:49], v[48:49]
	v_add_f64 v[48:49], v[52:53], v[54:55]
	v_add_f64 v[52:53], v[48:49], -v[52:53]
	v_mul_f64 v[44:45], v[46:47], v[44:45]
	v_add_f64 v[52:53], v[54:55], -v[52:53]
	v_ldexp_f64 v[54:55], v[46:47], 1
	v_mul_f64 v[44:45], v[44:45], v[50:51]
	v_add_f64 v[46:47], v[54:55], v[44:45]
	v_add_f64 v[50:51], v[46:47], -v[54:55]
	v_ldexp_f64 v[42:43], v[42:43], 1
	v_add_f64 v[44:45], v[44:45], -v[50:51]
	v_add_f64 v[42:43], v[42:43], v[44:45]
	v_add_f64 v[44:45], v[46:47], v[42:43]
	v_add_f64 v[46:47], v[44:45], -v[46:47]
	v_add_f64 v[42:43], v[42:43], -v[46:47]
	v_add_f64 v[46:47], v[48:49], v[44:45]
	v_add_f64 v[50:51], v[46:47], -v[48:49]
	v_add_f64 v[54:55], v[46:47], -v[50:51]
	;; [unrolled: 1-line block ×4, first 2 shown]
	v_add_f64 v[44:45], v[44:45], v[48:49]
	v_add_f64 v[48:49], v[52:53], v[42:43]
	v_add_f64 v[50:51], v[48:49], -v[52:53]
	v_add_f64 v[44:45], v[48:49], v[44:45]
	v_add_f64 v[54:55], v[48:49], -v[50:51]
	;; [unrolled: 2-line block ×3, first 2 shown]
	v_add_f64 v[42:43], v[42:43], -v[50:51]
	v_add_f64 v[46:47], v[48:49], -v[46:47]
	v_add_f64 v[42:43], v[42:43], v[52:53]
	v_add_f64 v[44:45], v[44:45], -v[46:47]
	s_mov_b32 s20, 0
	v_add_f64 v[42:43], v[42:43], v[44:45]
	s_mov_b32 s21, 0x7ff00000
	v_add_f64 v[42:43], v[48:49], v[42:43]
	v_cmp_neq_f64_e32 vcc, s[20:21], v[40:41]
	v_mov_b32_e32 v44, 0x7ff80000
	v_cmp_ngt_f64_e64 s[20:21], -1.0, v[40:41]
	v_cndmask_b32_e32 v43, v62, v43, vcc
	s_nop 0
	v_cndmask_b32_e64 v43, v44, v43, s[20:21]
	v_cmp_nge_f64_e64 s[20:21], -1.0, v[40:41]
	s_and_b64 vcc, s[20:21], vcc
	v_cndmask_b32_e32 v42, 0, v42, vcc
	v_mov_b32_e32 v44, 0xfff00000
	v_cmp_neq_f64_e32 vcc, -1.0, v[40:41]
	s_nop 1
	v_cndmask_b32_e32 v43, v44, v43, vcc
	v_add_f64 v[40:41], v[10:11], v[42:43]
.LBB66_91:
	s_or_b64 exec, exec, s[44:45]
	v_mov_b32_e32 v10, v40
	v_mov_b32_e32 v11, v41
	v_mov_b64_e32 v[72:73], v[40:41]
.LBB66_92:
	s_or_b64 exec, exec, s[42:43]
	v_cmp_gt_u32_e32 vcc, 56, v31
	v_add_u32_e32 v84, 8, v31
	s_waitcnt lgkmcnt(1)
	v_cndmask_b32_e64 v40, 0, 8, vcc
	v_add_lshl_u32 v83, v40, v39, 2
	ds_bpermute_b32 v40, v83, v10
	s_waitcnt lgkmcnt(1)
	ds_bpermute_b32 v41, v83, v11
	v_cmp_le_u32_e32 vcc, v84, v13
	s_and_saveexec_b64 s[42:43], vcc
	s_cbranch_execz .LBB66_96
; %bb.93:
	s_waitcnt lgkmcnt(0)
	v_max_f64 v[10:11], v[40:41], v[40:41]
	v_max_f64 v[44:45], v[72:73], v[72:73]
	v_min_f64 v[42:43], v[10:11], v[44:45]
	v_cmp_u_f64_e32 vcc, v[40:41], v[40:41]
	v_max_f64 v[10:11], v[10:11], v[44:45]
	v_cmp_u_f64_e64 s[20:21], v[72:73], v[72:73]
	v_cndmask_b32_e32 v43, v43, v41, vcc
	v_cndmask_b32_e32 v42, v42, v40, vcc
	;; [unrolled: 1-line block ×4, first 2 shown]
	v_cndmask_b32_e64 v43, v43, v73, s[20:21]
	v_cndmask_b32_e64 v42, v42, v72, s[20:21]
	;; [unrolled: 1-line block ×4, first 2 shown]
	s_movk_i32 s20, 0x1f8
	v_cmp_neq_f64_e32 vcc, v[42:43], v[10:11]
	v_cmp_class_f64_e64 s[20:21], v[42:43], s20
	s_or_b64 s[20:21], vcc, s[20:21]
	s_and_saveexec_b64 s[44:45], s[20:21]
	s_cbranch_execz .LBB66_95
; %bb.94:
	s_mov_b32 s20, 0x652b82fe
	v_add_f64 v[40:41], v[42:43], -v[10:11]
	s_mov_b32 s21, 0x3ff71547
	v_mul_f64 v[42:43], v[40:41], s[20:21]
	v_rndne_f64_e32 v[42:43], v[42:43]
	s_mov_b32 s47, 0xbfe62e42
	s_mov_b32 s46, 0xfefa39ef
	v_fma_f64 v[44:45], s[46:47], v[42:43], v[40:41]
	s_mov_b32 s49, 0xbc7abc9e
	s_mov_b32 s48, 0x3b39803f
	;; [unrolled: 1-line block ×3, first 2 shown]
	v_fmac_f64_e32 v[44:45], s[48:49], v[42:43]
	v_mov_b32_e32 v46, 0xfca7ab0c
	v_mov_b32_e32 v47, 0x3e928af3
	s_mov_b32 s21, 0x3e5ade15
	v_fmac_f64_e32 v[46:47], s[20:21], v[44:45]
	v_mov_b32_e32 v48, 0x623fde64
	v_mov_b32_e32 v49, 0x3ec71dee
	v_fmac_f64_e32 v[48:49], v[44:45], v[46:47]
	v_mov_b32_e32 v46, 0x7c89e6b0
	v_mov_b32_e32 v47, 0x3efa0199
	;; [unrolled: 3-line block ×8, first 2 shown]
	s_mov_b32 s20, 0
	v_fmac_f64_e32 v[46:47], v[44:45], v[48:49]
	s_mov_b32 s21, 0x40900000
	v_fma_f64 v[46:47], v[44:45], v[46:47], 1.0
	v_cmp_nlt_f64_e32 vcc, s[20:21], v[40:41]
	s_mov_b32 s20, 0
	v_fma_f64 v[44:45], v[44:45], v[46:47], 1.0
	v_cvt_i32_f64_e32 v42, v[42:43]
	s_mov_b32 s21, 0xc090cc00
	v_ldexp_f64 v[42:43], v[44:45], v42
	v_mov_b32_e32 v62, 0x7ff00000
	v_cmp_ngt_f64_e64 s[20:21], s[20:21], v[40:41]
	v_cndmask_b32_e32 v43, v62, v43, vcc
	s_and_b64 vcc, s[20:21], vcc
	v_cndmask_b32_e64 v41, 0, v43, s[20:21]
	v_cndmask_b32_e32 v40, 0, v42, vcc
	v_add_f64 v[42:43], v[40:41], 1.0
	v_add_f64 v[44:45], v[42:43], -1.0
	v_add_f64 v[46:47], v[44:45], -v[42:43]
	v_add_f64 v[46:47], v[46:47], 1.0
	v_add_f64 v[44:45], v[40:41], -v[44:45]
	s_mov_b32 s20, 0x55555555
	v_add_f64 v[44:45], v[44:45], v[46:47]
	v_frexp_mant_f64_e32 v[46:47], v[42:43]
	s_mov_b32 s21, 0x3fe55555
	v_frexp_exp_i32_f64_e32 v48, v[42:43]
	v_cmp_gt_f64_e32 vcc, s[20:21], v[46:47]
	s_mov_b32 s20, 0xbf559e2b
	s_mov_b32 s21, 0x3fc3ab76
	v_subbrev_co_u32_e32 v63, vcc, 0, v48, vcc
	v_sub_u32_e32 v46, 0, v63
	v_ldexp_f64 v[42:43], v[42:43], v46
	v_ldexp_f64 v[44:45], v[44:45], v46
	v_add_f64 v[46:47], v[42:43], -1.0
	v_add_f64 v[52:53], v[42:43], 1.0
	v_add_f64 v[48:49], v[46:47], 1.0
	v_add_f64 v[54:55], v[52:53], -1.0
	v_add_f64 v[48:49], v[42:43], -v[48:49]
	v_add_f64 v[42:43], v[42:43], -v[54:55]
	v_add_f64 v[42:43], v[44:45], v[42:43]
	v_add_f64 v[48:49], v[44:45], v[48:49]
	;; [unrolled: 1-line block ×3, first 2 shown]
	v_rcp_f64_e32 v[54:55], v[44:45]
	v_add_f64 v[50:51], v[46:47], v[48:49]
	v_add_f64 v[46:47], v[50:51], -v[46:47]
	v_add_f64 v[46:47], v[48:49], -v[46:47]
	;; [unrolled: 1-line block ×4, first 2 shown]
	v_fma_f64 v[48:49], -v[44:45], v[54:55], 1.0
	v_fmac_f64_e32 v[54:55], v[48:49], v[54:55]
	v_fma_f64 v[48:49], -v[44:45], v[54:55], 1.0
	v_fmac_f64_e32 v[54:55], v[48:49], v[54:55]
	v_mul_f64 v[48:49], v[50:51], v[54:55]
	v_mul_f64 v[52:53], v[44:45], v[48:49]
	v_fma_f64 v[56:57], v[48:49], v[44:45], -v[52:53]
	v_fmac_f64_e32 v[56:57], v[48:49], v[42:43]
	v_add_f64 v[58:59], v[52:53], v[56:57]
	v_add_f64 v[60:61], v[50:51], -v[58:59]
	v_add_f64 v[50:51], v[50:51], -v[60:61]
	;; [unrolled: 1-line block ×4, first 2 shown]
	v_add_f64 v[46:47], v[46:47], v[50:51]
	v_add_f64 v[50:51], v[52:53], -v[56:57]
	v_add_f64 v[46:47], v[50:51], v[46:47]
	v_add_f64 v[50:51], v[60:61], v[46:47]
	v_add_f64 v[52:53], v[60:61], -v[50:51]
	v_add_f64 v[46:47], v[46:47], v[52:53]
	v_mul_f64 v[52:53], v[54:55], v[50:51]
	v_mul_f64 v[56:57], v[44:45], v[52:53]
	v_fma_f64 v[44:45], v[52:53], v[44:45], -v[56:57]
	v_fmac_f64_e32 v[44:45], v[52:53], v[42:43]
	v_add_f64 v[42:43], v[56:57], v[44:45]
	v_add_f64 v[58:59], v[50:51], -v[42:43]
	v_add_f64 v[50:51], v[50:51], -v[58:59]
	;; [unrolled: 1-line block ×4, first 2 shown]
	v_add_f64 v[42:43], v[46:47], v[42:43]
	v_add_f64 v[44:45], v[56:57], -v[44:45]
	v_add_f64 v[42:43], v[44:45], v[42:43]
	v_add_f64 v[44:45], v[48:49], v[52:53]
	;; [unrolled: 1-line block ×3, first 2 shown]
	v_add_f64 v[46:47], v[44:45], -v[48:49]
	v_mul_f64 v[42:43], v[54:55], v[42:43]
	v_add_f64 v[46:47], v[52:53], -v[46:47]
	v_add_f64 v[42:43], v[46:47], v[42:43]
	v_add_f64 v[46:47], v[44:45], v[42:43]
	v_add_f64 v[44:45], v[46:47], -v[44:45]
	v_add_f64 v[42:43], v[42:43], -v[44:45]
	v_mul_f64 v[44:45], v[46:47], v[46:47]
	v_mov_b32_e32 v48, 0x6b47b09a
	v_mov_b32_e32 v49, 0x3fc38538
	v_fmac_f64_e32 v[48:49], s[20:21], v[44:45]
	v_mov_b32_e32 v50, 0xd7f4df2e
	v_mov_b32_e32 v51, 0x3fc7474d
	v_fmac_f64_e32 v[50:51], v[44:45], v[48:49]
	;; [unrolled: 3-line block ×6, first 2 shown]
	v_cvt_f64_i32_e32 v[48:49], v63
	s_mov_b32 s47, 0x3fe62e42
	v_mul_f64 v[52:53], v[48:49], s[46:47]
	v_fma_f64 v[54:55], v[48:49], s[46:47], -v[52:53]
	s_mov_b32 s49, 0x3c7abc9e
	v_fmac_f64_e32 v[54:55], s[48:49], v[48:49]
	v_add_f64 v[48:49], v[52:53], v[54:55]
	v_add_f64 v[52:53], v[48:49], -v[52:53]
	v_mul_f64 v[44:45], v[46:47], v[44:45]
	v_add_f64 v[52:53], v[54:55], -v[52:53]
	v_ldexp_f64 v[54:55], v[46:47], 1
	v_mul_f64 v[44:45], v[44:45], v[50:51]
	v_add_f64 v[46:47], v[54:55], v[44:45]
	v_add_f64 v[50:51], v[46:47], -v[54:55]
	v_ldexp_f64 v[42:43], v[42:43], 1
	v_add_f64 v[44:45], v[44:45], -v[50:51]
	v_add_f64 v[42:43], v[42:43], v[44:45]
	v_add_f64 v[44:45], v[46:47], v[42:43]
	v_add_f64 v[46:47], v[44:45], -v[46:47]
	v_add_f64 v[42:43], v[42:43], -v[46:47]
	v_add_f64 v[46:47], v[48:49], v[44:45]
	v_add_f64 v[50:51], v[46:47], -v[48:49]
	v_add_f64 v[54:55], v[46:47], -v[50:51]
	v_add_f64 v[48:49], v[48:49], -v[54:55]
	v_add_f64 v[44:45], v[44:45], -v[50:51]
	v_add_f64 v[44:45], v[44:45], v[48:49]
	v_add_f64 v[48:49], v[52:53], v[42:43]
	v_add_f64 v[50:51], v[48:49], -v[52:53]
	v_add_f64 v[44:45], v[48:49], v[44:45]
	v_add_f64 v[54:55], v[48:49], -v[50:51]
	;; [unrolled: 2-line block ×3, first 2 shown]
	v_add_f64 v[42:43], v[42:43], -v[50:51]
	v_add_f64 v[46:47], v[48:49], -v[46:47]
	v_add_f64 v[42:43], v[42:43], v[52:53]
	v_add_f64 v[44:45], v[44:45], -v[46:47]
	s_mov_b32 s20, 0
	v_add_f64 v[42:43], v[42:43], v[44:45]
	s_mov_b32 s21, 0x7ff00000
	v_add_f64 v[42:43], v[48:49], v[42:43]
	v_cmp_neq_f64_e32 vcc, s[20:21], v[40:41]
	v_mov_b32_e32 v44, 0x7ff80000
	v_cmp_ngt_f64_e64 s[20:21], -1.0, v[40:41]
	v_cndmask_b32_e32 v43, v62, v43, vcc
	s_nop 0
	v_cndmask_b32_e64 v43, v44, v43, s[20:21]
	v_cmp_nge_f64_e64 s[20:21], -1.0, v[40:41]
	s_and_b64 vcc, s[20:21], vcc
	v_cndmask_b32_e32 v42, 0, v42, vcc
	v_mov_b32_e32 v44, 0xfff00000
	v_cmp_neq_f64_e32 vcc, -1.0, v[40:41]
	s_nop 1
	v_cndmask_b32_e32 v43, v44, v43, vcc
	v_add_f64 v[40:41], v[10:11], v[42:43]
.LBB66_95:
	s_or_b64 exec, exec, s[44:45]
	v_mov_b32_e32 v10, v40
	v_mov_b32_e32 v11, v41
	v_mov_b64_e32 v[72:73], v[40:41]
.LBB66_96:
	s_or_b64 exec, exec, s[42:43]
	v_cmp_gt_u32_e32 vcc, 48, v31
	v_add_u32_e32 v86, 16, v31
	s_waitcnt lgkmcnt(1)
	v_cndmask_b32_e64 v40, 0, 16, vcc
	v_add_lshl_u32 v85, v40, v39, 2
	ds_bpermute_b32 v40, v85, v10
	s_waitcnt lgkmcnt(1)
	ds_bpermute_b32 v41, v85, v11
	v_cmp_le_u32_e32 vcc, v86, v13
	s_and_saveexec_b64 s[42:43], vcc
	s_cbranch_execz .LBB66_100
; %bb.97:
	s_waitcnt lgkmcnt(0)
	v_max_f64 v[10:11], v[40:41], v[40:41]
	v_max_f64 v[44:45], v[72:73], v[72:73]
	v_min_f64 v[42:43], v[10:11], v[44:45]
	v_cmp_u_f64_e32 vcc, v[40:41], v[40:41]
	v_max_f64 v[10:11], v[10:11], v[44:45]
	v_cmp_u_f64_e64 s[20:21], v[72:73], v[72:73]
	v_cndmask_b32_e32 v43, v43, v41, vcc
	v_cndmask_b32_e32 v42, v42, v40, vcc
	;; [unrolled: 1-line block ×4, first 2 shown]
	v_cndmask_b32_e64 v43, v43, v73, s[20:21]
	v_cndmask_b32_e64 v42, v42, v72, s[20:21]
	;; [unrolled: 1-line block ×4, first 2 shown]
	s_movk_i32 s20, 0x1f8
	v_cmp_neq_f64_e32 vcc, v[42:43], v[10:11]
	v_cmp_class_f64_e64 s[20:21], v[42:43], s20
	s_or_b64 s[20:21], vcc, s[20:21]
	s_and_saveexec_b64 s[44:45], s[20:21]
	s_cbranch_execz .LBB66_99
; %bb.98:
	s_mov_b32 s20, 0x652b82fe
	v_add_f64 v[40:41], v[42:43], -v[10:11]
	s_mov_b32 s21, 0x3ff71547
	v_mul_f64 v[42:43], v[40:41], s[20:21]
	v_rndne_f64_e32 v[42:43], v[42:43]
	s_mov_b32 s47, 0xbfe62e42
	s_mov_b32 s46, 0xfefa39ef
	v_fma_f64 v[44:45], s[46:47], v[42:43], v[40:41]
	s_mov_b32 s49, 0xbc7abc9e
	s_mov_b32 s48, 0x3b39803f
	;; [unrolled: 1-line block ×3, first 2 shown]
	v_fmac_f64_e32 v[44:45], s[48:49], v[42:43]
	v_mov_b32_e32 v46, 0xfca7ab0c
	v_mov_b32_e32 v47, 0x3e928af3
	s_mov_b32 s21, 0x3e5ade15
	v_fmac_f64_e32 v[46:47], s[20:21], v[44:45]
	v_mov_b32_e32 v48, 0x623fde64
	v_mov_b32_e32 v49, 0x3ec71dee
	v_fmac_f64_e32 v[48:49], v[44:45], v[46:47]
	v_mov_b32_e32 v46, 0x7c89e6b0
	v_mov_b32_e32 v47, 0x3efa0199
	;; [unrolled: 3-line block ×8, first 2 shown]
	s_mov_b32 s20, 0
	v_fmac_f64_e32 v[46:47], v[44:45], v[48:49]
	s_mov_b32 s21, 0x40900000
	v_fma_f64 v[46:47], v[44:45], v[46:47], 1.0
	v_cmp_nlt_f64_e32 vcc, s[20:21], v[40:41]
	s_mov_b32 s20, 0
	v_fma_f64 v[44:45], v[44:45], v[46:47], 1.0
	v_cvt_i32_f64_e32 v42, v[42:43]
	s_mov_b32 s21, 0xc090cc00
	v_ldexp_f64 v[42:43], v[44:45], v42
	v_mov_b32_e32 v62, 0x7ff00000
	v_cmp_ngt_f64_e64 s[20:21], s[20:21], v[40:41]
	v_cndmask_b32_e32 v43, v62, v43, vcc
	s_and_b64 vcc, s[20:21], vcc
	v_cndmask_b32_e64 v41, 0, v43, s[20:21]
	v_cndmask_b32_e32 v40, 0, v42, vcc
	v_add_f64 v[42:43], v[40:41], 1.0
	v_add_f64 v[44:45], v[42:43], -1.0
	v_add_f64 v[46:47], v[44:45], -v[42:43]
	v_add_f64 v[46:47], v[46:47], 1.0
	v_add_f64 v[44:45], v[40:41], -v[44:45]
	s_mov_b32 s20, 0x55555555
	v_add_f64 v[44:45], v[44:45], v[46:47]
	v_frexp_mant_f64_e32 v[46:47], v[42:43]
	s_mov_b32 s21, 0x3fe55555
	v_frexp_exp_i32_f64_e32 v48, v[42:43]
	v_cmp_gt_f64_e32 vcc, s[20:21], v[46:47]
	s_mov_b32 s20, 0xbf559e2b
	s_mov_b32 s21, 0x3fc3ab76
	v_subbrev_co_u32_e32 v63, vcc, 0, v48, vcc
	v_sub_u32_e32 v46, 0, v63
	v_ldexp_f64 v[42:43], v[42:43], v46
	v_ldexp_f64 v[44:45], v[44:45], v46
	v_add_f64 v[46:47], v[42:43], -1.0
	v_add_f64 v[52:53], v[42:43], 1.0
	v_add_f64 v[48:49], v[46:47], 1.0
	v_add_f64 v[54:55], v[52:53], -1.0
	v_add_f64 v[48:49], v[42:43], -v[48:49]
	v_add_f64 v[42:43], v[42:43], -v[54:55]
	v_add_f64 v[42:43], v[44:45], v[42:43]
	v_add_f64 v[48:49], v[44:45], v[48:49]
	;; [unrolled: 1-line block ×3, first 2 shown]
	v_rcp_f64_e32 v[54:55], v[44:45]
	v_add_f64 v[50:51], v[46:47], v[48:49]
	v_add_f64 v[46:47], v[50:51], -v[46:47]
	v_add_f64 v[46:47], v[48:49], -v[46:47]
	;; [unrolled: 1-line block ×4, first 2 shown]
	v_fma_f64 v[48:49], -v[44:45], v[54:55], 1.0
	v_fmac_f64_e32 v[54:55], v[48:49], v[54:55]
	v_fma_f64 v[48:49], -v[44:45], v[54:55], 1.0
	v_fmac_f64_e32 v[54:55], v[48:49], v[54:55]
	v_mul_f64 v[48:49], v[50:51], v[54:55]
	v_mul_f64 v[52:53], v[44:45], v[48:49]
	v_fma_f64 v[56:57], v[48:49], v[44:45], -v[52:53]
	v_fmac_f64_e32 v[56:57], v[48:49], v[42:43]
	v_add_f64 v[58:59], v[52:53], v[56:57]
	v_add_f64 v[60:61], v[50:51], -v[58:59]
	v_add_f64 v[50:51], v[50:51], -v[60:61]
	;; [unrolled: 1-line block ×4, first 2 shown]
	v_add_f64 v[46:47], v[46:47], v[50:51]
	v_add_f64 v[50:51], v[52:53], -v[56:57]
	v_add_f64 v[46:47], v[50:51], v[46:47]
	v_add_f64 v[50:51], v[60:61], v[46:47]
	v_add_f64 v[52:53], v[60:61], -v[50:51]
	v_add_f64 v[46:47], v[46:47], v[52:53]
	v_mul_f64 v[52:53], v[54:55], v[50:51]
	v_mul_f64 v[56:57], v[44:45], v[52:53]
	v_fma_f64 v[44:45], v[52:53], v[44:45], -v[56:57]
	v_fmac_f64_e32 v[44:45], v[52:53], v[42:43]
	v_add_f64 v[42:43], v[56:57], v[44:45]
	v_add_f64 v[58:59], v[50:51], -v[42:43]
	v_add_f64 v[50:51], v[50:51], -v[58:59]
	;; [unrolled: 1-line block ×4, first 2 shown]
	v_add_f64 v[42:43], v[46:47], v[42:43]
	v_add_f64 v[44:45], v[56:57], -v[44:45]
	v_add_f64 v[42:43], v[44:45], v[42:43]
	v_add_f64 v[44:45], v[48:49], v[52:53]
	;; [unrolled: 1-line block ×3, first 2 shown]
	v_add_f64 v[46:47], v[44:45], -v[48:49]
	v_mul_f64 v[42:43], v[54:55], v[42:43]
	v_add_f64 v[46:47], v[52:53], -v[46:47]
	v_add_f64 v[42:43], v[46:47], v[42:43]
	v_add_f64 v[46:47], v[44:45], v[42:43]
	v_add_f64 v[44:45], v[46:47], -v[44:45]
	v_add_f64 v[42:43], v[42:43], -v[44:45]
	v_mul_f64 v[44:45], v[46:47], v[46:47]
	v_mov_b32_e32 v48, 0x6b47b09a
	v_mov_b32_e32 v49, 0x3fc38538
	v_fmac_f64_e32 v[48:49], s[20:21], v[44:45]
	v_mov_b32_e32 v50, 0xd7f4df2e
	v_mov_b32_e32 v51, 0x3fc7474d
	v_fmac_f64_e32 v[50:51], v[44:45], v[48:49]
	;; [unrolled: 3-line block ×6, first 2 shown]
	v_cvt_f64_i32_e32 v[48:49], v63
	s_mov_b32 s47, 0x3fe62e42
	v_mul_f64 v[52:53], v[48:49], s[46:47]
	v_fma_f64 v[54:55], v[48:49], s[46:47], -v[52:53]
	s_mov_b32 s49, 0x3c7abc9e
	v_fmac_f64_e32 v[54:55], s[48:49], v[48:49]
	v_add_f64 v[48:49], v[52:53], v[54:55]
	v_add_f64 v[52:53], v[48:49], -v[52:53]
	v_mul_f64 v[44:45], v[46:47], v[44:45]
	v_add_f64 v[52:53], v[54:55], -v[52:53]
	v_ldexp_f64 v[54:55], v[46:47], 1
	v_mul_f64 v[44:45], v[44:45], v[50:51]
	v_add_f64 v[46:47], v[54:55], v[44:45]
	v_add_f64 v[50:51], v[46:47], -v[54:55]
	v_ldexp_f64 v[42:43], v[42:43], 1
	v_add_f64 v[44:45], v[44:45], -v[50:51]
	v_add_f64 v[42:43], v[42:43], v[44:45]
	v_add_f64 v[44:45], v[46:47], v[42:43]
	v_add_f64 v[46:47], v[44:45], -v[46:47]
	v_add_f64 v[42:43], v[42:43], -v[46:47]
	v_add_f64 v[46:47], v[48:49], v[44:45]
	v_add_f64 v[50:51], v[46:47], -v[48:49]
	v_add_f64 v[54:55], v[46:47], -v[50:51]
	;; [unrolled: 1-line block ×4, first 2 shown]
	v_add_f64 v[44:45], v[44:45], v[48:49]
	v_add_f64 v[48:49], v[52:53], v[42:43]
	v_add_f64 v[50:51], v[48:49], -v[52:53]
	v_add_f64 v[44:45], v[48:49], v[44:45]
	v_add_f64 v[54:55], v[48:49], -v[50:51]
	;; [unrolled: 2-line block ×3, first 2 shown]
	v_add_f64 v[42:43], v[42:43], -v[50:51]
	v_add_f64 v[46:47], v[48:49], -v[46:47]
	v_add_f64 v[42:43], v[42:43], v[52:53]
	v_add_f64 v[44:45], v[44:45], -v[46:47]
	s_mov_b32 s20, 0
	v_add_f64 v[42:43], v[42:43], v[44:45]
	s_mov_b32 s21, 0x7ff00000
	v_add_f64 v[42:43], v[48:49], v[42:43]
	v_cmp_neq_f64_e32 vcc, s[20:21], v[40:41]
	v_mov_b32_e32 v44, 0x7ff80000
	v_cmp_ngt_f64_e64 s[20:21], -1.0, v[40:41]
	v_cndmask_b32_e32 v43, v62, v43, vcc
	s_nop 0
	v_cndmask_b32_e64 v43, v44, v43, s[20:21]
	v_cmp_nge_f64_e64 s[20:21], -1.0, v[40:41]
	s_and_b64 vcc, s[20:21], vcc
	v_cndmask_b32_e32 v42, 0, v42, vcc
	v_mov_b32_e32 v44, 0xfff00000
	v_cmp_neq_f64_e32 vcc, -1.0, v[40:41]
	s_nop 1
	v_cndmask_b32_e32 v43, v44, v43, vcc
	v_add_f64 v[40:41], v[10:11], v[42:43]
.LBB66_99:
	s_or_b64 exec, exec, s[44:45]
	v_mov_b32_e32 v10, v40
	v_mov_b32_e32 v11, v41
	v_mov_b64_e32 v[72:73], v[40:41]
.LBB66_100:
	s_or_b64 exec, exec, s[42:43]
	s_waitcnt lgkmcnt(1)
	v_mov_b32_e32 v40, 0x80
	v_lshl_or_b32 v87, v39, 2, v40
	ds_bpermute_b32 v40, v87, v10
	s_waitcnt lgkmcnt(1)
	ds_bpermute_b32 v41, v87, v11
	v_add_u32_e32 v88, 32, v31
	v_cmp_le_u32_e32 vcc, v88, v13
	s_and_saveexec_b64 s[42:43], vcc
	s_cbranch_execz .LBB66_104
; %bb.101:
	s_waitcnt lgkmcnt(0)
	v_max_f64 v[10:11], v[40:41], v[40:41]
	v_max_f64 v[44:45], v[72:73], v[72:73]
	v_min_f64 v[42:43], v[10:11], v[44:45]
	v_cmp_u_f64_e32 vcc, v[40:41], v[40:41]
	v_max_f64 v[10:11], v[10:11], v[44:45]
	v_cmp_u_f64_e64 s[20:21], v[72:73], v[72:73]
	v_cndmask_b32_e32 v13, v43, v41, vcc
	v_cndmask_b32_e32 v39, v42, v40, vcc
	;; [unrolled: 1-line block ×4, first 2 shown]
	v_cndmask_b32_e64 v43, v13, v73, s[20:21]
	v_cndmask_b32_e64 v42, v39, v72, s[20:21]
	;; [unrolled: 1-line block ×4, first 2 shown]
	s_movk_i32 s20, 0x1f8
	v_cmp_neq_f64_e32 vcc, v[42:43], v[10:11]
	v_cmp_class_f64_e64 s[20:21], v[42:43], s20
	s_or_b64 s[20:21], vcc, s[20:21]
	s_and_saveexec_b64 s[44:45], s[20:21]
	s_cbranch_execz .LBB66_103
; %bb.102:
	s_mov_b32 s20, 0x652b82fe
	v_add_f64 v[40:41], v[42:43], -v[10:11]
	s_mov_b32 s21, 0x3ff71547
	v_mul_f64 v[42:43], v[40:41], s[20:21]
	v_rndne_f64_e32 v[42:43], v[42:43]
	s_mov_b32 s47, 0xbfe62e42
	s_mov_b32 s46, 0xfefa39ef
	v_fma_f64 v[44:45], s[46:47], v[42:43], v[40:41]
	s_mov_b32 s49, 0xbc7abc9e
	s_mov_b32 s48, 0x3b39803f
	;; [unrolled: 1-line block ×3, first 2 shown]
	v_fmac_f64_e32 v[44:45], s[48:49], v[42:43]
	v_mov_b32_e32 v46, 0xfca7ab0c
	v_mov_b32_e32 v47, 0x3e928af3
	s_mov_b32 s21, 0x3e5ade15
	v_fmac_f64_e32 v[46:47], s[20:21], v[44:45]
	v_mov_b32_e32 v48, 0x623fde64
	v_mov_b32_e32 v49, 0x3ec71dee
	v_fmac_f64_e32 v[48:49], v[44:45], v[46:47]
	v_mov_b32_e32 v46, 0x7c89e6b0
	v_mov_b32_e32 v47, 0x3efa0199
	;; [unrolled: 3-line block ×8, first 2 shown]
	s_mov_b32 s20, 0
	v_fmac_f64_e32 v[46:47], v[44:45], v[48:49]
	s_mov_b32 s21, 0x40900000
	v_fma_f64 v[46:47], v[44:45], v[46:47], 1.0
	v_cmp_nlt_f64_e32 vcc, s[20:21], v[40:41]
	s_mov_b32 s20, 0
	v_fma_f64 v[44:45], v[44:45], v[46:47], 1.0
	v_cvt_i32_f64_e32 v13, v[42:43]
	s_mov_b32 s21, 0xc090cc00
	v_ldexp_f64 v[42:43], v[44:45], v13
	v_mov_b32_e32 v13, 0x7ff00000
	v_cmp_ngt_f64_e64 s[20:21], s[20:21], v[40:41]
	v_cndmask_b32_e32 v39, v13, v43, vcc
	s_and_b64 vcc, s[20:21], vcc
	v_cndmask_b32_e64 v41, 0, v39, s[20:21]
	v_cndmask_b32_e32 v40, 0, v42, vcc
	v_add_f64 v[42:43], v[40:41], 1.0
	v_add_f64 v[44:45], v[42:43], -1.0
	v_add_f64 v[46:47], v[44:45], -v[42:43]
	v_add_f64 v[46:47], v[46:47], 1.0
	v_add_f64 v[44:45], v[40:41], -v[44:45]
	s_mov_b32 s20, 0x55555555
	v_add_f64 v[44:45], v[44:45], v[46:47]
	v_frexp_mant_f64_e32 v[46:47], v[42:43]
	s_mov_b32 s21, 0x3fe55555
	v_frexp_exp_i32_f64_e32 v39, v[42:43]
	v_cmp_gt_f64_e32 vcc, s[20:21], v[46:47]
	s_mov_b32 s20, 0xbf559e2b
	s_mov_b32 s21, 0x3fc3ab76
	v_subbrev_co_u32_e32 v39, vcc, 0, v39, vcc
	v_sub_u32_e32 v46, 0, v39
	v_ldexp_f64 v[42:43], v[42:43], v46
	v_ldexp_f64 v[44:45], v[44:45], v46
	v_add_f64 v[46:47], v[42:43], -1.0
	v_add_f64 v[52:53], v[42:43], 1.0
	v_add_f64 v[48:49], v[46:47], 1.0
	v_add_f64 v[54:55], v[52:53], -1.0
	v_add_f64 v[48:49], v[42:43], -v[48:49]
	v_add_f64 v[42:43], v[42:43], -v[54:55]
	v_add_f64 v[42:43], v[44:45], v[42:43]
	v_add_f64 v[48:49], v[44:45], v[48:49]
	;; [unrolled: 1-line block ×3, first 2 shown]
	v_rcp_f64_e32 v[54:55], v[44:45]
	v_add_f64 v[50:51], v[46:47], v[48:49]
	v_add_f64 v[46:47], v[50:51], -v[46:47]
	v_add_f64 v[46:47], v[48:49], -v[46:47]
	;; [unrolled: 1-line block ×4, first 2 shown]
	v_fma_f64 v[48:49], -v[44:45], v[54:55], 1.0
	v_fmac_f64_e32 v[54:55], v[48:49], v[54:55]
	v_fma_f64 v[48:49], -v[44:45], v[54:55], 1.0
	v_fmac_f64_e32 v[54:55], v[48:49], v[54:55]
	v_mul_f64 v[48:49], v[50:51], v[54:55]
	v_mul_f64 v[52:53], v[44:45], v[48:49]
	v_fma_f64 v[56:57], v[48:49], v[44:45], -v[52:53]
	v_fmac_f64_e32 v[56:57], v[48:49], v[42:43]
	v_add_f64 v[58:59], v[52:53], v[56:57]
	v_add_f64 v[60:61], v[50:51], -v[58:59]
	v_add_f64 v[50:51], v[50:51], -v[60:61]
	;; [unrolled: 1-line block ×4, first 2 shown]
	v_add_f64 v[46:47], v[46:47], v[50:51]
	v_add_f64 v[50:51], v[52:53], -v[56:57]
	v_add_f64 v[46:47], v[50:51], v[46:47]
	v_add_f64 v[50:51], v[60:61], v[46:47]
	v_add_f64 v[52:53], v[60:61], -v[50:51]
	v_add_f64 v[46:47], v[46:47], v[52:53]
	v_mul_f64 v[52:53], v[54:55], v[50:51]
	v_mul_f64 v[56:57], v[44:45], v[52:53]
	v_fma_f64 v[44:45], v[52:53], v[44:45], -v[56:57]
	v_fmac_f64_e32 v[44:45], v[52:53], v[42:43]
	v_add_f64 v[42:43], v[56:57], v[44:45]
	v_add_f64 v[58:59], v[50:51], -v[42:43]
	v_add_f64 v[50:51], v[50:51], -v[58:59]
	;; [unrolled: 1-line block ×4, first 2 shown]
	v_add_f64 v[42:43], v[46:47], v[42:43]
	v_add_f64 v[44:45], v[56:57], -v[44:45]
	v_add_f64 v[42:43], v[44:45], v[42:43]
	v_add_f64 v[44:45], v[48:49], v[52:53]
	;; [unrolled: 1-line block ×3, first 2 shown]
	v_add_f64 v[46:47], v[44:45], -v[48:49]
	v_mul_f64 v[42:43], v[54:55], v[42:43]
	v_add_f64 v[46:47], v[52:53], -v[46:47]
	v_add_f64 v[42:43], v[46:47], v[42:43]
	v_add_f64 v[46:47], v[44:45], v[42:43]
	v_add_f64 v[44:45], v[46:47], -v[44:45]
	v_add_f64 v[42:43], v[42:43], -v[44:45]
	v_mul_f64 v[44:45], v[46:47], v[46:47]
	v_mov_b32_e32 v48, 0x6b47b09a
	v_mov_b32_e32 v49, 0x3fc38538
	v_fmac_f64_e32 v[48:49], s[20:21], v[44:45]
	v_mov_b32_e32 v50, 0xd7f4df2e
	v_mov_b32_e32 v51, 0x3fc7474d
	v_fmac_f64_e32 v[50:51], v[44:45], v[48:49]
	;; [unrolled: 3-line block ×6, first 2 shown]
	v_cvt_f64_i32_e32 v[48:49], v39
	s_mov_b32 s47, 0x3fe62e42
	v_mul_f64 v[52:53], v[48:49], s[46:47]
	v_fma_f64 v[54:55], v[48:49], s[46:47], -v[52:53]
	s_mov_b32 s49, 0x3c7abc9e
	v_fmac_f64_e32 v[54:55], s[48:49], v[48:49]
	v_add_f64 v[48:49], v[52:53], v[54:55]
	v_add_f64 v[52:53], v[48:49], -v[52:53]
	v_mul_f64 v[44:45], v[46:47], v[44:45]
	v_add_f64 v[52:53], v[54:55], -v[52:53]
	v_ldexp_f64 v[54:55], v[46:47], 1
	v_mul_f64 v[44:45], v[44:45], v[50:51]
	v_add_f64 v[46:47], v[54:55], v[44:45]
	v_add_f64 v[50:51], v[46:47], -v[54:55]
	v_ldexp_f64 v[42:43], v[42:43], 1
	v_add_f64 v[44:45], v[44:45], -v[50:51]
	v_add_f64 v[42:43], v[42:43], v[44:45]
	v_add_f64 v[44:45], v[46:47], v[42:43]
	v_add_f64 v[46:47], v[44:45], -v[46:47]
	v_add_f64 v[42:43], v[42:43], -v[46:47]
	v_add_f64 v[46:47], v[48:49], v[44:45]
	v_add_f64 v[50:51], v[46:47], -v[48:49]
	v_add_f64 v[54:55], v[46:47], -v[50:51]
	;; [unrolled: 1-line block ×4, first 2 shown]
	v_add_f64 v[44:45], v[44:45], v[48:49]
	v_add_f64 v[48:49], v[52:53], v[42:43]
	v_add_f64 v[50:51], v[48:49], -v[52:53]
	v_add_f64 v[44:45], v[48:49], v[44:45]
	v_add_f64 v[54:55], v[48:49], -v[50:51]
	;; [unrolled: 2-line block ×3, first 2 shown]
	v_add_f64 v[42:43], v[42:43], -v[50:51]
	v_add_f64 v[46:47], v[48:49], -v[46:47]
	v_add_f64 v[42:43], v[42:43], v[52:53]
	v_add_f64 v[44:45], v[44:45], -v[46:47]
	s_mov_b32 s20, 0
	v_add_f64 v[42:43], v[42:43], v[44:45]
	s_mov_b32 s21, 0x7ff00000
	v_add_f64 v[42:43], v[48:49], v[42:43]
	v_cmp_neq_f64_e32 vcc, s[20:21], v[40:41]
	v_mov_b32_e32 v39, 0x7ff80000
	v_cmp_ngt_f64_e64 s[20:21], -1.0, v[40:41]
	v_cndmask_b32_e32 v13, v13, v43, vcc
	s_nop 0
	v_cndmask_b32_e64 v13, v39, v13, s[20:21]
	v_cmp_nge_f64_e64 s[20:21], -1.0, v[40:41]
	s_and_b64 vcc, s[20:21], vcc
	v_cndmask_b32_e32 v42, 0, v42, vcc
	v_mov_b32_e32 v39, 0xfff00000
	v_cmp_neq_f64_e32 vcc, -1.0, v[40:41]
	s_nop 1
	v_cndmask_b32_e32 v43, v39, v13, vcc
	v_add_f64 v[40:41], v[10:11], v[42:43]
.LBB66_103:
	s_or_b64 exec, exec, s[44:45]
	v_mov_b64_e32 v[72:73], v[40:41]
.LBB66_104:
	s_or_b64 exec, exec, s[42:43]
	s_mov_b32 s42, 0x652b82fe
	s_mov_b32 s44, 0xfefa39ef
	;; [unrolled: 1-line block ×9, first 2 shown]
	v_mov_b32_e32 v39, 0
	s_movk_i32 s70, 0x1f8
	s_mov_b32 s43, 0x3ff71547
	s_mov_b32 s45, 0xbfe62e42
	;; [unrolled: 1-line block ×11, first 2 shown]
	v_mov_b32_e32 v89, 2
	v_mov_b32_e32 v42, 0xfca7ab0c
	;; [unrolled: 1-line block ×34, first 2 shown]
	s_branch .LBB66_107
.LBB66_105:                             ;   in Loop: Header=BB66_107 Depth=1
	s_or_b64 exec, exec, s[64:65]
	v_subrev_u32_e32 v38, 64, v38
	s_mov_b64 s[20:21], 0
.LBB66_106:                             ;   in Loop: Header=BB66_107 Depth=1
	s_and_b64 vcc, exec, s[20:21]
	s_cbranch_vccnz .LBB66_139
.LBB66_107:                             ; =>This Loop Header: Depth=1
                                        ;     Child Loop BB66_110 Depth 2
	v_cmp_ne_u16_sdwa s[20:21], v12, v89 src0_sel:BYTE_0 src1_sel:DWORD
	s_waitcnt lgkmcnt(0)
	v_mov_b64_e32 v[40:41], v[72:73]
	s_cmp_lg_u64 s[20:21], exec
	s_mov_b64 s[20:21], -1
                                        ; implicit-def: $vgpr72_vgpr73
                                        ; implicit-def: $vgpr12
	s_cbranch_scc1 .LBB66_106
; %bb.108:                              ;   in Loop: Header=BB66_107 Depth=1
	v_lshl_add_u64 v[72:73], v[38:39], 4, s[34:35]
	;;#ASMSTART
	global_load_dwordx4 v[10:13], v[72:73] off sc1	
s_waitcnt vmcnt(0)
	;;#ASMEND
	s_nop 0
	v_cmp_eq_u16_sdwa s[64:65], v12, v39 src0_sel:BYTE_0 src1_sel:DWORD
	s_and_saveexec_b64 s[20:21], s[64:65]
	s_cbranch_execz .LBB66_112
; %bb.109:                              ;   in Loop: Header=BB66_107 Depth=1
	s_mov_b64 s[64:65], 0
.LBB66_110:                             ;   Parent Loop BB66_107 Depth=1
                                        ; =>  This Inner Loop Header: Depth=2
	;;#ASMSTART
	global_load_dwordx4 v[10:13], v[72:73] off sc1	
s_waitcnt vmcnt(0)
	;;#ASMEND
	s_nop 0
	v_cmp_ne_u16_sdwa s[66:67], v12, v39 src0_sel:BYTE_0 src1_sel:DWORD
	s_or_b64 s[64:65], s[66:67], s[64:65]
	s_andn2_b64 exec, exec, s[64:65]
	s_cbranch_execnz .LBB66_110
; %bb.111:                              ;   in Loop: Header=BB66_107 Depth=1
	s_or_b64 exec, exec, s[64:65]
.LBB66_112:                             ;   in Loop: Header=BB66_107 Depth=1
	s_or_b64 exec, exec, s[20:21]
	v_cmp_eq_u16_sdwa s[20:21], v12, v89 src0_sel:BYTE_0 src1_sel:DWORD
	ds_bpermute_b32 v74, v78, v10
	ds_bpermute_b32 v75, v78, v11
	v_and_b32_e32 v13, s21, v9
	v_or_b32_e32 v13, 0x80000000, v13
	v_and_b32_e32 v72, s20, v8
	v_ffbl_b32_e32 v13, v13
	v_add_u32_e32 v13, 32, v13
	v_ffbl_b32_e32 v72, v72
	v_min_u32_e32 v13, v72, v13
	v_cmp_lt_u32_e32 vcc, v31, v13
	v_mov_b64_e32 v[72:73], v[10:11]
	s_and_saveexec_b64 s[64:65], vcc
	s_cbranch_execz .LBB66_116
; %bb.113:                              ;   in Loop: Header=BB66_107 Depth=1
	s_waitcnt lgkmcnt(0)
	v_max_f64 v[76:77], v[74:75], v[74:75]
	v_max_f64 v[94:95], v[10:11], v[10:11]
	v_min_f64 v[72:73], v[76:77], v[94:95]
	v_cmp_u_f64_e32 vcc, v[74:75], v[74:75]
	v_max_f64 v[76:77], v[76:77], v[94:95]
	v_cmp_u_f64_e64 s[20:21], v[10:11], v[10:11]
	v_cndmask_b32_e32 v73, v73, v75, vcc
	v_cndmask_b32_e32 v72, v72, v74, vcc
	;; [unrolled: 1-line block ×4, first 2 shown]
	v_cndmask_b32_e64 v73, v73, v11, s[20:21]
	v_cndmask_b32_e64 v72, v72, v10, s[20:21]
	;; [unrolled: 1-line block ×4, first 2 shown]
	v_cmp_neq_f64_e32 vcc, v[72:73], v[10:11]
	v_cmp_class_f64_e64 s[20:21], v[72:73], s70
	s_or_b64 s[20:21], vcc, s[20:21]
	s_and_saveexec_b64 s[66:67], s[20:21]
	s_cbranch_execz .LBB66_115
; %bb.114:                              ;   in Loop: Header=BB66_107 Depth=1
	v_add_f64 v[72:73], v[72:73], -v[10:11]
	v_mul_f64 v[74:75], v[72:73], s[42:43]
	v_rndne_f64_e32 v[74:75], v[74:75]
	v_fma_f64 v[76:77], s[44:45], v[74:75], v[72:73]
	v_fmac_f64_e32 v[76:77], s[46:47], v[74:75]
	v_mov_b64_e32 v[94:95], v[42:43]
	v_fmac_f64_e32 v[94:95], s[48:49], v[76:77]
	v_mov_b64_e32 v[96:97], v[44:45]
	;; [unrolled: 2-line block ×9, first 2 shown]
	v_fmac_f64_e32 v[94:95], v[76:77], v[96:97]
	v_fma_f64 v[94:95], v[76:77], v[94:95], 1.0
	v_fma_f64 v[76:77], v[76:77], v[94:95], 1.0
	v_cvt_i32_f64_e32 v74, v[74:75]
	v_ldexp_f64 v[74:75], v[76:77], v74
	v_cmp_nlt_f64_e32 vcc, s[50:51], v[72:73]
	v_cmp_ngt_f64_e64 s[20:21], s[52:53], v[72:73]
	s_mov_b32 s58, s44
	v_cndmask_b32_e32 v75, v90, v75, vcc
	s_and_b64 vcc, s[20:21], vcc
	v_cndmask_b32_e64 v73, 0, v75, s[20:21]
	v_cndmask_b32_e32 v72, 0, v74, vcc
	v_add_f64 v[74:75], v[72:73], 1.0
	v_add_f64 v[76:77], v[74:75], -1.0
	v_add_f64 v[94:95], v[76:77], -v[74:75]
	v_add_f64 v[94:95], v[94:95], 1.0
	v_add_f64 v[76:77], v[72:73], -v[76:77]
	v_add_f64 v[76:77], v[76:77], v[94:95]
	v_frexp_mant_f64_e32 v[94:95], v[74:75]
	v_frexp_exp_i32_f64_e32 v93, v[74:75]
	v_cmp_gt_f64_e32 vcc, s[54:55], v[94:95]
	s_mov_b32 s60, s46
	v_cmp_ngt_f64_e64 s[20:21], -1.0, v[72:73]
	v_subbrev_co_u32_e32 v93, vcc, 0, v93, vcc
	v_sub_u32_e32 v94, 0, v93
	v_ldexp_f64 v[74:75], v[74:75], v94
	v_ldexp_f64 v[76:77], v[76:77], v94
	v_add_f64 v[94:95], v[74:75], -1.0
	v_add_f64 v[100:101], v[74:75], 1.0
	v_add_f64 v[96:97], v[94:95], 1.0
	v_add_f64 v[102:103], v[100:101], -1.0
	v_add_f64 v[96:97], v[74:75], -v[96:97]
	v_add_f64 v[74:75], v[74:75], -v[102:103]
	v_add_f64 v[74:75], v[76:77], v[74:75]
	v_add_f64 v[96:97], v[76:77], v[96:97]
	;; [unrolled: 1-line block ×3, first 2 shown]
	v_rcp_f64_e32 v[102:103], v[76:77]
	v_add_f64 v[98:99], v[94:95], v[96:97]
	v_add_f64 v[94:95], v[98:99], -v[94:95]
	v_add_f64 v[94:95], v[96:97], -v[94:95]
	;; [unrolled: 1-line block ×4, first 2 shown]
	v_fma_f64 v[96:97], -v[76:77], v[102:103], 1.0
	v_fmac_f64_e32 v[102:103], v[96:97], v[102:103]
	v_fma_f64 v[96:97], -v[76:77], v[102:103], 1.0
	v_fmac_f64_e32 v[102:103], v[96:97], v[102:103]
	v_mul_f64 v[96:97], v[98:99], v[102:103]
	v_mul_f64 v[100:101], v[76:77], v[96:97]
	v_fma_f64 v[104:105], v[96:97], v[76:77], -v[100:101]
	v_fmac_f64_e32 v[104:105], v[96:97], v[74:75]
	v_add_f64 v[106:107], v[100:101], v[104:105]
	v_add_f64 v[108:109], v[98:99], -v[106:107]
	v_add_f64 v[98:99], v[98:99], -v[108:109]
	;; [unrolled: 1-line block ×4, first 2 shown]
	v_add_f64 v[94:95], v[94:95], v[98:99]
	v_add_f64 v[98:99], v[100:101], -v[104:105]
	v_add_f64 v[94:95], v[98:99], v[94:95]
	v_add_f64 v[98:99], v[108:109], v[94:95]
	v_add_f64 v[100:101], v[108:109], -v[98:99]
	v_add_f64 v[94:95], v[94:95], v[100:101]
	v_mul_f64 v[100:101], v[102:103], v[98:99]
	v_mul_f64 v[104:105], v[76:77], v[100:101]
	v_fma_f64 v[76:77], v[100:101], v[76:77], -v[104:105]
	v_fmac_f64_e32 v[76:77], v[100:101], v[74:75]
	v_add_f64 v[74:75], v[104:105], v[76:77]
	v_add_f64 v[106:107], v[98:99], -v[74:75]
	v_add_f64 v[98:99], v[98:99], -v[106:107]
	;; [unrolled: 1-line block ×4, first 2 shown]
	v_add_f64 v[74:75], v[94:95], v[74:75]
	v_add_f64 v[76:77], v[104:105], -v[76:77]
	v_add_f64 v[74:75], v[76:77], v[74:75]
	v_add_f64 v[76:77], v[96:97], v[100:101]
	;; [unrolled: 1-line block ×3, first 2 shown]
	v_add_f64 v[94:95], v[76:77], -v[96:97]
	v_mul_f64 v[74:75], v[102:103], v[74:75]
	v_add_f64 v[94:95], v[100:101], -v[94:95]
	v_add_f64 v[74:75], v[94:95], v[74:75]
	v_add_f64 v[94:95], v[76:77], v[74:75]
	v_add_f64 v[76:77], v[94:95], -v[76:77]
	v_add_f64 v[74:75], v[74:75], -v[76:77]
	v_mul_f64 v[76:77], v[94:95], v[94:95]
	v_mov_b64_e32 v[96:97], v[60:61]
	v_fmac_f64_e32 v[96:97], s[56:57], v[76:77]
	v_mov_b64_e32 v[98:99], v[62:63]
	v_fmac_f64_e32 v[98:99], v[76:77], v[96:97]
	;; [unrolled: 2-line block ×6, first 2 shown]
	v_cvt_f64_i32_e32 v[96:97], v93
	v_mul_f64 v[100:101], v[96:97], s[58:59]
	v_fma_f64 v[102:103], v[96:97], s[58:59], -v[100:101]
	v_fmac_f64_e32 v[102:103], s[60:61], v[96:97]
	v_add_f64 v[96:97], v[100:101], v[102:103]
	v_add_f64 v[100:101], v[96:97], -v[100:101]
	v_mul_f64 v[76:77], v[94:95], v[76:77]
	v_add_f64 v[100:101], v[102:103], -v[100:101]
	v_ldexp_f64 v[102:103], v[94:95], 1
	v_mul_f64 v[76:77], v[76:77], v[98:99]
	v_add_f64 v[94:95], v[102:103], v[76:77]
	v_add_f64 v[98:99], v[94:95], -v[102:103]
	v_ldexp_f64 v[74:75], v[74:75], 1
	v_add_f64 v[76:77], v[76:77], -v[98:99]
	v_add_f64 v[74:75], v[74:75], v[76:77]
	v_add_f64 v[76:77], v[94:95], v[74:75]
	v_add_f64 v[94:95], v[76:77], -v[94:95]
	v_add_f64 v[74:75], v[74:75], -v[94:95]
	v_add_f64 v[94:95], v[96:97], v[76:77]
	v_add_f64 v[98:99], v[94:95], -v[96:97]
	v_add_f64 v[102:103], v[94:95], -v[98:99]
	;; [unrolled: 1-line block ×4, first 2 shown]
	v_add_f64 v[76:77], v[76:77], v[96:97]
	v_add_f64 v[96:97], v[100:101], v[74:75]
	v_add_f64 v[98:99], v[96:97], -v[100:101]
	v_add_f64 v[76:77], v[96:97], v[76:77]
	v_add_f64 v[102:103], v[96:97], -v[98:99]
	;; [unrolled: 2-line block ×3, first 2 shown]
	v_add_f64 v[74:75], v[74:75], -v[98:99]
	v_add_f64 v[94:95], v[96:97], -v[94:95]
	v_add_f64 v[74:75], v[74:75], v[100:101]
	v_add_f64 v[76:77], v[76:77], -v[94:95]
	v_add_f64 v[74:75], v[74:75], v[76:77]
	v_add_f64 v[74:75], v[96:97], v[74:75]
	v_cmp_neq_f64_e32 vcc, s[62:63], v[72:73]
	s_nop 1
	v_cndmask_b32_e32 v75, v90, v75, vcc
	v_cndmask_b32_e64 v75, v91, v75, s[20:21]
	v_cmp_nge_f64_e64 s[20:21], -1.0, v[72:73]
	s_and_b64 vcc, s[20:21], vcc
	v_cndmask_b32_e32 v74, 0, v74, vcc
	v_cmp_neq_f64_e32 vcc, -1.0, v[72:73]
	s_nop 1
	v_cndmask_b32_e32 v75, v92, v75, vcc
	v_add_f64 v[74:75], v[10:11], v[74:75]
.LBB66_115:                             ;   in Loop: Header=BB66_107 Depth=1
	s_or_b64 exec, exec, s[66:67]
	v_mov_b32_e32 v10, v74
	v_mov_b32_e32 v11, v75
	v_mov_b64_e32 v[72:73], v[74:75]
.LBB66_116:                             ;   in Loop: Header=BB66_107 Depth=1
	s_or_b64 exec, exec, s[64:65]
	s_waitcnt lgkmcnt(1)
	ds_bpermute_b32 v74, v79, v10
	s_waitcnt lgkmcnt(1)
	ds_bpermute_b32 v75, v79, v11
	v_cmp_le_u32_e32 vcc, v80, v13
	s_and_saveexec_b64 s[64:65], vcc
	s_cbranch_execz .LBB66_120
; %bb.117:                              ;   in Loop: Header=BB66_107 Depth=1
	s_waitcnt lgkmcnt(0)
	v_max_f64 v[10:11], v[74:75], v[74:75]
	v_max_f64 v[94:95], v[72:73], v[72:73]
	v_min_f64 v[76:77], v[10:11], v[94:95]
	v_cmp_u_f64_e32 vcc, v[74:75], v[74:75]
	v_max_f64 v[10:11], v[10:11], v[94:95]
	v_cmp_u_f64_e64 s[20:21], v[72:73], v[72:73]
	v_cndmask_b32_e32 v77, v77, v75, vcc
	v_cndmask_b32_e32 v76, v76, v74, vcc
	;; [unrolled: 1-line block ×4, first 2 shown]
	v_cndmask_b32_e64 v77, v77, v73, s[20:21]
	v_cndmask_b32_e64 v76, v76, v72, s[20:21]
	;; [unrolled: 1-line block ×4, first 2 shown]
	v_cmp_neq_f64_e32 vcc, v[76:77], v[10:11]
	v_cmp_class_f64_e64 s[20:21], v[76:77], s70
	s_or_b64 s[20:21], vcc, s[20:21]
	s_and_saveexec_b64 s[66:67], s[20:21]
	s_cbranch_execz .LBB66_119
; %bb.118:                              ;   in Loop: Header=BB66_107 Depth=1
	v_add_f64 v[72:73], v[76:77], -v[10:11]
	v_mul_f64 v[74:75], v[72:73], s[42:43]
	v_rndne_f64_e32 v[74:75], v[74:75]
	v_fma_f64 v[76:77], s[44:45], v[74:75], v[72:73]
	v_fmac_f64_e32 v[76:77], s[46:47], v[74:75]
	v_mov_b64_e32 v[94:95], v[42:43]
	v_fmac_f64_e32 v[94:95], s[48:49], v[76:77]
	v_mov_b64_e32 v[96:97], v[44:45]
	;; [unrolled: 2-line block ×9, first 2 shown]
	v_fmac_f64_e32 v[94:95], v[76:77], v[96:97]
	v_fma_f64 v[94:95], v[76:77], v[94:95], 1.0
	v_fma_f64 v[76:77], v[76:77], v[94:95], 1.0
	v_cvt_i32_f64_e32 v74, v[74:75]
	v_ldexp_f64 v[74:75], v[76:77], v74
	v_cmp_nlt_f64_e32 vcc, s[50:51], v[72:73]
	v_cmp_ngt_f64_e64 s[20:21], s[52:53], v[72:73]
	s_mov_b32 s58, s44
	v_cndmask_b32_e32 v75, v90, v75, vcc
	s_and_b64 vcc, s[20:21], vcc
	v_cndmask_b32_e64 v73, 0, v75, s[20:21]
	v_cndmask_b32_e32 v72, 0, v74, vcc
	v_add_f64 v[74:75], v[72:73], 1.0
	v_add_f64 v[76:77], v[74:75], -1.0
	v_add_f64 v[94:95], v[76:77], -v[74:75]
	v_add_f64 v[94:95], v[94:95], 1.0
	v_add_f64 v[76:77], v[72:73], -v[76:77]
	v_add_f64 v[76:77], v[76:77], v[94:95]
	v_frexp_mant_f64_e32 v[94:95], v[74:75]
	v_frexp_exp_i32_f64_e32 v93, v[74:75]
	v_cmp_gt_f64_e32 vcc, s[54:55], v[94:95]
	s_mov_b32 s60, s46
	v_cmp_ngt_f64_e64 s[20:21], -1.0, v[72:73]
	v_subbrev_co_u32_e32 v93, vcc, 0, v93, vcc
	v_sub_u32_e32 v94, 0, v93
	v_ldexp_f64 v[74:75], v[74:75], v94
	v_ldexp_f64 v[76:77], v[76:77], v94
	v_add_f64 v[94:95], v[74:75], -1.0
	v_add_f64 v[100:101], v[74:75], 1.0
	v_add_f64 v[96:97], v[94:95], 1.0
	v_add_f64 v[102:103], v[100:101], -1.0
	v_add_f64 v[96:97], v[74:75], -v[96:97]
	v_add_f64 v[74:75], v[74:75], -v[102:103]
	v_add_f64 v[74:75], v[76:77], v[74:75]
	v_add_f64 v[96:97], v[76:77], v[96:97]
	;; [unrolled: 1-line block ×3, first 2 shown]
	v_rcp_f64_e32 v[102:103], v[76:77]
	v_add_f64 v[98:99], v[94:95], v[96:97]
	v_add_f64 v[94:95], v[98:99], -v[94:95]
	v_add_f64 v[94:95], v[96:97], -v[94:95]
	;; [unrolled: 1-line block ×4, first 2 shown]
	v_fma_f64 v[96:97], -v[76:77], v[102:103], 1.0
	v_fmac_f64_e32 v[102:103], v[96:97], v[102:103]
	v_fma_f64 v[96:97], -v[76:77], v[102:103], 1.0
	v_fmac_f64_e32 v[102:103], v[96:97], v[102:103]
	v_mul_f64 v[96:97], v[98:99], v[102:103]
	v_mul_f64 v[100:101], v[76:77], v[96:97]
	v_fma_f64 v[104:105], v[96:97], v[76:77], -v[100:101]
	v_fmac_f64_e32 v[104:105], v[96:97], v[74:75]
	v_add_f64 v[106:107], v[100:101], v[104:105]
	v_add_f64 v[108:109], v[98:99], -v[106:107]
	v_add_f64 v[98:99], v[98:99], -v[108:109]
	;; [unrolled: 1-line block ×4, first 2 shown]
	v_add_f64 v[94:95], v[94:95], v[98:99]
	v_add_f64 v[98:99], v[100:101], -v[104:105]
	v_add_f64 v[94:95], v[98:99], v[94:95]
	v_add_f64 v[98:99], v[108:109], v[94:95]
	v_add_f64 v[100:101], v[108:109], -v[98:99]
	v_add_f64 v[94:95], v[94:95], v[100:101]
	v_mul_f64 v[100:101], v[102:103], v[98:99]
	v_mul_f64 v[104:105], v[76:77], v[100:101]
	v_fma_f64 v[76:77], v[100:101], v[76:77], -v[104:105]
	v_fmac_f64_e32 v[76:77], v[100:101], v[74:75]
	v_add_f64 v[74:75], v[104:105], v[76:77]
	v_add_f64 v[106:107], v[98:99], -v[74:75]
	v_add_f64 v[98:99], v[98:99], -v[106:107]
	;; [unrolled: 1-line block ×4, first 2 shown]
	v_add_f64 v[74:75], v[94:95], v[74:75]
	v_add_f64 v[76:77], v[104:105], -v[76:77]
	v_add_f64 v[74:75], v[76:77], v[74:75]
	v_add_f64 v[76:77], v[96:97], v[100:101]
	;; [unrolled: 1-line block ×3, first 2 shown]
	v_add_f64 v[94:95], v[76:77], -v[96:97]
	v_mul_f64 v[74:75], v[102:103], v[74:75]
	v_add_f64 v[94:95], v[100:101], -v[94:95]
	v_add_f64 v[74:75], v[94:95], v[74:75]
	v_add_f64 v[94:95], v[76:77], v[74:75]
	v_add_f64 v[76:77], v[94:95], -v[76:77]
	v_add_f64 v[74:75], v[74:75], -v[76:77]
	v_mul_f64 v[76:77], v[94:95], v[94:95]
	v_mov_b64_e32 v[96:97], v[60:61]
	v_fmac_f64_e32 v[96:97], s[56:57], v[76:77]
	v_mov_b64_e32 v[98:99], v[62:63]
	v_fmac_f64_e32 v[98:99], v[76:77], v[96:97]
	;; [unrolled: 2-line block ×6, first 2 shown]
	v_cvt_f64_i32_e32 v[96:97], v93
	v_mul_f64 v[100:101], v[96:97], s[58:59]
	v_fma_f64 v[102:103], v[96:97], s[58:59], -v[100:101]
	v_fmac_f64_e32 v[102:103], s[60:61], v[96:97]
	v_add_f64 v[96:97], v[100:101], v[102:103]
	v_add_f64 v[100:101], v[96:97], -v[100:101]
	v_mul_f64 v[76:77], v[94:95], v[76:77]
	v_add_f64 v[100:101], v[102:103], -v[100:101]
	v_ldexp_f64 v[102:103], v[94:95], 1
	v_mul_f64 v[76:77], v[76:77], v[98:99]
	v_add_f64 v[94:95], v[102:103], v[76:77]
	v_add_f64 v[98:99], v[94:95], -v[102:103]
	v_ldexp_f64 v[74:75], v[74:75], 1
	v_add_f64 v[76:77], v[76:77], -v[98:99]
	v_add_f64 v[74:75], v[74:75], v[76:77]
	v_add_f64 v[76:77], v[94:95], v[74:75]
	v_add_f64 v[94:95], v[76:77], -v[94:95]
	v_add_f64 v[74:75], v[74:75], -v[94:95]
	v_add_f64 v[94:95], v[96:97], v[76:77]
	v_add_f64 v[98:99], v[94:95], -v[96:97]
	v_add_f64 v[102:103], v[94:95], -v[98:99]
	;; [unrolled: 1-line block ×4, first 2 shown]
	v_add_f64 v[76:77], v[76:77], v[96:97]
	v_add_f64 v[96:97], v[100:101], v[74:75]
	v_add_f64 v[98:99], v[96:97], -v[100:101]
	v_add_f64 v[76:77], v[96:97], v[76:77]
	v_add_f64 v[102:103], v[96:97], -v[98:99]
	;; [unrolled: 2-line block ×3, first 2 shown]
	v_add_f64 v[74:75], v[74:75], -v[98:99]
	v_add_f64 v[94:95], v[96:97], -v[94:95]
	v_add_f64 v[74:75], v[74:75], v[100:101]
	v_add_f64 v[76:77], v[76:77], -v[94:95]
	v_add_f64 v[74:75], v[74:75], v[76:77]
	v_add_f64 v[74:75], v[96:97], v[74:75]
	v_cmp_neq_f64_e32 vcc, s[62:63], v[72:73]
	s_nop 1
	v_cndmask_b32_e32 v75, v90, v75, vcc
	v_cndmask_b32_e64 v75, v91, v75, s[20:21]
	v_cmp_nge_f64_e64 s[20:21], -1.0, v[72:73]
	s_and_b64 vcc, s[20:21], vcc
	v_cndmask_b32_e32 v74, 0, v74, vcc
	v_cmp_neq_f64_e32 vcc, -1.0, v[72:73]
	s_nop 1
	v_cndmask_b32_e32 v75, v92, v75, vcc
	v_add_f64 v[74:75], v[10:11], v[74:75]
.LBB66_119:                             ;   in Loop: Header=BB66_107 Depth=1
	s_or_b64 exec, exec, s[66:67]
	v_mov_b32_e32 v10, v74
	v_mov_b32_e32 v11, v75
	v_mov_b64_e32 v[72:73], v[74:75]
.LBB66_120:                             ;   in Loop: Header=BB66_107 Depth=1
	s_or_b64 exec, exec, s[64:65]
	s_waitcnt lgkmcnt(1)
	ds_bpermute_b32 v74, v81, v10
	s_waitcnt lgkmcnt(1)
	ds_bpermute_b32 v75, v81, v11
	v_cmp_le_u32_e32 vcc, v82, v13
	s_and_saveexec_b64 s[64:65], vcc
	s_cbranch_execz .LBB66_124
; %bb.121:                              ;   in Loop: Header=BB66_107 Depth=1
	s_waitcnt lgkmcnt(0)
	v_max_f64 v[10:11], v[74:75], v[74:75]
	v_max_f64 v[94:95], v[72:73], v[72:73]
	v_min_f64 v[76:77], v[10:11], v[94:95]
	v_cmp_u_f64_e32 vcc, v[74:75], v[74:75]
	v_max_f64 v[10:11], v[10:11], v[94:95]
	v_cmp_u_f64_e64 s[20:21], v[72:73], v[72:73]
	v_cndmask_b32_e32 v77, v77, v75, vcc
	v_cndmask_b32_e32 v76, v76, v74, vcc
	;; [unrolled: 1-line block ×4, first 2 shown]
	v_cndmask_b32_e64 v77, v77, v73, s[20:21]
	v_cndmask_b32_e64 v76, v76, v72, s[20:21]
	;; [unrolled: 1-line block ×4, first 2 shown]
	v_cmp_neq_f64_e32 vcc, v[76:77], v[10:11]
	v_cmp_class_f64_e64 s[20:21], v[76:77], s70
	s_or_b64 s[20:21], vcc, s[20:21]
	s_and_saveexec_b64 s[66:67], s[20:21]
	s_cbranch_execz .LBB66_123
; %bb.122:                              ;   in Loop: Header=BB66_107 Depth=1
	v_add_f64 v[72:73], v[76:77], -v[10:11]
	v_mul_f64 v[74:75], v[72:73], s[42:43]
	v_rndne_f64_e32 v[74:75], v[74:75]
	v_fma_f64 v[76:77], s[44:45], v[74:75], v[72:73]
	v_fmac_f64_e32 v[76:77], s[46:47], v[74:75]
	v_mov_b64_e32 v[94:95], v[42:43]
	v_fmac_f64_e32 v[94:95], s[48:49], v[76:77]
	v_mov_b64_e32 v[96:97], v[44:45]
	;; [unrolled: 2-line block ×9, first 2 shown]
	v_fmac_f64_e32 v[94:95], v[76:77], v[96:97]
	v_fma_f64 v[94:95], v[76:77], v[94:95], 1.0
	v_fma_f64 v[76:77], v[76:77], v[94:95], 1.0
	v_cvt_i32_f64_e32 v74, v[74:75]
	v_ldexp_f64 v[74:75], v[76:77], v74
	v_cmp_nlt_f64_e32 vcc, s[50:51], v[72:73]
	v_cmp_ngt_f64_e64 s[20:21], s[52:53], v[72:73]
	s_mov_b32 s58, s44
	v_cndmask_b32_e32 v75, v90, v75, vcc
	s_and_b64 vcc, s[20:21], vcc
	v_cndmask_b32_e64 v73, 0, v75, s[20:21]
	v_cndmask_b32_e32 v72, 0, v74, vcc
	v_add_f64 v[74:75], v[72:73], 1.0
	v_add_f64 v[76:77], v[74:75], -1.0
	v_add_f64 v[94:95], v[76:77], -v[74:75]
	v_add_f64 v[94:95], v[94:95], 1.0
	v_add_f64 v[76:77], v[72:73], -v[76:77]
	v_add_f64 v[76:77], v[76:77], v[94:95]
	v_frexp_mant_f64_e32 v[94:95], v[74:75]
	v_frexp_exp_i32_f64_e32 v93, v[74:75]
	v_cmp_gt_f64_e32 vcc, s[54:55], v[94:95]
	s_mov_b32 s60, s46
	v_cmp_ngt_f64_e64 s[20:21], -1.0, v[72:73]
	v_subbrev_co_u32_e32 v93, vcc, 0, v93, vcc
	v_sub_u32_e32 v94, 0, v93
	v_ldexp_f64 v[74:75], v[74:75], v94
	v_ldexp_f64 v[76:77], v[76:77], v94
	v_add_f64 v[94:95], v[74:75], -1.0
	v_add_f64 v[100:101], v[74:75], 1.0
	v_add_f64 v[96:97], v[94:95], 1.0
	v_add_f64 v[102:103], v[100:101], -1.0
	v_add_f64 v[96:97], v[74:75], -v[96:97]
	v_add_f64 v[74:75], v[74:75], -v[102:103]
	v_add_f64 v[74:75], v[76:77], v[74:75]
	v_add_f64 v[96:97], v[76:77], v[96:97]
	;; [unrolled: 1-line block ×3, first 2 shown]
	v_rcp_f64_e32 v[102:103], v[76:77]
	v_add_f64 v[98:99], v[94:95], v[96:97]
	v_add_f64 v[94:95], v[98:99], -v[94:95]
	v_add_f64 v[94:95], v[96:97], -v[94:95]
	;; [unrolled: 1-line block ×4, first 2 shown]
	v_fma_f64 v[96:97], -v[76:77], v[102:103], 1.0
	v_fmac_f64_e32 v[102:103], v[96:97], v[102:103]
	v_fma_f64 v[96:97], -v[76:77], v[102:103], 1.0
	v_fmac_f64_e32 v[102:103], v[96:97], v[102:103]
	v_mul_f64 v[96:97], v[98:99], v[102:103]
	v_mul_f64 v[100:101], v[76:77], v[96:97]
	v_fma_f64 v[104:105], v[96:97], v[76:77], -v[100:101]
	v_fmac_f64_e32 v[104:105], v[96:97], v[74:75]
	v_add_f64 v[106:107], v[100:101], v[104:105]
	v_add_f64 v[108:109], v[98:99], -v[106:107]
	v_add_f64 v[98:99], v[98:99], -v[108:109]
	;; [unrolled: 1-line block ×4, first 2 shown]
	v_add_f64 v[94:95], v[94:95], v[98:99]
	v_add_f64 v[98:99], v[100:101], -v[104:105]
	v_add_f64 v[94:95], v[98:99], v[94:95]
	v_add_f64 v[98:99], v[108:109], v[94:95]
	v_add_f64 v[100:101], v[108:109], -v[98:99]
	v_add_f64 v[94:95], v[94:95], v[100:101]
	v_mul_f64 v[100:101], v[102:103], v[98:99]
	v_mul_f64 v[104:105], v[76:77], v[100:101]
	v_fma_f64 v[76:77], v[100:101], v[76:77], -v[104:105]
	v_fmac_f64_e32 v[76:77], v[100:101], v[74:75]
	v_add_f64 v[74:75], v[104:105], v[76:77]
	v_add_f64 v[106:107], v[98:99], -v[74:75]
	v_add_f64 v[98:99], v[98:99], -v[106:107]
	;; [unrolled: 1-line block ×4, first 2 shown]
	v_add_f64 v[74:75], v[94:95], v[74:75]
	v_add_f64 v[76:77], v[104:105], -v[76:77]
	v_add_f64 v[74:75], v[76:77], v[74:75]
	v_add_f64 v[76:77], v[96:97], v[100:101]
	;; [unrolled: 1-line block ×3, first 2 shown]
	v_add_f64 v[94:95], v[76:77], -v[96:97]
	v_mul_f64 v[74:75], v[102:103], v[74:75]
	v_add_f64 v[94:95], v[100:101], -v[94:95]
	v_add_f64 v[74:75], v[94:95], v[74:75]
	v_add_f64 v[94:95], v[76:77], v[74:75]
	v_add_f64 v[76:77], v[94:95], -v[76:77]
	v_add_f64 v[74:75], v[74:75], -v[76:77]
	v_mul_f64 v[76:77], v[94:95], v[94:95]
	v_mov_b64_e32 v[96:97], v[60:61]
	v_fmac_f64_e32 v[96:97], s[56:57], v[76:77]
	v_mov_b64_e32 v[98:99], v[62:63]
	v_fmac_f64_e32 v[98:99], v[76:77], v[96:97]
	;; [unrolled: 2-line block ×6, first 2 shown]
	v_cvt_f64_i32_e32 v[96:97], v93
	v_mul_f64 v[100:101], v[96:97], s[58:59]
	v_fma_f64 v[102:103], v[96:97], s[58:59], -v[100:101]
	v_fmac_f64_e32 v[102:103], s[60:61], v[96:97]
	v_add_f64 v[96:97], v[100:101], v[102:103]
	v_add_f64 v[100:101], v[96:97], -v[100:101]
	v_mul_f64 v[76:77], v[94:95], v[76:77]
	v_add_f64 v[100:101], v[102:103], -v[100:101]
	v_ldexp_f64 v[102:103], v[94:95], 1
	v_mul_f64 v[76:77], v[76:77], v[98:99]
	v_add_f64 v[94:95], v[102:103], v[76:77]
	v_add_f64 v[98:99], v[94:95], -v[102:103]
	v_ldexp_f64 v[74:75], v[74:75], 1
	v_add_f64 v[76:77], v[76:77], -v[98:99]
	v_add_f64 v[74:75], v[74:75], v[76:77]
	v_add_f64 v[76:77], v[94:95], v[74:75]
	v_add_f64 v[94:95], v[76:77], -v[94:95]
	v_add_f64 v[74:75], v[74:75], -v[94:95]
	v_add_f64 v[94:95], v[96:97], v[76:77]
	v_add_f64 v[98:99], v[94:95], -v[96:97]
	v_add_f64 v[102:103], v[94:95], -v[98:99]
	;; [unrolled: 1-line block ×4, first 2 shown]
	v_add_f64 v[76:77], v[76:77], v[96:97]
	v_add_f64 v[96:97], v[100:101], v[74:75]
	v_add_f64 v[98:99], v[96:97], -v[100:101]
	v_add_f64 v[76:77], v[96:97], v[76:77]
	v_add_f64 v[102:103], v[96:97], -v[98:99]
	;; [unrolled: 2-line block ×3, first 2 shown]
	v_add_f64 v[74:75], v[74:75], -v[98:99]
	v_add_f64 v[94:95], v[96:97], -v[94:95]
	v_add_f64 v[74:75], v[74:75], v[100:101]
	v_add_f64 v[76:77], v[76:77], -v[94:95]
	v_add_f64 v[74:75], v[74:75], v[76:77]
	v_add_f64 v[74:75], v[96:97], v[74:75]
	v_cmp_neq_f64_e32 vcc, s[62:63], v[72:73]
	s_nop 1
	v_cndmask_b32_e32 v75, v90, v75, vcc
	v_cndmask_b32_e64 v75, v91, v75, s[20:21]
	v_cmp_nge_f64_e64 s[20:21], -1.0, v[72:73]
	s_and_b64 vcc, s[20:21], vcc
	v_cndmask_b32_e32 v74, 0, v74, vcc
	v_cmp_neq_f64_e32 vcc, -1.0, v[72:73]
	s_nop 1
	v_cndmask_b32_e32 v75, v92, v75, vcc
	v_add_f64 v[74:75], v[10:11], v[74:75]
.LBB66_123:                             ;   in Loop: Header=BB66_107 Depth=1
	s_or_b64 exec, exec, s[66:67]
	v_mov_b32_e32 v10, v74
	v_mov_b32_e32 v11, v75
	v_mov_b64_e32 v[72:73], v[74:75]
.LBB66_124:                             ;   in Loop: Header=BB66_107 Depth=1
	s_or_b64 exec, exec, s[64:65]
	s_waitcnt lgkmcnt(1)
	ds_bpermute_b32 v74, v83, v10
	s_waitcnt lgkmcnt(1)
	ds_bpermute_b32 v75, v83, v11
	v_cmp_le_u32_e32 vcc, v84, v13
	s_and_saveexec_b64 s[64:65], vcc
	s_cbranch_execz .LBB66_128
; %bb.125:                              ;   in Loop: Header=BB66_107 Depth=1
	s_waitcnt lgkmcnt(0)
	v_max_f64 v[10:11], v[74:75], v[74:75]
	v_max_f64 v[94:95], v[72:73], v[72:73]
	v_min_f64 v[76:77], v[10:11], v[94:95]
	v_cmp_u_f64_e32 vcc, v[74:75], v[74:75]
	v_max_f64 v[10:11], v[10:11], v[94:95]
	v_cmp_u_f64_e64 s[20:21], v[72:73], v[72:73]
	v_cndmask_b32_e32 v77, v77, v75, vcc
	v_cndmask_b32_e32 v76, v76, v74, vcc
	;; [unrolled: 1-line block ×4, first 2 shown]
	v_cndmask_b32_e64 v77, v77, v73, s[20:21]
	v_cndmask_b32_e64 v76, v76, v72, s[20:21]
	;; [unrolled: 1-line block ×4, first 2 shown]
	v_cmp_neq_f64_e32 vcc, v[76:77], v[10:11]
	v_cmp_class_f64_e64 s[20:21], v[76:77], s70
	s_or_b64 s[20:21], vcc, s[20:21]
	s_and_saveexec_b64 s[66:67], s[20:21]
	s_cbranch_execz .LBB66_127
; %bb.126:                              ;   in Loop: Header=BB66_107 Depth=1
	v_add_f64 v[72:73], v[76:77], -v[10:11]
	v_mul_f64 v[74:75], v[72:73], s[42:43]
	v_rndne_f64_e32 v[74:75], v[74:75]
	v_fma_f64 v[76:77], s[44:45], v[74:75], v[72:73]
	v_fmac_f64_e32 v[76:77], s[46:47], v[74:75]
	v_mov_b64_e32 v[94:95], v[42:43]
	v_fmac_f64_e32 v[94:95], s[48:49], v[76:77]
	v_mov_b64_e32 v[96:97], v[44:45]
	;; [unrolled: 2-line block ×9, first 2 shown]
	v_fmac_f64_e32 v[94:95], v[76:77], v[96:97]
	v_fma_f64 v[94:95], v[76:77], v[94:95], 1.0
	v_fma_f64 v[76:77], v[76:77], v[94:95], 1.0
	v_cvt_i32_f64_e32 v74, v[74:75]
	v_ldexp_f64 v[74:75], v[76:77], v74
	v_cmp_nlt_f64_e32 vcc, s[50:51], v[72:73]
	v_cmp_ngt_f64_e64 s[20:21], s[52:53], v[72:73]
	s_mov_b32 s58, s44
	v_cndmask_b32_e32 v75, v90, v75, vcc
	s_and_b64 vcc, s[20:21], vcc
	v_cndmask_b32_e64 v73, 0, v75, s[20:21]
	v_cndmask_b32_e32 v72, 0, v74, vcc
	v_add_f64 v[74:75], v[72:73], 1.0
	v_add_f64 v[76:77], v[74:75], -1.0
	v_add_f64 v[94:95], v[76:77], -v[74:75]
	v_add_f64 v[94:95], v[94:95], 1.0
	v_add_f64 v[76:77], v[72:73], -v[76:77]
	v_add_f64 v[76:77], v[76:77], v[94:95]
	v_frexp_mant_f64_e32 v[94:95], v[74:75]
	v_frexp_exp_i32_f64_e32 v93, v[74:75]
	v_cmp_gt_f64_e32 vcc, s[54:55], v[94:95]
	s_mov_b32 s60, s46
	v_cmp_ngt_f64_e64 s[20:21], -1.0, v[72:73]
	v_subbrev_co_u32_e32 v93, vcc, 0, v93, vcc
	v_sub_u32_e32 v94, 0, v93
	v_ldexp_f64 v[74:75], v[74:75], v94
	v_ldexp_f64 v[76:77], v[76:77], v94
	v_add_f64 v[94:95], v[74:75], -1.0
	v_add_f64 v[100:101], v[74:75], 1.0
	v_add_f64 v[96:97], v[94:95], 1.0
	v_add_f64 v[102:103], v[100:101], -1.0
	v_add_f64 v[96:97], v[74:75], -v[96:97]
	v_add_f64 v[74:75], v[74:75], -v[102:103]
	v_add_f64 v[74:75], v[76:77], v[74:75]
	v_add_f64 v[96:97], v[76:77], v[96:97]
	;; [unrolled: 1-line block ×3, first 2 shown]
	v_rcp_f64_e32 v[102:103], v[76:77]
	v_add_f64 v[98:99], v[94:95], v[96:97]
	v_add_f64 v[94:95], v[98:99], -v[94:95]
	v_add_f64 v[94:95], v[96:97], -v[94:95]
	;; [unrolled: 1-line block ×4, first 2 shown]
	v_fma_f64 v[96:97], -v[76:77], v[102:103], 1.0
	v_fmac_f64_e32 v[102:103], v[96:97], v[102:103]
	v_fma_f64 v[96:97], -v[76:77], v[102:103], 1.0
	v_fmac_f64_e32 v[102:103], v[96:97], v[102:103]
	v_mul_f64 v[96:97], v[98:99], v[102:103]
	v_mul_f64 v[100:101], v[76:77], v[96:97]
	v_fma_f64 v[104:105], v[96:97], v[76:77], -v[100:101]
	v_fmac_f64_e32 v[104:105], v[96:97], v[74:75]
	v_add_f64 v[106:107], v[100:101], v[104:105]
	v_add_f64 v[108:109], v[98:99], -v[106:107]
	v_add_f64 v[98:99], v[98:99], -v[108:109]
	;; [unrolled: 1-line block ×4, first 2 shown]
	v_add_f64 v[94:95], v[94:95], v[98:99]
	v_add_f64 v[98:99], v[100:101], -v[104:105]
	v_add_f64 v[94:95], v[98:99], v[94:95]
	v_add_f64 v[98:99], v[108:109], v[94:95]
	v_add_f64 v[100:101], v[108:109], -v[98:99]
	v_add_f64 v[94:95], v[94:95], v[100:101]
	v_mul_f64 v[100:101], v[102:103], v[98:99]
	v_mul_f64 v[104:105], v[76:77], v[100:101]
	v_fma_f64 v[76:77], v[100:101], v[76:77], -v[104:105]
	v_fmac_f64_e32 v[76:77], v[100:101], v[74:75]
	v_add_f64 v[74:75], v[104:105], v[76:77]
	v_add_f64 v[106:107], v[98:99], -v[74:75]
	v_add_f64 v[98:99], v[98:99], -v[106:107]
	;; [unrolled: 1-line block ×4, first 2 shown]
	v_add_f64 v[74:75], v[94:95], v[74:75]
	v_add_f64 v[76:77], v[104:105], -v[76:77]
	v_add_f64 v[74:75], v[76:77], v[74:75]
	v_add_f64 v[76:77], v[96:97], v[100:101]
	;; [unrolled: 1-line block ×3, first 2 shown]
	v_add_f64 v[94:95], v[76:77], -v[96:97]
	v_mul_f64 v[74:75], v[102:103], v[74:75]
	v_add_f64 v[94:95], v[100:101], -v[94:95]
	v_add_f64 v[74:75], v[94:95], v[74:75]
	v_add_f64 v[94:95], v[76:77], v[74:75]
	v_add_f64 v[76:77], v[94:95], -v[76:77]
	v_add_f64 v[74:75], v[74:75], -v[76:77]
	v_mul_f64 v[76:77], v[94:95], v[94:95]
	v_mov_b64_e32 v[96:97], v[60:61]
	v_fmac_f64_e32 v[96:97], s[56:57], v[76:77]
	v_mov_b64_e32 v[98:99], v[62:63]
	v_fmac_f64_e32 v[98:99], v[76:77], v[96:97]
	;; [unrolled: 2-line block ×6, first 2 shown]
	v_cvt_f64_i32_e32 v[96:97], v93
	v_mul_f64 v[100:101], v[96:97], s[58:59]
	v_fma_f64 v[102:103], v[96:97], s[58:59], -v[100:101]
	v_fmac_f64_e32 v[102:103], s[60:61], v[96:97]
	v_add_f64 v[96:97], v[100:101], v[102:103]
	v_add_f64 v[100:101], v[96:97], -v[100:101]
	v_mul_f64 v[76:77], v[94:95], v[76:77]
	v_add_f64 v[100:101], v[102:103], -v[100:101]
	v_ldexp_f64 v[102:103], v[94:95], 1
	v_mul_f64 v[76:77], v[76:77], v[98:99]
	v_add_f64 v[94:95], v[102:103], v[76:77]
	v_add_f64 v[98:99], v[94:95], -v[102:103]
	v_ldexp_f64 v[74:75], v[74:75], 1
	v_add_f64 v[76:77], v[76:77], -v[98:99]
	v_add_f64 v[74:75], v[74:75], v[76:77]
	v_add_f64 v[76:77], v[94:95], v[74:75]
	v_add_f64 v[94:95], v[76:77], -v[94:95]
	v_add_f64 v[74:75], v[74:75], -v[94:95]
	v_add_f64 v[94:95], v[96:97], v[76:77]
	v_add_f64 v[98:99], v[94:95], -v[96:97]
	v_add_f64 v[102:103], v[94:95], -v[98:99]
	;; [unrolled: 1-line block ×4, first 2 shown]
	v_add_f64 v[76:77], v[76:77], v[96:97]
	v_add_f64 v[96:97], v[100:101], v[74:75]
	v_add_f64 v[98:99], v[96:97], -v[100:101]
	v_add_f64 v[76:77], v[96:97], v[76:77]
	v_add_f64 v[102:103], v[96:97], -v[98:99]
	;; [unrolled: 2-line block ×3, first 2 shown]
	v_add_f64 v[74:75], v[74:75], -v[98:99]
	v_add_f64 v[94:95], v[96:97], -v[94:95]
	v_add_f64 v[74:75], v[74:75], v[100:101]
	v_add_f64 v[76:77], v[76:77], -v[94:95]
	v_add_f64 v[74:75], v[74:75], v[76:77]
	v_add_f64 v[74:75], v[96:97], v[74:75]
	v_cmp_neq_f64_e32 vcc, s[62:63], v[72:73]
	s_nop 1
	v_cndmask_b32_e32 v75, v90, v75, vcc
	v_cndmask_b32_e64 v75, v91, v75, s[20:21]
	v_cmp_nge_f64_e64 s[20:21], -1.0, v[72:73]
	s_and_b64 vcc, s[20:21], vcc
	v_cndmask_b32_e32 v74, 0, v74, vcc
	v_cmp_neq_f64_e32 vcc, -1.0, v[72:73]
	s_nop 1
	v_cndmask_b32_e32 v75, v92, v75, vcc
	v_add_f64 v[74:75], v[10:11], v[74:75]
.LBB66_127:                             ;   in Loop: Header=BB66_107 Depth=1
	s_or_b64 exec, exec, s[66:67]
	v_mov_b32_e32 v10, v74
	v_mov_b32_e32 v11, v75
	v_mov_b64_e32 v[72:73], v[74:75]
.LBB66_128:                             ;   in Loop: Header=BB66_107 Depth=1
	s_or_b64 exec, exec, s[64:65]
	s_waitcnt lgkmcnt(1)
	ds_bpermute_b32 v74, v85, v10
	s_waitcnt lgkmcnt(1)
	ds_bpermute_b32 v75, v85, v11
	v_cmp_le_u32_e32 vcc, v86, v13
	s_and_saveexec_b64 s[64:65], vcc
	s_cbranch_execz .LBB66_132
; %bb.129:                              ;   in Loop: Header=BB66_107 Depth=1
	s_waitcnt lgkmcnt(0)
	v_max_f64 v[10:11], v[74:75], v[74:75]
	v_max_f64 v[94:95], v[72:73], v[72:73]
	v_min_f64 v[76:77], v[10:11], v[94:95]
	v_cmp_u_f64_e32 vcc, v[74:75], v[74:75]
	v_max_f64 v[10:11], v[10:11], v[94:95]
	v_cmp_u_f64_e64 s[20:21], v[72:73], v[72:73]
	v_cndmask_b32_e32 v77, v77, v75, vcc
	v_cndmask_b32_e32 v76, v76, v74, vcc
	;; [unrolled: 1-line block ×4, first 2 shown]
	v_cndmask_b32_e64 v77, v77, v73, s[20:21]
	v_cndmask_b32_e64 v76, v76, v72, s[20:21]
	v_cndmask_b32_e64 v11, v11, v73, s[20:21]
	v_cndmask_b32_e64 v10, v10, v72, s[20:21]
	v_cmp_neq_f64_e32 vcc, v[76:77], v[10:11]
	v_cmp_class_f64_e64 s[20:21], v[76:77], s70
	s_or_b64 s[20:21], vcc, s[20:21]
	s_and_saveexec_b64 s[66:67], s[20:21]
	s_cbranch_execz .LBB66_131
; %bb.130:                              ;   in Loop: Header=BB66_107 Depth=1
	v_add_f64 v[72:73], v[76:77], -v[10:11]
	v_mul_f64 v[74:75], v[72:73], s[42:43]
	v_rndne_f64_e32 v[74:75], v[74:75]
	v_fma_f64 v[76:77], s[44:45], v[74:75], v[72:73]
	v_fmac_f64_e32 v[76:77], s[46:47], v[74:75]
	v_mov_b64_e32 v[94:95], v[42:43]
	v_fmac_f64_e32 v[94:95], s[48:49], v[76:77]
	v_mov_b64_e32 v[96:97], v[44:45]
	;; [unrolled: 2-line block ×9, first 2 shown]
	v_fmac_f64_e32 v[94:95], v[76:77], v[96:97]
	v_fma_f64 v[94:95], v[76:77], v[94:95], 1.0
	v_fma_f64 v[76:77], v[76:77], v[94:95], 1.0
	v_cvt_i32_f64_e32 v74, v[74:75]
	v_ldexp_f64 v[74:75], v[76:77], v74
	v_cmp_nlt_f64_e32 vcc, s[50:51], v[72:73]
	v_cmp_ngt_f64_e64 s[20:21], s[52:53], v[72:73]
	s_mov_b32 s58, s44
	v_cndmask_b32_e32 v75, v90, v75, vcc
	s_and_b64 vcc, s[20:21], vcc
	v_cndmask_b32_e64 v73, 0, v75, s[20:21]
	v_cndmask_b32_e32 v72, 0, v74, vcc
	v_add_f64 v[74:75], v[72:73], 1.0
	v_add_f64 v[76:77], v[74:75], -1.0
	v_add_f64 v[94:95], v[76:77], -v[74:75]
	v_add_f64 v[94:95], v[94:95], 1.0
	v_add_f64 v[76:77], v[72:73], -v[76:77]
	v_add_f64 v[76:77], v[76:77], v[94:95]
	v_frexp_mant_f64_e32 v[94:95], v[74:75]
	v_frexp_exp_i32_f64_e32 v93, v[74:75]
	v_cmp_gt_f64_e32 vcc, s[54:55], v[94:95]
	s_mov_b32 s60, s46
	v_cmp_ngt_f64_e64 s[20:21], -1.0, v[72:73]
	v_subbrev_co_u32_e32 v93, vcc, 0, v93, vcc
	v_sub_u32_e32 v94, 0, v93
	v_ldexp_f64 v[74:75], v[74:75], v94
	v_ldexp_f64 v[76:77], v[76:77], v94
	v_add_f64 v[94:95], v[74:75], -1.0
	v_add_f64 v[100:101], v[74:75], 1.0
	v_add_f64 v[96:97], v[94:95], 1.0
	v_add_f64 v[102:103], v[100:101], -1.0
	v_add_f64 v[96:97], v[74:75], -v[96:97]
	v_add_f64 v[74:75], v[74:75], -v[102:103]
	v_add_f64 v[74:75], v[76:77], v[74:75]
	v_add_f64 v[96:97], v[76:77], v[96:97]
	;; [unrolled: 1-line block ×3, first 2 shown]
	v_rcp_f64_e32 v[102:103], v[76:77]
	v_add_f64 v[98:99], v[94:95], v[96:97]
	v_add_f64 v[94:95], v[98:99], -v[94:95]
	v_add_f64 v[94:95], v[96:97], -v[94:95]
	;; [unrolled: 1-line block ×4, first 2 shown]
	v_fma_f64 v[96:97], -v[76:77], v[102:103], 1.0
	v_fmac_f64_e32 v[102:103], v[96:97], v[102:103]
	v_fma_f64 v[96:97], -v[76:77], v[102:103], 1.0
	v_fmac_f64_e32 v[102:103], v[96:97], v[102:103]
	v_mul_f64 v[96:97], v[98:99], v[102:103]
	v_mul_f64 v[100:101], v[76:77], v[96:97]
	v_fma_f64 v[104:105], v[96:97], v[76:77], -v[100:101]
	v_fmac_f64_e32 v[104:105], v[96:97], v[74:75]
	v_add_f64 v[106:107], v[100:101], v[104:105]
	v_add_f64 v[108:109], v[98:99], -v[106:107]
	v_add_f64 v[98:99], v[98:99], -v[108:109]
	;; [unrolled: 1-line block ×4, first 2 shown]
	v_add_f64 v[94:95], v[94:95], v[98:99]
	v_add_f64 v[98:99], v[100:101], -v[104:105]
	v_add_f64 v[94:95], v[98:99], v[94:95]
	v_add_f64 v[98:99], v[108:109], v[94:95]
	v_add_f64 v[100:101], v[108:109], -v[98:99]
	v_add_f64 v[94:95], v[94:95], v[100:101]
	v_mul_f64 v[100:101], v[102:103], v[98:99]
	v_mul_f64 v[104:105], v[76:77], v[100:101]
	v_fma_f64 v[76:77], v[100:101], v[76:77], -v[104:105]
	v_fmac_f64_e32 v[76:77], v[100:101], v[74:75]
	v_add_f64 v[74:75], v[104:105], v[76:77]
	v_add_f64 v[106:107], v[98:99], -v[74:75]
	v_add_f64 v[98:99], v[98:99], -v[106:107]
	;; [unrolled: 1-line block ×4, first 2 shown]
	v_add_f64 v[74:75], v[94:95], v[74:75]
	v_add_f64 v[76:77], v[104:105], -v[76:77]
	v_add_f64 v[74:75], v[76:77], v[74:75]
	v_add_f64 v[76:77], v[96:97], v[100:101]
	;; [unrolled: 1-line block ×3, first 2 shown]
	v_add_f64 v[94:95], v[76:77], -v[96:97]
	v_mul_f64 v[74:75], v[102:103], v[74:75]
	v_add_f64 v[94:95], v[100:101], -v[94:95]
	v_add_f64 v[74:75], v[94:95], v[74:75]
	v_add_f64 v[94:95], v[76:77], v[74:75]
	v_add_f64 v[76:77], v[94:95], -v[76:77]
	v_add_f64 v[74:75], v[74:75], -v[76:77]
	v_mul_f64 v[76:77], v[94:95], v[94:95]
	v_mov_b64_e32 v[96:97], v[60:61]
	v_fmac_f64_e32 v[96:97], s[56:57], v[76:77]
	v_mov_b64_e32 v[98:99], v[62:63]
	v_fmac_f64_e32 v[98:99], v[76:77], v[96:97]
	;; [unrolled: 2-line block ×6, first 2 shown]
	v_cvt_f64_i32_e32 v[96:97], v93
	v_mul_f64 v[100:101], v[96:97], s[58:59]
	v_fma_f64 v[102:103], v[96:97], s[58:59], -v[100:101]
	v_fmac_f64_e32 v[102:103], s[60:61], v[96:97]
	v_add_f64 v[96:97], v[100:101], v[102:103]
	v_add_f64 v[100:101], v[96:97], -v[100:101]
	v_mul_f64 v[76:77], v[94:95], v[76:77]
	v_add_f64 v[100:101], v[102:103], -v[100:101]
	v_ldexp_f64 v[102:103], v[94:95], 1
	v_mul_f64 v[76:77], v[76:77], v[98:99]
	v_add_f64 v[94:95], v[102:103], v[76:77]
	v_add_f64 v[98:99], v[94:95], -v[102:103]
	v_ldexp_f64 v[74:75], v[74:75], 1
	v_add_f64 v[76:77], v[76:77], -v[98:99]
	v_add_f64 v[74:75], v[74:75], v[76:77]
	v_add_f64 v[76:77], v[94:95], v[74:75]
	v_add_f64 v[94:95], v[76:77], -v[94:95]
	v_add_f64 v[74:75], v[74:75], -v[94:95]
	v_add_f64 v[94:95], v[96:97], v[76:77]
	v_add_f64 v[98:99], v[94:95], -v[96:97]
	v_add_f64 v[102:103], v[94:95], -v[98:99]
	;; [unrolled: 1-line block ×4, first 2 shown]
	v_add_f64 v[76:77], v[76:77], v[96:97]
	v_add_f64 v[96:97], v[100:101], v[74:75]
	v_add_f64 v[98:99], v[96:97], -v[100:101]
	v_add_f64 v[76:77], v[96:97], v[76:77]
	v_add_f64 v[102:103], v[96:97], -v[98:99]
	v_add_f64 v[96:97], v[94:95], v[76:77]
	v_add_f64 v[100:101], v[100:101], -v[102:103]
	v_add_f64 v[74:75], v[74:75], -v[98:99]
	v_add_f64 v[94:95], v[96:97], -v[94:95]
	v_add_f64 v[74:75], v[74:75], v[100:101]
	v_add_f64 v[76:77], v[76:77], -v[94:95]
	v_add_f64 v[74:75], v[74:75], v[76:77]
	v_add_f64 v[74:75], v[96:97], v[74:75]
	v_cmp_neq_f64_e32 vcc, s[62:63], v[72:73]
	s_nop 1
	v_cndmask_b32_e32 v75, v90, v75, vcc
	v_cndmask_b32_e64 v75, v91, v75, s[20:21]
	v_cmp_nge_f64_e64 s[20:21], -1.0, v[72:73]
	s_and_b64 vcc, s[20:21], vcc
	v_cndmask_b32_e32 v74, 0, v74, vcc
	v_cmp_neq_f64_e32 vcc, -1.0, v[72:73]
	s_nop 1
	v_cndmask_b32_e32 v75, v92, v75, vcc
	v_add_f64 v[74:75], v[10:11], v[74:75]
.LBB66_131:                             ;   in Loop: Header=BB66_107 Depth=1
	s_or_b64 exec, exec, s[66:67]
	v_mov_b32_e32 v10, v74
	v_mov_b32_e32 v11, v75
	v_mov_b64_e32 v[72:73], v[74:75]
.LBB66_132:                             ;   in Loop: Header=BB66_107 Depth=1
	s_or_b64 exec, exec, s[64:65]
	s_waitcnt lgkmcnt(1)
	ds_bpermute_b32 v74, v87, v10
	s_waitcnt lgkmcnt(1)
	ds_bpermute_b32 v75, v87, v11
	v_cmp_le_u32_e32 vcc, v88, v13
	s_and_saveexec_b64 s[64:65], vcc
	s_cbranch_execz .LBB66_136
; %bb.133:                              ;   in Loop: Header=BB66_107 Depth=1
	s_waitcnt lgkmcnt(0)
	v_max_f64 v[10:11], v[74:75], v[74:75]
	v_max_f64 v[94:95], v[72:73], v[72:73]
	v_min_f64 v[76:77], v[10:11], v[94:95]
	v_cmp_u_f64_e32 vcc, v[74:75], v[74:75]
	v_max_f64 v[10:11], v[10:11], v[94:95]
	v_cmp_u_f64_e64 s[20:21], v[72:73], v[72:73]
	v_cndmask_b32_e32 v13, v77, v75, vcc
	v_cndmask_b32_e32 v76, v76, v74, vcc
	;; [unrolled: 1-line block ×4, first 2 shown]
	v_cndmask_b32_e64 v77, v13, v73, s[20:21]
	v_cndmask_b32_e64 v76, v76, v72, s[20:21]
	;; [unrolled: 1-line block ×4, first 2 shown]
	v_cmp_neq_f64_e32 vcc, v[76:77], v[10:11]
	v_cmp_class_f64_e64 s[20:21], v[76:77], s70
	s_or_b64 s[20:21], vcc, s[20:21]
	s_and_saveexec_b64 s[66:67], s[20:21]
	s_cbranch_execz .LBB66_135
; %bb.134:                              ;   in Loop: Header=BB66_107 Depth=1
	v_add_f64 v[72:73], v[76:77], -v[10:11]
	v_mul_f64 v[74:75], v[72:73], s[42:43]
	v_rndne_f64_e32 v[74:75], v[74:75]
	v_fma_f64 v[76:77], s[44:45], v[74:75], v[72:73]
	v_fmac_f64_e32 v[76:77], s[46:47], v[74:75]
	v_mov_b64_e32 v[94:95], v[42:43]
	v_fmac_f64_e32 v[94:95], s[48:49], v[76:77]
	v_mov_b64_e32 v[96:97], v[44:45]
	;; [unrolled: 2-line block ×9, first 2 shown]
	v_fmac_f64_e32 v[94:95], v[76:77], v[96:97]
	v_fma_f64 v[94:95], v[76:77], v[94:95], 1.0
	v_fma_f64 v[76:77], v[76:77], v[94:95], 1.0
	v_cvt_i32_f64_e32 v13, v[74:75]
	v_ldexp_f64 v[74:75], v[76:77], v13
	v_cmp_nlt_f64_e32 vcc, s[50:51], v[72:73]
	v_cmp_ngt_f64_e64 s[20:21], s[52:53], v[72:73]
	s_mov_b32 s58, s44
	v_cndmask_b32_e32 v13, v90, v75, vcc
	s_and_b64 vcc, s[20:21], vcc
	v_cndmask_b32_e64 v73, 0, v13, s[20:21]
	v_cndmask_b32_e32 v72, 0, v74, vcc
	v_add_f64 v[74:75], v[72:73], 1.0
	v_add_f64 v[76:77], v[74:75], -1.0
	v_add_f64 v[94:95], v[76:77], -v[74:75]
	v_add_f64 v[94:95], v[94:95], 1.0
	v_add_f64 v[76:77], v[72:73], -v[76:77]
	v_add_f64 v[76:77], v[76:77], v[94:95]
	v_frexp_mant_f64_e32 v[94:95], v[74:75]
	v_frexp_exp_i32_f64_e32 v13, v[74:75]
	v_cmp_gt_f64_e32 vcc, s[54:55], v[94:95]
	s_mov_b32 s60, s46
	v_cmp_ngt_f64_e64 s[20:21], -1.0, v[72:73]
	v_subbrev_co_u32_e32 v13, vcc, 0, v13, vcc
	v_sub_u32_e32 v93, 0, v13
	v_ldexp_f64 v[74:75], v[74:75], v93
	v_add_f64 v[94:95], v[74:75], -1.0
	v_add_f64 v[100:101], v[74:75], 1.0
	v_add_f64 v[96:97], v[94:95], 1.0
	v_add_f64 v[102:103], v[100:101], -1.0
	v_ldexp_f64 v[76:77], v[76:77], v93
	v_add_f64 v[96:97], v[74:75], -v[96:97]
	v_add_f64 v[74:75], v[74:75], -v[102:103]
	v_add_f64 v[74:75], v[76:77], v[74:75]
	v_add_f64 v[96:97], v[76:77], v[96:97]
	;; [unrolled: 1-line block ×3, first 2 shown]
	v_rcp_f64_e32 v[102:103], v[76:77]
	v_add_f64 v[98:99], v[94:95], v[96:97]
	v_add_f64 v[94:95], v[98:99], -v[94:95]
	v_add_f64 v[94:95], v[96:97], -v[94:95]
	;; [unrolled: 1-line block ×4, first 2 shown]
	v_fma_f64 v[96:97], -v[76:77], v[102:103], 1.0
	v_fmac_f64_e32 v[102:103], v[96:97], v[102:103]
	v_fma_f64 v[96:97], -v[76:77], v[102:103], 1.0
	v_fmac_f64_e32 v[102:103], v[96:97], v[102:103]
	v_mul_f64 v[96:97], v[98:99], v[102:103]
	v_mul_f64 v[100:101], v[76:77], v[96:97]
	v_fma_f64 v[104:105], v[96:97], v[76:77], -v[100:101]
	v_fmac_f64_e32 v[104:105], v[96:97], v[74:75]
	v_add_f64 v[106:107], v[100:101], v[104:105]
	v_add_f64 v[108:109], v[98:99], -v[106:107]
	v_add_f64 v[98:99], v[98:99], -v[108:109]
	;; [unrolled: 1-line block ×4, first 2 shown]
	v_add_f64 v[94:95], v[94:95], v[98:99]
	v_add_f64 v[98:99], v[100:101], -v[104:105]
	v_add_f64 v[94:95], v[98:99], v[94:95]
	v_add_f64 v[98:99], v[108:109], v[94:95]
	v_add_f64 v[100:101], v[108:109], -v[98:99]
	v_add_f64 v[94:95], v[94:95], v[100:101]
	v_mul_f64 v[100:101], v[102:103], v[98:99]
	v_mul_f64 v[104:105], v[76:77], v[100:101]
	v_fma_f64 v[76:77], v[100:101], v[76:77], -v[104:105]
	v_fmac_f64_e32 v[76:77], v[100:101], v[74:75]
	v_add_f64 v[74:75], v[104:105], v[76:77]
	v_add_f64 v[106:107], v[98:99], -v[74:75]
	v_add_f64 v[98:99], v[98:99], -v[106:107]
	;; [unrolled: 1-line block ×4, first 2 shown]
	v_add_f64 v[74:75], v[94:95], v[74:75]
	v_add_f64 v[76:77], v[104:105], -v[76:77]
	v_add_f64 v[74:75], v[76:77], v[74:75]
	v_add_f64 v[76:77], v[96:97], v[100:101]
	;; [unrolled: 1-line block ×3, first 2 shown]
	v_add_f64 v[94:95], v[76:77], -v[96:97]
	v_mul_f64 v[74:75], v[102:103], v[74:75]
	v_add_f64 v[94:95], v[100:101], -v[94:95]
	v_add_f64 v[74:75], v[94:95], v[74:75]
	v_add_f64 v[94:95], v[76:77], v[74:75]
	v_add_f64 v[76:77], v[94:95], -v[76:77]
	v_add_f64 v[74:75], v[74:75], -v[76:77]
	v_mul_f64 v[76:77], v[94:95], v[94:95]
	v_mov_b64_e32 v[96:97], v[60:61]
	v_fmac_f64_e32 v[96:97], s[56:57], v[76:77]
	v_mov_b64_e32 v[98:99], v[62:63]
	v_fmac_f64_e32 v[98:99], v[76:77], v[96:97]
	;; [unrolled: 2-line block ×6, first 2 shown]
	v_cvt_f64_i32_e32 v[96:97], v13
	v_mul_f64 v[100:101], v[96:97], s[58:59]
	v_fma_f64 v[102:103], v[96:97], s[58:59], -v[100:101]
	v_fmac_f64_e32 v[102:103], s[60:61], v[96:97]
	v_add_f64 v[96:97], v[100:101], v[102:103]
	v_add_f64 v[100:101], v[96:97], -v[100:101]
	v_mul_f64 v[76:77], v[94:95], v[76:77]
	v_add_f64 v[100:101], v[102:103], -v[100:101]
	v_ldexp_f64 v[102:103], v[94:95], 1
	v_mul_f64 v[76:77], v[76:77], v[98:99]
	v_add_f64 v[94:95], v[102:103], v[76:77]
	v_add_f64 v[98:99], v[94:95], -v[102:103]
	v_ldexp_f64 v[74:75], v[74:75], 1
	v_add_f64 v[76:77], v[76:77], -v[98:99]
	v_add_f64 v[74:75], v[74:75], v[76:77]
	v_add_f64 v[76:77], v[94:95], v[74:75]
	v_add_f64 v[94:95], v[76:77], -v[94:95]
	v_add_f64 v[74:75], v[74:75], -v[94:95]
	v_add_f64 v[94:95], v[96:97], v[76:77]
	v_add_f64 v[98:99], v[94:95], -v[96:97]
	v_add_f64 v[102:103], v[94:95], -v[98:99]
	;; [unrolled: 1-line block ×4, first 2 shown]
	v_add_f64 v[76:77], v[76:77], v[96:97]
	v_add_f64 v[96:97], v[100:101], v[74:75]
	v_add_f64 v[98:99], v[96:97], -v[100:101]
	v_add_f64 v[76:77], v[96:97], v[76:77]
	v_add_f64 v[102:103], v[96:97], -v[98:99]
	;; [unrolled: 2-line block ×3, first 2 shown]
	v_add_f64 v[74:75], v[74:75], -v[98:99]
	v_add_f64 v[94:95], v[96:97], -v[94:95]
	v_add_f64 v[74:75], v[74:75], v[100:101]
	v_add_f64 v[76:77], v[76:77], -v[94:95]
	v_add_f64 v[74:75], v[74:75], v[76:77]
	v_add_f64 v[74:75], v[96:97], v[74:75]
	v_cmp_neq_f64_e32 vcc, s[62:63], v[72:73]
	s_nop 1
	v_cndmask_b32_e32 v13, v90, v75, vcc
	v_cndmask_b32_e64 v13, v91, v13, s[20:21]
	v_cmp_nge_f64_e64 s[20:21], -1.0, v[72:73]
	s_and_b64 vcc, s[20:21], vcc
	v_cndmask_b32_e32 v74, 0, v74, vcc
	v_cmp_neq_f64_e32 vcc, -1.0, v[72:73]
	s_nop 1
	v_cndmask_b32_e32 v75, v92, v13, vcc
	v_add_f64 v[74:75], v[10:11], v[74:75]
.LBB66_135:                             ;   in Loop: Header=BB66_107 Depth=1
	s_or_b64 exec, exec, s[66:67]
	v_mov_b64_e32 v[72:73], v[74:75]
.LBB66_136:                             ;   in Loop: Header=BB66_107 Depth=1
	s_or_b64 exec, exec, s[64:65]
	v_max_f64 v[10:11], v[40:41], v[40:41]
	v_max_f64 v[76:77], v[72:73], v[72:73]
	s_waitcnt lgkmcnt(0)
	v_min_f64 v[74:75], v[76:77], v[10:11]
	v_cmp_u_f64_e32 vcc, v[72:73], v[72:73]
	v_max_f64 v[10:11], v[76:77], v[10:11]
	v_cmp_u_f64_e64 s[20:21], v[40:41], v[40:41]
	v_cndmask_b32_e32 v13, v74, v72, vcc
	v_cndmask_b32_e32 v74, v75, v73, vcc
	;; [unrolled: 1-line block ×4, first 2 shown]
	v_cndmask_b32_e64 v75, v74, v41, s[20:21]
	v_cndmask_b32_e64 v74, v13, v40, s[20:21]
	;; [unrolled: 1-line block ×4, first 2 shown]
	v_cmp_neq_f64_e32 vcc, v[74:75], v[10:11]
	v_cmp_class_f64_e64 s[20:21], v[74:75], s70
	s_or_b64 s[20:21], vcc, s[20:21]
	s_and_saveexec_b64 s[64:65], s[20:21]
	s_xor_b64 s[64:65], exec, s[64:65]
	s_cbranch_execz .LBB66_105
; %bb.137:                              ;   in Loop: Header=BB66_107 Depth=1
	v_add_f64 v[72:73], v[74:75], -v[10:11]
	v_mul_f64 v[74:75], v[72:73], s[42:43]
	v_rndne_f64_e32 v[74:75], v[74:75]
	v_fma_f64 v[76:77], s[44:45], v[74:75], v[72:73]
	v_fmac_f64_e32 v[76:77], s[46:47], v[74:75]
	v_mov_b64_e32 v[94:95], v[42:43]
	v_fmac_f64_e32 v[94:95], s[48:49], v[76:77]
	v_mov_b64_e32 v[96:97], v[44:45]
	;; [unrolled: 2-line block ×9, first 2 shown]
	v_fmac_f64_e32 v[94:95], v[76:77], v[96:97]
	v_fma_f64 v[94:95], v[76:77], v[94:95], 1.0
	v_fma_f64 v[76:77], v[76:77], v[94:95], 1.0
	v_cvt_i32_f64_e32 v13, v[74:75]
	v_ldexp_f64 v[74:75], v[76:77], v13
	v_cmp_nlt_f64_e32 vcc, s[50:51], v[72:73]
	v_cmp_ngt_f64_e64 s[20:21], s[52:53], v[72:73]
	s_mov_b32 s58, s44
	v_cndmask_b32_e32 v13, v90, v75, vcc
	s_and_b64 vcc, s[20:21], vcc
	v_cndmask_b32_e64 v73, 0, v13, s[20:21]
	v_cndmask_b32_e32 v72, 0, v74, vcc
	v_add_f64 v[74:75], v[72:73], 1.0
	v_add_f64 v[76:77], v[74:75], -1.0
	v_add_f64 v[94:95], v[76:77], -v[74:75]
	v_add_f64 v[94:95], v[94:95], 1.0
	v_add_f64 v[76:77], v[72:73], -v[76:77]
	v_add_f64 v[76:77], v[76:77], v[94:95]
	v_frexp_mant_f64_e32 v[94:95], v[74:75]
	v_frexp_exp_i32_f64_e32 v13, v[74:75]
	v_cmp_gt_f64_e32 vcc, s[54:55], v[94:95]
	s_mov_b32 s60, s46
	v_cmp_ngt_f64_e64 s[20:21], -1.0, v[72:73]
	v_subbrev_co_u32_e32 v13, vcc, 0, v13, vcc
	v_sub_u32_e32 v93, 0, v13
	v_ldexp_f64 v[74:75], v[74:75], v93
	v_add_f64 v[94:95], v[74:75], -1.0
	v_add_f64 v[100:101], v[74:75], 1.0
	v_add_f64 v[96:97], v[94:95], 1.0
	v_add_f64 v[102:103], v[100:101], -1.0
	v_ldexp_f64 v[76:77], v[76:77], v93
	v_add_f64 v[96:97], v[74:75], -v[96:97]
	v_add_f64 v[74:75], v[74:75], -v[102:103]
	v_add_f64 v[74:75], v[76:77], v[74:75]
	v_add_f64 v[96:97], v[76:77], v[96:97]
	;; [unrolled: 1-line block ×3, first 2 shown]
	v_rcp_f64_e32 v[102:103], v[76:77]
	v_add_f64 v[98:99], v[94:95], v[96:97]
	v_add_f64 v[94:95], v[98:99], -v[94:95]
	v_add_f64 v[94:95], v[96:97], -v[94:95]
	;; [unrolled: 1-line block ×4, first 2 shown]
	v_fma_f64 v[96:97], -v[76:77], v[102:103], 1.0
	v_fmac_f64_e32 v[102:103], v[96:97], v[102:103]
	v_fma_f64 v[96:97], -v[76:77], v[102:103], 1.0
	v_fmac_f64_e32 v[102:103], v[96:97], v[102:103]
	v_mul_f64 v[96:97], v[98:99], v[102:103]
	v_mul_f64 v[100:101], v[76:77], v[96:97]
	v_fma_f64 v[104:105], v[96:97], v[76:77], -v[100:101]
	v_fmac_f64_e32 v[104:105], v[96:97], v[74:75]
	v_add_f64 v[106:107], v[100:101], v[104:105]
	v_add_f64 v[108:109], v[98:99], -v[106:107]
	v_add_f64 v[98:99], v[98:99], -v[108:109]
	v_add_f64 v[100:101], v[106:107], -v[100:101]
	v_add_f64 v[98:99], v[98:99], -v[106:107]
	v_add_f64 v[94:95], v[94:95], v[98:99]
	v_add_f64 v[98:99], v[100:101], -v[104:105]
	v_add_f64 v[94:95], v[98:99], v[94:95]
	v_add_f64 v[98:99], v[108:109], v[94:95]
	v_add_f64 v[100:101], v[108:109], -v[98:99]
	v_add_f64 v[94:95], v[94:95], v[100:101]
	v_mul_f64 v[100:101], v[102:103], v[98:99]
	v_mul_f64 v[104:105], v[76:77], v[100:101]
	v_fma_f64 v[76:77], v[100:101], v[76:77], -v[104:105]
	v_fmac_f64_e32 v[76:77], v[100:101], v[74:75]
	v_add_f64 v[74:75], v[104:105], v[76:77]
	v_add_f64 v[106:107], v[98:99], -v[74:75]
	v_add_f64 v[98:99], v[98:99], -v[106:107]
	;; [unrolled: 1-line block ×4, first 2 shown]
	v_add_f64 v[74:75], v[94:95], v[74:75]
	v_add_f64 v[76:77], v[104:105], -v[76:77]
	v_add_f64 v[74:75], v[76:77], v[74:75]
	v_add_f64 v[76:77], v[96:97], v[100:101]
	;; [unrolled: 1-line block ×3, first 2 shown]
	v_add_f64 v[94:95], v[76:77], -v[96:97]
	v_mul_f64 v[74:75], v[102:103], v[74:75]
	v_add_f64 v[94:95], v[100:101], -v[94:95]
	v_add_f64 v[74:75], v[94:95], v[74:75]
	v_add_f64 v[94:95], v[76:77], v[74:75]
	v_add_f64 v[76:77], v[94:95], -v[76:77]
	v_add_f64 v[74:75], v[74:75], -v[76:77]
	v_mul_f64 v[76:77], v[94:95], v[94:95]
	v_mov_b64_e32 v[96:97], v[60:61]
	v_fmac_f64_e32 v[96:97], s[56:57], v[76:77]
	v_mov_b64_e32 v[98:99], v[62:63]
	v_fmac_f64_e32 v[98:99], v[76:77], v[96:97]
	;; [unrolled: 2-line block ×6, first 2 shown]
	v_cvt_f64_i32_e32 v[96:97], v13
	v_mul_f64 v[100:101], v[96:97], s[58:59]
	v_fma_f64 v[102:103], v[96:97], s[58:59], -v[100:101]
	v_fmac_f64_e32 v[102:103], s[60:61], v[96:97]
	v_add_f64 v[96:97], v[100:101], v[102:103]
	v_add_f64 v[100:101], v[96:97], -v[100:101]
	v_mul_f64 v[76:77], v[94:95], v[76:77]
	v_add_f64 v[100:101], v[102:103], -v[100:101]
	v_ldexp_f64 v[102:103], v[94:95], 1
	v_mul_f64 v[76:77], v[76:77], v[98:99]
	v_add_f64 v[94:95], v[102:103], v[76:77]
	v_add_f64 v[98:99], v[94:95], -v[102:103]
	v_ldexp_f64 v[74:75], v[74:75], 1
	v_add_f64 v[76:77], v[76:77], -v[98:99]
	v_add_f64 v[74:75], v[74:75], v[76:77]
	v_add_f64 v[76:77], v[94:95], v[74:75]
	v_add_f64 v[94:95], v[76:77], -v[94:95]
	v_add_f64 v[74:75], v[74:75], -v[94:95]
	v_add_f64 v[94:95], v[96:97], v[76:77]
	v_add_f64 v[98:99], v[94:95], -v[96:97]
	v_add_f64 v[102:103], v[94:95], -v[98:99]
	;; [unrolled: 1-line block ×4, first 2 shown]
	v_add_f64 v[76:77], v[76:77], v[96:97]
	v_add_f64 v[96:97], v[100:101], v[74:75]
	v_add_f64 v[98:99], v[96:97], -v[100:101]
	v_add_f64 v[76:77], v[96:97], v[76:77]
	v_add_f64 v[102:103], v[96:97], -v[98:99]
	;; [unrolled: 2-line block ×3, first 2 shown]
	v_add_f64 v[74:75], v[74:75], -v[98:99]
	v_add_f64 v[94:95], v[96:97], -v[94:95]
	v_add_f64 v[74:75], v[74:75], v[100:101]
	v_add_f64 v[76:77], v[76:77], -v[94:95]
	v_add_f64 v[74:75], v[74:75], v[76:77]
	v_add_f64 v[74:75], v[96:97], v[74:75]
	v_cmp_neq_f64_e32 vcc, s[62:63], v[72:73]
	s_nop 1
	v_cndmask_b32_e32 v13, v90, v75, vcc
	v_cndmask_b32_e64 v13, v91, v13, s[20:21]
	v_cmp_nge_f64_e64 s[20:21], -1.0, v[72:73]
	s_and_b64 vcc, s[20:21], vcc
	v_cndmask_b32_e32 v74, 0, v74, vcc
	v_cmp_neq_f64_e32 vcc, -1.0, v[72:73]
	s_nop 1
	v_cndmask_b32_e32 v75, v92, v13, vcc
	v_add_f64 v[72:73], v[10:11], v[74:75]
	s_branch .LBB66_105
.LBB66_138:
                                        ; implicit-def: $vgpr6_vgpr7_vgpr8_vgpr9_vgpr10_vgpr11_vgpr12_vgpr13_vgpr14_vgpr15_vgpr16_vgpr17_vgpr18_vgpr19_vgpr20_vgpr21
	s_cbranch_execnz .LBB66_162
	s_branch .LBB66_233
.LBB66_139:
	s_and_saveexec_b64 s[20:21], s[18:19]
	s_cbranch_execz .LBB66_143
; %bb.140:
	v_max_f64 v[8:9], v[6:7], v[6:7]
	v_max_f64 v[12:13], v[40:41], v[40:41]
	v_min_f64 v[10:11], v[12:13], v[8:9]
	v_cmp_u_f64_e32 vcc, v[40:41], v[40:41]
	v_max_f64 v[8:9], v[12:13], v[8:9]
	v_cmp_u_f64_e64 s[18:19], v[6:7], v[6:7]
	v_cndmask_b32_e32 v10, v10, v40, vcc
	v_cndmask_b32_e32 v11, v11, v41, vcc
	;; [unrolled: 1-line block ×4, first 2 shown]
	v_cndmask_b32_e64 v11, v11, v7, s[18:19]
	v_cndmask_b32_e64 v10, v10, v6, s[18:19]
	;; [unrolled: 1-line block ×4, first 2 shown]
	s_movk_i32 s18, 0x1f8
	v_cmp_neq_f64_e32 vcc, v[10:11], v[8:9]
	v_cmp_class_f64_e64 s[18:19], v[10:11], s18
	s_or_b64 s[18:19], vcc, s[18:19]
	v_mov_b64_e32 v[6:7], v[40:41]
	s_and_saveexec_b64 s[42:43], s[18:19]
	s_cbranch_execz .LBB66_142
; %bb.141:
	s_mov_b32 s18, 0x652b82fe
	v_add_f64 v[6:7], v[10:11], -v[8:9]
	s_mov_b32 s19, 0x3ff71547
	v_mul_f64 v[10:11], v[6:7], s[18:19]
	v_rndne_f64_e32 v[10:11], v[10:11]
	s_mov_b32 s45, 0xbfe62e42
	s_mov_b32 s44, 0xfefa39ef
	v_fma_f64 v[12:13], s[44:45], v[10:11], v[6:7]
	s_mov_b32 s47, 0xbc7abc9e
	s_mov_b32 s46, 0x3b39803f
	;; [unrolled: 1-line block ×3, first 2 shown]
	v_fmac_f64_e32 v[12:13], s[46:47], v[10:11]
	v_mov_b32_e32 v38, 0xfca7ab0c
	v_mov_b32_e32 v39, 0x3e928af3
	s_mov_b32 s19, 0x3e5ade15
	v_fmac_f64_e32 v[38:39], s[18:19], v[12:13]
	v_mov_b32_e32 v42, 0x623fde64
	v_mov_b32_e32 v43, 0x3ec71dee
	v_fmac_f64_e32 v[42:43], v[12:13], v[38:39]
	v_mov_b32_e32 v38, 0x7c89e6b0
	v_mov_b32_e32 v39, 0x3efa0199
	;; [unrolled: 3-line block ×8, first 2 shown]
	s_mov_b32 s18, 0
	v_fmac_f64_e32 v[38:39], v[12:13], v[42:43]
	s_mov_b32 s19, 0x40900000
	v_fma_f64 v[38:39], v[12:13], v[38:39], 1.0
	v_cmp_nlt_f64_e32 vcc, s[18:19], v[6:7]
	s_mov_b32 s18, 0
	v_fma_f64 v[12:13], v[12:13], v[38:39], 1.0
	v_cvt_i32_f64_e32 v10, v[10:11]
	s_mov_b32 s19, 0xc090cc00
	v_ldexp_f64 v[10:11], v[12:13], v10
	v_mov_b32_e32 v31, 0x7ff00000
	v_cmp_ngt_f64_e64 s[18:19], s[18:19], v[6:7]
	v_cndmask_b32_e32 v11, v31, v11, vcc
	s_and_b64 vcc, s[18:19], vcc
	v_cndmask_b32_e64 v7, 0, v11, s[18:19]
	v_cndmask_b32_e32 v6, 0, v10, vcc
	v_add_f64 v[10:11], v[6:7], 1.0
	v_add_f64 v[12:13], v[10:11], -1.0
	v_add_f64 v[38:39], v[12:13], -v[10:11]
	v_add_f64 v[38:39], v[38:39], 1.0
	v_add_f64 v[12:13], v[6:7], -v[12:13]
	s_mov_b32 s18, 0x55555555
	v_add_f64 v[12:13], v[12:13], v[38:39]
	v_frexp_mant_f64_e32 v[38:39], v[10:11]
	s_mov_b32 s19, 0x3fe55555
	v_frexp_exp_i32_f64_e32 v42, v[10:11]
	v_cmp_gt_f64_e32 vcc, s[18:19], v[38:39]
	s_mov_b32 s18, 0xbf559e2b
	s_mov_b32 s19, 0x3fc3ab76
	v_subbrev_co_u32_e32 v56, vcc, 0, v42, vcc
	v_sub_u32_e32 v38, 0, v56
	v_ldexp_f64 v[10:11], v[10:11], v38
	v_ldexp_f64 v[12:13], v[12:13], v38
	v_add_f64 v[38:39], v[10:11], -1.0
	v_add_f64 v[46:47], v[10:11], 1.0
	v_add_f64 v[42:43], v[38:39], 1.0
	v_add_f64 v[48:49], v[46:47], -1.0
	v_add_f64 v[42:43], v[10:11], -v[42:43]
	v_add_f64 v[10:11], v[10:11], -v[48:49]
	v_add_f64 v[10:11], v[12:13], v[10:11]
	v_add_f64 v[42:43], v[12:13], v[42:43]
	;; [unrolled: 1-line block ×3, first 2 shown]
	v_rcp_f64_e32 v[48:49], v[12:13]
	v_add_f64 v[44:45], v[38:39], v[42:43]
	v_add_f64 v[38:39], v[44:45], -v[38:39]
	v_add_f64 v[38:39], v[42:43], -v[38:39]
	;; [unrolled: 1-line block ×4, first 2 shown]
	v_fma_f64 v[42:43], -v[12:13], v[48:49], 1.0
	v_fmac_f64_e32 v[48:49], v[42:43], v[48:49]
	v_fma_f64 v[42:43], -v[12:13], v[48:49], 1.0
	v_fmac_f64_e32 v[48:49], v[42:43], v[48:49]
	v_mul_f64 v[42:43], v[44:45], v[48:49]
	v_mul_f64 v[46:47], v[12:13], v[42:43]
	v_fma_f64 v[50:51], v[42:43], v[12:13], -v[46:47]
	v_fmac_f64_e32 v[50:51], v[42:43], v[10:11]
	v_add_f64 v[52:53], v[46:47], v[50:51]
	v_add_f64 v[54:55], v[44:45], -v[52:53]
	v_add_f64 v[44:45], v[44:45], -v[54:55]
	;; [unrolled: 1-line block ×4, first 2 shown]
	v_add_f64 v[38:39], v[38:39], v[44:45]
	v_add_f64 v[44:45], v[46:47], -v[50:51]
	v_add_f64 v[38:39], v[44:45], v[38:39]
	v_add_f64 v[44:45], v[54:55], v[38:39]
	v_add_f64 v[46:47], v[54:55], -v[44:45]
	v_add_f64 v[38:39], v[38:39], v[46:47]
	v_mul_f64 v[46:47], v[48:49], v[44:45]
	v_mul_f64 v[50:51], v[12:13], v[46:47]
	v_fma_f64 v[12:13], v[46:47], v[12:13], -v[50:51]
	v_fmac_f64_e32 v[12:13], v[46:47], v[10:11]
	v_add_f64 v[10:11], v[50:51], v[12:13]
	v_add_f64 v[52:53], v[44:45], -v[10:11]
	v_add_f64 v[44:45], v[44:45], -v[52:53]
	;; [unrolled: 1-line block ×4, first 2 shown]
	v_add_f64 v[10:11], v[38:39], v[10:11]
	v_add_f64 v[12:13], v[50:51], -v[12:13]
	v_add_f64 v[10:11], v[12:13], v[10:11]
	v_add_f64 v[12:13], v[42:43], v[46:47]
	;; [unrolled: 1-line block ×3, first 2 shown]
	v_add_f64 v[38:39], v[12:13], -v[42:43]
	v_mul_f64 v[10:11], v[48:49], v[10:11]
	v_add_f64 v[38:39], v[46:47], -v[38:39]
	v_add_f64 v[10:11], v[38:39], v[10:11]
	v_add_f64 v[38:39], v[12:13], v[10:11]
	v_add_f64 v[12:13], v[38:39], -v[12:13]
	v_add_f64 v[10:11], v[10:11], -v[12:13]
	v_mul_f64 v[12:13], v[38:39], v[38:39]
	v_mov_b32_e32 v42, 0x6b47b09a
	v_mov_b32_e32 v43, 0x3fc38538
	v_fmac_f64_e32 v[42:43], s[18:19], v[12:13]
	v_mov_b32_e32 v44, 0xd7f4df2e
	v_mov_b32_e32 v45, 0x3fc7474d
	v_fmac_f64_e32 v[44:45], v[12:13], v[42:43]
	;; [unrolled: 3-line block ×6, first 2 shown]
	v_cvt_f64_i32_e32 v[42:43], v56
	s_mov_b32 s45, 0x3fe62e42
	v_mul_f64 v[46:47], v[42:43], s[44:45]
	v_fma_f64 v[48:49], v[42:43], s[44:45], -v[46:47]
	s_mov_b32 s47, 0x3c7abc9e
	v_fmac_f64_e32 v[48:49], s[46:47], v[42:43]
	v_add_f64 v[42:43], v[46:47], v[48:49]
	v_add_f64 v[46:47], v[42:43], -v[46:47]
	v_mul_f64 v[12:13], v[38:39], v[12:13]
	v_add_f64 v[46:47], v[48:49], -v[46:47]
	v_ldexp_f64 v[48:49], v[38:39], 1
	v_mul_f64 v[12:13], v[12:13], v[44:45]
	v_add_f64 v[38:39], v[48:49], v[12:13]
	v_add_f64 v[44:45], v[38:39], -v[48:49]
	v_ldexp_f64 v[10:11], v[10:11], 1
	v_add_f64 v[12:13], v[12:13], -v[44:45]
	v_add_f64 v[10:11], v[10:11], v[12:13]
	v_add_f64 v[12:13], v[38:39], v[10:11]
	v_add_f64 v[38:39], v[12:13], -v[38:39]
	v_add_f64 v[10:11], v[10:11], -v[38:39]
	v_add_f64 v[38:39], v[42:43], v[12:13]
	v_add_f64 v[44:45], v[38:39], -v[42:43]
	v_add_f64 v[48:49], v[38:39], -v[44:45]
	;; [unrolled: 1-line block ×4, first 2 shown]
	v_add_f64 v[12:13], v[12:13], v[42:43]
	v_add_f64 v[42:43], v[46:47], v[10:11]
	v_add_f64 v[44:45], v[42:43], -v[46:47]
	v_add_f64 v[12:13], v[42:43], v[12:13]
	v_add_f64 v[48:49], v[42:43], -v[44:45]
	;; [unrolled: 2-line block ×3, first 2 shown]
	v_add_f64 v[10:11], v[10:11], -v[44:45]
	v_add_f64 v[38:39], v[42:43], -v[38:39]
	v_add_f64 v[10:11], v[10:11], v[46:47]
	v_add_f64 v[12:13], v[12:13], -v[38:39]
	s_mov_b32 s18, 0
	v_add_f64 v[10:11], v[10:11], v[12:13]
	s_mov_b32 s19, 0x7ff00000
	v_add_f64 v[10:11], v[42:43], v[10:11]
	v_cmp_neq_f64_e32 vcc, s[18:19], v[6:7]
	v_mov_b32_e32 v12, 0x7ff80000
	v_cmp_ngt_f64_e64 s[18:19], -1.0, v[6:7]
	v_cndmask_b32_e32 v11, v31, v11, vcc
	s_nop 0
	v_cndmask_b32_e64 v11, v12, v11, s[18:19]
	v_cmp_nge_f64_e64 s[18:19], -1.0, v[6:7]
	s_and_b64 vcc, s[18:19], vcc
	v_cndmask_b32_e32 v10, 0, v10, vcc
	v_mov_b32_e32 v12, 0xfff00000
	v_cmp_neq_f64_e32 vcc, -1.0, v[6:7]
	s_nop 1
	v_cndmask_b32_e32 v11, v12, v11, vcc
	v_add_f64 v[6:7], v[8:9], v[10:11]
.LBB66_142:
	s_or_b64 exec, exec, s[42:43]
	s_add_i32 s18, s69, 64
	s_mov_b32 s19, 0
	s_lshl_b64 s[18:19], s[18:19], 4
	s_add_u32 s18, s34, s18
	s_addc_u32 s19, s35, s19
	v_mov_b32_e32 v8, 2
	v_mov_b32_e32 v9, 0
	v_mov_b64_e32 v[10:11], s[18:19]
	;;#ASMSTART
	global_store_dwordx4 v[10:11], v[6:9] off sc1	
s_waitcnt vmcnt(0)
	;;#ASMEND
.LBB66_143:
	s_or_b64 exec, exec, s[20:21]
	s_and_b64 exec, exec, s[4:5]
; %bb.144:
	v_mov_b32_e32 v6, 0
	ds_write_b64 v6, v[40:41]
.LBB66_145:
	s_or_b64 exec, exec, s[22:23]
	v_mov_b32_e32 v6, 0
	s_waitcnt lgkmcnt(0)
	s_barrier
	ds_read_b64 v[6:7], v6
	v_mov_b64_e32 v[8:9], v[2:3]
	s_and_saveexec_b64 s[18:19], s[2:3]
	s_cbranch_execz .LBB66_149
; %bb.146:
	v_max_f64 v[8:9], v[36:37], v[36:37]
	v_min_f64 v[10:11], v[8:9], v[34:35]
	v_cmp_u_f64_e32 vcc, v[36:37], v[36:37]
	v_max_f64 v[8:9], v[8:9], v[34:35]
	s_nop 0
	v_cndmask_b32_e32 v10, v10, v36, vcc
	v_cndmask_b32_e32 v11, v11, v37, vcc
	;; [unrolled: 1-line block ×4, first 2 shown]
	v_cndmask_b32_e64 v11, v11, v3, s[16:17]
	v_cndmask_b32_e64 v10, v10, v2, s[16:17]
	;; [unrolled: 1-line block ×4, first 2 shown]
	s_movk_i32 s16, 0x1f8
	v_cmp_neq_f64_e32 vcc, v[10:11], v[8:9]
	v_cmp_class_f64_e64 s[16:17], v[10:11], s16
	s_or_b64 s[16:17], vcc, s[16:17]
	s_and_saveexec_b64 s[20:21], s[16:17]
	s_cbranch_execz .LBB66_148
; %bb.147:
	s_mov_b32 s16, 0x652b82fe
	v_add_f64 v[10:11], v[10:11], -v[8:9]
	s_mov_b32 s17, 0x3ff71547
	v_mul_f64 v[12:13], v[10:11], s[16:17]
	v_rndne_f64_e32 v[12:13], v[12:13]
	s_mov_b32 s23, 0xbfe62e42
	s_mov_b32 s22, 0xfefa39ef
	v_fma_f64 v[34:35], s[22:23], v[12:13], v[10:11]
	s_mov_b32 s43, 0xbc7abc9e
	s_mov_b32 s42, 0x3b39803f
	;; [unrolled: 1-line block ×3, first 2 shown]
	v_fmac_f64_e32 v[34:35], s[42:43], v[12:13]
	v_mov_b32_e32 v36, 0xfca7ab0c
	v_mov_b32_e32 v37, 0x3e928af3
	s_mov_b32 s17, 0x3e5ade15
	v_fmac_f64_e32 v[36:37], s[16:17], v[34:35]
	v_mov_b32_e32 v38, 0x623fde64
	v_mov_b32_e32 v39, 0x3ec71dee
	v_fmac_f64_e32 v[38:39], v[34:35], v[36:37]
	v_mov_b32_e32 v36, 0x7c89e6b0
	v_mov_b32_e32 v37, 0x3efa0199
	v_fmac_f64_e32 v[36:37], v[34:35], v[38:39]
	v_mov_b32_e32 v38, 0x14761f6e
	v_mov_b32_e32 v39, 0x3f2a01a0
	v_fmac_f64_e32 v[38:39], v[34:35], v[36:37]
	v_mov_b32_e32 v36, 0x1852b7b0
	v_mov_b32_e32 v37, 0x3f56c16c
	v_fmac_f64_e32 v[36:37], v[34:35], v[38:39]
	v_mov_b32_e32 v38, 0x11122322
	v_mov_b32_e32 v39, 0x3f811111
	v_fmac_f64_e32 v[38:39], v[34:35], v[36:37]
	v_mov_b32_e32 v36, 0x555502a1
	v_mov_b32_e32 v37, 0x3fa55555
	v_fmac_f64_e32 v[36:37], v[34:35], v[38:39]
	v_mov_b32_e32 v38, 0x55555511
	v_mov_b32_e32 v39, 0x3fc55555
	v_fmac_f64_e32 v[38:39], v[34:35], v[36:37]
	v_mov_b32_e32 v36, 11
	v_mov_b32_e32 v37, 0x3fe00000
	s_mov_b32 s16, 0
	v_fmac_f64_e32 v[36:37], v[34:35], v[38:39]
	s_mov_b32 s17, 0x40900000
	v_fma_f64 v[36:37], v[34:35], v[36:37], 1.0
	v_cmp_nlt_f64_e32 vcc, s[16:17], v[10:11]
	s_mov_b32 s16, 0
	v_fma_f64 v[34:35], v[34:35], v[36:37], 1.0
	v_cvt_i32_f64_e32 v12, v[12:13]
	s_mov_b32 s17, 0xc090cc00
	v_ldexp_f64 v[12:13], v[34:35], v12
	v_mov_b32_e32 v31, 0x7ff00000
	v_cmp_ngt_f64_e64 s[16:17], s[16:17], v[10:11]
	v_cndmask_b32_e32 v13, v31, v13, vcc
	s_and_b64 vcc, s[16:17], vcc
	v_cndmask_b32_e64 v11, 0, v13, s[16:17]
	v_cndmask_b32_e32 v10, 0, v12, vcc
	v_add_f64 v[12:13], v[10:11], 1.0
	v_add_f64 v[34:35], v[12:13], -1.0
	v_add_f64 v[36:37], v[34:35], -v[12:13]
	v_add_f64 v[36:37], v[36:37], 1.0
	v_add_f64 v[34:35], v[10:11], -v[34:35]
	s_mov_b32 s16, 0x55555555
	v_add_f64 v[34:35], v[34:35], v[36:37]
	v_frexp_mant_f64_e32 v[36:37], v[12:13]
	s_mov_b32 s17, 0x3fe55555
	v_frexp_exp_i32_f64_e32 v38, v[12:13]
	v_cmp_gt_f64_e32 vcc, s[16:17], v[36:37]
	s_mov_b32 s16, 0xbf559e2b
	s_mov_b32 s17, 0x3fc3ab76
	v_subbrev_co_u32_e32 v52, vcc, 0, v38, vcc
	v_sub_u32_e32 v36, 0, v52
	v_ldexp_f64 v[12:13], v[12:13], v36
	v_ldexp_f64 v[34:35], v[34:35], v36
	v_add_f64 v[36:37], v[12:13], -1.0
	v_add_f64 v[42:43], v[12:13], 1.0
	v_add_f64 v[38:39], v[36:37], 1.0
	v_add_f64 v[44:45], v[42:43], -1.0
	v_add_f64 v[38:39], v[12:13], -v[38:39]
	v_add_f64 v[12:13], v[12:13], -v[44:45]
	v_add_f64 v[12:13], v[34:35], v[12:13]
	v_add_f64 v[38:39], v[34:35], v[38:39]
	;; [unrolled: 1-line block ×3, first 2 shown]
	v_rcp_f64_e32 v[44:45], v[34:35]
	v_add_f64 v[40:41], v[36:37], v[38:39]
	v_add_f64 v[36:37], v[40:41], -v[36:37]
	v_add_f64 v[36:37], v[38:39], -v[36:37]
	;; [unrolled: 1-line block ×4, first 2 shown]
	v_fma_f64 v[38:39], -v[34:35], v[44:45], 1.0
	v_fmac_f64_e32 v[44:45], v[38:39], v[44:45]
	v_fma_f64 v[38:39], -v[34:35], v[44:45], 1.0
	v_fmac_f64_e32 v[44:45], v[38:39], v[44:45]
	v_mul_f64 v[38:39], v[40:41], v[44:45]
	v_mul_f64 v[42:43], v[34:35], v[38:39]
	v_fma_f64 v[46:47], v[38:39], v[34:35], -v[42:43]
	v_fmac_f64_e32 v[46:47], v[38:39], v[12:13]
	v_add_f64 v[48:49], v[42:43], v[46:47]
	v_add_f64 v[50:51], v[40:41], -v[48:49]
	v_add_f64 v[40:41], v[40:41], -v[50:51]
	;; [unrolled: 1-line block ×4, first 2 shown]
	v_add_f64 v[36:37], v[36:37], v[40:41]
	v_add_f64 v[40:41], v[42:43], -v[46:47]
	v_add_f64 v[36:37], v[40:41], v[36:37]
	v_add_f64 v[40:41], v[50:51], v[36:37]
	v_add_f64 v[42:43], v[50:51], -v[40:41]
	v_add_f64 v[36:37], v[36:37], v[42:43]
	v_mul_f64 v[42:43], v[44:45], v[40:41]
	v_mul_f64 v[46:47], v[34:35], v[42:43]
	v_fma_f64 v[34:35], v[42:43], v[34:35], -v[46:47]
	v_fmac_f64_e32 v[34:35], v[42:43], v[12:13]
	v_add_f64 v[12:13], v[46:47], v[34:35]
	v_add_f64 v[48:49], v[40:41], -v[12:13]
	v_add_f64 v[40:41], v[40:41], -v[48:49]
	;; [unrolled: 1-line block ×4, first 2 shown]
	v_add_f64 v[12:13], v[36:37], v[12:13]
	v_add_f64 v[34:35], v[46:47], -v[34:35]
	v_add_f64 v[12:13], v[34:35], v[12:13]
	v_add_f64 v[34:35], v[38:39], v[42:43]
	;; [unrolled: 1-line block ×3, first 2 shown]
	v_add_f64 v[36:37], v[34:35], -v[38:39]
	v_mul_f64 v[12:13], v[44:45], v[12:13]
	v_add_f64 v[36:37], v[42:43], -v[36:37]
	v_add_f64 v[12:13], v[36:37], v[12:13]
	v_add_f64 v[36:37], v[34:35], v[12:13]
	v_add_f64 v[34:35], v[36:37], -v[34:35]
	v_add_f64 v[12:13], v[12:13], -v[34:35]
	v_mul_f64 v[34:35], v[36:37], v[36:37]
	v_mov_b32_e32 v38, 0x6b47b09a
	v_mov_b32_e32 v39, 0x3fc38538
	v_fmac_f64_e32 v[38:39], s[16:17], v[34:35]
	v_mov_b32_e32 v40, 0xd7f4df2e
	v_mov_b32_e32 v41, 0x3fc7474d
	v_fmac_f64_e32 v[40:41], v[34:35], v[38:39]
	;; [unrolled: 3-line block ×6, first 2 shown]
	v_cvt_f64_i32_e32 v[38:39], v52
	s_mov_b32 s23, 0x3fe62e42
	v_mul_f64 v[42:43], v[38:39], s[22:23]
	v_fma_f64 v[44:45], v[38:39], s[22:23], -v[42:43]
	s_mov_b32 s43, 0x3c7abc9e
	v_fmac_f64_e32 v[44:45], s[42:43], v[38:39]
	v_add_f64 v[38:39], v[42:43], v[44:45]
	v_add_f64 v[42:43], v[38:39], -v[42:43]
	v_mul_f64 v[34:35], v[36:37], v[34:35]
	v_add_f64 v[42:43], v[44:45], -v[42:43]
	v_ldexp_f64 v[44:45], v[36:37], 1
	v_mul_f64 v[34:35], v[34:35], v[40:41]
	v_add_f64 v[36:37], v[44:45], v[34:35]
	v_add_f64 v[40:41], v[36:37], -v[44:45]
	v_ldexp_f64 v[12:13], v[12:13], 1
	v_add_f64 v[34:35], v[34:35], -v[40:41]
	v_add_f64 v[12:13], v[12:13], v[34:35]
	v_add_f64 v[34:35], v[36:37], v[12:13]
	v_add_f64 v[36:37], v[34:35], -v[36:37]
	v_add_f64 v[12:13], v[12:13], -v[36:37]
	v_add_f64 v[36:37], v[38:39], v[34:35]
	v_add_f64 v[40:41], v[36:37], -v[38:39]
	v_add_f64 v[44:45], v[36:37], -v[40:41]
	;; [unrolled: 1-line block ×4, first 2 shown]
	v_add_f64 v[34:35], v[34:35], v[38:39]
	v_add_f64 v[38:39], v[42:43], v[12:13]
	v_add_f64 v[40:41], v[38:39], -v[42:43]
	v_add_f64 v[34:35], v[38:39], v[34:35]
	v_add_f64 v[44:45], v[38:39], -v[40:41]
	;; [unrolled: 2-line block ×3, first 2 shown]
	v_add_f64 v[12:13], v[12:13], -v[40:41]
	v_add_f64 v[36:37], v[38:39], -v[36:37]
	v_add_f64 v[12:13], v[12:13], v[42:43]
	v_add_f64 v[34:35], v[34:35], -v[36:37]
	s_mov_b32 s16, 0
	v_add_f64 v[12:13], v[12:13], v[34:35]
	s_mov_b32 s17, 0x7ff00000
	v_add_f64 v[12:13], v[38:39], v[12:13]
	v_cmp_neq_f64_e32 vcc, s[16:17], v[10:11]
	v_cmp_ngt_f64_e64 s[16:17], -1.0, v[10:11]
	s_nop 0
	v_cndmask_b32_e32 v13, v31, v13, vcc
	v_mov_b32_e32 v31, 0x7ff80000
	v_cndmask_b32_e64 v13, v31, v13, s[16:17]
	v_cmp_nge_f64_e64 s[16:17], -1.0, v[10:11]
	s_and_b64 vcc, s[16:17], vcc
	v_cndmask_b32_e32 v12, 0, v12, vcc
	v_mov_b32_e32 v31, 0xfff00000
	v_cmp_neq_f64_e32 vcc, -1.0, v[10:11]
	s_nop 1
	v_cndmask_b32_e32 v13, v31, v13, vcc
	v_add_f64 v[36:37], v[8:9], v[12:13]
.LBB66_148:
	s_or_b64 exec, exec, s[20:21]
	v_mov_b64_e32 v[8:9], v[36:37]
.LBB66_149:
	s_or_b64 exec, exec, s[18:19]
	v_max_f64 v[12:13], v[8:9], v[8:9]
	s_waitcnt lgkmcnt(0)
	v_max_f64 v[34:35], v[6:7], v[6:7]
	v_min_f64 v[10:11], v[34:35], v[12:13]
	v_cmp_u_f64_e32 vcc, v[6:7], v[6:7]
	v_max_f64 v[12:13], v[34:35], v[12:13]
	v_cmp_u_f64_e64 s[16:17], v[8:9], v[8:9]
	v_cndmask_b32_e32 v10, v10, v6, vcc
	v_cndmask_b32_e32 v11, v11, v7, vcc
	;; [unrolled: 1-line block ×4, first 2 shown]
	v_cndmask_b32_e64 v11, v11, v9, s[16:17]
	v_cndmask_b32_e64 v10, v10, v8, s[16:17]
	;; [unrolled: 1-line block ×4, first 2 shown]
	s_movk_i32 s42, 0x1f8
	v_cmp_neq_f64_e32 vcc, v[10:11], v[8:9]
	v_cmp_class_f64_e64 s[16:17], v[10:11], s42
	s_or_b64 s[16:17], vcc, s[16:17]
	s_and_saveexec_b64 s[18:19], s[16:17]
	s_cbranch_execz .LBB66_151
; %bb.150:
	s_mov_b32 s16, 0x652b82fe
	v_add_f64 v[6:7], v[10:11], -v[8:9]
	s_mov_b32 s17, 0x3ff71547
	v_mul_f64 v[10:11], v[6:7], s[16:17]
	v_rndne_f64_e32 v[10:11], v[10:11]
	s_mov_b32 s21, 0xbfe62e42
	s_mov_b32 s20, 0xfefa39ef
	v_fma_f64 v[12:13], s[20:21], v[10:11], v[6:7]
	s_mov_b32 s23, 0xbc7abc9e
	s_mov_b32 s22, 0x3b39803f
	;; [unrolled: 1-line block ×3, first 2 shown]
	v_fmac_f64_e32 v[12:13], s[22:23], v[10:11]
	v_mov_b32_e32 v34, 0xfca7ab0c
	v_mov_b32_e32 v35, 0x3e928af3
	s_mov_b32 s17, 0x3e5ade15
	v_fmac_f64_e32 v[34:35], s[16:17], v[12:13]
	v_mov_b32_e32 v36, 0x623fde64
	v_mov_b32_e32 v37, 0x3ec71dee
	v_fmac_f64_e32 v[36:37], v[12:13], v[34:35]
	v_mov_b32_e32 v34, 0x7c89e6b0
	v_mov_b32_e32 v35, 0x3efa0199
	;; [unrolled: 3-line block ×8, first 2 shown]
	s_mov_b32 s16, 0
	v_fmac_f64_e32 v[34:35], v[12:13], v[36:37]
	s_mov_b32 s17, 0x40900000
	v_fma_f64 v[34:35], v[12:13], v[34:35], 1.0
	v_cmp_nlt_f64_e32 vcc, s[16:17], v[6:7]
	s_mov_b32 s16, 0
	v_fma_f64 v[12:13], v[12:13], v[34:35], 1.0
	v_cvt_i32_f64_e32 v10, v[10:11]
	s_mov_b32 s17, 0xc090cc00
	v_ldexp_f64 v[10:11], v[12:13], v10
	v_mov_b32_e32 v31, 0x7ff00000
	v_cmp_ngt_f64_e64 s[16:17], s[16:17], v[6:7]
	v_cndmask_b32_e32 v11, v31, v11, vcc
	s_and_b64 vcc, s[16:17], vcc
	v_cndmask_b32_e64 v7, 0, v11, s[16:17]
	v_cndmask_b32_e32 v6, 0, v10, vcc
	v_add_f64 v[10:11], v[6:7], 1.0
	v_add_f64 v[12:13], v[10:11], -1.0
	v_add_f64 v[34:35], v[12:13], -v[10:11]
	v_add_f64 v[34:35], v[34:35], 1.0
	v_add_f64 v[12:13], v[6:7], -v[12:13]
	s_mov_b32 s16, 0x55555555
	v_add_f64 v[12:13], v[12:13], v[34:35]
	v_frexp_mant_f64_e32 v[34:35], v[10:11]
	s_mov_b32 s17, 0x3fe55555
	v_frexp_exp_i32_f64_e32 v36, v[10:11]
	v_cmp_gt_f64_e32 vcc, s[16:17], v[34:35]
	s_mov_b32 s16, 0xbf559e2b
	s_mov_b32 s17, 0x3fc3ab76
	v_subbrev_co_u32_e32 v50, vcc, 0, v36, vcc
	v_sub_u32_e32 v34, 0, v50
	v_ldexp_f64 v[10:11], v[10:11], v34
	v_ldexp_f64 v[12:13], v[12:13], v34
	v_add_f64 v[34:35], v[10:11], -1.0
	v_add_f64 v[40:41], v[10:11], 1.0
	v_add_f64 v[36:37], v[34:35], 1.0
	v_add_f64 v[42:43], v[40:41], -1.0
	v_add_f64 v[36:37], v[10:11], -v[36:37]
	v_add_f64 v[10:11], v[10:11], -v[42:43]
	v_add_f64 v[10:11], v[12:13], v[10:11]
	v_add_f64 v[36:37], v[12:13], v[36:37]
	;; [unrolled: 1-line block ×3, first 2 shown]
	v_rcp_f64_e32 v[42:43], v[12:13]
	v_add_f64 v[38:39], v[34:35], v[36:37]
	v_add_f64 v[34:35], v[38:39], -v[34:35]
	v_add_f64 v[34:35], v[36:37], -v[34:35]
	v_add_f64 v[36:37], v[12:13], -v[40:41]
	v_add_f64 v[10:11], v[10:11], -v[36:37]
	v_fma_f64 v[36:37], -v[12:13], v[42:43], 1.0
	v_fmac_f64_e32 v[42:43], v[36:37], v[42:43]
	v_fma_f64 v[36:37], -v[12:13], v[42:43], 1.0
	v_fmac_f64_e32 v[42:43], v[36:37], v[42:43]
	v_mul_f64 v[36:37], v[38:39], v[42:43]
	v_mul_f64 v[40:41], v[12:13], v[36:37]
	v_fma_f64 v[44:45], v[36:37], v[12:13], -v[40:41]
	v_fmac_f64_e32 v[44:45], v[36:37], v[10:11]
	v_add_f64 v[46:47], v[40:41], v[44:45]
	v_add_f64 v[48:49], v[38:39], -v[46:47]
	v_add_f64 v[38:39], v[38:39], -v[48:49]
	;; [unrolled: 1-line block ×4, first 2 shown]
	v_add_f64 v[34:35], v[34:35], v[38:39]
	v_add_f64 v[38:39], v[40:41], -v[44:45]
	v_add_f64 v[34:35], v[38:39], v[34:35]
	v_add_f64 v[38:39], v[48:49], v[34:35]
	v_add_f64 v[40:41], v[48:49], -v[38:39]
	v_add_f64 v[34:35], v[34:35], v[40:41]
	v_mul_f64 v[40:41], v[42:43], v[38:39]
	v_mul_f64 v[44:45], v[12:13], v[40:41]
	v_fma_f64 v[12:13], v[40:41], v[12:13], -v[44:45]
	v_fmac_f64_e32 v[12:13], v[40:41], v[10:11]
	v_add_f64 v[10:11], v[44:45], v[12:13]
	v_add_f64 v[46:47], v[38:39], -v[10:11]
	v_add_f64 v[38:39], v[38:39], -v[46:47]
	;; [unrolled: 1-line block ×4, first 2 shown]
	v_add_f64 v[10:11], v[34:35], v[10:11]
	v_add_f64 v[12:13], v[44:45], -v[12:13]
	v_add_f64 v[10:11], v[12:13], v[10:11]
	v_add_f64 v[12:13], v[36:37], v[40:41]
	;; [unrolled: 1-line block ×3, first 2 shown]
	v_add_f64 v[34:35], v[12:13], -v[36:37]
	v_mul_f64 v[10:11], v[42:43], v[10:11]
	v_add_f64 v[34:35], v[40:41], -v[34:35]
	v_add_f64 v[10:11], v[34:35], v[10:11]
	v_add_f64 v[34:35], v[12:13], v[10:11]
	v_add_f64 v[12:13], v[34:35], -v[12:13]
	v_add_f64 v[10:11], v[10:11], -v[12:13]
	v_mul_f64 v[12:13], v[34:35], v[34:35]
	v_mov_b32_e32 v36, 0x6b47b09a
	v_mov_b32_e32 v37, 0x3fc38538
	v_fmac_f64_e32 v[36:37], s[16:17], v[12:13]
	v_mov_b32_e32 v38, 0xd7f4df2e
	v_mov_b32_e32 v39, 0x3fc7474d
	v_fmac_f64_e32 v[38:39], v[12:13], v[36:37]
	;; [unrolled: 3-line block ×6, first 2 shown]
	v_cvt_f64_i32_e32 v[36:37], v50
	s_mov_b32 s21, 0x3fe62e42
	v_mul_f64 v[40:41], v[36:37], s[20:21]
	v_fma_f64 v[42:43], v[36:37], s[20:21], -v[40:41]
	s_mov_b32 s23, 0x3c7abc9e
	v_fmac_f64_e32 v[42:43], s[22:23], v[36:37]
	v_add_f64 v[36:37], v[40:41], v[42:43]
	v_add_f64 v[40:41], v[36:37], -v[40:41]
	v_mul_f64 v[12:13], v[34:35], v[12:13]
	v_add_f64 v[40:41], v[42:43], -v[40:41]
	v_ldexp_f64 v[42:43], v[34:35], 1
	v_mul_f64 v[12:13], v[12:13], v[38:39]
	v_add_f64 v[34:35], v[42:43], v[12:13]
	v_add_f64 v[38:39], v[34:35], -v[42:43]
	v_ldexp_f64 v[10:11], v[10:11], 1
	v_add_f64 v[12:13], v[12:13], -v[38:39]
	v_add_f64 v[10:11], v[10:11], v[12:13]
	v_add_f64 v[12:13], v[34:35], v[10:11]
	v_add_f64 v[34:35], v[12:13], -v[34:35]
	v_add_f64 v[10:11], v[10:11], -v[34:35]
	v_add_f64 v[34:35], v[36:37], v[12:13]
	v_add_f64 v[38:39], v[34:35], -v[36:37]
	v_add_f64 v[42:43], v[34:35], -v[38:39]
	;; [unrolled: 1-line block ×4, first 2 shown]
	v_add_f64 v[12:13], v[12:13], v[36:37]
	v_add_f64 v[36:37], v[40:41], v[10:11]
	v_add_f64 v[38:39], v[36:37], -v[40:41]
	v_add_f64 v[12:13], v[36:37], v[12:13]
	v_add_f64 v[42:43], v[36:37], -v[38:39]
	;; [unrolled: 2-line block ×3, first 2 shown]
	v_add_f64 v[10:11], v[10:11], -v[38:39]
	v_add_f64 v[34:35], v[36:37], -v[34:35]
	v_add_f64 v[10:11], v[10:11], v[40:41]
	v_add_f64 v[12:13], v[12:13], -v[34:35]
	s_mov_b32 s16, 0
	v_add_f64 v[10:11], v[10:11], v[12:13]
	s_mov_b32 s17, 0x7ff00000
	v_add_f64 v[10:11], v[36:37], v[10:11]
	v_cmp_neq_f64_e32 vcc, s[16:17], v[6:7]
	v_mov_b32_e32 v12, 0x7ff80000
	v_cmp_ngt_f64_e64 s[16:17], -1.0, v[6:7]
	v_cndmask_b32_e32 v11, v31, v11, vcc
	s_nop 0
	v_cndmask_b32_e64 v11, v12, v11, s[16:17]
	v_cmp_nge_f64_e64 s[16:17], -1.0, v[6:7]
	s_and_b64 vcc, s[16:17], vcc
	v_cndmask_b32_e32 v10, 0, v10, vcc
	v_mov_b32_e32 v12, 0xfff00000
	v_cmp_neq_f64_e32 vcc, -1.0, v[6:7]
	s_nop 1
	v_cndmask_b32_e32 v11, v12, v11, vcc
	v_add_f64 v[6:7], v[8:9], v[10:11]
.LBB66_151:
	s_or_b64 exec, exec, s[18:19]
	v_max_f64 v[8:9], v[6:7], v[6:7]
	v_min_f64 v[10:11], v[8:9], v[32:33]
	v_cmp_u_f64_e32 vcc, v[6:7], v[6:7]
	v_max_f64 v[8:9], v[8:9], v[32:33]
	s_nop 0
	v_cndmask_b32_e32 v10, v10, v6, vcc
	v_cndmask_b32_e32 v11, v11, v7, vcc
	;; [unrolled: 1-line block ×4, first 2 shown]
	v_cndmask_b32_e64 v13, v11, v5, s[6:7]
	v_cndmask_b32_e64 v12, v10, v4, s[6:7]
	;; [unrolled: 1-line block ×4, first 2 shown]
	v_cmp_neq_f64_e32 vcc, v[12:13], v[10:11]
	v_cmp_class_f64_e64 s[6:7], v[12:13], s42
	s_or_b64 s[6:7], vcc, s[6:7]
	v_mov_b64_e32 v[8:9], v[6:7]
	s_and_saveexec_b64 s[16:17], s[6:7]
	s_cbranch_execz .LBB66_153
; %bb.152:
	s_mov_b32 s6, 0x652b82fe
	v_add_f64 v[8:9], v[12:13], -v[10:11]
	s_mov_b32 s7, 0x3ff71547
	v_mul_f64 v[12:13], v[8:9], s[6:7]
	v_rndne_f64_e32 v[12:13], v[12:13]
	s_mov_b32 s19, 0xbfe62e42
	s_mov_b32 s18, 0xfefa39ef
	v_fma_f64 v[34:35], s[18:19], v[12:13], v[8:9]
	s_mov_b32 s21, 0xbc7abc9e
	s_mov_b32 s20, 0x3b39803f
	;; [unrolled: 1-line block ×3, first 2 shown]
	v_fmac_f64_e32 v[34:35], s[20:21], v[12:13]
	v_mov_b32_e32 v36, 0xfca7ab0c
	v_mov_b32_e32 v37, 0x3e928af3
	s_mov_b32 s7, 0x3e5ade15
	v_fmac_f64_e32 v[36:37], s[6:7], v[34:35]
	v_mov_b32_e32 v38, 0x623fde64
	v_mov_b32_e32 v39, 0x3ec71dee
	v_fmac_f64_e32 v[38:39], v[34:35], v[36:37]
	v_mov_b32_e32 v36, 0x7c89e6b0
	v_mov_b32_e32 v37, 0x3efa0199
	;; [unrolled: 3-line block ×8, first 2 shown]
	s_mov_b32 s6, 0
	v_fmac_f64_e32 v[36:37], v[34:35], v[38:39]
	s_mov_b32 s7, 0x40900000
	v_fma_f64 v[36:37], v[34:35], v[36:37], 1.0
	v_cmp_nlt_f64_e32 vcc, s[6:7], v[8:9]
	s_mov_b32 s6, 0
	v_fma_f64 v[34:35], v[34:35], v[36:37], 1.0
	v_cvt_i32_f64_e32 v12, v[12:13]
	s_mov_b32 s7, 0xc090cc00
	v_ldexp_f64 v[12:13], v[34:35], v12
	v_mov_b32_e32 v31, 0x7ff00000
	v_cmp_ngt_f64_e64 s[6:7], s[6:7], v[8:9]
	v_cndmask_b32_e32 v13, v31, v13, vcc
	s_and_b64 vcc, s[6:7], vcc
	v_cndmask_b32_e64 v9, 0, v13, s[6:7]
	v_cndmask_b32_e32 v8, 0, v12, vcc
	v_add_f64 v[12:13], v[8:9], 1.0
	v_add_f64 v[34:35], v[12:13], -1.0
	v_add_f64 v[36:37], v[34:35], -v[12:13]
	v_add_f64 v[36:37], v[36:37], 1.0
	v_add_f64 v[34:35], v[8:9], -v[34:35]
	s_mov_b32 s6, 0x55555555
	v_add_f64 v[34:35], v[34:35], v[36:37]
	v_frexp_mant_f64_e32 v[36:37], v[12:13]
	s_mov_b32 s7, 0x3fe55555
	v_frexp_exp_i32_f64_e32 v38, v[12:13]
	v_cmp_gt_f64_e32 vcc, s[6:7], v[36:37]
	s_mov_b32 s6, 0xbf559e2b
	s_mov_b32 s7, 0x3fc3ab76
	v_subbrev_co_u32_e32 v52, vcc, 0, v38, vcc
	v_sub_u32_e32 v36, 0, v52
	v_ldexp_f64 v[12:13], v[12:13], v36
	v_ldexp_f64 v[34:35], v[34:35], v36
	v_add_f64 v[36:37], v[12:13], -1.0
	v_add_f64 v[42:43], v[12:13], 1.0
	v_add_f64 v[38:39], v[36:37], 1.0
	v_add_f64 v[44:45], v[42:43], -1.0
	v_add_f64 v[38:39], v[12:13], -v[38:39]
	v_add_f64 v[12:13], v[12:13], -v[44:45]
	v_add_f64 v[12:13], v[34:35], v[12:13]
	v_add_f64 v[38:39], v[34:35], v[38:39]
	;; [unrolled: 1-line block ×3, first 2 shown]
	v_rcp_f64_e32 v[44:45], v[34:35]
	v_add_f64 v[40:41], v[36:37], v[38:39]
	v_add_f64 v[36:37], v[40:41], -v[36:37]
	v_add_f64 v[36:37], v[38:39], -v[36:37]
	;; [unrolled: 1-line block ×4, first 2 shown]
	v_fma_f64 v[38:39], -v[34:35], v[44:45], 1.0
	v_fmac_f64_e32 v[44:45], v[38:39], v[44:45]
	v_fma_f64 v[38:39], -v[34:35], v[44:45], 1.0
	v_fmac_f64_e32 v[44:45], v[38:39], v[44:45]
	v_mul_f64 v[38:39], v[40:41], v[44:45]
	v_mul_f64 v[42:43], v[34:35], v[38:39]
	v_fma_f64 v[46:47], v[38:39], v[34:35], -v[42:43]
	v_fmac_f64_e32 v[46:47], v[38:39], v[12:13]
	v_add_f64 v[48:49], v[42:43], v[46:47]
	v_add_f64 v[50:51], v[40:41], -v[48:49]
	v_add_f64 v[40:41], v[40:41], -v[50:51]
	;; [unrolled: 1-line block ×4, first 2 shown]
	v_add_f64 v[36:37], v[36:37], v[40:41]
	v_add_f64 v[40:41], v[42:43], -v[46:47]
	v_add_f64 v[36:37], v[40:41], v[36:37]
	v_add_f64 v[40:41], v[50:51], v[36:37]
	v_add_f64 v[42:43], v[50:51], -v[40:41]
	v_add_f64 v[36:37], v[36:37], v[42:43]
	v_mul_f64 v[42:43], v[44:45], v[40:41]
	v_mul_f64 v[46:47], v[34:35], v[42:43]
	v_fma_f64 v[34:35], v[42:43], v[34:35], -v[46:47]
	v_fmac_f64_e32 v[34:35], v[42:43], v[12:13]
	v_add_f64 v[12:13], v[46:47], v[34:35]
	v_add_f64 v[48:49], v[40:41], -v[12:13]
	v_add_f64 v[40:41], v[40:41], -v[48:49]
	v_add_f64 v[46:47], v[12:13], -v[46:47]
	v_add_f64 v[12:13], v[40:41], -v[12:13]
	v_add_f64 v[12:13], v[36:37], v[12:13]
	v_add_f64 v[34:35], v[46:47], -v[34:35]
	v_add_f64 v[12:13], v[34:35], v[12:13]
	v_add_f64 v[34:35], v[38:39], v[42:43]
	;; [unrolled: 1-line block ×3, first 2 shown]
	v_add_f64 v[36:37], v[34:35], -v[38:39]
	v_mul_f64 v[12:13], v[44:45], v[12:13]
	v_add_f64 v[36:37], v[42:43], -v[36:37]
	v_add_f64 v[12:13], v[36:37], v[12:13]
	v_add_f64 v[36:37], v[34:35], v[12:13]
	v_add_f64 v[34:35], v[36:37], -v[34:35]
	v_add_f64 v[12:13], v[12:13], -v[34:35]
	v_mul_f64 v[34:35], v[36:37], v[36:37]
	v_mov_b32_e32 v38, 0x6b47b09a
	v_mov_b32_e32 v39, 0x3fc38538
	v_fmac_f64_e32 v[38:39], s[6:7], v[34:35]
	v_mov_b32_e32 v40, 0xd7f4df2e
	v_mov_b32_e32 v41, 0x3fc7474d
	v_fmac_f64_e32 v[40:41], v[34:35], v[38:39]
	v_mov_b32_e32 v38, 0x16291751
	v_mov_b32_e32 v39, 0x3fcc71c0
	v_fmac_f64_e32 v[38:39], v[34:35], v[40:41]
	v_mov_b32_e32 v40, 0x9b27acf1
	v_mov_b32_e32 v41, 0x3fd24924
	v_fmac_f64_e32 v[40:41], v[34:35], v[38:39]
	v_mov_b32_e32 v38, 0x998ef7b6
	v_mov_b32_e32 v39, 0x3fd99999
	v_fmac_f64_e32 v[38:39], v[34:35], v[40:41]
	v_mov_b32_e32 v40, 0x55555780
	v_mov_b32_e32 v41, 0x3fe55555
	v_fmac_f64_e32 v[40:41], v[34:35], v[38:39]
	v_cvt_f64_i32_e32 v[38:39], v52
	s_mov_b32 s19, 0x3fe62e42
	v_mul_f64 v[42:43], v[38:39], s[18:19]
	v_fma_f64 v[44:45], v[38:39], s[18:19], -v[42:43]
	s_mov_b32 s21, 0x3c7abc9e
	v_fmac_f64_e32 v[44:45], s[20:21], v[38:39]
	v_add_f64 v[38:39], v[42:43], v[44:45]
	v_add_f64 v[42:43], v[38:39], -v[42:43]
	v_mul_f64 v[34:35], v[36:37], v[34:35]
	v_add_f64 v[42:43], v[44:45], -v[42:43]
	v_ldexp_f64 v[44:45], v[36:37], 1
	v_mul_f64 v[34:35], v[34:35], v[40:41]
	v_add_f64 v[36:37], v[44:45], v[34:35]
	v_add_f64 v[40:41], v[36:37], -v[44:45]
	v_ldexp_f64 v[12:13], v[12:13], 1
	v_add_f64 v[34:35], v[34:35], -v[40:41]
	v_add_f64 v[12:13], v[12:13], v[34:35]
	v_add_f64 v[34:35], v[36:37], v[12:13]
	v_add_f64 v[36:37], v[34:35], -v[36:37]
	v_add_f64 v[12:13], v[12:13], -v[36:37]
	v_add_f64 v[36:37], v[38:39], v[34:35]
	v_add_f64 v[40:41], v[36:37], -v[38:39]
	v_add_f64 v[44:45], v[36:37], -v[40:41]
	;; [unrolled: 1-line block ×4, first 2 shown]
	v_add_f64 v[34:35], v[34:35], v[38:39]
	v_add_f64 v[38:39], v[42:43], v[12:13]
	v_add_f64 v[40:41], v[38:39], -v[42:43]
	v_add_f64 v[34:35], v[38:39], v[34:35]
	v_add_f64 v[44:45], v[38:39], -v[40:41]
	;; [unrolled: 2-line block ×3, first 2 shown]
	v_add_f64 v[12:13], v[12:13], -v[40:41]
	v_add_f64 v[36:37], v[38:39], -v[36:37]
	v_add_f64 v[12:13], v[12:13], v[42:43]
	v_add_f64 v[34:35], v[34:35], -v[36:37]
	s_mov_b32 s6, 0
	v_add_f64 v[12:13], v[12:13], v[34:35]
	s_mov_b32 s7, 0x7ff00000
	v_add_f64 v[12:13], v[38:39], v[12:13]
	v_cmp_neq_f64_e32 vcc, s[6:7], v[8:9]
	v_cmp_ngt_f64_e64 s[6:7], -1.0, v[8:9]
	s_nop 0
	v_cndmask_b32_e32 v13, v31, v13, vcc
	v_mov_b32_e32 v31, 0x7ff80000
	v_cndmask_b32_e64 v13, v31, v13, s[6:7]
	v_cmp_nge_f64_e64 s[6:7], -1.0, v[8:9]
	s_and_b64 vcc, s[6:7], vcc
	v_cndmask_b32_e32 v12, 0, v12, vcc
	v_mov_b32_e32 v31, 0xfff00000
	v_cmp_neq_f64_e32 vcc, -1.0, v[8:9]
	s_nop 1
	v_cndmask_b32_e32 v13, v31, v13, vcc
	v_add_f64 v[8:9], v[10:11], v[12:13]
.LBB66_153:
	s_or_b64 exec, exec, s[16:17]
	v_max_f64 v[10:11], v[8:9], v[8:9]
	v_min_f64 v[12:13], v[10:11], v[14:15]
	v_cmp_u_f64_e32 vcc, v[8:9], v[8:9]
	v_max_f64 v[10:11], v[10:11], v[14:15]
	s_movk_i32 s20, 0x1f8
	v_cndmask_b32_e32 v12, v12, v8, vcc
	v_cndmask_b32_e32 v13, v13, v9, vcc
	;; [unrolled: 1-line block ×4, first 2 shown]
	v_cndmask_b32_e64 v35, v13, v27, s[8:9]
	v_cndmask_b32_e64 v34, v12, v26, s[8:9]
	;; [unrolled: 1-line block ×4, first 2 shown]
	v_cmp_neq_f64_e32 vcc, v[34:35], v[12:13]
	v_cmp_class_f64_e64 s[6:7], v[34:35], s20
	s_or_b64 s[6:7], vcc, s[6:7]
	v_mov_b64_e32 v[10:11], v[8:9]
	s_and_saveexec_b64 s[8:9], s[6:7]
	s_cbranch_execz .LBB66_155
; %bb.154:
	s_mov_b32 s6, 0x652b82fe
	v_add_f64 v[10:11], v[34:35], -v[12:13]
	s_mov_b32 s7, 0x3ff71547
	v_mul_f64 v[14:15], v[10:11], s[6:7]
	v_rndne_f64_e32 v[14:15], v[14:15]
	s_mov_b32 s17, 0xbfe62e42
	s_mov_b32 s16, 0xfefa39ef
	v_fma_f64 v[34:35], s[16:17], v[14:15], v[10:11]
	s_mov_b32 s19, 0xbc7abc9e
	s_mov_b32 s18, 0x3b39803f
	;; [unrolled: 1-line block ×3, first 2 shown]
	v_fmac_f64_e32 v[34:35], s[18:19], v[14:15]
	v_mov_b32_e32 v36, 0xfca7ab0c
	v_mov_b32_e32 v37, 0x3e928af3
	s_mov_b32 s7, 0x3e5ade15
	v_fmac_f64_e32 v[36:37], s[6:7], v[34:35]
	v_mov_b32_e32 v38, 0x623fde64
	v_mov_b32_e32 v39, 0x3ec71dee
	v_fmac_f64_e32 v[38:39], v[34:35], v[36:37]
	v_mov_b32_e32 v36, 0x7c89e6b0
	v_mov_b32_e32 v37, 0x3efa0199
	;; [unrolled: 3-line block ×8, first 2 shown]
	s_mov_b32 s6, 0
	v_fmac_f64_e32 v[36:37], v[34:35], v[38:39]
	s_mov_b32 s7, 0x40900000
	v_fma_f64 v[36:37], v[34:35], v[36:37], 1.0
	v_cmp_nlt_f64_e32 vcc, s[6:7], v[10:11]
	s_mov_b32 s6, 0
	v_fma_f64 v[34:35], v[34:35], v[36:37], 1.0
	v_cvt_i32_f64_e32 v14, v[14:15]
	s_mov_b32 s7, 0xc090cc00
	v_ldexp_f64 v[14:15], v[34:35], v14
	v_mov_b32_e32 v31, 0x7ff00000
	v_cmp_ngt_f64_e64 s[6:7], s[6:7], v[10:11]
	v_cndmask_b32_e32 v15, v31, v15, vcc
	s_and_b64 vcc, s[6:7], vcc
	v_cndmask_b32_e64 v11, 0, v15, s[6:7]
	v_cndmask_b32_e32 v10, 0, v14, vcc
	v_add_f64 v[14:15], v[10:11], 1.0
	v_add_f64 v[34:35], v[14:15], -1.0
	v_add_f64 v[36:37], v[34:35], -v[14:15]
	v_add_f64 v[36:37], v[36:37], 1.0
	v_add_f64 v[34:35], v[10:11], -v[34:35]
	s_mov_b32 s6, 0x55555555
	v_add_f64 v[34:35], v[34:35], v[36:37]
	v_frexp_mant_f64_e32 v[36:37], v[14:15]
	s_mov_b32 s7, 0x3fe55555
	v_frexp_exp_i32_f64_e32 v38, v[14:15]
	v_cmp_gt_f64_e32 vcc, s[6:7], v[36:37]
	s_mov_b32 s6, 0xbf559e2b
	s_mov_b32 s7, 0x3fc3ab76
	v_subbrev_co_u32_e32 v52, vcc, 0, v38, vcc
	v_sub_u32_e32 v36, 0, v52
	v_ldexp_f64 v[14:15], v[14:15], v36
	v_ldexp_f64 v[34:35], v[34:35], v36
	v_add_f64 v[36:37], v[14:15], -1.0
	v_add_f64 v[42:43], v[14:15], 1.0
	v_add_f64 v[38:39], v[36:37], 1.0
	v_add_f64 v[44:45], v[42:43], -1.0
	v_add_f64 v[38:39], v[14:15], -v[38:39]
	v_add_f64 v[14:15], v[14:15], -v[44:45]
	v_add_f64 v[14:15], v[34:35], v[14:15]
	v_add_f64 v[38:39], v[34:35], v[38:39]
	;; [unrolled: 1-line block ×3, first 2 shown]
	v_rcp_f64_e32 v[44:45], v[34:35]
	v_add_f64 v[40:41], v[36:37], v[38:39]
	v_add_f64 v[36:37], v[40:41], -v[36:37]
	v_add_f64 v[36:37], v[38:39], -v[36:37]
	;; [unrolled: 1-line block ×4, first 2 shown]
	v_fma_f64 v[38:39], -v[34:35], v[44:45], 1.0
	v_fmac_f64_e32 v[44:45], v[38:39], v[44:45]
	v_fma_f64 v[38:39], -v[34:35], v[44:45], 1.0
	v_fmac_f64_e32 v[44:45], v[38:39], v[44:45]
	v_mul_f64 v[38:39], v[40:41], v[44:45]
	v_mul_f64 v[42:43], v[34:35], v[38:39]
	v_fma_f64 v[46:47], v[38:39], v[34:35], -v[42:43]
	v_fmac_f64_e32 v[46:47], v[38:39], v[14:15]
	v_add_f64 v[48:49], v[42:43], v[46:47]
	v_add_f64 v[50:51], v[40:41], -v[48:49]
	v_add_f64 v[40:41], v[40:41], -v[50:51]
	;; [unrolled: 1-line block ×4, first 2 shown]
	v_add_f64 v[36:37], v[36:37], v[40:41]
	v_add_f64 v[40:41], v[42:43], -v[46:47]
	v_add_f64 v[36:37], v[40:41], v[36:37]
	v_add_f64 v[40:41], v[50:51], v[36:37]
	v_add_f64 v[42:43], v[50:51], -v[40:41]
	v_add_f64 v[36:37], v[36:37], v[42:43]
	v_mul_f64 v[42:43], v[44:45], v[40:41]
	v_mul_f64 v[46:47], v[34:35], v[42:43]
	v_fma_f64 v[34:35], v[42:43], v[34:35], -v[46:47]
	v_fmac_f64_e32 v[34:35], v[42:43], v[14:15]
	v_add_f64 v[14:15], v[46:47], v[34:35]
	v_add_f64 v[48:49], v[40:41], -v[14:15]
	v_add_f64 v[40:41], v[40:41], -v[48:49]
	;; [unrolled: 1-line block ×4, first 2 shown]
	v_add_f64 v[14:15], v[36:37], v[14:15]
	v_add_f64 v[34:35], v[46:47], -v[34:35]
	v_add_f64 v[14:15], v[34:35], v[14:15]
	v_add_f64 v[34:35], v[38:39], v[42:43]
	;; [unrolled: 1-line block ×3, first 2 shown]
	v_add_f64 v[36:37], v[34:35], -v[38:39]
	v_mul_f64 v[14:15], v[44:45], v[14:15]
	v_add_f64 v[36:37], v[42:43], -v[36:37]
	v_add_f64 v[14:15], v[36:37], v[14:15]
	v_add_f64 v[36:37], v[34:35], v[14:15]
	v_add_f64 v[34:35], v[36:37], -v[34:35]
	v_add_f64 v[14:15], v[14:15], -v[34:35]
	v_mul_f64 v[34:35], v[36:37], v[36:37]
	v_mov_b32_e32 v38, 0x6b47b09a
	v_mov_b32_e32 v39, 0x3fc38538
	v_fmac_f64_e32 v[38:39], s[6:7], v[34:35]
	v_mov_b32_e32 v40, 0xd7f4df2e
	v_mov_b32_e32 v41, 0x3fc7474d
	v_fmac_f64_e32 v[40:41], v[34:35], v[38:39]
	;; [unrolled: 3-line block ×6, first 2 shown]
	v_cvt_f64_i32_e32 v[38:39], v52
	s_mov_b32 s17, 0x3fe62e42
	v_mul_f64 v[42:43], v[38:39], s[16:17]
	v_fma_f64 v[44:45], v[38:39], s[16:17], -v[42:43]
	s_mov_b32 s19, 0x3c7abc9e
	v_fmac_f64_e32 v[44:45], s[18:19], v[38:39]
	v_add_f64 v[38:39], v[42:43], v[44:45]
	v_add_f64 v[42:43], v[38:39], -v[42:43]
	v_mul_f64 v[34:35], v[36:37], v[34:35]
	v_add_f64 v[42:43], v[44:45], -v[42:43]
	v_ldexp_f64 v[44:45], v[36:37], 1
	v_mul_f64 v[34:35], v[34:35], v[40:41]
	v_add_f64 v[36:37], v[44:45], v[34:35]
	v_add_f64 v[40:41], v[36:37], -v[44:45]
	v_ldexp_f64 v[14:15], v[14:15], 1
	v_add_f64 v[34:35], v[34:35], -v[40:41]
	v_add_f64 v[14:15], v[14:15], v[34:35]
	v_add_f64 v[34:35], v[36:37], v[14:15]
	v_add_f64 v[36:37], v[34:35], -v[36:37]
	v_add_f64 v[14:15], v[14:15], -v[36:37]
	v_add_f64 v[36:37], v[38:39], v[34:35]
	v_add_f64 v[40:41], v[36:37], -v[38:39]
	v_add_f64 v[44:45], v[36:37], -v[40:41]
	;; [unrolled: 1-line block ×4, first 2 shown]
	v_add_f64 v[34:35], v[34:35], v[38:39]
	v_add_f64 v[38:39], v[42:43], v[14:15]
	v_add_f64 v[40:41], v[38:39], -v[42:43]
	v_add_f64 v[34:35], v[38:39], v[34:35]
	v_add_f64 v[44:45], v[38:39], -v[40:41]
	;; [unrolled: 2-line block ×3, first 2 shown]
	v_add_f64 v[14:15], v[14:15], -v[40:41]
	v_add_f64 v[36:37], v[38:39], -v[36:37]
	v_add_f64 v[14:15], v[14:15], v[42:43]
	v_add_f64 v[34:35], v[34:35], -v[36:37]
	s_mov_b32 s6, 0
	v_add_f64 v[14:15], v[14:15], v[34:35]
	s_mov_b32 s7, 0x7ff00000
	v_add_f64 v[14:15], v[38:39], v[14:15]
	v_cmp_neq_f64_e32 vcc, s[6:7], v[10:11]
	v_cmp_ngt_f64_e64 s[6:7], -1.0, v[10:11]
	s_nop 0
	v_cndmask_b32_e32 v15, v31, v15, vcc
	v_mov_b32_e32 v31, 0x7ff80000
	v_cndmask_b32_e64 v15, v31, v15, s[6:7]
	v_cmp_nge_f64_e64 s[6:7], -1.0, v[10:11]
	s_and_b64 vcc, s[6:7], vcc
	v_cndmask_b32_e32 v14, 0, v14, vcc
	v_mov_b32_e32 v31, 0xfff00000
	v_cmp_neq_f64_e32 vcc, -1.0, v[10:11]
	s_nop 1
	v_cndmask_b32_e32 v15, v31, v15, vcc
	v_add_f64 v[10:11], v[12:13], v[14:15]
.LBB66_155:
	s_or_b64 exec, exec, s[8:9]
	v_max_f64 v[12:13], v[10:11], v[10:11]
	v_min_f64 v[14:15], v[12:13], v[16:17]
	v_cmp_u_f64_e32 vcc, v[10:11], v[10:11]
	v_max_f64 v[12:13], v[12:13], v[16:17]
	s_nop 0
	v_cndmask_b32_e32 v14, v14, v10, vcc
	v_cndmask_b32_e32 v15, v15, v11, vcc
	;; [unrolled: 1-line block ×4, first 2 shown]
	v_cndmask_b32_e64 v35, v15, v29, s[10:11]
	v_cndmask_b32_e64 v34, v14, v28, s[10:11]
	;; [unrolled: 1-line block ×4, first 2 shown]
	v_cmp_neq_f64_e32 vcc, v[34:35], v[14:15]
	v_cmp_class_f64_e64 s[6:7], v[34:35], s20
	s_or_b64 s[6:7], vcc, s[6:7]
	v_mov_b64_e32 v[12:13], v[10:11]
	s_and_saveexec_b64 s[8:9], s[6:7]
	s_cbranch_execz .LBB66_157
; %bb.156:
	s_mov_b32 s6, 0x652b82fe
	v_add_f64 v[12:13], v[34:35], -v[14:15]
	s_mov_b32 s7, 0x3ff71547
	v_mul_f64 v[16:17], v[12:13], s[6:7]
	v_rndne_f64_e32 v[16:17], v[16:17]
	s_mov_b32 s11, 0xbfe62e42
	s_mov_b32 s10, 0xfefa39ef
	v_fma_f64 v[34:35], s[10:11], v[16:17], v[12:13]
	s_mov_b32 s17, 0xbc7abc9e
	s_mov_b32 s16, 0x3b39803f
	;; [unrolled: 1-line block ×3, first 2 shown]
	v_fmac_f64_e32 v[34:35], s[16:17], v[16:17]
	v_mov_b32_e32 v36, 0xfca7ab0c
	v_mov_b32_e32 v37, 0x3e928af3
	s_mov_b32 s7, 0x3e5ade15
	v_fmac_f64_e32 v[36:37], s[6:7], v[34:35]
	v_mov_b32_e32 v38, 0x623fde64
	v_mov_b32_e32 v39, 0x3ec71dee
	v_fmac_f64_e32 v[38:39], v[34:35], v[36:37]
	v_mov_b32_e32 v36, 0x7c89e6b0
	v_mov_b32_e32 v37, 0x3efa0199
	;; [unrolled: 3-line block ×8, first 2 shown]
	s_mov_b32 s6, 0
	v_fmac_f64_e32 v[36:37], v[34:35], v[38:39]
	s_mov_b32 s7, 0x40900000
	v_fma_f64 v[36:37], v[34:35], v[36:37], 1.0
	v_cmp_nlt_f64_e32 vcc, s[6:7], v[12:13]
	s_mov_b32 s6, 0
	v_fma_f64 v[34:35], v[34:35], v[36:37], 1.0
	v_cvt_i32_f64_e32 v16, v[16:17]
	s_mov_b32 s7, 0xc090cc00
	v_ldexp_f64 v[16:17], v[34:35], v16
	v_mov_b32_e32 v31, 0x7ff00000
	v_cmp_ngt_f64_e64 s[6:7], s[6:7], v[12:13]
	v_cndmask_b32_e32 v17, v31, v17, vcc
	s_and_b64 vcc, s[6:7], vcc
	v_cndmask_b32_e64 v13, 0, v17, s[6:7]
	v_cndmask_b32_e32 v12, 0, v16, vcc
	v_add_f64 v[16:17], v[12:13], 1.0
	v_add_f64 v[34:35], v[16:17], -1.0
	v_add_f64 v[36:37], v[34:35], -v[16:17]
	v_add_f64 v[36:37], v[36:37], 1.0
	v_add_f64 v[34:35], v[12:13], -v[34:35]
	s_mov_b32 s6, 0x55555555
	v_add_f64 v[34:35], v[34:35], v[36:37]
	v_frexp_mant_f64_e32 v[36:37], v[16:17]
	s_mov_b32 s7, 0x3fe55555
	v_frexp_exp_i32_f64_e32 v38, v[16:17]
	v_cmp_gt_f64_e32 vcc, s[6:7], v[36:37]
	s_mov_b32 s6, 0xbf559e2b
	s_mov_b32 s7, 0x3fc3ab76
	v_subbrev_co_u32_e32 v52, vcc, 0, v38, vcc
	v_sub_u32_e32 v36, 0, v52
	v_ldexp_f64 v[16:17], v[16:17], v36
	v_ldexp_f64 v[34:35], v[34:35], v36
	v_add_f64 v[36:37], v[16:17], -1.0
	v_add_f64 v[42:43], v[16:17], 1.0
	v_add_f64 v[38:39], v[36:37], 1.0
	v_add_f64 v[44:45], v[42:43], -1.0
	v_add_f64 v[38:39], v[16:17], -v[38:39]
	v_add_f64 v[16:17], v[16:17], -v[44:45]
	v_add_f64 v[16:17], v[34:35], v[16:17]
	v_add_f64 v[38:39], v[34:35], v[38:39]
	;; [unrolled: 1-line block ×3, first 2 shown]
	v_rcp_f64_e32 v[44:45], v[34:35]
	v_add_f64 v[40:41], v[36:37], v[38:39]
	v_add_f64 v[36:37], v[40:41], -v[36:37]
	v_add_f64 v[36:37], v[38:39], -v[36:37]
	;; [unrolled: 1-line block ×4, first 2 shown]
	v_fma_f64 v[38:39], -v[34:35], v[44:45], 1.0
	v_fmac_f64_e32 v[44:45], v[38:39], v[44:45]
	v_fma_f64 v[38:39], -v[34:35], v[44:45], 1.0
	v_fmac_f64_e32 v[44:45], v[38:39], v[44:45]
	v_mul_f64 v[38:39], v[40:41], v[44:45]
	v_mul_f64 v[42:43], v[34:35], v[38:39]
	v_fma_f64 v[46:47], v[38:39], v[34:35], -v[42:43]
	v_fmac_f64_e32 v[46:47], v[38:39], v[16:17]
	v_add_f64 v[48:49], v[42:43], v[46:47]
	v_add_f64 v[50:51], v[40:41], -v[48:49]
	v_add_f64 v[40:41], v[40:41], -v[50:51]
	;; [unrolled: 1-line block ×4, first 2 shown]
	v_add_f64 v[36:37], v[36:37], v[40:41]
	v_add_f64 v[40:41], v[42:43], -v[46:47]
	v_add_f64 v[36:37], v[40:41], v[36:37]
	v_add_f64 v[40:41], v[50:51], v[36:37]
	v_add_f64 v[42:43], v[50:51], -v[40:41]
	v_add_f64 v[36:37], v[36:37], v[42:43]
	v_mul_f64 v[42:43], v[44:45], v[40:41]
	v_mul_f64 v[46:47], v[34:35], v[42:43]
	v_fma_f64 v[34:35], v[42:43], v[34:35], -v[46:47]
	v_fmac_f64_e32 v[34:35], v[42:43], v[16:17]
	v_add_f64 v[16:17], v[46:47], v[34:35]
	v_add_f64 v[48:49], v[40:41], -v[16:17]
	v_add_f64 v[40:41], v[40:41], -v[48:49]
	;; [unrolled: 1-line block ×4, first 2 shown]
	v_add_f64 v[16:17], v[36:37], v[16:17]
	v_add_f64 v[34:35], v[46:47], -v[34:35]
	v_add_f64 v[16:17], v[34:35], v[16:17]
	v_add_f64 v[34:35], v[38:39], v[42:43]
	;; [unrolled: 1-line block ×3, first 2 shown]
	v_add_f64 v[36:37], v[34:35], -v[38:39]
	v_mul_f64 v[16:17], v[44:45], v[16:17]
	v_add_f64 v[36:37], v[42:43], -v[36:37]
	v_add_f64 v[16:17], v[36:37], v[16:17]
	v_add_f64 v[36:37], v[34:35], v[16:17]
	v_add_f64 v[34:35], v[36:37], -v[34:35]
	v_add_f64 v[16:17], v[16:17], -v[34:35]
	v_mul_f64 v[34:35], v[36:37], v[36:37]
	v_mov_b32_e32 v38, 0x6b47b09a
	v_mov_b32_e32 v39, 0x3fc38538
	v_fmac_f64_e32 v[38:39], s[6:7], v[34:35]
	v_mov_b32_e32 v40, 0xd7f4df2e
	v_mov_b32_e32 v41, 0x3fc7474d
	v_fmac_f64_e32 v[40:41], v[34:35], v[38:39]
	;; [unrolled: 3-line block ×6, first 2 shown]
	v_cvt_f64_i32_e32 v[38:39], v52
	s_mov_b32 s11, 0x3fe62e42
	v_mul_f64 v[42:43], v[38:39], s[10:11]
	v_fma_f64 v[44:45], v[38:39], s[10:11], -v[42:43]
	s_mov_b32 s17, 0x3c7abc9e
	v_fmac_f64_e32 v[44:45], s[16:17], v[38:39]
	v_add_f64 v[38:39], v[42:43], v[44:45]
	v_add_f64 v[42:43], v[38:39], -v[42:43]
	v_mul_f64 v[34:35], v[36:37], v[34:35]
	v_add_f64 v[42:43], v[44:45], -v[42:43]
	v_ldexp_f64 v[44:45], v[36:37], 1
	v_mul_f64 v[34:35], v[34:35], v[40:41]
	v_add_f64 v[36:37], v[44:45], v[34:35]
	v_add_f64 v[40:41], v[36:37], -v[44:45]
	v_ldexp_f64 v[16:17], v[16:17], 1
	v_add_f64 v[34:35], v[34:35], -v[40:41]
	v_add_f64 v[16:17], v[16:17], v[34:35]
	v_add_f64 v[34:35], v[36:37], v[16:17]
	v_add_f64 v[36:37], v[34:35], -v[36:37]
	v_add_f64 v[16:17], v[16:17], -v[36:37]
	v_add_f64 v[36:37], v[38:39], v[34:35]
	v_add_f64 v[40:41], v[36:37], -v[38:39]
	v_add_f64 v[44:45], v[36:37], -v[40:41]
	;; [unrolled: 1-line block ×4, first 2 shown]
	v_add_f64 v[34:35], v[34:35], v[38:39]
	v_add_f64 v[38:39], v[42:43], v[16:17]
	v_add_f64 v[40:41], v[38:39], -v[42:43]
	v_add_f64 v[34:35], v[38:39], v[34:35]
	v_add_f64 v[44:45], v[38:39], -v[40:41]
	v_add_f64 v[38:39], v[36:37], v[34:35]
	v_add_f64 v[42:43], v[42:43], -v[44:45]
	v_add_f64 v[16:17], v[16:17], -v[40:41]
	v_add_f64 v[36:37], v[38:39], -v[36:37]
	v_add_f64 v[16:17], v[16:17], v[42:43]
	v_add_f64 v[34:35], v[34:35], -v[36:37]
	s_mov_b32 s6, 0
	v_add_f64 v[16:17], v[16:17], v[34:35]
	s_mov_b32 s7, 0x7ff00000
	v_add_f64 v[16:17], v[38:39], v[16:17]
	v_cmp_neq_f64_e32 vcc, s[6:7], v[12:13]
	v_cmp_ngt_f64_e64 s[6:7], -1.0, v[12:13]
	s_nop 0
	v_cndmask_b32_e32 v17, v31, v17, vcc
	v_mov_b32_e32 v31, 0x7ff80000
	v_cndmask_b32_e64 v17, v31, v17, s[6:7]
	v_cmp_nge_f64_e64 s[6:7], -1.0, v[12:13]
	s_and_b64 vcc, s[6:7], vcc
	v_cndmask_b32_e32 v16, 0, v16, vcc
	v_mov_b32_e32 v31, 0xfff00000
	v_cmp_neq_f64_e32 vcc, -1.0, v[12:13]
	s_nop 1
	v_cndmask_b32_e32 v17, v31, v17, vcc
	v_add_f64 v[12:13], v[14:15], v[16:17]
.LBB66_157:
	s_or_b64 exec, exec, s[8:9]
	v_max_f64 v[14:15], v[12:13], v[12:13]
	v_min_f64 v[16:17], v[14:15], v[18:19]
	v_cmp_u_f64_e32 vcc, v[12:13], v[12:13]
	v_max_f64 v[14:15], v[14:15], v[18:19]
	s_movk_i32 s16, 0x1f8
	v_cndmask_b32_e32 v16, v16, v12, vcc
	v_cndmask_b32_e32 v17, v17, v13, vcc
	;; [unrolled: 1-line block ×4, first 2 shown]
	v_cndmask_b32_e64 v35, v17, v23, s[12:13]
	v_cndmask_b32_e64 v34, v16, v22, s[12:13]
	;; [unrolled: 1-line block ×4, first 2 shown]
	v_cmp_neq_f64_e32 vcc, v[34:35], v[16:17]
	v_cmp_class_f64_e64 s[6:7], v[34:35], s16
	s_or_b64 s[6:7], vcc, s[6:7]
	v_mov_b64_e32 v[14:15], v[12:13]
	s_and_saveexec_b64 s[8:9], s[6:7]
	s_cbranch_execz .LBB66_159
; %bb.158:
	s_mov_b32 s6, 0x652b82fe
	v_add_f64 v[14:15], v[34:35], -v[16:17]
	s_mov_b32 s7, 0x3ff71547
	v_mul_f64 v[18:19], v[14:15], s[6:7]
	v_rndne_f64_e32 v[18:19], v[18:19]
	s_mov_b32 s11, 0xbfe62e42
	s_mov_b32 s10, 0xfefa39ef
	v_fma_f64 v[34:35], s[10:11], v[18:19], v[14:15]
	s_mov_b32 s13, 0xbc7abc9e
	s_mov_b32 s12, 0x3b39803f
	;; [unrolled: 1-line block ×3, first 2 shown]
	v_fmac_f64_e32 v[34:35], s[12:13], v[18:19]
	v_mov_b32_e32 v36, 0xfca7ab0c
	v_mov_b32_e32 v37, 0x3e928af3
	s_mov_b32 s7, 0x3e5ade15
	v_fmac_f64_e32 v[36:37], s[6:7], v[34:35]
	v_mov_b32_e32 v38, 0x623fde64
	v_mov_b32_e32 v39, 0x3ec71dee
	v_fmac_f64_e32 v[38:39], v[34:35], v[36:37]
	v_mov_b32_e32 v36, 0x7c89e6b0
	v_mov_b32_e32 v37, 0x3efa0199
	;; [unrolled: 3-line block ×8, first 2 shown]
	s_mov_b32 s6, 0
	v_fmac_f64_e32 v[36:37], v[34:35], v[38:39]
	s_mov_b32 s7, 0x40900000
	v_fma_f64 v[36:37], v[34:35], v[36:37], 1.0
	v_cmp_nlt_f64_e32 vcc, s[6:7], v[14:15]
	s_mov_b32 s6, 0
	v_fma_f64 v[34:35], v[34:35], v[36:37], 1.0
	v_cvt_i32_f64_e32 v18, v[18:19]
	s_mov_b32 s7, 0xc090cc00
	v_ldexp_f64 v[18:19], v[34:35], v18
	v_mov_b32_e32 v31, 0x7ff00000
	v_cmp_ngt_f64_e64 s[6:7], s[6:7], v[14:15]
	v_cndmask_b32_e32 v19, v31, v19, vcc
	s_and_b64 vcc, s[6:7], vcc
	v_cndmask_b32_e64 v15, 0, v19, s[6:7]
	v_cndmask_b32_e32 v14, 0, v18, vcc
	v_add_f64 v[18:19], v[14:15], 1.0
	v_add_f64 v[34:35], v[18:19], -1.0
	v_add_f64 v[36:37], v[34:35], -v[18:19]
	v_add_f64 v[36:37], v[36:37], 1.0
	v_add_f64 v[34:35], v[14:15], -v[34:35]
	s_mov_b32 s6, 0x55555555
	v_add_f64 v[34:35], v[34:35], v[36:37]
	v_frexp_mant_f64_e32 v[36:37], v[18:19]
	s_mov_b32 s7, 0x3fe55555
	v_frexp_exp_i32_f64_e32 v38, v[18:19]
	v_cmp_gt_f64_e32 vcc, s[6:7], v[36:37]
	s_mov_b32 s6, 0xbf559e2b
	s_mov_b32 s7, 0x3fc3ab76
	v_subbrev_co_u32_e32 v52, vcc, 0, v38, vcc
	v_sub_u32_e32 v36, 0, v52
	v_ldexp_f64 v[18:19], v[18:19], v36
	v_ldexp_f64 v[34:35], v[34:35], v36
	v_add_f64 v[36:37], v[18:19], -1.0
	v_add_f64 v[42:43], v[18:19], 1.0
	v_add_f64 v[38:39], v[36:37], 1.0
	v_add_f64 v[44:45], v[42:43], -1.0
	v_add_f64 v[38:39], v[18:19], -v[38:39]
	v_add_f64 v[18:19], v[18:19], -v[44:45]
	v_add_f64 v[18:19], v[34:35], v[18:19]
	v_add_f64 v[38:39], v[34:35], v[38:39]
	;; [unrolled: 1-line block ×3, first 2 shown]
	v_rcp_f64_e32 v[44:45], v[34:35]
	v_add_f64 v[40:41], v[36:37], v[38:39]
	v_add_f64 v[36:37], v[40:41], -v[36:37]
	v_add_f64 v[36:37], v[38:39], -v[36:37]
	;; [unrolled: 1-line block ×4, first 2 shown]
	v_fma_f64 v[38:39], -v[34:35], v[44:45], 1.0
	v_fmac_f64_e32 v[44:45], v[38:39], v[44:45]
	v_fma_f64 v[38:39], -v[34:35], v[44:45], 1.0
	v_fmac_f64_e32 v[44:45], v[38:39], v[44:45]
	v_mul_f64 v[38:39], v[40:41], v[44:45]
	v_mul_f64 v[42:43], v[34:35], v[38:39]
	v_fma_f64 v[46:47], v[38:39], v[34:35], -v[42:43]
	v_fmac_f64_e32 v[46:47], v[38:39], v[18:19]
	v_add_f64 v[48:49], v[42:43], v[46:47]
	v_add_f64 v[50:51], v[40:41], -v[48:49]
	v_add_f64 v[40:41], v[40:41], -v[50:51]
	;; [unrolled: 1-line block ×4, first 2 shown]
	v_add_f64 v[36:37], v[36:37], v[40:41]
	v_add_f64 v[40:41], v[42:43], -v[46:47]
	v_add_f64 v[36:37], v[40:41], v[36:37]
	v_add_f64 v[40:41], v[50:51], v[36:37]
	v_add_f64 v[42:43], v[50:51], -v[40:41]
	v_add_f64 v[36:37], v[36:37], v[42:43]
	v_mul_f64 v[42:43], v[44:45], v[40:41]
	v_mul_f64 v[46:47], v[34:35], v[42:43]
	v_fma_f64 v[34:35], v[42:43], v[34:35], -v[46:47]
	v_fmac_f64_e32 v[34:35], v[42:43], v[18:19]
	v_add_f64 v[18:19], v[46:47], v[34:35]
	v_add_f64 v[48:49], v[40:41], -v[18:19]
	v_add_f64 v[40:41], v[40:41], -v[48:49]
	;; [unrolled: 1-line block ×4, first 2 shown]
	v_add_f64 v[18:19], v[36:37], v[18:19]
	v_add_f64 v[34:35], v[46:47], -v[34:35]
	v_add_f64 v[18:19], v[34:35], v[18:19]
	v_add_f64 v[34:35], v[38:39], v[42:43]
	;; [unrolled: 1-line block ×3, first 2 shown]
	v_add_f64 v[36:37], v[34:35], -v[38:39]
	v_mul_f64 v[18:19], v[44:45], v[18:19]
	v_add_f64 v[36:37], v[42:43], -v[36:37]
	v_add_f64 v[18:19], v[36:37], v[18:19]
	v_add_f64 v[36:37], v[34:35], v[18:19]
	v_add_f64 v[34:35], v[36:37], -v[34:35]
	v_add_f64 v[18:19], v[18:19], -v[34:35]
	v_mul_f64 v[34:35], v[36:37], v[36:37]
	v_mov_b32_e32 v38, 0x6b47b09a
	v_mov_b32_e32 v39, 0x3fc38538
	v_fmac_f64_e32 v[38:39], s[6:7], v[34:35]
	v_mov_b32_e32 v40, 0xd7f4df2e
	v_mov_b32_e32 v41, 0x3fc7474d
	v_fmac_f64_e32 v[40:41], v[34:35], v[38:39]
	;; [unrolled: 3-line block ×6, first 2 shown]
	v_cvt_f64_i32_e32 v[38:39], v52
	s_mov_b32 s11, 0x3fe62e42
	v_mul_f64 v[42:43], v[38:39], s[10:11]
	v_fma_f64 v[44:45], v[38:39], s[10:11], -v[42:43]
	s_mov_b32 s13, 0x3c7abc9e
	v_fmac_f64_e32 v[44:45], s[12:13], v[38:39]
	v_add_f64 v[38:39], v[42:43], v[44:45]
	v_add_f64 v[42:43], v[38:39], -v[42:43]
	v_mul_f64 v[34:35], v[36:37], v[34:35]
	v_add_f64 v[42:43], v[44:45], -v[42:43]
	v_ldexp_f64 v[44:45], v[36:37], 1
	v_mul_f64 v[34:35], v[34:35], v[40:41]
	v_add_f64 v[36:37], v[44:45], v[34:35]
	v_add_f64 v[40:41], v[36:37], -v[44:45]
	v_ldexp_f64 v[18:19], v[18:19], 1
	v_add_f64 v[34:35], v[34:35], -v[40:41]
	v_add_f64 v[18:19], v[18:19], v[34:35]
	v_add_f64 v[34:35], v[36:37], v[18:19]
	v_add_f64 v[36:37], v[34:35], -v[36:37]
	v_add_f64 v[18:19], v[18:19], -v[36:37]
	v_add_f64 v[36:37], v[38:39], v[34:35]
	v_add_f64 v[40:41], v[36:37], -v[38:39]
	v_add_f64 v[44:45], v[36:37], -v[40:41]
	v_add_f64 v[38:39], v[38:39], -v[44:45]
	v_add_f64 v[34:35], v[34:35], -v[40:41]
	v_add_f64 v[34:35], v[34:35], v[38:39]
	v_add_f64 v[38:39], v[42:43], v[18:19]
	v_add_f64 v[40:41], v[38:39], -v[42:43]
	v_add_f64 v[34:35], v[38:39], v[34:35]
	v_add_f64 v[44:45], v[38:39], -v[40:41]
	;; [unrolled: 2-line block ×3, first 2 shown]
	v_add_f64 v[18:19], v[18:19], -v[40:41]
	v_add_f64 v[36:37], v[38:39], -v[36:37]
	v_add_f64 v[18:19], v[18:19], v[42:43]
	v_add_f64 v[34:35], v[34:35], -v[36:37]
	s_mov_b32 s6, 0
	v_add_f64 v[18:19], v[18:19], v[34:35]
	s_mov_b32 s7, 0x7ff00000
	v_add_f64 v[18:19], v[38:39], v[18:19]
	v_cmp_neq_f64_e32 vcc, s[6:7], v[14:15]
	v_cmp_ngt_f64_e64 s[6:7], -1.0, v[14:15]
	s_nop 0
	v_cndmask_b32_e32 v19, v31, v19, vcc
	v_mov_b32_e32 v31, 0x7ff80000
	v_cndmask_b32_e64 v19, v31, v19, s[6:7]
	v_cmp_nge_f64_e64 s[6:7], -1.0, v[14:15]
	s_and_b64 vcc, s[6:7], vcc
	v_cndmask_b32_e32 v18, 0, v18, vcc
	v_mov_b32_e32 v31, 0xfff00000
	v_cmp_neq_f64_e32 vcc, -1.0, v[14:15]
	s_nop 1
	v_cndmask_b32_e32 v19, v31, v19, vcc
	v_add_f64 v[14:15], v[16:17], v[18:19]
.LBB66_159:
	s_or_b64 exec, exec, s[8:9]
	v_max_f64 v[16:17], v[14:15], v[14:15]
	v_min_f64 v[18:19], v[16:17], v[20:21]
	v_cmp_u_f64_e32 vcc, v[14:15], v[14:15]
	v_max_f64 v[16:17], v[16:17], v[20:21]
	s_nop 0
	v_cndmask_b32_e32 v18, v18, v14, vcc
	v_cndmask_b32_e32 v19, v19, v15, vcc
	;; [unrolled: 1-line block ×4, first 2 shown]
	v_cndmask_b32_e64 v35, v19, v25, s[14:15]
	v_cndmask_b32_e64 v34, v18, v24, s[14:15]
	;; [unrolled: 1-line block ×4, first 2 shown]
	v_cmp_neq_f64_e32 vcc, v[34:35], v[18:19]
	v_cmp_class_f64_e64 s[6:7], v[34:35], s16
	s_or_b64 s[6:7], vcc, s[6:7]
	v_mov_b64_e32 v[16:17], v[14:15]
	s_and_saveexec_b64 s[8:9], s[6:7]
	s_cbranch_execz .LBB66_161
; %bb.160:
	s_mov_b32 s6, 0x652b82fe
	v_add_f64 v[16:17], v[34:35], -v[18:19]
	s_mov_b32 s7, 0x3ff71547
	v_mul_f64 v[20:21], v[16:17], s[6:7]
	v_rndne_f64_e32 v[20:21], v[20:21]
	s_mov_b32 s11, 0xbfe62e42
	s_mov_b32 s10, 0xfefa39ef
	v_fma_f64 v[34:35], s[10:11], v[20:21], v[16:17]
	s_mov_b32 s13, 0xbc7abc9e
	s_mov_b32 s12, 0x3b39803f
	;; [unrolled: 1-line block ×3, first 2 shown]
	v_fmac_f64_e32 v[34:35], s[12:13], v[20:21]
	v_mov_b32_e32 v36, 0xfca7ab0c
	v_mov_b32_e32 v37, 0x3e928af3
	s_mov_b32 s7, 0x3e5ade15
	v_fmac_f64_e32 v[36:37], s[6:7], v[34:35]
	v_mov_b32_e32 v38, 0x623fde64
	v_mov_b32_e32 v39, 0x3ec71dee
	v_fmac_f64_e32 v[38:39], v[34:35], v[36:37]
	v_mov_b32_e32 v36, 0x7c89e6b0
	v_mov_b32_e32 v37, 0x3efa0199
	v_fmac_f64_e32 v[36:37], v[34:35], v[38:39]
	v_mov_b32_e32 v38, 0x14761f6e
	v_mov_b32_e32 v39, 0x3f2a01a0
	v_fmac_f64_e32 v[38:39], v[34:35], v[36:37]
	v_mov_b32_e32 v36, 0x1852b7b0
	v_mov_b32_e32 v37, 0x3f56c16c
	v_fmac_f64_e32 v[36:37], v[34:35], v[38:39]
	v_mov_b32_e32 v38, 0x11122322
	v_mov_b32_e32 v39, 0x3f811111
	v_fmac_f64_e32 v[38:39], v[34:35], v[36:37]
	v_mov_b32_e32 v36, 0x555502a1
	v_mov_b32_e32 v37, 0x3fa55555
	v_fmac_f64_e32 v[36:37], v[34:35], v[38:39]
	v_mov_b32_e32 v38, 0x55555511
	v_mov_b32_e32 v39, 0x3fc55555
	v_fmac_f64_e32 v[38:39], v[34:35], v[36:37]
	v_mov_b32_e32 v36, 11
	v_mov_b32_e32 v37, 0x3fe00000
	s_mov_b32 s6, 0
	v_fmac_f64_e32 v[36:37], v[34:35], v[38:39]
	s_mov_b32 s7, 0x40900000
	v_fma_f64 v[36:37], v[34:35], v[36:37], 1.0
	v_cmp_nlt_f64_e32 vcc, s[6:7], v[16:17]
	s_mov_b32 s6, 0
	v_fma_f64 v[34:35], v[34:35], v[36:37], 1.0
	v_cvt_i32_f64_e32 v20, v[20:21]
	s_mov_b32 s7, 0xc090cc00
	v_ldexp_f64 v[20:21], v[34:35], v20
	v_mov_b32_e32 v31, 0x7ff00000
	v_cmp_ngt_f64_e64 s[6:7], s[6:7], v[16:17]
	v_cndmask_b32_e32 v21, v31, v21, vcc
	s_and_b64 vcc, s[6:7], vcc
	v_cndmask_b32_e64 v17, 0, v21, s[6:7]
	v_cndmask_b32_e32 v16, 0, v20, vcc
	v_add_f64 v[20:21], v[16:17], 1.0
	v_add_f64 v[34:35], v[20:21], -1.0
	v_add_f64 v[36:37], v[34:35], -v[20:21]
	v_add_f64 v[36:37], v[36:37], 1.0
	v_add_f64 v[34:35], v[16:17], -v[34:35]
	s_mov_b32 s6, 0x55555555
	v_add_f64 v[34:35], v[34:35], v[36:37]
	v_frexp_mant_f64_e32 v[36:37], v[20:21]
	s_mov_b32 s7, 0x3fe55555
	v_frexp_exp_i32_f64_e32 v38, v[20:21]
	v_cmp_gt_f64_e32 vcc, s[6:7], v[36:37]
	s_mov_b32 s6, 0xbf559e2b
	s_mov_b32 s7, 0x3fc3ab76
	v_subbrev_co_u32_e32 v52, vcc, 0, v38, vcc
	v_sub_u32_e32 v36, 0, v52
	v_ldexp_f64 v[20:21], v[20:21], v36
	v_ldexp_f64 v[34:35], v[34:35], v36
	v_add_f64 v[36:37], v[20:21], -1.0
	v_add_f64 v[42:43], v[20:21], 1.0
	v_add_f64 v[38:39], v[36:37], 1.0
	v_add_f64 v[44:45], v[42:43], -1.0
	v_add_f64 v[38:39], v[20:21], -v[38:39]
	v_add_f64 v[20:21], v[20:21], -v[44:45]
	v_add_f64 v[20:21], v[34:35], v[20:21]
	v_add_f64 v[38:39], v[34:35], v[38:39]
	;; [unrolled: 1-line block ×3, first 2 shown]
	v_rcp_f64_e32 v[44:45], v[34:35]
	v_add_f64 v[40:41], v[36:37], v[38:39]
	v_add_f64 v[36:37], v[40:41], -v[36:37]
	v_add_f64 v[36:37], v[38:39], -v[36:37]
	;; [unrolled: 1-line block ×4, first 2 shown]
	v_fma_f64 v[38:39], -v[34:35], v[44:45], 1.0
	v_fmac_f64_e32 v[44:45], v[38:39], v[44:45]
	v_fma_f64 v[38:39], -v[34:35], v[44:45], 1.0
	v_fmac_f64_e32 v[44:45], v[38:39], v[44:45]
	v_mul_f64 v[38:39], v[40:41], v[44:45]
	v_mul_f64 v[42:43], v[34:35], v[38:39]
	v_fma_f64 v[46:47], v[38:39], v[34:35], -v[42:43]
	v_fmac_f64_e32 v[46:47], v[38:39], v[20:21]
	v_add_f64 v[48:49], v[42:43], v[46:47]
	v_add_f64 v[50:51], v[40:41], -v[48:49]
	v_add_f64 v[40:41], v[40:41], -v[50:51]
	;; [unrolled: 1-line block ×4, first 2 shown]
	v_add_f64 v[36:37], v[36:37], v[40:41]
	v_add_f64 v[40:41], v[42:43], -v[46:47]
	v_add_f64 v[36:37], v[40:41], v[36:37]
	v_add_f64 v[40:41], v[50:51], v[36:37]
	v_add_f64 v[42:43], v[50:51], -v[40:41]
	v_add_f64 v[36:37], v[36:37], v[42:43]
	v_mul_f64 v[42:43], v[44:45], v[40:41]
	v_mul_f64 v[46:47], v[34:35], v[42:43]
	v_fma_f64 v[34:35], v[42:43], v[34:35], -v[46:47]
	v_fmac_f64_e32 v[34:35], v[42:43], v[20:21]
	v_add_f64 v[20:21], v[46:47], v[34:35]
	v_add_f64 v[48:49], v[40:41], -v[20:21]
	v_add_f64 v[40:41], v[40:41], -v[48:49]
	;; [unrolled: 1-line block ×4, first 2 shown]
	v_add_f64 v[20:21], v[36:37], v[20:21]
	v_add_f64 v[34:35], v[46:47], -v[34:35]
	v_add_f64 v[20:21], v[34:35], v[20:21]
	v_add_f64 v[34:35], v[38:39], v[42:43]
	;; [unrolled: 1-line block ×3, first 2 shown]
	v_add_f64 v[36:37], v[34:35], -v[38:39]
	v_mul_f64 v[20:21], v[44:45], v[20:21]
	v_add_f64 v[36:37], v[42:43], -v[36:37]
	v_add_f64 v[20:21], v[36:37], v[20:21]
	v_add_f64 v[36:37], v[34:35], v[20:21]
	v_add_f64 v[34:35], v[36:37], -v[34:35]
	v_add_f64 v[20:21], v[20:21], -v[34:35]
	v_mul_f64 v[34:35], v[36:37], v[36:37]
	v_mov_b32_e32 v38, 0x6b47b09a
	v_mov_b32_e32 v39, 0x3fc38538
	v_fmac_f64_e32 v[38:39], s[6:7], v[34:35]
	v_mov_b32_e32 v40, 0xd7f4df2e
	v_mov_b32_e32 v41, 0x3fc7474d
	v_fmac_f64_e32 v[40:41], v[34:35], v[38:39]
	;; [unrolled: 3-line block ×6, first 2 shown]
	v_cvt_f64_i32_e32 v[38:39], v52
	s_mov_b32 s11, 0x3fe62e42
	v_mul_f64 v[42:43], v[38:39], s[10:11]
	v_fma_f64 v[44:45], v[38:39], s[10:11], -v[42:43]
	s_mov_b32 s13, 0x3c7abc9e
	v_fmac_f64_e32 v[44:45], s[12:13], v[38:39]
	v_add_f64 v[38:39], v[42:43], v[44:45]
	v_add_f64 v[42:43], v[38:39], -v[42:43]
	v_mul_f64 v[34:35], v[36:37], v[34:35]
	v_add_f64 v[42:43], v[44:45], -v[42:43]
	v_ldexp_f64 v[44:45], v[36:37], 1
	v_mul_f64 v[34:35], v[34:35], v[40:41]
	v_add_f64 v[36:37], v[44:45], v[34:35]
	v_add_f64 v[40:41], v[36:37], -v[44:45]
	v_ldexp_f64 v[20:21], v[20:21], 1
	v_add_f64 v[34:35], v[34:35], -v[40:41]
	v_add_f64 v[20:21], v[20:21], v[34:35]
	v_add_f64 v[34:35], v[36:37], v[20:21]
	v_add_f64 v[36:37], v[34:35], -v[36:37]
	v_add_f64 v[20:21], v[20:21], -v[36:37]
	v_add_f64 v[36:37], v[38:39], v[34:35]
	v_add_f64 v[40:41], v[36:37], -v[38:39]
	v_add_f64 v[44:45], v[36:37], -v[40:41]
	;; [unrolled: 1-line block ×4, first 2 shown]
	v_add_f64 v[34:35], v[34:35], v[38:39]
	v_add_f64 v[38:39], v[42:43], v[20:21]
	v_add_f64 v[40:41], v[38:39], -v[42:43]
	v_add_f64 v[34:35], v[38:39], v[34:35]
	v_add_f64 v[44:45], v[38:39], -v[40:41]
	;; [unrolled: 2-line block ×3, first 2 shown]
	v_add_f64 v[20:21], v[20:21], -v[40:41]
	v_add_f64 v[36:37], v[38:39], -v[36:37]
	v_add_f64 v[20:21], v[20:21], v[42:43]
	v_add_f64 v[34:35], v[34:35], -v[36:37]
	s_mov_b32 s6, 0
	v_add_f64 v[20:21], v[20:21], v[34:35]
	s_mov_b32 s7, 0x7ff00000
	v_add_f64 v[20:21], v[38:39], v[20:21]
	v_cmp_neq_f64_e32 vcc, s[6:7], v[16:17]
	v_cmp_ngt_f64_e64 s[6:7], -1.0, v[16:17]
	s_nop 0
	v_cndmask_b32_e32 v21, v31, v21, vcc
	v_mov_b32_e32 v31, 0x7ff80000
	v_cndmask_b32_e64 v21, v31, v21, s[6:7]
	v_cmp_nge_f64_e64 s[6:7], -1.0, v[16:17]
	s_and_b64 vcc, s[6:7], vcc
	v_cndmask_b32_e32 v20, 0, v20, vcc
	v_mov_b32_e32 v31, 0xfff00000
	v_cmp_neq_f64_e32 vcc, -1.0, v[16:17]
	s_nop 1
	v_cndmask_b32_e32 v21, v31, v21, vcc
	v_add_f64 v[16:17], v[18:19], v[20:21]
.LBB66_161:
	s_or_b64 exec, exec, s[8:9]
	s_branch .LBB66_233
.LBB66_162:
	s_cmp_lg_u64 s[28:29], 0
	s_cselect_b64 s[6:7], -1, 0
	v_mov_b64_e32 v[20:21], v[16:17]
	s_and_b64 s[6:7], s[4:5], s[6:7]
	v_mov_b64_e32 v[18:19], v[14:15]
	v_mov_b64_e32 v[16:17], v[12:13]
	;; [unrolled: 1-line block ×7, first 2 shown]
	s_and_saveexec_b64 s[8:9], s[6:7]
	s_cbranch_execz .LBB66_166
; %bb.163:
	v_mov_b32_e32 v6, 0
	global_load_dwordx2 v[6:7], v6, s[24:25]
	v_max_f64 v[8:9], v[2:3], v[2:3]
	s_movk_i32 s6, 0x1f8
	s_waitcnt vmcnt(0)
	v_max_f64 v[10:11], v[6:7], v[6:7]
	v_min_f64 v[12:13], v[10:11], v[8:9]
	v_max_f64 v[8:9], v[10:11], v[8:9]
	v_cmp_u_f64_e32 vcc, v[6:7], v[6:7]
	s_nop 1
	v_cndmask_b32_e32 v10, v12, v6, vcc
	v_cndmask_b32_e32 v11, v13, v7, vcc
	;; [unrolled: 1-line block ×4, first 2 shown]
	v_cmp_u_f64_e32 vcc, v[2:3], v[2:3]
	s_nop 1
	v_cndmask_b32_e32 v9, v11, v3, vcc
	v_cndmask_b32_e32 v8, v10, v2, vcc
	v_cndmask_b32_e32 v3, v13, v3, vcc
	v_cndmask_b32_e32 v2, v12, v2, vcc
	v_cmp_neq_f64_e32 vcc, v[8:9], v[2:3]
	v_cmp_class_f64_e64 s[6:7], v[8:9], s6
	s_or_b64 s[6:7], vcc, s[6:7]
	s_and_saveexec_b64 s[10:11], s[6:7]
	s_cbranch_execz .LBB66_165
; %bb.164:
	s_mov_b32 s6, 0x652b82fe
	v_add_f64 v[6:7], v[8:9], -v[2:3]
	s_mov_b32 s7, 0x3ff71547
	v_mul_f64 v[8:9], v[6:7], s[6:7]
	v_rndne_f64_e32 v[8:9], v[8:9]
	s_mov_b32 s13, 0xbfe62e42
	s_mov_b32 s12, 0xfefa39ef
	v_fma_f64 v[10:11], s[12:13], v[8:9], v[6:7]
	s_mov_b32 s15, 0xbc7abc9e
	s_mov_b32 s14, 0x3b39803f
	;; [unrolled: 1-line block ×3, first 2 shown]
	v_fmac_f64_e32 v[10:11], s[14:15], v[8:9]
	v_mov_b32_e32 v12, 0xfca7ab0c
	v_mov_b32_e32 v13, 0x3e928af3
	s_mov_b32 s7, 0x3e5ade15
	v_fmac_f64_e32 v[12:13], s[6:7], v[10:11]
	v_mov_b32_e32 v14, 0x623fde64
	v_mov_b32_e32 v15, 0x3ec71dee
	v_fmac_f64_e32 v[14:15], v[10:11], v[12:13]
	v_mov_b32_e32 v12, 0x7c89e6b0
	v_mov_b32_e32 v13, 0x3efa0199
	;; [unrolled: 3-line block ×8, first 2 shown]
	s_mov_b32 s6, 0
	v_fmac_f64_e32 v[12:13], v[10:11], v[14:15]
	s_mov_b32 s7, 0x40900000
	v_fma_f64 v[12:13], v[10:11], v[12:13], 1.0
	v_cmp_nlt_f64_e32 vcc, s[6:7], v[6:7]
	s_mov_b32 s6, 0
	v_fma_f64 v[10:11], v[10:11], v[12:13], 1.0
	v_cvt_i32_f64_e32 v8, v[8:9]
	s_mov_b32 s7, 0xc090cc00
	v_ldexp_f64 v[8:9], v[10:11], v8
	v_mov_b32_e32 v31, 0x7ff00000
	v_cmp_ngt_f64_e64 s[6:7], s[6:7], v[6:7]
	v_cndmask_b32_e32 v9, v31, v9, vcc
	s_and_b64 vcc, s[6:7], vcc
	v_cndmask_b32_e64 v7, 0, v9, s[6:7]
	v_cndmask_b32_e32 v6, 0, v8, vcc
	v_add_f64 v[8:9], v[6:7], 1.0
	v_add_f64 v[10:11], v[8:9], -1.0
	v_add_f64 v[12:13], v[10:11], -v[8:9]
	v_add_f64 v[12:13], v[12:13], 1.0
	v_add_f64 v[10:11], v[6:7], -v[10:11]
	s_mov_b32 s6, 0x55555555
	v_add_f64 v[10:11], v[10:11], v[12:13]
	v_frexp_mant_f64_e32 v[12:13], v[8:9]
	s_mov_b32 s7, 0x3fe55555
	v_frexp_exp_i32_f64_e32 v14, v[8:9]
	v_cmp_gt_f64_e32 vcc, s[6:7], v[12:13]
	s_mov_b32 s6, 0xbf559e2b
	s_mov_b32 s7, 0x3fc3ab76
	v_subbrev_co_u32_e32 v40, vcc, 0, v14, vcc
	v_sub_u32_e32 v12, 0, v40
	v_ldexp_f64 v[8:9], v[8:9], v12
	v_ldexp_f64 v[10:11], v[10:11], v12
	v_add_f64 v[12:13], v[8:9], -1.0
	v_add_f64 v[18:19], v[8:9], 1.0
	v_add_f64 v[14:15], v[12:13], 1.0
	v_add_f64 v[20:21], v[18:19], -1.0
	v_add_f64 v[14:15], v[8:9], -v[14:15]
	v_add_f64 v[8:9], v[8:9], -v[20:21]
	v_add_f64 v[8:9], v[10:11], v[8:9]
	v_add_f64 v[14:15], v[10:11], v[14:15]
	;; [unrolled: 1-line block ×3, first 2 shown]
	v_rcp_f64_e32 v[20:21], v[10:11]
	v_add_f64 v[16:17], v[12:13], v[14:15]
	v_add_f64 v[12:13], v[16:17], -v[12:13]
	v_add_f64 v[12:13], v[14:15], -v[12:13]
	;; [unrolled: 1-line block ×4, first 2 shown]
	v_fma_f64 v[14:15], -v[10:11], v[20:21], 1.0
	v_fmac_f64_e32 v[20:21], v[14:15], v[20:21]
	v_fma_f64 v[14:15], -v[10:11], v[20:21], 1.0
	v_fmac_f64_e32 v[20:21], v[14:15], v[20:21]
	v_mul_f64 v[14:15], v[16:17], v[20:21]
	v_mul_f64 v[18:19], v[10:11], v[14:15]
	v_fma_f64 v[34:35], v[14:15], v[10:11], -v[18:19]
	v_fmac_f64_e32 v[34:35], v[14:15], v[8:9]
	v_add_f64 v[36:37], v[18:19], v[34:35]
	v_add_f64 v[38:39], v[16:17], -v[36:37]
	v_add_f64 v[16:17], v[16:17], -v[38:39]
	;; [unrolled: 1-line block ×4, first 2 shown]
	v_add_f64 v[12:13], v[12:13], v[16:17]
	v_add_f64 v[16:17], v[18:19], -v[34:35]
	v_add_f64 v[12:13], v[16:17], v[12:13]
	v_add_f64 v[16:17], v[38:39], v[12:13]
	v_add_f64 v[18:19], v[38:39], -v[16:17]
	v_add_f64 v[12:13], v[12:13], v[18:19]
	v_mul_f64 v[18:19], v[20:21], v[16:17]
	v_mul_f64 v[34:35], v[10:11], v[18:19]
	v_fma_f64 v[10:11], v[18:19], v[10:11], -v[34:35]
	v_fmac_f64_e32 v[10:11], v[18:19], v[8:9]
	v_add_f64 v[8:9], v[34:35], v[10:11]
	v_add_f64 v[36:37], v[16:17], -v[8:9]
	v_add_f64 v[16:17], v[16:17], -v[36:37]
	;; [unrolled: 1-line block ×4, first 2 shown]
	v_add_f64 v[8:9], v[12:13], v[8:9]
	v_add_f64 v[10:11], v[34:35], -v[10:11]
	v_add_f64 v[8:9], v[10:11], v[8:9]
	v_add_f64 v[10:11], v[14:15], v[18:19]
	;; [unrolled: 1-line block ×3, first 2 shown]
	v_add_f64 v[12:13], v[10:11], -v[14:15]
	v_mul_f64 v[8:9], v[20:21], v[8:9]
	v_add_f64 v[12:13], v[18:19], -v[12:13]
	v_add_f64 v[8:9], v[12:13], v[8:9]
	v_add_f64 v[12:13], v[10:11], v[8:9]
	v_add_f64 v[10:11], v[12:13], -v[10:11]
	v_add_f64 v[8:9], v[8:9], -v[10:11]
	v_mul_f64 v[10:11], v[12:13], v[12:13]
	v_mov_b32_e32 v14, 0x6b47b09a
	v_mov_b32_e32 v15, 0x3fc38538
	v_fmac_f64_e32 v[14:15], s[6:7], v[10:11]
	v_mov_b32_e32 v16, 0xd7f4df2e
	v_mov_b32_e32 v17, 0x3fc7474d
	v_fmac_f64_e32 v[16:17], v[10:11], v[14:15]
	;; [unrolled: 3-line block ×6, first 2 shown]
	v_cvt_f64_i32_e32 v[14:15], v40
	s_mov_b32 s13, 0x3fe62e42
	v_mul_f64 v[18:19], v[14:15], s[12:13]
	v_fma_f64 v[20:21], v[14:15], s[12:13], -v[18:19]
	s_mov_b32 s15, 0x3c7abc9e
	v_fmac_f64_e32 v[20:21], s[14:15], v[14:15]
	v_add_f64 v[14:15], v[18:19], v[20:21]
	v_add_f64 v[18:19], v[14:15], -v[18:19]
	v_mul_f64 v[10:11], v[12:13], v[10:11]
	v_add_f64 v[18:19], v[20:21], -v[18:19]
	v_ldexp_f64 v[20:21], v[12:13], 1
	v_mul_f64 v[10:11], v[10:11], v[16:17]
	v_add_f64 v[12:13], v[20:21], v[10:11]
	v_add_f64 v[16:17], v[12:13], -v[20:21]
	v_ldexp_f64 v[8:9], v[8:9], 1
	v_add_f64 v[10:11], v[10:11], -v[16:17]
	v_add_f64 v[8:9], v[8:9], v[10:11]
	v_add_f64 v[10:11], v[12:13], v[8:9]
	v_add_f64 v[12:13], v[10:11], -v[12:13]
	v_add_f64 v[8:9], v[8:9], -v[12:13]
	v_add_f64 v[12:13], v[14:15], v[10:11]
	v_add_f64 v[16:17], v[12:13], -v[14:15]
	v_add_f64 v[20:21], v[12:13], -v[16:17]
	;; [unrolled: 1-line block ×4, first 2 shown]
	v_add_f64 v[10:11], v[10:11], v[14:15]
	v_add_f64 v[14:15], v[18:19], v[8:9]
	v_add_f64 v[16:17], v[14:15], -v[18:19]
	v_add_f64 v[10:11], v[14:15], v[10:11]
	v_add_f64 v[20:21], v[14:15], -v[16:17]
	;; [unrolled: 2-line block ×3, first 2 shown]
	v_add_f64 v[8:9], v[8:9], -v[16:17]
	v_add_f64 v[12:13], v[14:15], -v[12:13]
	v_add_f64 v[8:9], v[8:9], v[18:19]
	v_add_f64 v[10:11], v[10:11], -v[12:13]
	s_mov_b32 s6, 0
	v_add_f64 v[8:9], v[8:9], v[10:11]
	s_mov_b32 s7, 0x7ff00000
	v_add_f64 v[8:9], v[14:15], v[8:9]
	v_cmp_neq_f64_e32 vcc, s[6:7], v[6:7]
	v_mov_b32_e32 v10, 0x7ff80000
	v_cmp_ngt_f64_e64 s[6:7], -1.0, v[6:7]
	v_cndmask_b32_e32 v9, v31, v9, vcc
	s_nop 0
	v_cndmask_b32_e64 v9, v10, v9, s[6:7]
	v_cmp_nge_f64_e64 s[6:7], -1.0, v[6:7]
	s_and_b64 vcc, s[6:7], vcc
	v_cndmask_b32_e32 v8, 0, v8, vcc
	v_mov_b32_e32 v10, 0xfff00000
	v_cmp_neq_f64_e32 vcc, -1.0, v[6:7]
	s_nop 1
	v_cndmask_b32_e32 v9, v10, v9, vcc
	v_add_f64 v[6:7], v[2:3], v[8:9]
.LBB66_165:
	s_or_b64 exec, exec, s[10:11]
	v_mov_b64_e32 v[2:3], v[6:7]
.LBB66_166:
	s_or_b64 exec, exec, s[8:9]
	v_max_f64 v[20:21], v[2:3], v[2:3]
	v_min_f64 v[34:35], v[20:21], v[32:33]
	v_cmp_u_f64_e64 s[14:15], v[2:3], v[2:3]
	v_cmp_u_f64_e32 vcc, v[4:5], v[4:5]
	v_max_f64 v[36:37], v[20:21], v[32:33]
	v_cndmask_b32_e64 v8, v34, v2, s[14:15]
	v_cndmask_b32_e64 v9, v35, v3, s[14:15]
	v_cndmask_b32_e32 v11, v9, v5, vcc
	v_cndmask_b32_e32 v10, v8, v4, vcc
	v_cndmask_b32_e64 v8, v36, v2, s[14:15]
	v_cndmask_b32_e64 v9, v37, v3, s[14:15]
	v_cndmask_b32_e32 v9, v9, v5, vcc
	v_cndmask_b32_e32 v8, v8, v4, vcc
	s_movk_i32 s18, 0x1f8
	v_cmp_neq_f64_e64 s[6:7], v[10:11], v[8:9]
	v_cmp_class_f64_e64 s[8:9], v[10:11], s18
	s_or_b64 s[6:7], s[6:7], s[8:9]
	v_mov_b64_e32 v[38:39], v[2:3]
	s_and_saveexec_b64 s[10:11], s[6:7]
	s_cbranch_execz .LBB66_168
; %bb.167:
	s_mov_b32 s6, 0x652b82fe
	v_add_f64 v[10:11], v[10:11], -v[8:9]
	s_mov_b32 s7, 0x3ff71547
	v_mul_f64 v[12:13], v[10:11], s[6:7]
	v_rndne_f64_e32 v[12:13], v[12:13]
	s_mov_b32 s13, 0xbfe62e42
	s_mov_b32 s12, 0xfefa39ef
	v_fma_f64 v[14:15], s[12:13], v[12:13], v[10:11]
	s_mov_b32 s17, 0xbc7abc9e
	s_mov_b32 s16, 0x3b39803f
	;; [unrolled: 1-line block ×3, first 2 shown]
	v_fmac_f64_e32 v[14:15], s[16:17], v[12:13]
	v_mov_b32_e32 v16, 0xfca7ab0c
	v_mov_b32_e32 v17, 0x3e928af3
	s_mov_b32 s7, 0x3e5ade15
	v_fmac_f64_e32 v[16:17], s[6:7], v[14:15]
	v_mov_b32_e32 v18, 0x623fde64
	v_mov_b32_e32 v19, 0x3ec71dee
	v_fmac_f64_e32 v[18:19], v[14:15], v[16:17]
	v_mov_b32_e32 v16, 0x7c89e6b0
	v_mov_b32_e32 v17, 0x3efa0199
	;; [unrolled: 3-line block ×8, first 2 shown]
	v_fmac_f64_e32 v[16:17], v[14:15], v[18:19]
	v_fma_f64 v[16:17], v[14:15], v[16:17], 1.0
	s_mov_b32 s6, 0
	s_mov_b32 s8, 0
	v_fma_f64 v[14:15], v[14:15], v[16:17], 1.0
	v_cvt_i32_f64_e32 v12, v[12:13]
	s_mov_b32 s7, 0x40900000
	s_mov_b32 s9, 0xc090cc00
	v_ldexp_f64 v[12:13], v[14:15], v12
	v_mov_b32_e32 v31, 0x7ff00000
	v_cmp_nlt_f64_e64 s[6:7], s[6:7], v[10:11]
	v_cmp_ngt_f64_e64 s[8:9], s[8:9], v[10:11]
	s_mov_b32 s13, 0x3fe62e42
	v_cndmask_b32_e64 v13, v31, v13, s[6:7]
	s_and_b64 s[6:7], s[8:9], s[6:7]
	v_cndmask_b32_e64 v11, 0, v13, s[8:9]
	v_cndmask_b32_e64 v10, 0, v12, s[6:7]
	v_add_f64 v[12:13], v[10:11], 1.0
	v_add_f64 v[14:15], v[12:13], -1.0
	v_add_f64 v[16:17], v[14:15], -v[12:13]
	v_add_f64 v[16:17], v[16:17], 1.0
	v_add_f64 v[14:15], v[10:11], -v[14:15]
	s_mov_b32 s6, 0x55555555
	v_add_f64 v[14:15], v[14:15], v[16:17]
	v_frexp_mant_f64_e32 v[16:17], v[12:13]
	s_mov_b32 s7, 0x3fe55555
	v_frexp_exp_i32_f64_e32 v18, v[12:13]
	v_cmp_gt_f64_e64 s[6:7], s[6:7], v[16:17]
	s_mov_b32 s17, 0x3c7abc9e
	v_cmp_ngt_f64_e64 s[8:9], -1.0, v[10:11]
	v_subbrev_co_u32_e64 v50, s[6:7], 0, v18, s[6:7]
	v_sub_u32_e32 v16, 0, v50
	v_ldexp_f64 v[12:13], v[12:13], v16
	v_ldexp_f64 v[14:15], v[14:15], v16
	v_add_f64 v[16:17], v[12:13], -1.0
	v_add_f64 v[40:41], v[12:13], 1.0
	v_add_f64 v[18:19], v[16:17], 1.0
	v_add_f64 v[42:43], v[40:41], -1.0
	v_add_f64 v[18:19], v[12:13], -v[18:19]
	v_add_f64 v[12:13], v[12:13], -v[42:43]
	v_add_f64 v[12:13], v[14:15], v[12:13]
	v_add_f64 v[18:19], v[14:15], v[18:19]
	;; [unrolled: 1-line block ×3, first 2 shown]
	v_rcp_f64_e32 v[42:43], v[14:15]
	v_add_f64 v[38:39], v[16:17], v[18:19]
	v_add_f64 v[16:17], v[38:39], -v[16:17]
	v_add_f64 v[16:17], v[18:19], -v[16:17]
	;; [unrolled: 1-line block ×4, first 2 shown]
	v_fma_f64 v[18:19], -v[14:15], v[42:43], 1.0
	v_fmac_f64_e32 v[42:43], v[18:19], v[42:43]
	v_fma_f64 v[18:19], -v[14:15], v[42:43], 1.0
	v_fmac_f64_e32 v[42:43], v[18:19], v[42:43]
	v_mul_f64 v[18:19], v[38:39], v[42:43]
	v_mul_f64 v[40:41], v[14:15], v[18:19]
	v_fma_f64 v[44:45], v[18:19], v[14:15], -v[40:41]
	v_fmac_f64_e32 v[44:45], v[18:19], v[12:13]
	v_add_f64 v[46:47], v[40:41], v[44:45]
	v_add_f64 v[48:49], v[38:39], -v[46:47]
	v_add_f64 v[38:39], v[38:39], -v[48:49]
	;; [unrolled: 1-line block ×4, first 2 shown]
	v_add_f64 v[16:17], v[16:17], v[38:39]
	v_add_f64 v[38:39], v[40:41], -v[44:45]
	v_add_f64 v[16:17], v[38:39], v[16:17]
	v_add_f64 v[38:39], v[48:49], v[16:17]
	v_add_f64 v[40:41], v[48:49], -v[38:39]
	v_add_f64 v[16:17], v[16:17], v[40:41]
	v_mul_f64 v[40:41], v[42:43], v[38:39]
	v_mul_f64 v[44:45], v[14:15], v[40:41]
	v_fma_f64 v[14:15], v[40:41], v[14:15], -v[44:45]
	v_fmac_f64_e32 v[14:15], v[40:41], v[12:13]
	v_add_f64 v[12:13], v[44:45], v[14:15]
	v_add_f64 v[46:47], v[38:39], -v[12:13]
	v_add_f64 v[38:39], v[38:39], -v[46:47]
	;; [unrolled: 1-line block ×4, first 2 shown]
	v_add_f64 v[12:13], v[16:17], v[12:13]
	v_add_f64 v[14:15], v[44:45], -v[14:15]
	v_add_f64 v[12:13], v[14:15], v[12:13]
	v_add_f64 v[14:15], v[18:19], v[40:41]
	;; [unrolled: 1-line block ×3, first 2 shown]
	v_add_f64 v[16:17], v[14:15], -v[18:19]
	v_mul_f64 v[12:13], v[42:43], v[12:13]
	v_add_f64 v[16:17], v[40:41], -v[16:17]
	v_add_f64 v[12:13], v[16:17], v[12:13]
	v_add_f64 v[16:17], v[14:15], v[12:13]
	v_add_f64 v[14:15], v[16:17], -v[14:15]
	s_mov_b32 s6, 0xbf559e2b
	v_add_f64 v[12:13], v[12:13], -v[14:15]
	v_mul_f64 v[14:15], v[16:17], v[16:17]
	v_mov_b32_e32 v18, 0x6b47b09a
	v_mov_b32_e32 v19, 0x3fc38538
	s_mov_b32 s7, 0x3fc3ab76
	v_fmac_f64_e32 v[18:19], s[6:7], v[14:15]
	v_mov_b32_e32 v38, 0xd7f4df2e
	v_mov_b32_e32 v39, 0x3fc7474d
	v_fmac_f64_e32 v[38:39], v[14:15], v[18:19]
	v_mov_b32_e32 v18, 0x16291751
	v_mov_b32_e32 v19, 0x3fcc71c0
	;; [unrolled: 3-line block ×5, first 2 shown]
	v_fmac_f64_e32 v[38:39], v[14:15], v[18:19]
	v_cvt_f64_i32_e32 v[18:19], v50
	v_mul_f64 v[40:41], v[18:19], s[12:13]
	v_fma_f64 v[42:43], v[18:19], s[12:13], -v[40:41]
	v_fmac_f64_e32 v[42:43], s[16:17], v[18:19]
	v_add_f64 v[18:19], v[40:41], v[42:43]
	v_add_f64 v[40:41], v[18:19], -v[40:41]
	v_mul_f64 v[14:15], v[16:17], v[14:15]
	v_add_f64 v[40:41], v[42:43], -v[40:41]
	v_ldexp_f64 v[42:43], v[16:17], 1
	v_mul_f64 v[14:15], v[14:15], v[38:39]
	v_add_f64 v[16:17], v[42:43], v[14:15]
	v_add_f64 v[38:39], v[16:17], -v[42:43]
	v_ldexp_f64 v[12:13], v[12:13], 1
	v_add_f64 v[14:15], v[14:15], -v[38:39]
	v_add_f64 v[12:13], v[12:13], v[14:15]
	v_add_f64 v[14:15], v[16:17], v[12:13]
	v_add_f64 v[16:17], v[14:15], -v[16:17]
	v_add_f64 v[12:13], v[12:13], -v[16:17]
	v_add_f64 v[16:17], v[18:19], v[14:15]
	v_add_f64 v[38:39], v[16:17], -v[18:19]
	v_add_f64 v[42:43], v[16:17], -v[38:39]
	;; [unrolled: 1-line block ×4, first 2 shown]
	v_add_f64 v[14:15], v[14:15], v[18:19]
	v_add_f64 v[18:19], v[40:41], v[12:13]
	v_add_f64 v[38:39], v[18:19], -v[40:41]
	v_add_f64 v[14:15], v[18:19], v[14:15]
	v_add_f64 v[42:43], v[18:19], -v[38:39]
	;; [unrolled: 2-line block ×3, first 2 shown]
	v_add_f64 v[12:13], v[12:13], -v[38:39]
	v_add_f64 v[16:17], v[18:19], -v[16:17]
	v_add_f64 v[12:13], v[12:13], v[40:41]
	v_add_f64 v[14:15], v[14:15], -v[16:17]
	s_mov_b32 s6, 0
	v_add_f64 v[12:13], v[12:13], v[14:15]
	s_mov_b32 s7, 0x7ff00000
	v_add_f64 v[12:13], v[18:19], v[12:13]
	v_cmp_neq_f64_e64 s[6:7], s[6:7], v[10:11]
	v_mov_b32_e32 v14, 0x7ff80000
	s_nop 0
	v_cndmask_b32_e64 v13, v31, v13, s[6:7]
	v_cndmask_b32_e64 v13, v14, v13, s[8:9]
	v_cmp_nge_f64_e64 s[8:9], -1.0, v[10:11]
	s_and_b64 s[6:7], s[8:9], s[6:7]
	v_cndmask_b32_e64 v12, 0, v12, s[6:7]
	v_mov_b32_e32 v14, 0xfff00000
	v_cmp_neq_f64_e64 s[6:7], -1.0, v[10:11]
	s_nop 1
	v_cndmask_b32_e64 v13, v14, v13, s[6:7]
	v_add_f64 v[38:39], v[8:9], v[12:13]
.LBB66_168:
	s_or_b64 exec, exec, s[10:11]
	v_max_f64 v[12:13], v[26:27], v[26:27]
	v_max_f64 v[8:9], v[38:39], v[38:39]
	v_min_f64 v[10:11], v[8:9], v[12:13]
	v_cmp_u_f64_e64 s[8:9], v[38:39], v[38:39]
	v_max_f64 v[8:9], v[8:9], v[12:13]
	v_cmp_u_f64_e64 s[6:7], v[26:27], v[26:27]
	v_cndmask_b32_e64 v10, v10, v38, s[8:9]
	v_cndmask_b32_e64 v11, v11, v39, s[8:9]
	;; [unrolled: 1-line block ×8, first 2 shown]
	v_cmp_neq_f64_e64 s[8:9], v[10:11], v[8:9]
	v_cmp_class_f64_e64 s[10:11], v[10:11], s18
	s_or_b64 s[8:9], s[8:9], s[10:11]
	s_and_saveexec_b64 s[12:13], s[8:9]
	s_cbranch_execz .LBB66_170
; %bb.169:
	s_mov_b32 s8, 0x652b82fe
	v_add_f64 v[10:11], v[10:11], -v[8:9]
	s_mov_b32 s9, 0x3ff71547
	v_mul_f64 v[14:15], v[10:11], s[8:9]
	v_rndne_f64_e32 v[14:15], v[14:15]
	s_mov_b32 s17, 0xbfe62e42
	s_mov_b32 s16, 0xfefa39ef
	v_fma_f64 v[16:17], s[16:17], v[14:15], v[10:11]
	s_mov_b32 s19, 0xbc7abc9e
	s_mov_b32 s18, 0x3b39803f
	;; [unrolled: 1-line block ×3, first 2 shown]
	v_fmac_f64_e32 v[16:17], s[18:19], v[14:15]
	v_mov_b32_e32 v18, 0xfca7ab0c
	v_mov_b32_e32 v19, 0x3e928af3
	s_mov_b32 s9, 0x3e5ade15
	v_fmac_f64_e32 v[18:19], s[8:9], v[16:17]
	v_mov_b32_e32 v38, 0x623fde64
	v_mov_b32_e32 v39, 0x3ec71dee
	v_fmac_f64_e32 v[38:39], v[16:17], v[18:19]
	v_mov_b32_e32 v18, 0x7c89e6b0
	v_mov_b32_e32 v19, 0x3efa0199
	v_fmac_f64_e32 v[18:19], v[16:17], v[38:39]
	v_mov_b32_e32 v38, 0x14761f6e
	v_mov_b32_e32 v39, 0x3f2a01a0
	v_fmac_f64_e32 v[38:39], v[16:17], v[18:19]
	v_mov_b32_e32 v18, 0x1852b7b0
	v_mov_b32_e32 v19, 0x3f56c16c
	v_fmac_f64_e32 v[18:19], v[16:17], v[38:39]
	v_mov_b32_e32 v38, 0x11122322
	v_mov_b32_e32 v39, 0x3f811111
	v_fmac_f64_e32 v[38:39], v[16:17], v[18:19]
	v_mov_b32_e32 v18, 0x555502a1
	v_mov_b32_e32 v19, 0x3fa55555
	v_fmac_f64_e32 v[18:19], v[16:17], v[38:39]
	v_mov_b32_e32 v38, 0x55555511
	v_mov_b32_e32 v39, 0x3fc55555
	v_fmac_f64_e32 v[38:39], v[16:17], v[18:19]
	v_mov_b32_e32 v18, 11
	v_mov_b32_e32 v19, 0x3fe00000
	v_fmac_f64_e32 v[18:19], v[16:17], v[38:39]
	v_fma_f64 v[18:19], v[16:17], v[18:19], 1.0
	s_mov_b32 s8, 0
	s_mov_b32 s10, 0
	v_fma_f64 v[16:17], v[16:17], v[18:19], 1.0
	v_cvt_i32_f64_e32 v14, v[14:15]
	s_mov_b32 s9, 0x40900000
	s_mov_b32 s11, 0xc090cc00
	v_ldexp_f64 v[14:15], v[16:17], v14
	v_mov_b32_e32 v31, 0x7ff00000
	v_cmp_nlt_f64_e64 s[8:9], s[8:9], v[10:11]
	v_cmp_ngt_f64_e64 s[10:11], s[10:11], v[10:11]
	s_mov_b32 s17, 0x3fe62e42
	v_cndmask_b32_e64 v15, v31, v15, s[8:9]
	s_and_b64 s[8:9], s[10:11], s[8:9]
	v_cndmask_b32_e64 v11, 0, v15, s[10:11]
	v_cndmask_b32_e64 v10, 0, v14, s[8:9]
	v_add_f64 v[14:15], v[10:11], 1.0
	v_add_f64 v[16:17], v[14:15], -1.0
	v_add_f64 v[18:19], v[16:17], -v[14:15]
	v_add_f64 v[18:19], v[18:19], 1.0
	v_add_f64 v[16:17], v[10:11], -v[16:17]
	s_mov_b32 s8, 0x55555555
	v_add_f64 v[16:17], v[16:17], v[18:19]
	v_frexp_mant_f64_e32 v[18:19], v[14:15]
	s_mov_b32 s9, 0x3fe55555
	v_frexp_exp_i32_f64_e32 v38, v[14:15]
	v_cmp_gt_f64_e64 s[8:9], s[8:9], v[18:19]
	s_mov_b32 s19, 0x3c7abc9e
	v_cmp_ngt_f64_e64 s[10:11], -1.0, v[10:11]
	v_subbrev_co_u32_e64 v52, s[8:9], 0, v38, s[8:9]
	v_sub_u32_e32 v18, 0, v52
	v_ldexp_f64 v[14:15], v[14:15], v18
	v_ldexp_f64 v[16:17], v[16:17], v18
	v_add_f64 v[18:19], v[14:15], -1.0
	v_add_f64 v[42:43], v[14:15], 1.0
	v_add_f64 v[38:39], v[18:19], 1.0
	v_add_f64 v[44:45], v[42:43], -1.0
	v_add_f64 v[38:39], v[14:15], -v[38:39]
	v_add_f64 v[14:15], v[14:15], -v[44:45]
	v_add_f64 v[14:15], v[16:17], v[14:15]
	v_add_f64 v[38:39], v[16:17], v[38:39]
	;; [unrolled: 1-line block ×3, first 2 shown]
	v_rcp_f64_e32 v[44:45], v[16:17]
	v_add_f64 v[40:41], v[18:19], v[38:39]
	v_add_f64 v[18:19], v[40:41], -v[18:19]
	v_add_f64 v[18:19], v[38:39], -v[18:19]
	;; [unrolled: 1-line block ×4, first 2 shown]
	v_fma_f64 v[38:39], -v[16:17], v[44:45], 1.0
	v_fmac_f64_e32 v[44:45], v[38:39], v[44:45]
	v_fma_f64 v[38:39], -v[16:17], v[44:45], 1.0
	v_fmac_f64_e32 v[44:45], v[38:39], v[44:45]
	v_mul_f64 v[38:39], v[40:41], v[44:45]
	v_mul_f64 v[42:43], v[16:17], v[38:39]
	v_fma_f64 v[46:47], v[38:39], v[16:17], -v[42:43]
	v_fmac_f64_e32 v[46:47], v[38:39], v[14:15]
	v_add_f64 v[48:49], v[42:43], v[46:47]
	v_add_f64 v[50:51], v[40:41], -v[48:49]
	v_add_f64 v[40:41], v[40:41], -v[50:51]
	;; [unrolled: 1-line block ×4, first 2 shown]
	v_add_f64 v[18:19], v[18:19], v[40:41]
	v_add_f64 v[40:41], v[42:43], -v[46:47]
	v_add_f64 v[18:19], v[40:41], v[18:19]
	v_add_f64 v[40:41], v[50:51], v[18:19]
	v_add_f64 v[42:43], v[50:51], -v[40:41]
	v_add_f64 v[18:19], v[18:19], v[42:43]
	v_mul_f64 v[42:43], v[44:45], v[40:41]
	v_mul_f64 v[46:47], v[16:17], v[42:43]
	v_fma_f64 v[16:17], v[42:43], v[16:17], -v[46:47]
	v_fmac_f64_e32 v[16:17], v[42:43], v[14:15]
	v_add_f64 v[14:15], v[46:47], v[16:17]
	v_add_f64 v[48:49], v[40:41], -v[14:15]
	v_add_f64 v[40:41], v[40:41], -v[48:49]
	;; [unrolled: 1-line block ×4, first 2 shown]
	v_add_f64 v[14:15], v[18:19], v[14:15]
	v_add_f64 v[16:17], v[46:47], -v[16:17]
	v_add_f64 v[14:15], v[16:17], v[14:15]
	v_add_f64 v[16:17], v[38:39], v[42:43]
	;; [unrolled: 1-line block ×3, first 2 shown]
	v_add_f64 v[18:19], v[16:17], -v[38:39]
	v_mul_f64 v[14:15], v[44:45], v[14:15]
	v_add_f64 v[18:19], v[42:43], -v[18:19]
	v_add_f64 v[14:15], v[18:19], v[14:15]
	v_add_f64 v[18:19], v[16:17], v[14:15]
	v_add_f64 v[16:17], v[18:19], -v[16:17]
	s_mov_b32 s8, 0xbf559e2b
	v_add_f64 v[14:15], v[14:15], -v[16:17]
	v_mul_f64 v[16:17], v[18:19], v[18:19]
	v_mov_b32_e32 v38, 0x6b47b09a
	v_mov_b32_e32 v39, 0x3fc38538
	s_mov_b32 s9, 0x3fc3ab76
	v_fmac_f64_e32 v[38:39], s[8:9], v[16:17]
	v_mov_b32_e32 v40, 0xd7f4df2e
	v_mov_b32_e32 v41, 0x3fc7474d
	v_fmac_f64_e32 v[40:41], v[16:17], v[38:39]
	v_mov_b32_e32 v38, 0x16291751
	v_mov_b32_e32 v39, 0x3fcc71c0
	;; [unrolled: 3-line block ×5, first 2 shown]
	v_fmac_f64_e32 v[40:41], v[16:17], v[38:39]
	v_cvt_f64_i32_e32 v[38:39], v52
	v_mul_f64 v[42:43], v[38:39], s[16:17]
	v_fma_f64 v[44:45], v[38:39], s[16:17], -v[42:43]
	v_fmac_f64_e32 v[44:45], s[18:19], v[38:39]
	v_add_f64 v[38:39], v[42:43], v[44:45]
	v_add_f64 v[42:43], v[38:39], -v[42:43]
	v_mul_f64 v[16:17], v[18:19], v[16:17]
	v_add_f64 v[42:43], v[44:45], -v[42:43]
	v_ldexp_f64 v[44:45], v[18:19], 1
	v_mul_f64 v[16:17], v[16:17], v[40:41]
	v_add_f64 v[18:19], v[44:45], v[16:17]
	v_add_f64 v[40:41], v[18:19], -v[44:45]
	v_ldexp_f64 v[14:15], v[14:15], 1
	v_add_f64 v[16:17], v[16:17], -v[40:41]
	v_add_f64 v[14:15], v[14:15], v[16:17]
	v_add_f64 v[16:17], v[18:19], v[14:15]
	v_add_f64 v[18:19], v[16:17], -v[18:19]
	v_add_f64 v[14:15], v[14:15], -v[18:19]
	v_add_f64 v[18:19], v[38:39], v[16:17]
	v_add_f64 v[40:41], v[18:19], -v[38:39]
	v_add_f64 v[44:45], v[18:19], -v[40:41]
	;; [unrolled: 1-line block ×4, first 2 shown]
	v_add_f64 v[16:17], v[16:17], v[38:39]
	v_add_f64 v[38:39], v[42:43], v[14:15]
	v_add_f64 v[40:41], v[38:39], -v[42:43]
	v_add_f64 v[16:17], v[38:39], v[16:17]
	v_add_f64 v[44:45], v[38:39], -v[40:41]
	;; [unrolled: 2-line block ×3, first 2 shown]
	v_add_f64 v[14:15], v[14:15], -v[40:41]
	v_add_f64 v[18:19], v[38:39], -v[18:19]
	v_add_f64 v[14:15], v[14:15], v[42:43]
	v_add_f64 v[16:17], v[16:17], -v[18:19]
	s_mov_b32 s8, 0
	v_add_f64 v[14:15], v[14:15], v[16:17]
	s_mov_b32 s9, 0x7ff00000
	v_add_f64 v[14:15], v[38:39], v[14:15]
	v_cmp_neq_f64_e64 s[8:9], s[8:9], v[10:11]
	v_mov_b32_e32 v16, 0x7ff80000
	s_nop 0
	v_cndmask_b32_e64 v15, v31, v15, s[8:9]
	v_cndmask_b32_e64 v15, v16, v15, s[10:11]
	v_cmp_nge_f64_e64 s[10:11], -1.0, v[10:11]
	s_and_b64 s[8:9], s[10:11], s[8:9]
	v_cndmask_b32_e64 v14, 0, v14, s[8:9]
	v_mov_b32_e32 v16, 0xfff00000
	v_cmp_neq_f64_e64 s[8:9], -1.0, v[10:11]
	s_nop 1
	v_cndmask_b32_e64 v15, v16, v15, s[8:9]
	v_add_f64 v[38:39], v[8:9], v[14:15]
.LBB66_170:
	s_or_b64 exec, exec, s[12:13]
	v_max_f64 v[14:15], v[28:29], v[28:29]
	v_max_f64 v[8:9], v[38:39], v[38:39]
	v_min_f64 v[10:11], v[8:9], v[14:15]
	v_cmp_u_f64_e64 s[10:11], v[38:39], v[38:39]
	v_max_f64 v[8:9], v[8:9], v[14:15]
	v_cmp_u_f64_e64 s[8:9], v[28:29], v[28:29]
	v_cndmask_b32_e64 v10, v10, v38, s[10:11]
	v_cndmask_b32_e64 v11, v11, v39, s[10:11]
	;; [unrolled: 1-line block ×8, first 2 shown]
	s_movk_i32 s22, 0x1f8
	v_cmp_neq_f64_e64 s[10:11], v[10:11], v[8:9]
	v_cmp_class_f64_e64 s[12:13], v[10:11], s22
	s_or_b64 s[10:11], s[10:11], s[12:13]
	s_and_saveexec_b64 s[16:17], s[10:11]
	s_cbranch_execz .LBB66_172
; %bb.171:
	s_mov_b32 s10, 0x652b82fe
	v_add_f64 v[10:11], v[10:11], -v[8:9]
	s_mov_b32 s11, 0x3ff71547
	v_mul_f64 v[16:17], v[10:11], s[10:11]
	v_rndne_f64_e32 v[16:17], v[16:17]
	s_mov_b32 s19, 0xbfe62e42
	s_mov_b32 s18, 0xfefa39ef
	v_fma_f64 v[18:19], s[18:19], v[16:17], v[10:11]
	s_mov_b32 s21, 0xbc7abc9e
	s_mov_b32 s20, 0x3b39803f
	s_mov_b32 s10, 0x6a5dcb37
	v_fmac_f64_e32 v[18:19], s[20:21], v[16:17]
	v_mov_b32_e32 v38, 0xfca7ab0c
	v_mov_b32_e32 v39, 0x3e928af3
	s_mov_b32 s11, 0x3e5ade15
	v_fmac_f64_e32 v[38:39], s[10:11], v[18:19]
	v_mov_b32_e32 v40, 0x623fde64
	v_mov_b32_e32 v41, 0x3ec71dee
	v_fmac_f64_e32 v[40:41], v[18:19], v[38:39]
	v_mov_b32_e32 v38, 0x7c89e6b0
	v_mov_b32_e32 v39, 0x3efa0199
	;; [unrolled: 3-line block ×8, first 2 shown]
	v_fmac_f64_e32 v[38:39], v[18:19], v[40:41]
	v_fma_f64 v[38:39], v[18:19], v[38:39], 1.0
	s_mov_b32 s10, 0
	s_mov_b32 s12, 0
	v_fma_f64 v[18:19], v[18:19], v[38:39], 1.0
	v_cvt_i32_f64_e32 v16, v[16:17]
	s_mov_b32 s11, 0x40900000
	s_mov_b32 s13, 0xc090cc00
	v_ldexp_f64 v[16:17], v[18:19], v16
	v_mov_b32_e32 v31, 0x7ff00000
	v_cmp_nlt_f64_e64 s[10:11], s[10:11], v[10:11]
	v_cmp_ngt_f64_e64 s[12:13], s[12:13], v[10:11]
	s_mov_b32 s19, 0x3fe62e42
	v_cndmask_b32_e64 v17, v31, v17, s[10:11]
	s_and_b64 s[10:11], s[12:13], s[10:11]
	v_cndmask_b32_e64 v11, 0, v17, s[12:13]
	v_cndmask_b32_e64 v10, 0, v16, s[10:11]
	v_add_f64 v[16:17], v[10:11], 1.0
	v_add_f64 v[18:19], v[16:17], -1.0
	v_add_f64 v[38:39], v[18:19], -v[16:17]
	v_add_f64 v[38:39], v[38:39], 1.0
	v_add_f64 v[18:19], v[10:11], -v[18:19]
	s_mov_b32 s10, 0x55555555
	v_add_f64 v[18:19], v[18:19], v[38:39]
	v_frexp_mant_f64_e32 v[38:39], v[16:17]
	s_mov_b32 s11, 0x3fe55555
	v_frexp_exp_i32_f64_e32 v40, v[16:17]
	v_cmp_gt_f64_e64 s[10:11], s[10:11], v[38:39]
	s_mov_b32 s21, 0x3c7abc9e
	v_cmp_ngt_f64_e64 s[12:13], -1.0, v[10:11]
	v_subbrev_co_u32_e64 v54, s[10:11], 0, v40, s[10:11]
	v_sub_u32_e32 v38, 0, v54
	v_ldexp_f64 v[16:17], v[16:17], v38
	v_ldexp_f64 v[18:19], v[18:19], v38
	v_add_f64 v[38:39], v[16:17], -1.0
	v_add_f64 v[44:45], v[16:17], 1.0
	v_add_f64 v[40:41], v[38:39], 1.0
	v_add_f64 v[46:47], v[44:45], -1.0
	v_add_f64 v[40:41], v[16:17], -v[40:41]
	v_add_f64 v[16:17], v[16:17], -v[46:47]
	v_add_f64 v[16:17], v[18:19], v[16:17]
	v_add_f64 v[40:41], v[18:19], v[40:41]
	;; [unrolled: 1-line block ×3, first 2 shown]
	v_rcp_f64_e32 v[46:47], v[18:19]
	v_add_f64 v[42:43], v[38:39], v[40:41]
	v_add_f64 v[38:39], v[42:43], -v[38:39]
	v_add_f64 v[38:39], v[40:41], -v[38:39]
	;; [unrolled: 1-line block ×4, first 2 shown]
	v_fma_f64 v[40:41], -v[18:19], v[46:47], 1.0
	v_fmac_f64_e32 v[46:47], v[40:41], v[46:47]
	v_fma_f64 v[40:41], -v[18:19], v[46:47], 1.0
	v_fmac_f64_e32 v[46:47], v[40:41], v[46:47]
	v_mul_f64 v[40:41], v[42:43], v[46:47]
	v_mul_f64 v[44:45], v[18:19], v[40:41]
	v_fma_f64 v[48:49], v[40:41], v[18:19], -v[44:45]
	v_fmac_f64_e32 v[48:49], v[40:41], v[16:17]
	v_add_f64 v[50:51], v[44:45], v[48:49]
	v_add_f64 v[52:53], v[42:43], -v[50:51]
	v_add_f64 v[42:43], v[42:43], -v[52:53]
	;; [unrolled: 1-line block ×4, first 2 shown]
	v_add_f64 v[38:39], v[38:39], v[42:43]
	v_add_f64 v[42:43], v[44:45], -v[48:49]
	v_add_f64 v[38:39], v[42:43], v[38:39]
	v_add_f64 v[42:43], v[52:53], v[38:39]
	v_add_f64 v[44:45], v[52:53], -v[42:43]
	v_add_f64 v[38:39], v[38:39], v[44:45]
	v_mul_f64 v[44:45], v[46:47], v[42:43]
	v_mul_f64 v[48:49], v[18:19], v[44:45]
	v_fma_f64 v[18:19], v[44:45], v[18:19], -v[48:49]
	v_fmac_f64_e32 v[18:19], v[44:45], v[16:17]
	v_add_f64 v[16:17], v[48:49], v[18:19]
	v_add_f64 v[50:51], v[42:43], -v[16:17]
	v_add_f64 v[42:43], v[42:43], -v[50:51]
	;; [unrolled: 1-line block ×4, first 2 shown]
	v_add_f64 v[16:17], v[38:39], v[16:17]
	v_add_f64 v[18:19], v[48:49], -v[18:19]
	v_add_f64 v[16:17], v[18:19], v[16:17]
	v_add_f64 v[18:19], v[40:41], v[44:45]
	;; [unrolled: 1-line block ×3, first 2 shown]
	v_add_f64 v[38:39], v[18:19], -v[40:41]
	v_mul_f64 v[16:17], v[46:47], v[16:17]
	v_add_f64 v[38:39], v[44:45], -v[38:39]
	v_add_f64 v[16:17], v[38:39], v[16:17]
	v_add_f64 v[38:39], v[18:19], v[16:17]
	v_add_f64 v[18:19], v[38:39], -v[18:19]
	s_mov_b32 s10, 0xbf559e2b
	v_add_f64 v[16:17], v[16:17], -v[18:19]
	v_mul_f64 v[18:19], v[38:39], v[38:39]
	v_mov_b32_e32 v40, 0x6b47b09a
	v_mov_b32_e32 v41, 0x3fc38538
	s_mov_b32 s11, 0x3fc3ab76
	v_fmac_f64_e32 v[40:41], s[10:11], v[18:19]
	v_mov_b32_e32 v42, 0xd7f4df2e
	v_mov_b32_e32 v43, 0x3fc7474d
	v_fmac_f64_e32 v[42:43], v[18:19], v[40:41]
	v_mov_b32_e32 v40, 0x16291751
	v_mov_b32_e32 v41, 0x3fcc71c0
	v_fmac_f64_e32 v[40:41], v[18:19], v[42:43]
	v_mov_b32_e32 v42, 0x9b27acf1
	v_mov_b32_e32 v43, 0x3fd24924
	v_fmac_f64_e32 v[42:43], v[18:19], v[40:41]
	v_mov_b32_e32 v40, 0x998ef7b6
	v_mov_b32_e32 v41, 0x3fd99999
	v_fmac_f64_e32 v[40:41], v[18:19], v[42:43]
	v_mov_b32_e32 v42, 0x55555780
	v_mov_b32_e32 v43, 0x3fe55555
	v_fmac_f64_e32 v[42:43], v[18:19], v[40:41]
	v_cvt_f64_i32_e32 v[40:41], v54
	v_mul_f64 v[44:45], v[40:41], s[18:19]
	v_fma_f64 v[46:47], v[40:41], s[18:19], -v[44:45]
	v_fmac_f64_e32 v[46:47], s[20:21], v[40:41]
	v_add_f64 v[40:41], v[44:45], v[46:47]
	v_add_f64 v[44:45], v[40:41], -v[44:45]
	v_mul_f64 v[18:19], v[38:39], v[18:19]
	v_add_f64 v[44:45], v[46:47], -v[44:45]
	v_ldexp_f64 v[46:47], v[38:39], 1
	v_mul_f64 v[18:19], v[18:19], v[42:43]
	v_add_f64 v[38:39], v[46:47], v[18:19]
	v_add_f64 v[42:43], v[38:39], -v[46:47]
	v_ldexp_f64 v[16:17], v[16:17], 1
	v_add_f64 v[18:19], v[18:19], -v[42:43]
	v_add_f64 v[16:17], v[16:17], v[18:19]
	v_add_f64 v[18:19], v[38:39], v[16:17]
	v_add_f64 v[38:39], v[18:19], -v[38:39]
	v_add_f64 v[16:17], v[16:17], -v[38:39]
	v_add_f64 v[38:39], v[40:41], v[18:19]
	v_add_f64 v[42:43], v[38:39], -v[40:41]
	v_add_f64 v[46:47], v[38:39], -v[42:43]
	;; [unrolled: 1-line block ×4, first 2 shown]
	v_add_f64 v[18:19], v[18:19], v[40:41]
	v_add_f64 v[40:41], v[44:45], v[16:17]
	v_add_f64 v[42:43], v[40:41], -v[44:45]
	v_add_f64 v[18:19], v[40:41], v[18:19]
	v_add_f64 v[46:47], v[40:41], -v[42:43]
	;; [unrolled: 2-line block ×3, first 2 shown]
	v_add_f64 v[16:17], v[16:17], -v[42:43]
	v_add_f64 v[38:39], v[40:41], -v[38:39]
	v_add_f64 v[16:17], v[16:17], v[44:45]
	v_add_f64 v[18:19], v[18:19], -v[38:39]
	s_mov_b32 s10, 0
	v_add_f64 v[16:17], v[16:17], v[18:19]
	s_mov_b32 s11, 0x7ff00000
	v_add_f64 v[16:17], v[40:41], v[16:17]
	v_cmp_neq_f64_e64 s[10:11], s[10:11], v[10:11]
	v_mov_b32_e32 v18, 0x7ff80000
	s_nop 0
	v_cndmask_b32_e64 v17, v31, v17, s[10:11]
	v_cndmask_b32_e64 v17, v18, v17, s[12:13]
	v_cmp_nge_f64_e64 s[12:13], -1.0, v[10:11]
	s_and_b64 s[10:11], s[12:13], s[10:11]
	v_cndmask_b32_e64 v16, 0, v16, s[10:11]
	v_mov_b32_e32 v18, 0xfff00000
	v_cmp_neq_f64_e64 s[10:11], -1.0, v[10:11]
	s_nop 1
	v_cndmask_b32_e64 v17, v18, v17, s[10:11]
	v_add_f64 v[38:39], v[8:9], v[16:17]
.LBB66_172:
	s_or_b64 exec, exec, s[16:17]
	v_max_f64 v[16:17], v[22:23], v[22:23]
	v_max_f64 v[8:9], v[38:39], v[38:39]
	v_min_f64 v[10:11], v[8:9], v[16:17]
	v_cmp_u_f64_e64 s[12:13], v[38:39], v[38:39]
	v_max_f64 v[8:9], v[8:9], v[16:17]
	v_cmp_u_f64_e64 s[10:11], v[22:23], v[22:23]
	v_cndmask_b32_e64 v10, v10, v38, s[12:13]
	v_cndmask_b32_e64 v11, v11, v39, s[12:13]
	;; [unrolled: 1-line block ×8, first 2 shown]
	v_cmp_neq_f64_e64 s[12:13], v[10:11], v[8:9]
	v_cmp_class_f64_e64 s[16:17], v[10:11], s22
	s_or_b64 s[12:13], s[12:13], s[16:17]
	s_and_saveexec_b64 s[18:19], s[12:13]
	s_cbranch_execz .LBB66_174
; %bb.173:
	s_mov_b32 s12, 0x652b82fe
	v_add_f64 v[10:11], v[10:11], -v[8:9]
	s_mov_b32 s13, 0x3ff71547
	v_mul_f64 v[18:19], v[10:11], s[12:13]
	v_rndne_f64_e32 v[18:19], v[18:19]
	s_mov_b32 s21, 0xbfe62e42
	s_mov_b32 s20, 0xfefa39ef
	v_fma_f64 v[38:39], s[20:21], v[18:19], v[10:11]
	s_mov_b32 s23, 0xbc7abc9e
	s_mov_b32 s22, 0x3b39803f
	;; [unrolled: 1-line block ×3, first 2 shown]
	v_fmac_f64_e32 v[38:39], s[22:23], v[18:19]
	v_mov_b32_e32 v40, 0xfca7ab0c
	v_mov_b32_e32 v41, 0x3e928af3
	s_mov_b32 s13, 0x3e5ade15
	v_fmac_f64_e32 v[40:41], s[12:13], v[38:39]
	v_mov_b32_e32 v42, 0x623fde64
	v_mov_b32_e32 v43, 0x3ec71dee
	v_fmac_f64_e32 v[42:43], v[38:39], v[40:41]
	v_mov_b32_e32 v40, 0x7c89e6b0
	v_mov_b32_e32 v41, 0x3efa0199
	;; [unrolled: 3-line block ×8, first 2 shown]
	v_fmac_f64_e32 v[40:41], v[38:39], v[42:43]
	v_fma_f64 v[40:41], v[38:39], v[40:41], 1.0
	s_mov_b32 s12, 0
	s_mov_b32 s16, 0
	v_fma_f64 v[38:39], v[38:39], v[40:41], 1.0
	v_cvt_i32_f64_e32 v18, v[18:19]
	s_mov_b32 s13, 0x40900000
	s_mov_b32 s17, 0xc090cc00
	v_ldexp_f64 v[18:19], v[38:39], v18
	v_mov_b32_e32 v31, 0x7ff00000
	v_cmp_nlt_f64_e64 s[12:13], s[12:13], v[10:11]
	v_cmp_ngt_f64_e64 s[16:17], s[16:17], v[10:11]
	s_mov_b32 s21, 0x3fe62e42
	v_cndmask_b32_e64 v19, v31, v19, s[12:13]
	s_and_b64 s[12:13], s[16:17], s[12:13]
	v_cndmask_b32_e64 v11, 0, v19, s[16:17]
	v_cndmask_b32_e64 v10, 0, v18, s[12:13]
	v_add_f64 v[18:19], v[10:11], 1.0
	v_add_f64 v[38:39], v[18:19], -1.0
	v_add_f64 v[40:41], v[38:39], -v[18:19]
	v_add_f64 v[40:41], v[40:41], 1.0
	v_add_f64 v[38:39], v[10:11], -v[38:39]
	s_mov_b32 s12, 0x55555555
	v_add_f64 v[38:39], v[38:39], v[40:41]
	v_frexp_mant_f64_e32 v[40:41], v[18:19]
	s_mov_b32 s13, 0x3fe55555
	v_frexp_exp_i32_f64_e32 v42, v[18:19]
	v_cmp_gt_f64_e64 s[12:13], s[12:13], v[40:41]
	s_mov_b32 s23, 0x3c7abc9e
	v_cmp_ngt_f64_e64 s[16:17], -1.0, v[10:11]
	v_subbrev_co_u32_e64 v56, s[12:13], 0, v42, s[12:13]
	v_sub_u32_e32 v40, 0, v56
	v_ldexp_f64 v[18:19], v[18:19], v40
	v_ldexp_f64 v[38:39], v[38:39], v40
	v_add_f64 v[40:41], v[18:19], -1.0
	v_add_f64 v[46:47], v[18:19], 1.0
	v_add_f64 v[42:43], v[40:41], 1.0
	v_add_f64 v[48:49], v[46:47], -1.0
	v_add_f64 v[42:43], v[18:19], -v[42:43]
	v_add_f64 v[18:19], v[18:19], -v[48:49]
	v_add_f64 v[18:19], v[38:39], v[18:19]
	v_add_f64 v[42:43], v[38:39], v[42:43]
	;; [unrolled: 1-line block ×3, first 2 shown]
	v_rcp_f64_e32 v[48:49], v[38:39]
	v_add_f64 v[44:45], v[40:41], v[42:43]
	v_add_f64 v[40:41], v[44:45], -v[40:41]
	v_add_f64 v[40:41], v[42:43], -v[40:41]
	;; [unrolled: 1-line block ×4, first 2 shown]
	v_fma_f64 v[42:43], -v[38:39], v[48:49], 1.0
	v_fmac_f64_e32 v[48:49], v[42:43], v[48:49]
	v_fma_f64 v[42:43], -v[38:39], v[48:49], 1.0
	v_fmac_f64_e32 v[48:49], v[42:43], v[48:49]
	v_mul_f64 v[42:43], v[44:45], v[48:49]
	v_mul_f64 v[46:47], v[38:39], v[42:43]
	v_fma_f64 v[50:51], v[42:43], v[38:39], -v[46:47]
	v_fmac_f64_e32 v[50:51], v[42:43], v[18:19]
	v_add_f64 v[52:53], v[46:47], v[50:51]
	v_add_f64 v[54:55], v[44:45], -v[52:53]
	v_add_f64 v[44:45], v[44:45], -v[54:55]
	;; [unrolled: 1-line block ×4, first 2 shown]
	v_add_f64 v[40:41], v[40:41], v[44:45]
	v_add_f64 v[44:45], v[46:47], -v[50:51]
	v_add_f64 v[40:41], v[44:45], v[40:41]
	v_add_f64 v[44:45], v[54:55], v[40:41]
	v_add_f64 v[46:47], v[54:55], -v[44:45]
	v_add_f64 v[40:41], v[40:41], v[46:47]
	v_mul_f64 v[46:47], v[48:49], v[44:45]
	v_mul_f64 v[50:51], v[38:39], v[46:47]
	v_fma_f64 v[38:39], v[46:47], v[38:39], -v[50:51]
	v_fmac_f64_e32 v[38:39], v[46:47], v[18:19]
	v_add_f64 v[18:19], v[50:51], v[38:39]
	v_add_f64 v[52:53], v[44:45], -v[18:19]
	v_add_f64 v[44:45], v[44:45], -v[52:53]
	;; [unrolled: 1-line block ×4, first 2 shown]
	v_add_f64 v[18:19], v[40:41], v[18:19]
	v_add_f64 v[38:39], v[50:51], -v[38:39]
	v_add_f64 v[18:19], v[38:39], v[18:19]
	v_add_f64 v[38:39], v[42:43], v[46:47]
	;; [unrolled: 1-line block ×3, first 2 shown]
	v_add_f64 v[40:41], v[38:39], -v[42:43]
	v_mul_f64 v[18:19], v[48:49], v[18:19]
	v_add_f64 v[40:41], v[46:47], -v[40:41]
	v_add_f64 v[18:19], v[40:41], v[18:19]
	v_add_f64 v[40:41], v[38:39], v[18:19]
	v_add_f64 v[38:39], v[40:41], -v[38:39]
	s_mov_b32 s12, 0xbf559e2b
	v_add_f64 v[18:19], v[18:19], -v[38:39]
	v_mul_f64 v[38:39], v[40:41], v[40:41]
	v_mov_b32_e32 v42, 0x6b47b09a
	v_mov_b32_e32 v43, 0x3fc38538
	s_mov_b32 s13, 0x3fc3ab76
	v_fmac_f64_e32 v[42:43], s[12:13], v[38:39]
	v_mov_b32_e32 v44, 0xd7f4df2e
	v_mov_b32_e32 v45, 0x3fc7474d
	v_fmac_f64_e32 v[44:45], v[38:39], v[42:43]
	v_mov_b32_e32 v42, 0x16291751
	v_mov_b32_e32 v43, 0x3fcc71c0
	;; [unrolled: 3-line block ×5, first 2 shown]
	v_fmac_f64_e32 v[44:45], v[38:39], v[42:43]
	v_cvt_f64_i32_e32 v[42:43], v56
	v_mul_f64 v[46:47], v[42:43], s[20:21]
	v_fma_f64 v[48:49], v[42:43], s[20:21], -v[46:47]
	v_fmac_f64_e32 v[48:49], s[22:23], v[42:43]
	v_add_f64 v[42:43], v[46:47], v[48:49]
	v_add_f64 v[46:47], v[42:43], -v[46:47]
	v_mul_f64 v[38:39], v[40:41], v[38:39]
	v_add_f64 v[46:47], v[48:49], -v[46:47]
	v_ldexp_f64 v[48:49], v[40:41], 1
	v_mul_f64 v[38:39], v[38:39], v[44:45]
	v_add_f64 v[40:41], v[48:49], v[38:39]
	v_add_f64 v[44:45], v[40:41], -v[48:49]
	v_ldexp_f64 v[18:19], v[18:19], 1
	v_add_f64 v[38:39], v[38:39], -v[44:45]
	v_add_f64 v[18:19], v[18:19], v[38:39]
	v_add_f64 v[38:39], v[40:41], v[18:19]
	v_add_f64 v[40:41], v[38:39], -v[40:41]
	v_add_f64 v[18:19], v[18:19], -v[40:41]
	v_add_f64 v[40:41], v[42:43], v[38:39]
	v_add_f64 v[44:45], v[40:41], -v[42:43]
	v_add_f64 v[48:49], v[40:41], -v[44:45]
	;; [unrolled: 1-line block ×4, first 2 shown]
	v_add_f64 v[38:39], v[38:39], v[42:43]
	v_add_f64 v[42:43], v[46:47], v[18:19]
	v_add_f64 v[44:45], v[42:43], -v[46:47]
	v_add_f64 v[38:39], v[42:43], v[38:39]
	v_add_f64 v[48:49], v[42:43], -v[44:45]
	v_add_f64 v[42:43], v[40:41], v[38:39]
	v_add_f64 v[46:47], v[46:47], -v[48:49]
	v_add_f64 v[18:19], v[18:19], -v[44:45]
	v_add_f64 v[40:41], v[42:43], -v[40:41]
	v_add_f64 v[18:19], v[18:19], v[46:47]
	v_add_f64 v[38:39], v[38:39], -v[40:41]
	s_mov_b32 s12, 0
	v_add_f64 v[18:19], v[18:19], v[38:39]
	s_mov_b32 s13, 0x7ff00000
	v_add_f64 v[18:19], v[42:43], v[18:19]
	v_cmp_neq_f64_e64 s[12:13], s[12:13], v[10:11]
	s_nop 1
	v_cndmask_b32_e64 v19, v31, v19, s[12:13]
	v_mov_b32_e32 v31, 0x7ff80000
	v_cndmask_b32_e64 v19, v31, v19, s[16:17]
	v_cmp_nge_f64_e64 s[16:17], -1.0, v[10:11]
	s_and_b64 s[12:13], s[16:17], s[12:13]
	v_cndmask_b32_e64 v18, 0, v18, s[12:13]
	v_mov_b32_e32 v31, 0xfff00000
	v_cmp_neq_f64_e64 s[12:13], -1.0, v[10:11]
	s_nop 1
	v_cndmask_b32_e64 v19, v31, v19, s[12:13]
	v_add_f64 v[38:39], v[8:9], v[18:19]
.LBB66_174:
	s_or_b64 exec, exec, s[18:19]
	v_max_f64 v[18:19], v[24:25], v[24:25]
	v_max_f64 v[8:9], v[38:39], v[38:39]
	v_min_f64 v[10:11], v[8:9], v[18:19]
	v_cmp_u_f64_e64 s[16:17], v[38:39], v[38:39]
	v_max_f64 v[8:9], v[8:9], v[18:19]
	v_cmp_u_f64_e64 s[12:13], v[24:25], v[24:25]
	v_cndmask_b32_e64 v10, v10, v38, s[16:17]
	v_cndmask_b32_e64 v11, v11, v39, s[16:17]
	;; [unrolled: 1-line block ×8, first 2 shown]
	s_movk_i32 s18, 0x1f8
	v_cmp_neq_f64_e64 s[16:17], v[10:11], v[8:9]
	v_cmp_class_f64_e64 s[18:19], v[10:11], s18
	s_or_b64 s[16:17], s[16:17], s[18:19]
	s_and_saveexec_b64 s[20:21], s[16:17]
	s_cbranch_execz .LBB66_176
; %bb.175:
	s_mov_b32 s16, 0x652b82fe
	v_add_f64 v[10:11], v[10:11], -v[8:9]
	s_mov_b32 s17, 0x3ff71547
	v_mul_f64 v[38:39], v[10:11], s[16:17]
	v_rndne_f64_e32 v[38:39], v[38:39]
	s_mov_b32 s23, 0xbfe62e42
	s_mov_b32 s22, 0xfefa39ef
	v_fma_f64 v[40:41], s[22:23], v[38:39], v[10:11]
	s_mov_b32 s25, 0xbc7abc9e
	s_mov_b32 s24, 0x3b39803f
	;; [unrolled: 1-line block ×3, first 2 shown]
	v_fmac_f64_e32 v[40:41], s[24:25], v[38:39]
	v_mov_b32_e32 v42, 0xfca7ab0c
	v_mov_b32_e32 v43, 0x3e928af3
	s_mov_b32 s17, 0x3e5ade15
	v_fmac_f64_e32 v[42:43], s[16:17], v[40:41]
	v_mov_b32_e32 v44, 0x623fde64
	v_mov_b32_e32 v45, 0x3ec71dee
	v_fmac_f64_e32 v[44:45], v[40:41], v[42:43]
	v_mov_b32_e32 v42, 0x7c89e6b0
	v_mov_b32_e32 v43, 0x3efa0199
	;; [unrolled: 3-line block ×8, first 2 shown]
	v_fmac_f64_e32 v[42:43], v[40:41], v[44:45]
	v_fma_f64 v[42:43], v[40:41], v[42:43], 1.0
	s_mov_b32 s16, 0
	s_mov_b32 s18, 0
	v_fma_f64 v[40:41], v[40:41], v[42:43], 1.0
	v_cvt_i32_f64_e32 v31, v[38:39]
	s_mov_b32 s17, 0x40900000
	s_mov_b32 s19, 0xc090cc00
	v_ldexp_f64 v[38:39], v[40:41], v31
	v_mov_b32_e32 v31, 0x7ff00000
	v_cmp_nlt_f64_e64 s[16:17], s[16:17], v[10:11]
	v_cmp_ngt_f64_e64 s[18:19], s[18:19], v[10:11]
	s_mov_b32 s23, 0x3fe62e42
	v_cndmask_b32_e64 v39, v31, v39, s[16:17]
	s_and_b64 s[16:17], s[18:19], s[16:17]
	v_cndmask_b32_e64 v11, 0, v39, s[18:19]
	v_cndmask_b32_e64 v10, 0, v38, s[16:17]
	v_add_f64 v[38:39], v[10:11], 1.0
	v_add_f64 v[40:41], v[38:39], -1.0
	v_add_f64 v[42:43], v[40:41], -v[38:39]
	v_add_f64 v[42:43], v[42:43], 1.0
	v_add_f64 v[40:41], v[10:11], -v[40:41]
	s_mov_b32 s16, 0x55555555
	v_add_f64 v[40:41], v[40:41], v[42:43]
	v_frexp_mant_f64_e32 v[42:43], v[38:39]
	s_mov_b32 s17, 0x3fe55555
	v_frexp_exp_i32_f64_e32 v44, v[38:39]
	v_cmp_gt_f64_e64 s[16:17], s[16:17], v[42:43]
	s_mov_b32 s25, 0x3c7abc9e
	v_cmp_ngt_f64_e64 s[18:19], -1.0, v[10:11]
	v_subbrev_co_u32_e64 v58, s[16:17], 0, v44, s[16:17]
	v_sub_u32_e32 v42, 0, v58
	v_ldexp_f64 v[38:39], v[38:39], v42
	v_ldexp_f64 v[40:41], v[40:41], v42
	v_add_f64 v[42:43], v[38:39], -1.0
	v_add_f64 v[48:49], v[38:39], 1.0
	v_add_f64 v[44:45], v[42:43], 1.0
	v_add_f64 v[50:51], v[48:49], -1.0
	v_add_f64 v[44:45], v[38:39], -v[44:45]
	v_add_f64 v[38:39], v[38:39], -v[50:51]
	v_add_f64 v[38:39], v[40:41], v[38:39]
	v_add_f64 v[44:45], v[40:41], v[44:45]
	;; [unrolled: 1-line block ×3, first 2 shown]
	v_rcp_f64_e32 v[50:51], v[40:41]
	v_add_f64 v[46:47], v[42:43], v[44:45]
	v_add_f64 v[42:43], v[46:47], -v[42:43]
	v_add_f64 v[42:43], v[44:45], -v[42:43]
	;; [unrolled: 1-line block ×4, first 2 shown]
	v_fma_f64 v[44:45], -v[40:41], v[50:51], 1.0
	v_fmac_f64_e32 v[50:51], v[44:45], v[50:51]
	v_fma_f64 v[44:45], -v[40:41], v[50:51], 1.0
	v_fmac_f64_e32 v[50:51], v[44:45], v[50:51]
	v_mul_f64 v[44:45], v[46:47], v[50:51]
	v_mul_f64 v[48:49], v[40:41], v[44:45]
	v_fma_f64 v[52:53], v[44:45], v[40:41], -v[48:49]
	v_fmac_f64_e32 v[52:53], v[44:45], v[38:39]
	v_add_f64 v[54:55], v[48:49], v[52:53]
	v_add_f64 v[56:57], v[46:47], -v[54:55]
	v_add_f64 v[46:47], v[46:47], -v[56:57]
	;; [unrolled: 1-line block ×4, first 2 shown]
	v_add_f64 v[42:43], v[42:43], v[46:47]
	v_add_f64 v[46:47], v[48:49], -v[52:53]
	v_add_f64 v[42:43], v[46:47], v[42:43]
	v_add_f64 v[46:47], v[56:57], v[42:43]
	v_add_f64 v[48:49], v[56:57], -v[46:47]
	v_add_f64 v[42:43], v[42:43], v[48:49]
	v_mul_f64 v[48:49], v[50:51], v[46:47]
	v_mul_f64 v[52:53], v[40:41], v[48:49]
	v_fma_f64 v[40:41], v[48:49], v[40:41], -v[52:53]
	v_fmac_f64_e32 v[40:41], v[48:49], v[38:39]
	v_add_f64 v[38:39], v[52:53], v[40:41]
	v_add_f64 v[54:55], v[46:47], -v[38:39]
	v_add_f64 v[46:47], v[46:47], -v[54:55]
	;; [unrolled: 1-line block ×4, first 2 shown]
	v_add_f64 v[38:39], v[42:43], v[38:39]
	v_add_f64 v[40:41], v[52:53], -v[40:41]
	v_add_f64 v[38:39], v[40:41], v[38:39]
	v_add_f64 v[40:41], v[44:45], v[48:49]
	;; [unrolled: 1-line block ×3, first 2 shown]
	v_add_f64 v[42:43], v[40:41], -v[44:45]
	v_mul_f64 v[38:39], v[50:51], v[38:39]
	v_add_f64 v[42:43], v[48:49], -v[42:43]
	v_add_f64 v[38:39], v[42:43], v[38:39]
	v_add_f64 v[42:43], v[40:41], v[38:39]
	v_add_f64 v[40:41], v[42:43], -v[40:41]
	s_mov_b32 s16, 0xbf559e2b
	v_add_f64 v[38:39], v[38:39], -v[40:41]
	v_mul_f64 v[40:41], v[42:43], v[42:43]
	v_mov_b32_e32 v44, 0x6b47b09a
	v_mov_b32_e32 v45, 0x3fc38538
	s_mov_b32 s17, 0x3fc3ab76
	v_fmac_f64_e32 v[44:45], s[16:17], v[40:41]
	v_mov_b32_e32 v46, 0xd7f4df2e
	v_mov_b32_e32 v47, 0x3fc7474d
	v_fmac_f64_e32 v[46:47], v[40:41], v[44:45]
	v_mov_b32_e32 v44, 0x16291751
	v_mov_b32_e32 v45, 0x3fcc71c0
	v_fmac_f64_e32 v[44:45], v[40:41], v[46:47]
	v_mov_b32_e32 v46, 0x9b27acf1
	v_mov_b32_e32 v47, 0x3fd24924
	v_fmac_f64_e32 v[46:47], v[40:41], v[44:45]
	v_mov_b32_e32 v44, 0x998ef7b6
	v_mov_b32_e32 v45, 0x3fd99999
	v_fmac_f64_e32 v[44:45], v[40:41], v[46:47]
	v_mov_b32_e32 v46, 0x55555780
	v_mov_b32_e32 v47, 0x3fe55555
	v_fmac_f64_e32 v[46:47], v[40:41], v[44:45]
	v_cvt_f64_i32_e32 v[44:45], v58
	v_mul_f64 v[48:49], v[44:45], s[22:23]
	v_fma_f64 v[50:51], v[44:45], s[22:23], -v[48:49]
	v_fmac_f64_e32 v[50:51], s[24:25], v[44:45]
	v_add_f64 v[44:45], v[48:49], v[50:51]
	v_add_f64 v[48:49], v[44:45], -v[48:49]
	v_mul_f64 v[40:41], v[42:43], v[40:41]
	v_add_f64 v[48:49], v[50:51], -v[48:49]
	v_ldexp_f64 v[50:51], v[42:43], 1
	v_mul_f64 v[40:41], v[40:41], v[46:47]
	v_add_f64 v[42:43], v[50:51], v[40:41]
	v_add_f64 v[46:47], v[42:43], -v[50:51]
	v_ldexp_f64 v[38:39], v[38:39], 1
	v_add_f64 v[40:41], v[40:41], -v[46:47]
	v_add_f64 v[38:39], v[38:39], v[40:41]
	v_add_f64 v[40:41], v[42:43], v[38:39]
	v_add_f64 v[42:43], v[40:41], -v[42:43]
	v_add_f64 v[38:39], v[38:39], -v[42:43]
	v_add_f64 v[42:43], v[44:45], v[40:41]
	v_add_f64 v[46:47], v[42:43], -v[44:45]
	v_add_f64 v[50:51], v[42:43], -v[46:47]
	;; [unrolled: 1-line block ×4, first 2 shown]
	v_add_f64 v[40:41], v[40:41], v[44:45]
	v_add_f64 v[44:45], v[48:49], v[38:39]
	v_add_f64 v[46:47], v[44:45], -v[48:49]
	v_add_f64 v[40:41], v[44:45], v[40:41]
	v_add_f64 v[50:51], v[44:45], -v[46:47]
	;; [unrolled: 2-line block ×3, first 2 shown]
	v_add_f64 v[38:39], v[38:39], -v[46:47]
	v_add_f64 v[42:43], v[44:45], -v[42:43]
	v_add_f64 v[38:39], v[38:39], v[48:49]
	v_add_f64 v[40:41], v[40:41], -v[42:43]
	s_mov_b32 s16, 0
	v_add_f64 v[38:39], v[38:39], v[40:41]
	s_mov_b32 s17, 0x7ff00000
	v_add_f64 v[38:39], v[44:45], v[38:39]
	v_cmp_neq_f64_e64 s[16:17], s[16:17], v[10:11]
	s_nop 1
	v_cndmask_b32_e64 v31, v31, v39, s[16:17]
	v_mov_b32_e32 v39, 0x7ff80000
	v_cndmask_b32_e64 v31, v39, v31, s[18:19]
	v_cmp_nge_f64_e64 s[18:19], -1.0, v[10:11]
	s_and_b64 s[16:17], s[18:19], s[16:17]
	v_cndmask_b32_e64 v38, 0, v38, s[16:17]
	v_mov_b32_e32 v39, 0xfff00000
	v_cmp_neq_f64_e64 s[16:17], -1.0, v[10:11]
	s_nop 1
	v_cndmask_b32_e64 v39, v39, v31, s[16:17]
	v_add_f64 v[38:39], v[8:9], v[38:39]
.LBB66_176:
	s_or_b64 exec, exec, s[20:21]
	v_lshrrev_b32_e32 v8, 2, v0
	v_and_b32_e32 v8, 56, v8
	v_lshl_add_u32 v8, v0, 3, v8
	v_cmp_gt_u32_e64 s[16:17], 64, v0
	ds_write_b64 v8, v[38:39]
	s_waitcnt lgkmcnt(0)
	s_barrier
	s_and_saveexec_b64 s[22:23], s[16:17]
	s_cbranch_execz .LBB66_216
; %bb.177:
	v_and_b32_e32 v8, 0xf8, v0
	v_lshlrev_b32_e32 v9, 5, v0
	v_add_u32_e32 v31, v8, v9
	ds_read2_b64 v[8:11], v31 offset1:1
	s_movk_i32 s44, 0x1f8
	s_waitcnt lgkmcnt(0)
	v_max_f64 v[42:43], v[10:11], v[10:11]
	v_max_f64 v[40:41], v[8:9], v[8:9]
	v_min_f64 v[44:45], v[40:41], v[42:43]
	v_cmp_u_f64_e64 s[16:17], v[8:9], v[8:9]
	v_max_f64 v[42:43], v[40:41], v[42:43]
	v_cmp_u_f64_e64 s[18:19], v[10:11], v[10:11]
	v_cndmask_b32_e64 v44, v44, v8, s[16:17]
	v_cndmask_b32_e64 v45, v45, v9, s[16:17]
	;; [unrolled: 1-line block ×8, first 2 shown]
	v_cmp_neq_f64_e64 s[18:19], v[44:45], v[42:43]
	v_cmp_class_f64_e64 s[20:21], v[44:45], s44
	s_or_b64 s[18:19], s[18:19], s[20:21]
	v_mov_b64_e32 v[10:11], v[8:9]
	s_and_saveexec_b64 s[24:25], s[18:19]
	s_cbranch_execz .LBB66_179
; %bb.178:
	s_mov_b32 s18, 0x652b82fe
	v_add_f64 v[10:11], v[44:45], -v[42:43]
	s_mov_b32 s19, 0x3ff71547
	v_mul_f64 v[44:45], v[10:11], s[18:19]
	v_rndne_f64_e32 v[44:45], v[44:45]
	s_mov_b32 s29, 0xbfe62e42
	s_mov_b32 s28, 0xfefa39ef
	v_fma_f64 v[46:47], s[28:29], v[44:45], v[10:11]
	s_mov_b32 s43, 0xbc7abc9e
	s_mov_b32 s42, 0x3b39803f
	;; [unrolled: 1-line block ×3, first 2 shown]
	v_fmac_f64_e32 v[46:47], s[42:43], v[44:45]
	v_mov_b32_e32 v48, 0xfca7ab0c
	v_mov_b32_e32 v49, 0x3e928af3
	s_mov_b32 s19, 0x3e5ade15
	v_fmac_f64_e32 v[48:49], s[18:19], v[46:47]
	v_mov_b32_e32 v50, 0x623fde64
	v_mov_b32_e32 v51, 0x3ec71dee
	v_fmac_f64_e32 v[50:51], v[46:47], v[48:49]
	v_mov_b32_e32 v48, 0x7c89e6b0
	v_mov_b32_e32 v49, 0x3efa0199
	v_fmac_f64_e32 v[48:49], v[46:47], v[50:51]
	v_mov_b32_e32 v50, 0x14761f6e
	v_mov_b32_e32 v51, 0x3f2a01a0
	v_fmac_f64_e32 v[50:51], v[46:47], v[48:49]
	v_mov_b32_e32 v48, 0x1852b7b0
	v_mov_b32_e32 v49, 0x3f56c16c
	v_fmac_f64_e32 v[48:49], v[46:47], v[50:51]
	v_mov_b32_e32 v50, 0x11122322
	v_mov_b32_e32 v51, 0x3f811111
	v_fmac_f64_e32 v[50:51], v[46:47], v[48:49]
	v_mov_b32_e32 v48, 0x555502a1
	v_mov_b32_e32 v49, 0x3fa55555
	v_fmac_f64_e32 v[48:49], v[46:47], v[50:51]
	v_mov_b32_e32 v50, 0x55555511
	v_mov_b32_e32 v51, 0x3fc55555
	v_fmac_f64_e32 v[50:51], v[46:47], v[48:49]
	v_mov_b32_e32 v48, 11
	v_mov_b32_e32 v49, 0x3fe00000
	v_fmac_f64_e32 v[48:49], v[46:47], v[50:51]
	v_fma_f64 v[48:49], v[46:47], v[48:49], 1.0
	s_mov_b32 s18, 0
	s_mov_b32 s20, 0
	v_fma_f64 v[46:47], v[46:47], v[48:49], 1.0
	v_cvt_i32_f64_e32 v44, v[44:45]
	s_mov_b32 s19, 0x40900000
	s_mov_b32 s21, 0xc090cc00
	v_ldexp_f64 v[44:45], v[46:47], v44
	v_mov_b32_e32 v64, 0x7ff00000
	v_cmp_nlt_f64_e64 s[18:19], s[18:19], v[10:11]
	v_cmp_ngt_f64_e64 s[20:21], s[20:21], v[10:11]
	s_mov_b32 s29, 0x3fe62e42
	v_cndmask_b32_e64 v45, v64, v45, s[18:19]
	s_and_b64 s[18:19], s[20:21], s[18:19]
	v_cndmask_b32_e64 v11, 0, v45, s[20:21]
	v_cndmask_b32_e64 v10, 0, v44, s[18:19]
	v_add_f64 v[44:45], v[10:11], 1.0
	v_add_f64 v[46:47], v[44:45], -1.0
	v_add_f64 v[48:49], v[46:47], -v[44:45]
	v_add_f64 v[48:49], v[48:49], 1.0
	v_add_f64 v[46:47], v[10:11], -v[46:47]
	s_mov_b32 s18, 0x55555555
	v_add_f64 v[46:47], v[46:47], v[48:49]
	v_frexp_mant_f64_e32 v[48:49], v[44:45]
	s_mov_b32 s19, 0x3fe55555
	v_frexp_exp_i32_f64_e32 v50, v[44:45]
	v_cmp_gt_f64_e64 s[18:19], s[18:19], v[48:49]
	s_mov_b32 s43, 0x3c7abc9e
	v_cmp_ngt_f64_e64 s[20:21], -1.0, v[10:11]
	v_subbrev_co_u32_e64 v65, s[18:19], 0, v50, s[18:19]
	v_sub_u32_e32 v48, 0, v65
	v_ldexp_f64 v[44:45], v[44:45], v48
	v_ldexp_f64 v[46:47], v[46:47], v48
	v_add_f64 v[48:49], v[44:45], -1.0
	v_add_f64 v[54:55], v[44:45], 1.0
	v_add_f64 v[50:51], v[48:49], 1.0
	v_add_f64 v[56:57], v[54:55], -1.0
	v_add_f64 v[50:51], v[44:45], -v[50:51]
	v_add_f64 v[44:45], v[44:45], -v[56:57]
	v_add_f64 v[44:45], v[46:47], v[44:45]
	v_add_f64 v[50:51], v[46:47], v[50:51]
	;; [unrolled: 1-line block ×3, first 2 shown]
	v_rcp_f64_e32 v[56:57], v[46:47]
	v_add_f64 v[52:53], v[48:49], v[50:51]
	v_add_f64 v[48:49], v[52:53], -v[48:49]
	v_add_f64 v[48:49], v[50:51], -v[48:49]
	;; [unrolled: 1-line block ×4, first 2 shown]
	v_fma_f64 v[50:51], -v[46:47], v[56:57], 1.0
	v_fmac_f64_e32 v[56:57], v[50:51], v[56:57]
	v_fma_f64 v[50:51], -v[46:47], v[56:57], 1.0
	v_fmac_f64_e32 v[56:57], v[50:51], v[56:57]
	v_mul_f64 v[50:51], v[52:53], v[56:57]
	v_mul_f64 v[54:55], v[46:47], v[50:51]
	v_fma_f64 v[58:59], v[50:51], v[46:47], -v[54:55]
	v_fmac_f64_e32 v[58:59], v[50:51], v[44:45]
	v_add_f64 v[60:61], v[54:55], v[58:59]
	v_add_f64 v[62:63], v[52:53], -v[60:61]
	v_add_f64 v[52:53], v[52:53], -v[62:63]
	;; [unrolled: 1-line block ×4, first 2 shown]
	v_add_f64 v[48:49], v[48:49], v[52:53]
	v_add_f64 v[52:53], v[54:55], -v[58:59]
	v_add_f64 v[48:49], v[52:53], v[48:49]
	v_add_f64 v[52:53], v[62:63], v[48:49]
	v_add_f64 v[54:55], v[62:63], -v[52:53]
	v_add_f64 v[48:49], v[48:49], v[54:55]
	v_mul_f64 v[54:55], v[56:57], v[52:53]
	v_mul_f64 v[58:59], v[46:47], v[54:55]
	v_fma_f64 v[46:47], v[54:55], v[46:47], -v[58:59]
	v_fmac_f64_e32 v[46:47], v[54:55], v[44:45]
	v_add_f64 v[44:45], v[58:59], v[46:47]
	v_add_f64 v[60:61], v[52:53], -v[44:45]
	v_add_f64 v[52:53], v[52:53], -v[60:61]
	;; [unrolled: 1-line block ×4, first 2 shown]
	v_add_f64 v[44:45], v[48:49], v[44:45]
	v_add_f64 v[46:47], v[58:59], -v[46:47]
	v_add_f64 v[44:45], v[46:47], v[44:45]
	v_add_f64 v[46:47], v[50:51], v[54:55]
	;; [unrolled: 1-line block ×3, first 2 shown]
	v_add_f64 v[48:49], v[46:47], -v[50:51]
	v_mul_f64 v[44:45], v[56:57], v[44:45]
	v_add_f64 v[48:49], v[54:55], -v[48:49]
	v_add_f64 v[44:45], v[48:49], v[44:45]
	v_add_f64 v[48:49], v[46:47], v[44:45]
	v_add_f64 v[46:47], v[48:49], -v[46:47]
	s_mov_b32 s18, 0xbf559e2b
	v_add_f64 v[44:45], v[44:45], -v[46:47]
	v_mul_f64 v[46:47], v[48:49], v[48:49]
	v_mov_b32_e32 v50, 0x6b47b09a
	v_mov_b32_e32 v51, 0x3fc38538
	s_mov_b32 s19, 0x3fc3ab76
	v_fmac_f64_e32 v[50:51], s[18:19], v[46:47]
	v_mov_b32_e32 v52, 0xd7f4df2e
	v_mov_b32_e32 v53, 0x3fc7474d
	v_fmac_f64_e32 v[52:53], v[46:47], v[50:51]
	v_mov_b32_e32 v50, 0x16291751
	v_mov_b32_e32 v51, 0x3fcc71c0
	;; [unrolled: 3-line block ×5, first 2 shown]
	v_fmac_f64_e32 v[52:53], v[46:47], v[50:51]
	v_cvt_f64_i32_e32 v[50:51], v65
	v_mul_f64 v[54:55], v[50:51], s[28:29]
	v_fma_f64 v[56:57], v[50:51], s[28:29], -v[54:55]
	v_fmac_f64_e32 v[56:57], s[42:43], v[50:51]
	v_add_f64 v[50:51], v[54:55], v[56:57]
	v_add_f64 v[54:55], v[50:51], -v[54:55]
	v_mul_f64 v[46:47], v[48:49], v[46:47]
	v_add_f64 v[54:55], v[56:57], -v[54:55]
	v_ldexp_f64 v[56:57], v[48:49], 1
	v_mul_f64 v[46:47], v[46:47], v[52:53]
	v_add_f64 v[48:49], v[56:57], v[46:47]
	v_add_f64 v[52:53], v[48:49], -v[56:57]
	v_ldexp_f64 v[44:45], v[44:45], 1
	v_add_f64 v[46:47], v[46:47], -v[52:53]
	v_add_f64 v[44:45], v[44:45], v[46:47]
	v_add_f64 v[46:47], v[48:49], v[44:45]
	v_add_f64 v[48:49], v[46:47], -v[48:49]
	v_add_f64 v[44:45], v[44:45], -v[48:49]
	v_add_f64 v[48:49], v[50:51], v[46:47]
	v_add_f64 v[52:53], v[48:49], -v[50:51]
	v_add_f64 v[56:57], v[48:49], -v[52:53]
	;; [unrolled: 1-line block ×4, first 2 shown]
	v_add_f64 v[46:47], v[46:47], v[50:51]
	v_add_f64 v[50:51], v[54:55], v[44:45]
	v_add_f64 v[52:53], v[50:51], -v[54:55]
	v_add_f64 v[46:47], v[50:51], v[46:47]
	v_add_f64 v[56:57], v[50:51], -v[52:53]
	v_add_f64 v[50:51], v[48:49], v[46:47]
	v_add_f64 v[54:55], v[54:55], -v[56:57]
	v_add_f64 v[44:45], v[44:45], -v[52:53]
	v_add_f64 v[48:49], v[50:51], -v[48:49]
	v_add_f64 v[44:45], v[44:45], v[54:55]
	v_add_f64 v[46:47], v[46:47], -v[48:49]
	s_mov_b32 s18, 0
	v_add_f64 v[44:45], v[44:45], v[46:47]
	s_mov_b32 s19, 0x7ff00000
	v_add_f64 v[44:45], v[50:51], v[44:45]
	v_cmp_neq_f64_e64 s[18:19], s[18:19], v[10:11]
	v_mov_b32_e32 v46, 0x7ff80000
	s_nop 0
	v_cndmask_b32_e64 v45, v64, v45, s[18:19]
	v_cndmask_b32_e64 v45, v46, v45, s[20:21]
	v_cmp_nge_f64_e64 s[20:21], -1.0, v[10:11]
	s_and_b64 s[18:19], s[20:21], s[18:19]
	v_cndmask_b32_e64 v44, 0, v44, s[18:19]
	v_mov_b32_e32 v46, 0xfff00000
	v_cmp_neq_f64_e64 s[18:19], -1.0, v[10:11]
	s_nop 1
	v_cndmask_b32_e64 v45, v46, v45, s[18:19]
	v_add_f64 v[10:11], v[42:43], v[44:45]
.LBB66_179:
	s_or_b64 exec, exec, s[24:25]
	ds_read_b64 v[42:43], v31 offset:16
	v_max_f64 v[46:47], v[10:11], v[10:11]
	v_cmp_u_f64_e64 s[18:19], v[10:11], v[10:11]
	s_waitcnt lgkmcnt(0)
	v_max_f64 v[48:49], v[42:43], v[42:43]
	v_min_f64 v[44:45], v[46:47], v[48:49]
	v_max_f64 v[46:47], v[46:47], v[48:49]
	v_cndmask_b32_e64 v44, v44, v10, s[18:19]
	v_cndmask_b32_e64 v45, v45, v11, s[18:19]
	v_cmp_u_f64_e64 s[20:21], v[42:43], v[42:43]
	v_cndmask_b32_e64 v46, v46, v10, s[18:19]
	v_cndmask_b32_e64 v47, v47, v11, s[18:19]
	v_cndmask_b32_e64 v45, v45, v43, s[20:21]
	v_cndmask_b32_e64 v44, v44, v42, s[20:21]
	v_cndmask_b32_e64 v43, v47, v43, s[20:21]
	v_cndmask_b32_e64 v42, v46, v42, s[20:21]
	v_cmp_neq_f64_e64 s[18:19], v[44:45], v[42:43]
	v_cmp_class_f64_e64 s[20:21], v[44:45], s44
	s_or_b64 s[18:19], s[18:19], s[20:21]
	s_and_saveexec_b64 s[24:25], s[18:19]
	s_cbranch_execz .LBB66_181
; %bb.180:
	s_mov_b32 s18, 0x652b82fe
	v_add_f64 v[10:11], v[44:45], -v[42:43]
	s_mov_b32 s19, 0x3ff71547
	v_mul_f64 v[44:45], v[10:11], s[18:19]
	v_rndne_f64_e32 v[44:45], v[44:45]
	s_mov_b32 s29, 0xbfe62e42
	s_mov_b32 s28, 0xfefa39ef
	v_fma_f64 v[46:47], s[28:29], v[44:45], v[10:11]
	s_mov_b32 s43, 0xbc7abc9e
	s_mov_b32 s42, 0x3b39803f
	;; [unrolled: 1-line block ×3, first 2 shown]
	v_fmac_f64_e32 v[46:47], s[42:43], v[44:45]
	v_mov_b32_e32 v48, 0xfca7ab0c
	v_mov_b32_e32 v49, 0x3e928af3
	s_mov_b32 s19, 0x3e5ade15
	v_fmac_f64_e32 v[48:49], s[18:19], v[46:47]
	v_mov_b32_e32 v50, 0x623fde64
	v_mov_b32_e32 v51, 0x3ec71dee
	v_fmac_f64_e32 v[50:51], v[46:47], v[48:49]
	v_mov_b32_e32 v48, 0x7c89e6b0
	v_mov_b32_e32 v49, 0x3efa0199
	;; [unrolled: 3-line block ×8, first 2 shown]
	v_fmac_f64_e32 v[48:49], v[46:47], v[50:51]
	v_fma_f64 v[48:49], v[46:47], v[48:49], 1.0
	s_mov_b32 s18, 0
	s_mov_b32 s20, 0
	v_fma_f64 v[46:47], v[46:47], v[48:49], 1.0
	v_cvt_i32_f64_e32 v44, v[44:45]
	s_mov_b32 s19, 0x40900000
	s_mov_b32 s21, 0xc090cc00
	v_ldexp_f64 v[44:45], v[46:47], v44
	v_mov_b32_e32 v64, 0x7ff00000
	v_cmp_nlt_f64_e64 s[18:19], s[18:19], v[10:11]
	v_cmp_ngt_f64_e64 s[20:21], s[20:21], v[10:11]
	s_mov_b32 s29, 0x3fe62e42
	v_cndmask_b32_e64 v45, v64, v45, s[18:19]
	s_and_b64 s[18:19], s[20:21], s[18:19]
	v_cndmask_b32_e64 v11, 0, v45, s[20:21]
	v_cndmask_b32_e64 v10, 0, v44, s[18:19]
	v_add_f64 v[44:45], v[10:11], 1.0
	v_add_f64 v[46:47], v[44:45], -1.0
	v_add_f64 v[48:49], v[46:47], -v[44:45]
	v_add_f64 v[48:49], v[48:49], 1.0
	v_add_f64 v[46:47], v[10:11], -v[46:47]
	s_mov_b32 s18, 0x55555555
	v_add_f64 v[46:47], v[46:47], v[48:49]
	v_frexp_mant_f64_e32 v[48:49], v[44:45]
	s_mov_b32 s19, 0x3fe55555
	v_frexp_exp_i32_f64_e32 v50, v[44:45]
	v_cmp_gt_f64_e64 s[18:19], s[18:19], v[48:49]
	s_mov_b32 s43, 0x3c7abc9e
	v_cmp_ngt_f64_e64 s[20:21], -1.0, v[10:11]
	v_subbrev_co_u32_e64 v65, s[18:19], 0, v50, s[18:19]
	v_sub_u32_e32 v48, 0, v65
	v_ldexp_f64 v[44:45], v[44:45], v48
	v_ldexp_f64 v[46:47], v[46:47], v48
	v_add_f64 v[48:49], v[44:45], -1.0
	v_add_f64 v[54:55], v[44:45], 1.0
	v_add_f64 v[50:51], v[48:49], 1.0
	v_add_f64 v[56:57], v[54:55], -1.0
	v_add_f64 v[50:51], v[44:45], -v[50:51]
	v_add_f64 v[44:45], v[44:45], -v[56:57]
	v_add_f64 v[44:45], v[46:47], v[44:45]
	v_add_f64 v[50:51], v[46:47], v[50:51]
	v_add_f64 v[46:47], v[54:55], v[44:45]
	v_rcp_f64_e32 v[56:57], v[46:47]
	v_add_f64 v[52:53], v[48:49], v[50:51]
	v_add_f64 v[48:49], v[52:53], -v[48:49]
	v_add_f64 v[48:49], v[50:51], -v[48:49]
	;; [unrolled: 1-line block ×4, first 2 shown]
	v_fma_f64 v[50:51], -v[46:47], v[56:57], 1.0
	v_fmac_f64_e32 v[56:57], v[50:51], v[56:57]
	v_fma_f64 v[50:51], -v[46:47], v[56:57], 1.0
	v_fmac_f64_e32 v[56:57], v[50:51], v[56:57]
	v_mul_f64 v[50:51], v[52:53], v[56:57]
	v_mul_f64 v[54:55], v[46:47], v[50:51]
	v_fma_f64 v[58:59], v[50:51], v[46:47], -v[54:55]
	v_fmac_f64_e32 v[58:59], v[50:51], v[44:45]
	v_add_f64 v[60:61], v[54:55], v[58:59]
	v_add_f64 v[62:63], v[52:53], -v[60:61]
	v_add_f64 v[52:53], v[52:53], -v[62:63]
	;; [unrolled: 1-line block ×4, first 2 shown]
	v_add_f64 v[48:49], v[48:49], v[52:53]
	v_add_f64 v[52:53], v[54:55], -v[58:59]
	v_add_f64 v[48:49], v[52:53], v[48:49]
	v_add_f64 v[52:53], v[62:63], v[48:49]
	v_add_f64 v[54:55], v[62:63], -v[52:53]
	v_add_f64 v[48:49], v[48:49], v[54:55]
	v_mul_f64 v[54:55], v[56:57], v[52:53]
	v_mul_f64 v[58:59], v[46:47], v[54:55]
	v_fma_f64 v[46:47], v[54:55], v[46:47], -v[58:59]
	v_fmac_f64_e32 v[46:47], v[54:55], v[44:45]
	v_add_f64 v[44:45], v[58:59], v[46:47]
	v_add_f64 v[60:61], v[52:53], -v[44:45]
	v_add_f64 v[52:53], v[52:53], -v[60:61]
	;; [unrolled: 1-line block ×4, first 2 shown]
	v_add_f64 v[44:45], v[48:49], v[44:45]
	v_add_f64 v[46:47], v[58:59], -v[46:47]
	v_add_f64 v[44:45], v[46:47], v[44:45]
	v_add_f64 v[46:47], v[50:51], v[54:55]
	;; [unrolled: 1-line block ×3, first 2 shown]
	v_add_f64 v[48:49], v[46:47], -v[50:51]
	v_mul_f64 v[44:45], v[56:57], v[44:45]
	v_add_f64 v[48:49], v[54:55], -v[48:49]
	v_add_f64 v[44:45], v[48:49], v[44:45]
	v_add_f64 v[48:49], v[46:47], v[44:45]
	v_add_f64 v[46:47], v[48:49], -v[46:47]
	s_mov_b32 s18, 0xbf559e2b
	v_add_f64 v[44:45], v[44:45], -v[46:47]
	v_mul_f64 v[46:47], v[48:49], v[48:49]
	v_mov_b32_e32 v50, 0x6b47b09a
	v_mov_b32_e32 v51, 0x3fc38538
	s_mov_b32 s19, 0x3fc3ab76
	v_fmac_f64_e32 v[50:51], s[18:19], v[46:47]
	v_mov_b32_e32 v52, 0xd7f4df2e
	v_mov_b32_e32 v53, 0x3fc7474d
	v_fmac_f64_e32 v[52:53], v[46:47], v[50:51]
	v_mov_b32_e32 v50, 0x16291751
	v_mov_b32_e32 v51, 0x3fcc71c0
	;; [unrolled: 3-line block ×5, first 2 shown]
	v_fmac_f64_e32 v[52:53], v[46:47], v[50:51]
	v_cvt_f64_i32_e32 v[50:51], v65
	v_mul_f64 v[54:55], v[50:51], s[28:29]
	v_fma_f64 v[56:57], v[50:51], s[28:29], -v[54:55]
	v_fmac_f64_e32 v[56:57], s[42:43], v[50:51]
	v_add_f64 v[50:51], v[54:55], v[56:57]
	v_add_f64 v[54:55], v[50:51], -v[54:55]
	v_mul_f64 v[46:47], v[48:49], v[46:47]
	v_add_f64 v[54:55], v[56:57], -v[54:55]
	v_ldexp_f64 v[56:57], v[48:49], 1
	v_mul_f64 v[46:47], v[46:47], v[52:53]
	v_add_f64 v[48:49], v[56:57], v[46:47]
	v_add_f64 v[52:53], v[48:49], -v[56:57]
	v_ldexp_f64 v[44:45], v[44:45], 1
	v_add_f64 v[46:47], v[46:47], -v[52:53]
	v_add_f64 v[44:45], v[44:45], v[46:47]
	v_add_f64 v[46:47], v[48:49], v[44:45]
	v_add_f64 v[48:49], v[46:47], -v[48:49]
	v_add_f64 v[44:45], v[44:45], -v[48:49]
	v_add_f64 v[48:49], v[50:51], v[46:47]
	v_add_f64 v[52:53], v[48:49], -v[50:51]
	v_add_f64 v[56:57], v[48:49], -v[52:53]
	;; [unrolled: 1-line block ×4, first 2 shown]
	v_add_f64 v[46:47], v[46:47], v[50:51]
	v_add_f64 v[50:51], v[54:55], v[44:45]
	v_add_f64 v[52:53], v[50:51], -v[54:55]
	v_add_f64 v[46:47], v[50:51], v[46:47]
	v_add_f64 v[56:57], v[50:51], -v[52:53]
	;; [unrolled: 2-line block ×3, first 2 shown]
	v_add_f64 v[44:45], v[44:45], -v[52:53]
	v_add_f64 v[48:49], v[50:51], -v[48:49]
	v_add_f64 v[44:45], v[44:45], v[54:55]
	v_add_f64 v[46:47], v[46:47], -v[48:49]
	s_mov_b32 s18, 0
	v_add_f64 v[44:45], v[44:45], v[46:47]
	s_mov_b32 s19, 0x7ff00000
	v_add_f64 v[44:45], v[50:51], v[44:45]
	v_cmp_neq_f64_e64 s[18:19], s[18:19], v[10:11]
	v_mov_b32_e32 v46, 0x7ff80000
	s_nop 0
	v_cndmask_b32_e64 v45, v64, v45, s[18:19]
	v_cndmask_b32_e64 v45, v46, v45, s[20:21]
	v_cmp_nge_f64_e64 s[20:21], -1.0, v[10:11]
	s_and_b64 s[18:19], s[20:21], s[18:19]
	v_cndmask_b32_e64 v44, 0, v44, s[18:19]
	v_mov_b32_e32 v46, 0xfff00000
	v_cmp_neq_f64_e64 s[18:19], -1.0, v[10:11]
	s_nop 1
	v_cndmask_b32_e64 v45, v46, v45, s[18:19]
	v_add_f64 v[10:11], v[42:43], v[44:45]
.LBB66_181:
	s_or_b64 exec, exec, s[24:25]
	ds_read_b64 v[42:43], v31 offset:24
	v_max_f64 v[46:47], v[10:11], v[10:11]
	v_cmp_u_f64_e64 s[18:19], v[10:11], v[10:11]
	s_waitcnt lgkmcnt(0)
	v_max_f64 v[48:49], v[42:43], v[42:43]
	v_min_f64 v[44:45], v[46:47], v[48:49]
	v_max_f64 v[46:47], v[46:47], v[48:49]
	v_cndmask_b32_e64 v44, v44, v10, s[18:19]
	v_cndmask_b32_e64 v45, v45, v11, s[18:19]
	v_cmp_u_f64_e64 s[20:21], v[42:43], v[42:43]
	v_cndmask_b32_e64 v46, v46, v10, s[18:19]
	v_cndmask_b32_e64 v47, v47, v11, s[18:19]
	;; [unrolled: 1-line block ×6, first 2 shown]
	s_movk_i32 s20, 0x1f8
	v_cmp_neq_f64_e64 s[18:19], v[44:45], v[42:43]
	v_cmp_class_f64_e64 s[20:21], v[44:45], s20
	s_or_b64 s[18:19], s[18:19], s[20:21]
	s_and_saveexec_b64 s[24:25], s[18:19]
	s_cbranch_execz .LBB66_183
; %bb.182:
	s_mov_b32 s18, 0x652b82fe
	v_add_f64 v[10:11], v[44:45], -v[42:43]
	s_mov_b32 s19, 0x3ff71547
	v_mul_f64 v[44:45], v[10:11], s[18:19]
	v_rndne_f64_e32 v[44:45], v[44:45]
	s_mov_b32 s29, 0xbfe62e42
	s_mov_b32 s28, 0xfefa39ef
	v_fma_f64 v[46:47], s[28:29], v[44:45], v[10:11]
	s_mov_b32 s43, 0xbc7abc9e
	s_mov_b32 s42, 0x3b39803f
	;; [unrolled: 1-line block ×3, first 2 shown]
	v_fmac_f64_e32 v[46:47], s[42:43], v[44:45]
	v_mov_b32_e32 v48, 0xfca7ab0c
	v_mov_b32_e32 v49, 0x3e928af3
	s_mov_b32 s19, 0x3e5ade15
	v_fmac_f64_e32 v[48:49], s[18:19], v[46:47]
	v_mov_b32_e32 v50, 0x623fde64
	v_mov_b32_e32 v51, 0x3ec71dee
	v_fmac_f64_e32 v[50:51], v[46:47], v[48:49]
	v_mov_b32_e32 v48, 0x7c89e6b0
	v_mov_b32_e32 v49, 0x3efa0199
	;; [unrolled: 3-line block ×8, first 2 shown]
	v_fmac_f64_e32 v[48:49], v[46:47], v[50:51]
	v_fma_f64 v[48:49], v[46:47], v[48:49], 1.0
	s_mov_b32 s18, 0
	s_mov_b32 s20, 0
	v_fma_f64 v[46:47], v[46:47], v[48:49], 1.0
	v_cvt_i32_f64_e32 v44, v[44:45]
	s_mov_b32 s19, 0x40900000
	s_mov_b32 s21, 0xc090cc00
	v_ldexp_f64 v[44:45], v[46:47], v44
	v_mov_b32_e32 v64, 0x7ff00000
	v_cmp_nlt_f64_e64 s[18:19], s[18:19], v[10:11]
	v_cmp_ngt_f64_e64 s[20:21], s[20:21], v[10:11]
	s_mov_b32 s29, 0x3fe62e42
	v_cndmask_b32_e64 v45, v64, v45, s[18:19]
	s_and_b64 s[18:19], s[20:21], s[18:19]
	v_cndmask_b32_e64 v11, 0, v45, s[20:21]
	v_cndmask_b32_e64 v10, 0, v44, s[18:19]
	v_add_f64 v[44:45], v[10:11], 1.0
	v_add_f64 v[46:47], v[44:45], -1.0
	v_add_f64 v[48:49], v[46:47], -v[44:45]
	v_add_f64 v[48:49], v[48:49], 1.0
	v_add_f64 v[46:47], v[10:11], -v[46:47]
	s_mov_b32 s18, 0x55555555
	v_add_f64 v[46:47], v[46:47], v[48:49]
	v_frexp_mant_f64_e32 v[48:49], v[44:45]
	s_mov_b32 s19, 0x3fe55555
	v_frexp_exp_i32_f64_e32 v50, v[44:45]
	v_cmp_gt_f64_e64 s[18:19], s[18:19], v[48:49]
	s_mov_b32 s43, 0x3c7abc9e
	v_cmp_ngt_f64_e64 s[20:21], -1.0, v[10:11]
	v_subbrev_co_u32_e64 v65, s[18:19], 0, v50, s[18:19]
	v_sub_u32_e32 v48, 0, v65
	v_ldexp_f64 v[44:45], v[44:45], v48
	v_ldexp_f64 v[46:47], v[46:47], v48
	v_add_f64 v[48:49], v[44:45], -1.0
	v_add_f64 v[54:55], v[44:45], 1.0
	v_add_f64 v[50:51], v[48:49], 1.0
	v_add_f64 v[56:57], v[54:55], -1.0
	v_add_f64 v[50:51], v[44:45], -v[50:51]
	v_add_f64 v[44:45], v[44:45], -v[56:57]
	v_add_f64 v[44:45], v[46:47], v[44:45]
	v_add_f64 v[50:51], v[46:47], v[50:51]
	v_add_f64 v[46:47], v[54:55], v[44:45]
	v_rcp_f64_e32 v[56:57], v[46:47]
	v_add_f64 v[52:53], v[48:49], v[50:51]
	v_add_f64 v[48:49], v[52:53], -v[48:49]
	v_add_f64 v[48:49], v[50:51], -v[48:49]
	;; [unrolled: 1-line block ×4, first 2 shown]
	v_fma_f64 v[50:51], -v[46:47], v[56:57], 1.0
	v_fmac_f64_e32 v[56:57], v[50:51], v[56:57]
	v_fma_f64 v[50:51], -v[46:47], v[56:57], 1.0
	v_fmac_f64_e32 v[56:57], v[50:51], v[56:57]
	v_mul_f64 v[50:51], v[52:53], v[56:57]
	v_mul_f64 v[54:55], v[46:47], v[50:51]
	v_fma_f64 v[58:59], v[50:51], v[46:47], -v[54:55]
	v_fmac_f64_e32 v[58:59], v[50:51], v[44:45]
	v_add_f64 v[60:61], v[54:55], v[58:59]
	v_add_f64 v[62:63], v[52:53], -v[60:61]
	v_add_f64 v[52:53], v[52:53], -v[62:63]
	;; [unrolled: 1-line block ×4, first 2 shown]
	v_add_f64 v[48:49], v[48:49], v[52:53]
	v_add_f64 v[52:53], v[54:55], -v[58:59]
	v_add_f64 v[48:49], v[52:53], v[48:49]
	v_add_f64 v[52:53], v[62:63], v[48:49]
	v_add_f64 v[54:55], v[62:63], -v[52:53]
	v_add_f64 v[48:49], v[48:49], v[54:55]
	v_mul_f64 v[54:55], v[56:57], v[52:53]
	v_mul_f64 v[58:59], v[46:47], v[54:55]
	v_fma_f64 v[46:47], v[54:55], v[46:47], -v[58:59]
	v_fmac_f64_e32 v[46:47], v[54:55], v[44:45]
	v_add_f64 v[44:45], v[58:59], v[46:47]
	v_add_f64 v[60:61], v[52:53], -v[44:45]
	v_add_f64 v[52:53], v[52:53], -v[60:61]
	;; [unrolled: 1-line block ×4, first 2 shown]
	v_add_f64 v[44:45], v[48:49], v[44:45]
	v_add_f64 v[46:47], v[58:59], -v[46:47]
	v_add_f64 v[44:45], v[46:47], v[44:45]
	v_add_f64 v[46:47], v[50:51], v[54:55]
	;; [unrolled: 1-line block ×3, first 2 shown]
	v_add_f64 v[48:49], v[46:47], -v[50:51]
	v_mul_f64 v[44:45], v[56:57], v[44:45]
	v_add_f64 v[48:49], v[54:55], -v[48:49]
	v_add_f64 v[44:45], v[48:49], v[44:45]
	v_add_f64 v[48:49], v[46:47], v[44:45]
	v_add_f64 v[46:47], v[48:49], -v[46:47]
	s_mov_b32 s18, 0xbf559e2b
	v_add_f64 v[44:45], v[44:45], -v[46:47]
	v_mul_f64 v[46:47], v[48:49], v[48:49]
	v_mov_b32_e32 v50, 0x6b47b09a
	v_mov_b32_e32 v51, 0x3fc38538
	s_mov_b32 s19, 0x3fc3ab76
	v_fmac_f64_e32 v[50:51], s[18:19], v[46:47]
	v_mov_b32_e32 v52, 0xd7f4df2e
	v_mov_b32_e32 v53, 0x3fc7474d
	v_fmac_f64_e32 v[52:53], v[46:47], v[50:51]
	v_mov_b32_e32 v50, 0x16291751
	v_mov_b32_e32 v51, 0x3fcc71c0
	;; [unrolled: 3-line block ×5, first 2 shown]
	v_fmac_f64_e32 v[52:53], v[46:47], v[50:51]
	v_cvt_f64_i32_e32 v[50:51], v65
	v_mul_f64 v[54:55], v[50:51], s[28:29]
	v_fma_f64 v[56:57], v[50:51], s[28:29], -v[54:55]
	v_fmac_f64_e32 v[56:57], s[42:43], v[50:51]
	v_add_f64 v[50:51], v[54:55], v[56:57]
	v_add_f64 v[54:55], v[50:51], -v[54:55]
	v_mul_f64 v[46:47], v[48:49], v[46:47]
	v_add_f64 v[54:55], v[56:57], -v[54:55]
	v_ldexp_f64 v[56:57], v[48:49], 1
	v_mul_f64 v[46:47], v[46:47], v[52:53]
	v_add_f64 v[48:49], v[56:57], v[46:47]
	v_add_f64 v[52:53], v[48:49], -v[56:57]
	v_ldexp_f64 v[44:45], v[44:45], 1
	v_add_f64 v[46:47], v[46:47], -v[52:53]
	v_add_f64 v[44:45], v[44:45], v[46:47]
	v_add_f64 v[46:47], v[48:49], v[44:45]
	v_add_f64 v[48:49], v[46:47], -v[48:49]
	v_add_f64 v[44:45], v[44:45], -v[48:49]
	v_add_f64 v[48:49], v[50:51], v[46:47]
	v_add_f64 v[52:53], v[48:49], -v[50:51]
	v_add_f64 v[56:57], v[48:49], -v[52:53]
	;; [unrolled: 1-line block ×4, first 2 shown]
	v_add_f64 v[46:47], v[46:47], v[50:51]
	v_add_f64 v[50:51], v[54:55], v[44:45]
	v_add_f64 v[52:53], v[50:51], -v[54:55]
	v_add_f64 v[46:47], v[50:51], v[46:47]
	v_add_f64 v[56:57], v[50:51], -v[52:53]
	;; [unrolled: 2-line block ×3, first 2 shown]
	v_add_f64 v[44:45], v[44:45], -v[52:53]
	v_add_f64 v[48:49], v[50:51], -v[48:49]
	v_add_f64 v[44:45], v[44:45], v[54:55]
	v_add_f64 v[46:47], v[46:47], -v[48:49]
	s_mov_b32 s18, 0
	v_add_f64 v[44:45], v[44:45], v[46:47]
	s_mov_b32 s19, 0x7ff00000
	v_add_f64 v[44:45], v[50:51], v[44:45]
	v_cmp_neq_f64_e64 s[18:19], s[18:19], v[10:11]
	v_mov_b32_e32 v46, 0x7ff80000
	s_nop 0
	v_cndmask_b32_e64 v45, v64, v45, s[18:19]
	v_cndmask_b32_e64 v45, v46, v45, s[20:21]
	v_cmp_nge_f64_e64 s[20:21], -1.0, v[10:11]
	s_and_b64 s[18:19], s[20:21], s[18:19]
	v_cndmask_b32_e64 v44, 0, v44, s[18:19]
	v_mov_b32_e32 v46, 0xfff00000
	v_cmp_neq_f64_e64 s[18:19], -1.0, v[10:11]
	s_nop 1
	v_cndmask_b32_e64 v45, v46, v45, s[18:19]
	v_add_f64 v[10:11], v[42:43], v[44:45]
.LBB66_183:
	s_or_b64 exec, exec, s[24:25]
	v_mbcnt_lo_u32_b32 v42, -1, 0
	v_mbcnt_hi_u32_b32 v46, -1, v42
	v_and_b32_e32 v47, 15, v46
	v_mov_b32_dpp v42, v10 row_shr:1 row_mask:0xf bank_mask:0xf
	v_mov_b32_dpp v43, v11 row_shr:1 row_mask:0xf bank_mask:0xf
	v_cmp_ne_u32_e64 s[18:19], 0, v47
	v_mov_b32_e32 v44, v10
	v_mov_b32_e32 v45, v11
	s_and_saveexec_b64 s[20:21], s[18:19]
	s_xor_b64 s[24:25], exec, s[20:21]
	s_cbranch_execz .LBB66_187
; %bb.184:
	v_max_f64 v[48:49], v[42:43], v[42:43]
	v_max_f64 v[50:51], v[10:11], v[10:11]
	v_min_f64 v[44:45], v[48:49], v[50:51]
	v_cmp_u_f64_e64 s[18:19], v[42:43], v[42:43]
	v_max_f64 v[48:49], v[48:49], v[50:51]
	v_cmp_u_f64_e64 s[20:21], v[10:11], v[10:11]
	v_cndmask_b32_e64 v45, v45, v43, s[18:19]
	v_cndmask_b32_e64 v44, v44, v42, s[18:19]
	;; [unrolled: 1-line block ×8, first 2 shown]
	s_movk_i32 s20, 0x1f8
	v_cmp_neq_f64_e64 s[18:19], v[44:45], v[10:11]
	v_cmp_class_f64_e64 s[20:21], v[44:45], s20
	s_or_b64 s[18:19], s[18:19], s[20:21]
	s_and_saveexec_b64 s[28:29], s[18:19]
	s_cbranch_execz .LBB66_186
; %bb.185:
	s_mov_b32 s18, 0x652b82fe
	v_add_f64 v[42:43], v[44:45], -v[10:11]
	s_mov_b32 s19, 0x3ff71547
	v_mul_f64 v[44:45], v[42:43], s[18:19]
	v_rndne_f64_e32 v[44:45], v[44:45]
	s_mov_b32 s43, 0xbfe62e42
	s_mov_b32 s42, 0xfefa39ef
	v_fma_f64 v[48:49], s[42:43], v[44:45], v[42:43]
	s_mov_b32 s45, 0xbc7abc9e
	s_mov_b32 s44, 0x3b39803f
	;; [unrolled: 1-line block ×3, first 2 shown]
	v_fmac_f64_e32 v[48:49], s[44:45], v[44:45]
	v_mov_b32_e32 v50, 0xfca7ab0c
	v_mov_b32_e32 v51, 0x3e928af3
	s_mov_b32 s19, 0x3e5ade15
	v_fmac_f64_e32 v[50:51], s[18:19], v[48:49]
	v_mov_b32_e32 v52, 0x623fde64
	v_mov_b32_e32 v53, 0x3ec71dee
	v_fmac_f64_e32 v[52:53], v[48:49], v[50:51]
	v_mov_b32_e32 v50, 0x7c89e6b0
	v_mov_b32_e32 v51, 0x3efa0199
	;; [unrolled: 3-line block ×8, first 2 shown]
	v_fmac_f64_e32 v[50:51], v[48:49], v[52:53]
	v_fma_f64 v[50:51], v[48:49], v[50:51], 1.0
	s_mov_b32 s18, 0
	s_mov_b32 s20, 0
	v_fma_f64 v[48:49], v[48:49], v[50:51], 1.0
	v_cvt_i32_f64_e32 v44, v[44:45]
	s_mov_b32 s19, 0x40900000
	s_mov_b32 s21, 0xc090cc00
	v_ldexp_f64 v[44:45], v[48:49], v44
	v_mov_b32_e32 v66, 0x7ff00000
	v_cmp_nlt_f64_e64 s[18:19], s[18:19], v[42:43]
	v_cmp_ngt_f64_e64 s[20:21], s[20:21], v[42:43]
	s_mov_b32 s43, 0x3fe62e42
	v_cndmask_b32_e64 v45, v66, v45, s[18:19]
	s_and_b64 s[18:19], s[20:21], s[18:19]
	v_cndmask_b32_e64 v43, 0, v45, s[20:21]
	v_cndmask_b32_e64 v42, 0, v44, s[18:19]
	v_add_f64 v[44:45], v[42:43], 1.0
	v_add_f64 v[48:49], v[44:45], -1.0
	v_add_f64 v[50:51], v[48:49], -v[44:45]
	v_add_f64 v[50:51], v[50:51], 1.0
	v_add_f64 v[48:49], v[42:43], -v[48:49]
	s_mov_b32 s18, 0x55555555
	v_add_f64 v[48:49], v[48:49], v[50:51]
	v_frexp_mant_f64_e32 v[50:51], v[44:45]
	s_mov_b32 s19, 0x3fe55555
	v_frexp_exp_i32_f64_e32 v52, v[44:45]
	v_cmp_gt_f64_e64 s[18:19], s[18:19], v[50:51]
	s_mov_b32 s45, 0x3c7abc9e
	v_cmp_ngt_f64_e64 s[20:21], -1.0, v[42:43]
	v_subbrev_co_u32_e64 v67, s[18:19], 0, v52, s[18:19]
	v_sub_u32_e32 v50, 0, v67
	v_ldexp_f64 v[44:45], v[44:45], v50
	v_ldexp_f64 v[48:49], v[48:49], v50
	v_add_f64 v[50:51], v[44:45], -1.0
	v_add_f64 v[56:57], v[44:45], 1.0
	v_add_f64 v[52:53], v[50:51], 1.0
	v_add_f64 v[58:59], v[56:57], -1.0
	v_add_f64 v[52:53], v[44:45], -v[52:53]
	v_add_f64 v[44:45], v[44:45], -v[58:59]
	v_add_f64 v[44:45], v[48:49], v[44:45]
	v_add_f64 v[52:53], v[48:49], v[52:53]
	;; [unrolled: 1-line block ×3, first 2 shown]
	v_rcp_f64_e32 v[58:59], v[48:49]
	v_add_f64 v[54:55], v[50:51], v[52:53]
	v_add_f64 v[50:51], v[54:55], -v[50:51]
	v_add_f64 v[50:51], v[52:53], -v[50:51]
	v_add_f64 v[52:53], v[48:49], -v[56:57]
	v_add_f64 v[44:45], v[44:45], -v[52:53]
	v_fma_f64 v[52:53], -v[48:49], v[58:59], 1.0
	v_fmac_f64_e32 v[58:59], v[52:53], v[58:59]
	v_fma_f64 v[52:53], -v[48:49], v[58:59], 1.0
	v_fmac_f64_e32 v[58:59], v[52:53], v[58:59]
	v_mul_f64 v[52:53], v[54:55], v[58:59]
	v_mul_f64 v[56:57], v[48:49], v[52:53]
	v_fma_f64 v[60:61], v[52:53], v[48:49], -v[56:57]
	v_fmac_f64_e32 v[60:61], v[52:53], v[44:45]
	v_add_f64 v[62:63], v[56:57], v[60:61]
	v_add_f64 v[64:65], v[54:55], -v[62:63]
	v_add_f64 v[54:55], v[54:55], -v[64:65]
	;; [unrolled: 1-line block ×4, first 2 shown]
	v_add_f64 v[50:51], v[50:51], v[54:55]
	v_add_f64 v[54:55], v[56:57], -v[60:61]
	v_add_f64 v[50:51], v[54:55], v[50:51]
	v_add_f64 v[54:55], v[64:65], v[50:51]
	v_add_f64 v[56:57], v[64:65], -v[54:55]
	v_add_f64 v[50:51], v[50:51], v[56:57]
	v_mul_f64 v[56:57], v[58:59], v[54:55]
	v_mul_f64 v[60:61], v[48:49], v[56:57]
	v_fma_f64 v[48:49], v[56:57], v[48:49], -v[60:61]
	v_fmac_f64_e32 v[48:49], v[56:57], v[44:45]
	v_add_f64 v[44:45], v[60:61], v[48:49]
	v_add_f64 v[62:63], v[54:55], -v[44:45]
	v_add_f64 v[54:55], v[54:55], -v[62:63]
	;; [unrolled: 1-line block ×4, first 2 shown]
	v_add_f64 v[44:45], v[50:51], v[44:45]
	v_add_f64 v[48:49], v[60:61], -v[48:49]
	v_add_f64 v[44:45], v[48:49], v[44:45]
	v_add_f64 v[48:49], v[52:53], v[56:57]
	v_add_f64 v[44:45], v[62:63], v[44:45]
	v_add_f64 v[50:51], v[48:49], -v[52:53]
	v_mul_f64 v[44:45], v[58:59], v[44:45]
	v_add_f64 v[50:51], v[56:57], -v[50:51]
	v_add_f64 v[44:45], v[50:51], v[44:45]
	v_add_f64 v[50:51], v[48:49], v[44:45]
	v_add_f64 v[48:49], v[50:51], -v[48:49]
	s_mov_b32 s18, 0xbf559e2b
	v_add_f64 v[44:45], v[44:45], -v[48:49]
	v_mul_f64 v[48:49], v[50:51], v[50:51]
	v_mov_b32_e32 v52, 0x6b47b09a
	v_mov_b32_e32 v53, 0x3fc38538
	s_mov_b32 s19, 0x3fc3ab76
	v_fmac_f64_e32 v[52:53], s[18:19], v[48:49]
	v_mov_b32_e32 v54, 0xd7f4df2e
	v_mov_b32_e32 v55, 0x3fc7474d
	v_fmac_f64_e32 v[54:55], v[48:49], v[52:53]
	v_mov_b32_e32 v52, 0x16291751
	v_mov_b32_e32 v53, 0x3fcc71c0
	v_fmac_f64_e32 v[52:53], v[48:49], v[54:55]
	v_mov_b32_e32 v54, 0x9b27acf1
	v_mov_b32_e32 v55, 0x3fd24924
	v_fmac_f64_e32 v[54:55], v[48:49], v[52:53]
	v_mov_b32_e32 v52, 0x998ef7b6
	v_mov_b32_e32 v53, 0x3fd99999
	v_fmac_f64_e32 v[52:53], v[48:49], v[54:55]
	v_mov_b32_e32 v54, 0x55555780
	v_mov_b32_e32 v55, 0x3fe55555
	v_fmac_f64_e32 v[54:55], v[48:49], v[52:53]
	v_cvt_f64_i32_e32 v[52:53], v67
	v_mul_f64 v[56:57], v[52:53], s[42:43]
	v_fma_f64 v[58:59], v[52:53], s[42:43], -v[56:57]
	v_fmac_f64_e32 v[58:59], s[44:45], v[52:53]
	v_add_f64 v[52:53], v[56:57], v[58:59]
	v_add_f64 v[56:57], v[52:53], -v[56:57]
	v_mul_f64 v[48:49], v[50:51], v[48:49]
	v_add_f64 v[56:57], v[58:59], -v[56:57]
	v_ldexp_f64 v[58:59], v[50:51], 1
	v_mul_f64 v[48:49], v[48:49], v[54:55]
	v_add_f64 v[50:51], v[58:59], v[48:49]
	v_add_f64 v[54:55], v[50:51], -v[58:59]
	v_ldexp_f64 v[44:45], v[44:45], 1
	v_add_f64 v[48:49], v[48:49], -v[54:55]
	v_add_f64 v[44:45], v[44:45], v[48:49]
	v_add_f64 v[48:49], v[50:51], v[44:45]
	v_add_f64 v[50:51], v[48:49], -v[50:51]
	v_add_f64 v[44:45], v[44:45], -v[50:51]
	v_add_f64 v[50:51], v[52:53], v[48:49]
	v_add_f64 v[54:55], v[50:51], -v[52:53]
	v_add_f64 v[58:59], v[50:51], -v[54:55]
	;; [unrolled: 1-line block ×4, first 2 shown]
	v_add_f64 v[48:49], v[48:49], v[52:53]
	v_add_f64 v[52:53], v[56:57], v[44:45]
	v_add_f64 v[54:55], v[52:53], -v[56:57]
	v_add_f64 v[48:49], v[52:53], v[48:49]
	v_add_f64 v[58:59], v[52:53], -v[54:55]
	;; [unrolled: 2-line block ×3, first 2 shown]
	v_add_f64 v[44:45], v[44:45], -v[54:55]
	v_add_f64 v[50:51], v[52:53], -v[50:51]
	v_add_f64 v[44:45], v[44:45], v[56:57]
	v_add_f64 v[48:49], v[48:49], -v[50:51]
	s_mov_b32 s18, 0
	v_add_f64 v[44:45], v[44:45], v[48:49]
	s_mov_b32 s19, 0x7ff00000
	v_add_f64 v[44:45], v[52:53], v[44:45]
	v_cmp_neq_f64_e64 s[18:19], s[18:19], v[42:43]
	v_mov_b32_e32 v48, 0x7ff80000
	s_nop 0
	v_cndmask_b32_e64 v45, v66, v45, s[18:19]
	v_cndmask_b32_e64 v45, v48, v45, s[20:21]
	v_cmp_nge_f64_e64 s[20:21], -1.0, v[42:43]
	s_and_b64 s[18:19], s[20:21], s[18:19]
	v_cndmask_b32_e64 v44, 0, v44, s[18:19]
	v_mov_b32_e32 v48, 0xfff00000
	v_cmp_neq_f64_e64 s[18:19], -1.0, v[42:43]
	s_nop 1
	v_cndmask_b32_e64 v45, v48, v45, s[18:19]
	v_add_f64 v[42:43], v[10:11], v[44:45]
.LBB66_186:
	s_or_b64 exec, exec, s[28:29]
	v_mov_b32_e32 v44, v42
	v_mov_b32_e32 v45, v43
	v_mov_b64_e32 v[10:11], v[42:43]
.LBB66_187:
	s_or_b64 exec, exec, s[24:25]
	v_mov_b32_dpp v42, v44 row_shr:2 row_mask:0xf bank_mask:0xf
	v_mov_b32_dpp v43, v45 row_shr:2 row_mask:0xf bank_mask:0xf
	v_cmp_lt_u32_e64 s[18:19], 1, v47
	s_and_saveexec_b64 s[24:25], s[18:19]
	s_cbranch_execz .LBB66_191
; %bb.188:
	v_max_f64 v[48:49], v[42:43], v[42:43]
	v_max_f64 v[50:51], v[10:11], v[10:11]
	v_min_f64 v[44:45], v[48:49], v[50:51]
	v_cmp_u_f64_e64 s[18:19], v[42:43], v[42:43]
	v_max_f64 v[48:49], v[48:49], v[50:51]
	v_cmp_u_f64_e64 s[20:21], v[10:11], v[10:11]
	v_cndmask_b32_e64 v45, v45, v43, s[18:19]
	v_cndmask_b32_e64 v44, v44, v42, s[18:19]
	;; [unrolled: 1-line block ×8, first 2 shown]
	s_movk_i32 s20, 0x1f8
	v_cmp_neq_f64_e64 s[18:19], v[44:45], v[10:11]
	v_cmp_class_f64_e64 s[20:21], v[44:45], s20
	s_or_b64 s[18:19], s[18:19], s[20:21]
	s_and_saveexec_b64 s[28:29], s[18:19]
	s_cbranch_execz .LBB66_190
; %bb.189:
	s_mov_b32 s18, 0x652b82fe
	v_add_f64 v[42:43], v[44:45], -v[10:11]
	s_mov_b32 s19, 0x3ff71547
	v_mul_f64 v[44:45], v[42:43], s[18:19]
	v_rndne_f64_e32 v[44:45], v[44:45]
	s_mov_b32 s43, 0xbfe62e42
	s_mov_b32 s42, 0xfefa39ef
	v_fma_f64 v[48:49], s[42:43], v[44:45], v[42:43]
	s_mov_b32 s45, 0xbc7abc9e
	s_mov_b32 s44, 0x3b39803f
	;; [unrolled: 1-line block ×3, first 2 shown]
	v_fmac_f64_e32 v[48:49], s[44:45], v[44:45]
	v_mov_b32_e32 v50, 0xfca7ab0c
	v_mov_b32_e32 v51, 0x3e928af3
	s_mov_b32 s19, 0x3e5ade15
	v_fmac_f64_e32 v[50:51], s[18:19], v[48:49]
	v_mov_b32_e32 v52, 0x623fde64
	v_mov_b32_e32 v53, 0x3ec71dee
	v_fmac_f64_e32 v[52:53], v[48:49], v[50:51]
	v_mov_b32_e32 v50, 0x7c89e6b0
	v_mov_b32_e32 v51, 0x3efa0199
	;; [unrolled: 3-line block ×8, first 2 shown]
	v_fmac_f64_e32 v[50:51], v[48:49], v[52:53]
	v_fma_f64 v[50:51], v[48:49], v[50:51], 1.0
	s_mov_b32 s18, 0
	s_mov_b32 s20, 0
	v_fma_f64 v[48:49], v[48:49], v[50:51], 1.0
	v_cvt_i32_f64_e32 v44, v[44:45]
	s_mov_b32 s19, 0x40900000
	s_mov_b32 s21, 0xc090cc00
	v_ldexp_f64 v[44:45], v[48:49], v44
	v_mov_b32_e32 v66, 0x7ff00000
	v_cmp_nlt_f64_e64 s[18:19], s[18:19], v[42:43]
	v_cmp_ngt_f64_e64 s[20:21], s[20:21], v[42:43]
	s_mov_b32 s43, 0x3fe62e42
	v_cndmask_b32_e64 v45, v66, v45, s[18:19]
	s_and_b64 s[18:19], s[20:21], s[18:19]
	v_cndmask_b32_e64 v43, 0, v45, s[20:21]
	v_cndmask_b32_e64 v42, 0, v44, s[18:19]
	v_add_f64 v[44:45], v[42:43], 1.0
	v_add_f64 v[48:49], v[44:45], -1.0
	v_add_f64 v[50:51], v[48:49], -v[44:45]
	v_add_f64 v[50:51], v[50:51], 1.0
	v_add_f64 v[48:49], v[42:43], -v[48:49]
	s_mov_b32 s18, 0x55555555
	v_add_f64 v[48:49], v[48:49], v[50:51]
	v_frexp_mant_f64_e32 v[50:51], v[44:45]
	s_mov_b32 s19, 0x3fe55555
	v_frexp_exp_i32_f64_e32 v52, v[44:45]
	v_cmp_gt_f64_e64 s[18:19], s[18:19], v[50:51]
	s_mov_b32 s45, 0x3c7abc9e
	v_cmp_ngt_f64_e64 s[20:21], -1.0, v[42:43]
	v_subbrev_co_u32_e64 v67, s[18:19], 0, v52, s[18:19]
	v_sub_u32_e32 v50, 0, v67
	v_ldexp_f64 v[44:45], v[44:45], v50
	v_ldexp_f64 v[48:49], v[48:49], v50
	v_add_f64 v[50:51], v[44:45], -1.0
	v_add_f64 v[56:57], v[44:45], 1.0
	v_add_f64 v[52:53], v[50:51], 1.0
	v_add_f64 v[58:59], v[56:57], -1.0
	v_add_f64 v[52:53], v[44:45], -v[52:53]
	v_add_f64 v[44:45], v[44:45], -v[58:59]
	v_add_f64 v[44:45], v[48:49], v[44:45]
	v_add_f64 v[52:53], v[48:49], v[52:53]
	v_add_f64 v[48:49], v[56:57], v[44:45]
	v_rcp_f64_e32 v[58:59], v[48:49]
	v_add_f64 v[54:55], v[50:51], v[52:53]
	v_add_f64 v[50:51], v[54:55], -v[50:51]
	v_add_f64 v[50:51], v[52:53], -v[50:51]
	;; [unrolled: 1-line block ×4, first 2 shown]
	v_fma_f64 v[52:53], -v[48:49], v[58:59], 1.0
	v_fmac_f64_e32 v[58:59], v[52:53], v[58:59]
	v_fma_f64 v[52:53], -v[48:49], v[58:59], 1.0
	v_fmac_f64_e32 v[58:59], v[52:53], v[58:59]
	v_mul_f64 v[52:53], v[54:55], v[58:59]
	v_mul_f64 v[56:57], v[48:49], v[52:53]
	v_fma_f64 v[60:61], v[52:53], v[48:49], -v[56:57]
	v_fmac_f64_e32 v[60:61], v[52:53], v[44:45]
	v_add_f64 v[62:63], v[56:57], v[60:61]
	v_add_f64 v[64:65], v[54:55], -v[62:63]
	v_add_f64 v[54:55], v[54:55], -v[64:65]
	;; [unrolled: 1-line block ×4, first 2 shown]
	v_add_f64 v[50:51], v[50:51], v[54:55]
	v_add_f64 v[54:55], v[56:57], -v[60:61]
	v_add_f64 v[50:51], v[54:55], v[50:51]
	v_add_f64 v[54:55], v[64:65], v[50:51]
	v_add_f64 v[56:57], v[64:65], -v[54:55]
	v_add_f64 v[50:51], v[50:51], v[56:57]
	v_mul_f64 v[56:57], v[58:59], v[54:55]
	v_mul_f64 v[60:61], v[48:49], v[56:57]
	v_fma_f64 v[48:49], v[56:57], v[48:49], -v[60:61]
	v_fmac_f64_e32 v[48:49], v[56:57], v[44:45]
	v_add_f64 v[44:45], v[60:61], v[48:49]
	v_add_f64 v[62:63], v[54:55], -v[44:45]
	v_add_f64 v[54:55], v[54:55], -v[62:63]
	;; [unrolled: 1-line block ×4, first 2 shown]
	v_add_f64 v[44:45], v[50:51], v[44:45]
	v_add_f64 v[48:49], v[60:61], -v[48:49]
	v_add_f64 v[44:45], v[48:49], v[44:45]
	v_add_f64 v[48:49], v[52:53], v[56:57]
	;; [unrolled: 1-line block ×3, first 2 shown]
	v_add_f64 v[50:51], v[48:49], -v[52:53]
	v_mul_f64 v[44:45], v[58:59], v[44:45]
	v_add_f64 v[50:51], v[56:57], -v[50:51]
	v_add_f64 v[44:45], v[50:51], v[44:45]
	v_add_f64 v[50:51], v[48:49], v[44:45]
	v_add_f64 v[48:49], v[50:51], -v[48:49]
	s_mov_b32 s18, 0xbf559e2b
	v_add_f64 v[44:45], v[44:45], -v[48:49]
	v_mul_f64 v[48:49], v[50:51], v[50:51]
	v_mov_b32_e32 v52, 0x6b47b09a
	v_mov_b32_e32 v53, 0x3fc38538
	s_mov_b32 s19, 0x3fc3ab76
	v_fmac_f64_e32 v[52:53], s[18:19], v[48:49]
	v_mov_b32_e32 v54, 0xd7f4df2e
	v_mov_b32_e32 v55, 0x3fc7474d
	v_fmac_f64_e32 v[54:55], v[48:49], v[52:53]
	v_mov_b32_e32 v52, 0x16291751
	v_mov_b32_e32 v53, 0x3fcc71c0
	;; [unrolled: 3-line block ×5, first 2 shown]
	v_fmac_f64_e32 v[54:55], v[48:49], v[52:53]
	v_cvt_f64_i32_e32 v[52:53], v67
	v_mul_f64 v[56:57], v[52:53], s[42:43]
	v_fma_f64 v[58:59], v[52:53], s[42:43], -v[56:57]
	v_fmac_f64_e32 v[58:59], s[44:45], v[52:53]
	v_add_f64 v[52:53], v[56:57], v[58:59]
	v_add_f64 v[56:57], v[52:53], -v[56:57]
	v_mul_f64 v[48:49], v[50:51], v[48:49]
	v_add_f64 v[56:57], v[58:59], -v[56:57]
	v_ldexp_f64 v[58:59], v[50:51], 1
	v_mul_f64 v[48:49], v[48:49], v[54:55]
	v_add_f64 v[50:51], v[58:59], v[48:49]
	v_add_f64 v[54:55], v[50:51], -v[58:59]
	v_ldexp_f64 v[44:45], v[44:45], 1
	v_add_f64 v[48:49], v[48:49], -v[54:55]
	v_add_f64 v[44:45], v[44:45], v[48:49]
	v_add_f64 v[48:49], v[50:51], v[44:45]
	v_add_f64 v[50:51], v[48:49], -v[50:51]
	v_add_f64 v[44:45], v[44:45], -v[50:51]
	v_add_f64 v[50:51], v[52:53], v[48:49]
	v_add_f64 v[54:55], v[50:51], -v[52:53]
	v_add_f64 v[58:59], v[50:51], -v[54:55]
	;; [unrolled: 1-line block ×4, first 2 shown]
	v_add_f64 v[48:49], v[48:49], v[52:53]
	v_add_f64 v[52:53], v[56:57], v[44:45]
	v_add_f64 v[54:55], v[52:53], -v[56:57]
	v_add_f64 v[48:49], v[52:53], v[48:49]
	v_add_f64 v[58:59], v[52:53], -v[54:55]
	;; [unrolled: 2-line block ×3, first 2 shown]
	v_add_f64 v[44:45], v[44:45], -v[54:55]
	v_add_f64 v[50:51], v[52:53], -v[50:51]
	v_add_f64 v[44:45], v[44:45], v[56:57]
	v_add_f64 v[48:49], v[48:49], -v[50:51]
	s_mov_b32 s18, 0
	v_add_f64 v[44:45], v[44:45], v[48:49]
	s_mov_b32 s19, 0x7ff00000
	v_add_f64 v[44:45], v[52:53], v[44:45]
	v_cmp_neq_f64_e64 s[18:19], s[18:19], v[42:43]
	v_mov_b32_e32 v48, 0x7ff80000
	s_nop 0
	v_cndmask_b32_e64 v45, v66, v45, s[18:19]
	v_cndmask_b32_e64 v45, v48, v45, s[20:21]
	v_cmp_nge_f64_e64 s[20:21], -1.0, v[42:43]
	s_and_b64 s[18:19], s[20:21], s[18:19]
	v_cndmask_b32_e64 v44, 0, v44, s[18:19]
	v_mov_b32_e32 v48, 0xfff00000
	v_cmp_neq_f64_e64 s[18:19], -1.0, v[42:43]
	s_nop 1
	v_cndmask_b32_e64 v45, v48, v45, s[18:19]
	v_add_f64 v[42:43], v[10:11], v[44:45]
.LBB66_190:
	s_or_b64 exec, exec, s[28:29]
	v_mov_b64_e32 v[10:11], v[42:43]
	v_mov_b32_e32 v44, v42
	v_mov_b32_e32 v45, v43
.LBB66_191:
	s_or_b64 exec, exec, s[24:25]
	v_mov_b32_dpp v42, v44 row_shr:4 row_mask:0xf bank_mask:0xf
	v_mov_b32_dpp v43, v45 row_shr:4 row_mask:0xf bank_mask:0xf
	v_cmp_lt_u32_e64 s[18:19], 3, v47
	s_and_saveexec_b64 s[24:25], s[18:19]
	s_cbranch_execz .LBB66_195
; %bb.192:
	v_max_f64 v[48:49], v[42:43], v[42:43]
	v_max_f64 v[50:51], v[10:11], v[10:11]
	v_min_f64 v[44:45], v[48:49], v[50:51]
	v_cmp_u_f64_e64 s[18:19], v[42:43], v[42:43]
	v_max_f64 v[48:49], v[48:49], v[50:51]
	v_cmp_u_f64_e64 s[20:21], v[10:11], v[10:11]
	v_cndmask_b32_e64 v45, v45, v43, s[18:19]
	v_cndmask_b32_e64 v44, v44, v42, s[18:19]
	v_cndmask_b32_e64 v49, v49, v43, s[18:19]
	v_cndmask_b32_e64 v48, v48, v42, s[18:19]
	v_cndmask_b32_e64 v45, v45, v11, s[20:21]
	v_cndmask_b32_e64 v44, v44, v10, s[20:21]
	v_cndmask_b32_e64 v11, v49, v11, s[20:21]
	v_cndmask_b32_e64 v10, v48, v10, s[20:21]
	s_movk_i32 s20, 0x1f8
	v_cmp_neq_f64_e64 s[18:19], v[44:45], v[10:11]
	v_cmp_class_f64_e64 s[20:21], v[44:45], s20
	s_or_b64 s[18:19], s[18:19], s[20:21]
	s_and_saveexec_b64 s[28:29], s[18:19]
	s_cbranch_execz .LBB66_194
; %bb.193:
	s_mov_b32 s18, 0x652b82fe
	v_add_f64 v[42:43], v[44:45], -v[10:11]
	s_mov_b32 s19, 0x3ff71547
	v_mul_f64 v[44:45], v[42:43], s[18:19]
	v_rndne_f64_e32 v[44:45], v[44:45]
	s_mov_b32 s43, 0xbfe62e42
	s_mov_b32 s42, 0xfefa39ef
	v_fma_f64 v[48:49], s[42:43], v[44:45], v[42:43]
	s_mov_b32 s45, 0xbc7abc9e
	s_mov_b32 s44, 0x3b39803f
	;; [unrolled: 1-line block ×3, first 2 shown]
	v_fmac_f64_e32 v[48:49], s[44:45], v[44:45]
	v_mov_b32_e32 v50, 0xfca7ab0c
	v_mov_b32_e32 v51, 0x3e928af3
	s_mov_b32 s19, 0x3e5ade15
	v_fmac_f64_e32 v[50:51], s[18:19], v[48:49]
	v_mov_b32_e32 v52, 0x623fde64
	v_mov_b32_e32 v53, 0x3ec71dee
	v_fmac_f64_e32 v[52:53], v[48:49], v[50:51]
	v_mov_b32_e32 v50, 0x7c89e6b0
	v_mov_b32_e32 v51, 0x3efa0199
	;; [unrolled: 3-line block ×8, first 2 shown]
	v_fmac_f64_e32 v[50:51], v[48:49], v[52:53]
	v_fma_f64 v[50:51], v[48:49], v[50:51], 1.0
	s_mov_b32 s18, 0
	s_mov_b32 s20, 0
	v_fma_f64 v[48:49], v[48:49], v[50:51], 1.0
	v_cvt_i32_f64_e32 v44, v[44:45]
	s_mov_b32 s19, 0x40900000
	s_mov_b32 s21, 0xc090cc00
	v_ldexp_f64 v[44:45], v[48:49], v44
	v_mov_b32_e32 v66, 0x7ff00000
	v_cmp_nlt_f64_e64 s[18:19], s[18:19], v[42:43]
	v_cmp_ngt_f64_e64 s[20:21], s[20:21], v[42:43]
	s_mov_b32 s43, 0x3fe62e42
	v_cndmask_b32_e64 v45, v66, v45, s[18:19]
	s_and_b64 s[18:19], s[20:21], s[18:19]
	v_cndmask_b32_e64 v43, 0, v45, s[20:21]
	v_cndmask_b32_e64 v42, 0, v44, s[18:19]
	v_add_f64 v[44:45], v[42:43], 1.0
	v_add_f64 v[48:49], v[44:45], -1.0
	v_add_f64 v[50:51], v[48:49], -v[44:45]
	v_add_f64 v[50:51], v[50:51], 1.0
	v_add_f64 v[48:49], v[42:43], -v[48:49]
	s_mov_b32 s18, 0x55555555
	v_add_f64 v[48:49], v[48:49], v[50:51]
	v_frexp_mant_f64_e32 v[50:51], v[44:45]
	s_mov_b32 s19, 0x3fe55555
	v_frexp_exp_i32_f64_e32 v52, v[44:45]
	v_cmp_gt_f64_e64 s[18:19], s[18:19], v[50:51]
	s_mov_b32 s45, 0x3c7abc9e
	v_cmp_ngt_f64_e64 s[20:21], -1.0, v[42:43]
	v_subbrev_co_u32_e64 v67, s[18:19], 0, v52, s[18:19]
	v_sub_u32_e32 v50, 0, v67
	v_ldexp_f64 v[44:45], v[44:45], v50
	v_ldexp_f64 v[48:49], v[48:49], v50
	v_add_f64 v[50:51], v[44:45], -1.0
	v_add_f64 v[56:57], v[44:45], 1.0
	v_add_f64 v[52:53], v[50:51], 1.0
	v_add_f64 v[58:59], v[56:57], -1.0
	v_add_f64 v[52:53], v[44:45], -v[52:53]
	v_add_f64 v[44:45], v[44:45], -v[58:59]
	v_add_f64 v[44:45], v[48:49], v[44:45]
	v_add_f64 v[52:53], v[48:49], v[52:53]
	;; [unrolled: 1-line block ×3, first 2 shown]
	v_rcp_f64_e32 v[58:59], v[48:49]
	v_add_f64 v[54:55], v[50:51], v[52:53]
	v_add_f64 v[50:51], v[54:55], -v[50:51]
	v_add_f64 v[50:51], v[52:53], -v[50:51]
	;; [unrolled: 1-line block ×4, first 2 shown]
	v_fma_f64 v[52:53], -v[48:49], v[58:59], 1.0
	v_fmac_f64_e32 v[58:59], v[52:53], v[58:59]
	v_fma_f64 v[52:53], -v[48:49], v[58:59], 1.0
	v_fmac_f64_e32 v[58:59], v[52:53], v[58:59]
	v_mul_f64 v[52:53], v[54:55], v[58:59]
	v_mul_f64 v[56:57], v[48:49], v[52:53]
	v_fma_f64 v[60:61], v[52:53], v[48:49], -v[56:57]
	v_fmac_f64_e32 v[60:61], v[52:53], v[44:45]
	v_add_f64 v[62:63], v[56:57], v[60:61]
	v_add_f64 v[64:65], v[54:55], -v[62:63]
	v_add_f64 v[54:55], v[54:55], -v[64:65]
	;; [unrolled: 1-line block ×4, first 2 shown]
	v_add_f64 v[50:51], v[50:51], v[54:55]
	v_add_f64 v[54:55], v[56:57], -v[60:61]
	v_add_f64 v[50:51], v[54:55], v[50:51]
	v_add_f64 v[54:55], v[64:65], v[50:51]
	v_add_f64 v[56:57], v[64:65], -v[54:55]
	v_add_f64 v[50:51], v[50:51], v[56:57]
	v_mul_f64 v[56:57], v[58:59], v[54:55]
	v_mul_f64 v[60:61], v[48:49], v[56:57]
	v_fma_f64 v[48:49], v[56:57], v[48:49], -v[60:61]
	v_fmac_f64_e32 v[48:49], v[56:57], v[44:45]
	v_add_f64 v[44:45], v[60:61], v[48:49]
	v_add_f64 v[62:63], v[54:55], -v[44:45]
	v_add_f64 v[54:55], v[54:55], -v[62:63]
	;; [unrolled: 1-line block ×4, first 2 shown]
	v_add_f64 v[44:45], v[50:51], v[44:45]
	v_add_f64 v[48:49], v[60:61], -v[48:49]
	v_add_f64 v[44:45], v[48:49], v[44:45]
	v_add_f64 v[48:49], v[52:53], v[56:57]
	;; [unrolled: 1-line block ×3, first 2 shown]
	v_add_f64 v[50:51], v[48:49], -v[52:53]
	v_mul_f64 v[44:45], v[58:59], v[44:45]
	v_add_f64 v[50:51], v[56:57], -v[50:51]
	v_add_f64 v[44:45], v[50:51], v[44:45]
	v_add_f64 v[50:51], v[48:49], v[44:45]
	v_add_f64 v[48:49], v[50:51], -v[48:49]
	s_mov_b32 s18, 0xbf559e2b
	v_add_f64 v[44:45], v[44:45], -v[48:49]
	v_mul_f64 v[48:49], v[50:51], v[50:51]
	v_mov_b32_e32 v52, 0x6b47b09a
	v_mov_b32_e32 v53, 0x3fc38538
	s_mov_b32 s19, 0x3fc3ab76
	v_fmac_f64_e32 v[52:53], s[18:19], v[48:49]
	v_mov_b32_e32 v54, 0xd7f4df2e
	v_mov_b32_e32 v55, 0x3fc7474d
	v_fmac_f64_e32 v[54:55], v[48:49], v[52:53]
	v_mov_b32_e32 v52, 0x16291751
	v_mov_b32_e32 v53, 0x3fcc71c0
	;; [unrolled: 3-line block ×5, first 2 shown]
	v_fmac_f64_e32 v[54:55], v[48:49], v[52:53]
	v_cvt_f64_i32_e32 v[52:53], v67
	v_mul_f64 v[56:57], v[52:53], s[42:43]
	v_fma_f64 v[58:59], v[52:53], s[42:43], -v[56:57]
	v_fmac_f64_e32 v[58:59], s[44:45], v[52:53]
	v_add_f64 v[52:53], v[56:57], v[58:59]
	v_add_f64 v[56:57], v[52:53], -v[56:57]
	v_mul_f64 v[48:49], v[50:51], v[48:49]
	v_add_f64 v[56:57], v[58:59], -v[56:57]
	v_ldexp_f64 v[58:59], v[50:51], 1
	v_mul_f64 v[48:49], v[48:49], v[54:55]
	v_add_f64 v[50:51], v[58:59], v[48:49]
	v_add_f64 v[54:55], v[50:51], -v[58:59]
	v_ldexp_f64 v[44:45], v[44:45], 1
	v_add_f64 v[48:49], v[48:49], -v[54:55]
	v_add_f64 v[44:45], v[44:45], v[48:49]
	v_add_f64 v[48:49], v[50:51], v[44:45]
	v_add_f64 v[50:51], v[48:49], -v[50:51]
	v_add_f64 v[44:45], v[44:45], -v[50:51]
	v_add_f64 v[50:51], v[52:53], v[48:49]
	v_add_f64 v[54:55], v[50:51], -v[52:53]
	v_add_f64 v[58:59], v[50:51], -v[54:55]
	;; [unrolled: 1-line block ×4, first 2 shown]
	v_add_f64 v[48:49], v[48:49], v[52:53]
	v_add_f64 v[52:53], v[56:57], v[44:45]
	v_add_f64 v[54:55], v[52:53], -v[56:57]
	v_add_f64 v[48:49], v[52:53], v[48:49]
	v_add_f64 v[58:59], v[52:53], -v[54:55]
	;; [unrolled: 2-line block ×3, first 2 shown]
	v_add_f64 v[44:45], v[44:45], -v[54:55]
	v_add_f64 v[50:51], v[52:53], -v[50:51]
	v_add_f64 v[44:45], v[44:45], v[56:57]
	v_add_f64 v[48:49], v[48:49], -v[50:51]
	s_mov_b32 s18, 0
	v_add_f64 v[44:45], v[44:45], v[48:49]
	s_mov_b32 s19, 0x7ff00000
	v_add_f64 v[44:45], v[52:53], v[44:45]
	v_cmp_neq_f64_e64 s[18:19], s[18:19], v[42:43]
	v_mov_b32_e32 v48, 0x7ff80000
	s_nop 0
	v_cndmask_b32_e64 v45, v66, v45, s[18:19]
	v_cndmask_b32_e64 v45, v48, v45, s[20:21]
	v_cmp_nge_f64_e64 s[20:21], -1.0, v[42:43]
	s_and_b64 s[18:19], s[20:21], s[18:19]
	v_cndmask_b32_e64 v44, 0, v44, s[18:19]
	v_mov_b32_e32 v48, 0xfff00000
	v_cmp_neq_f64_e64 s[18:19], -1.0, v[42:43]
	s_nop 1
	v_cndmask_b32_e64 v45, v48, v45, s[18:19]
	v_add_f64 v[42:43], v[10:11], v[44:45]
.LBB66_194:
	s_or_b64 exec, exec, s[28:29]
	v_mov_b64_e32 v[10:11], v[42:43]
	v_mov_b32_e32 v44, v42
	v_mov_b32_e32 v45, v43
.LBB66_195:
	s_or_b64 exec, exec, s[24:25]
	v_mov_b32_dpp v42, v44 row_shr:8 row_mask:0xf bank_mask:0xf
	v_mov_b32_dpp v43, v45 row_shr:8 row_mask:0xf bank_mask:0xf
	v_cmp_lt_u32_e64 s[18:19], 7, v47
	s_and_saveexec_b64 s[24:25], s[18:19]
	s_cbranch_execz .LBB66_199
; %bb.196:
	v_max_f64 v[48:49], v[42:43], v[42:43]
	v_max_f64 v[50:51], v[10:11], v[10:11]
	v_min_f64 v[44:45], v[48:49], v[50:51]
	v_cmp_u_f64_e64 s[18:19], v[42:43], v[42:43]
	v_max_f64 v[48:49], v[48:49], v[50:51]
	v_cmp_u_f64_e64 s[20:21], v[10:11], v[10:11]
	v_cndmask_b32_e64 v45, v45, v43, s[18:19]
	v_cndmask_b32_e64 v44, v44, v42, s[18:19]
	;; [unrolled: 1-line block ×8, first 2 shown]
	s_movk_i32 s20, 0x1f8
	v_cmp_neq_f64_e64 s[18:19], v[44:45], v[10:11]
	v_cmp_class_f64_e64 s[20:21], v[44:45], s20
	s_or_b64 s[18:19], s[18:19], s[20:21]
	s_and_saveexec_b64 s[28:29], s[18:19]
	s_cbranch_execz .LBB66_198
; %bb.197:
	s_mov_b32 s18, 0x652b82fe
	v_add_f64 v[42:43], v[44:45], -v[10:11]
	s_mov_b32 s19, 0x3ff71547
	v_mul_f64 v[44:45], v[42:43], s[18:19]
	v_rndne_f64_e32 v[44:45], v[44:45]
	s_mov_b32 s43, 0xbfe62e42
	s_mov_b32 s42, 0xfefa39ef
	v_fma_f64 v[48:49], s[42:43], v[44:45], v[42:43]
	s_mov_b32 s45, 0xbc7abc9e
	s_mov_b32 s44, 0x3b39803f
	;; [unrolled: 1-line block ×3, first 2 shown]
	v_fmac_f64_e32 v[48:49], s[44:45], v[44:45]
	v_mov_b32_e32 v50, 0xfca7ab0c
	v_mov_b32_e32 v51, 0x3e928af3
	s_mov_b32 s19, 0x3e5ade15
	v_fmac_f64_e32 v[50:51], s[18:19], v[48:49]
	v_mov_b32_e32 v52, 0x623fde64
	v_mov_b32_e32 v53, 0x3ec71dee
	v_fmac_f64_e32 v[52:53], v[48:49], v[50:51]
	v_mov_b32_e32 v50, 0x7c89e6b0
	v_mov_b32_e32 v51, 0x3efa0199
	;; [unrolled: 3-line block ×8, first 2 shown]
	v_fmac_f64_e32 v[50:51], v[48:49], v[52:53]
	v_fma_f64 v[50:51], v[48:49], v[50:51], 1.0
	s_mov_b32 s18, 0
	s_mov_b32 s20, 0
	v_fma_f64 v[48:49], v[48:49], v[50:51], 1.0
	v_cvt_i32_f64_e32 v44, v[44:45]
	s_mov_b32 s19, 0x40900000
	s_mov_b32 s21, 0xc090cc00
	v_ldexp_f64 v[44:45], v[48:49], v44
	v_mov_b32_e32 v47, 0x7ff00000
	v_cmp_nlt_f64_e64 s[18:19], s[18:19], v[42:43]
	v_cmp_ngt_f64_e64 s[20:21], s[20:21], v[42:43]
	s_mov_b32 s43, 0x3fe62e42
	v_cndmask_b32_e64 v45, v47, v45, s[18:19]
	s_and_b64 s[18:19], s[20:21], s[18:19]
	v_cndmask_b32_e64 v43, 0, v45, s[20:21]
	v_cndmask_b32_e64 v42, 0, v44, s[18:19]
	v_add_f64 v[44:45], v[42:43], 1.0
	v_add_f64 v[48:49], v[44:45], -1.0
	v_add_f64 v[50:51], v[48:49], -v[44:45]
	v_add_f64 v[50:51], v[50:51], 1.0
	v_add_f64 v[48:49], v[42:43], -v[48:49]
	s_mov_b32 s18, 0x55555555
	v_add_f64 v[48:49], v[48:49], v[50:51]
	v_frexp_mant_f64_e32 v[50:51], v[44:45]
	s_mov_b32 s19, 0x3fe55555
	v_frexp_exp_i32_f64_e32 v52, v[44:45]
	v_cmp_gt_f64_e64 s[18:19], s[18:19], v[50:51]
	s_mov_b32 s45, 0x3c7abc9e
	v_cmp_ngt_f64_e64 s[20:21], -1.0, v[42:43]
	v_subbrev_co_u32_e64 v66, s[18:19], 0, v52, s[18:19]
	v_sub_u32_e32 v50, 0, v66
	v_ldexp_f64 v[44:45], v[44:45], v50
	v_ldexp_f64 v[48:49], v[48:49], v50
	v_add_f64 v[50:51], v[44:45], -1.0
	v_add_f64 v[56:57], v[44:45], 1.0
	v_add_f64 v[52:53], v[50:51], 1.0
	v_add_f64 v[58:59], v[56:57], -1.0
	v_add_f64 v[52:53], v[44:45], -v[52:53]
	v_add_f64 v[44:45], v[44:45], -v[58:59]
	v_add_f64 v[44:45], v[48:49], v[44:45]
	v_add_f64 v[52:53], v[48:49], v[52:53]
	;; [unrolled: 1-line block ×3, first 2 shown]
	v_rcp_f64_e32 v[58:59], v[48:49]
	v_add_f64 v[54:55], v[50:51], v[52:53]
	v_add_f64 v[50:51], v[54:55], -v[50:51]
	v_add_f64 v[50:51], v[52:53], -v[50:51]
	;; [unrolled: 1-line block ×4, first 2 shown]
	v_fma_f64 v[52:53], -v[48:49], v[58:59], 1.0
	v_fmac_f64_e32 v[58:59], v[52:53], v[58:59]
	v_fma_f64 v[52:53], -v[48:49], v[58:59], 1.0
	v_fmac_f64_e32 v[58:59], v[52:53], v[58:59]
	v_mul_f64 v[52:53], v[54:55], v[58:59]
	v_mul_f64 v[56:57], v[48:49], v[52:53]
	v_fma_f64 v[60:61], v[52:53], v[48:49], -v[56:57]
	v_fmac_f64_e32 v[60:61], v[52:53], v[44:45]
	v_add_f64 v[62:63], v[56:57], v[60:61]
	v_add_f64 v[64:65], v[54:55], -v[62:63]
	v_add_f64 v[54:55], v[54:55], -v[64:65]
	;; [unrolled: 1-line block ×4, first 2 shown]
	v_add_f64 v[50:51], v[50:51], v[54:55]
	v_add_f64 v[54:55], v[56:57], -v[60:61]
	v_add_f64 v[50:51], v[54:55], v[50:51]
	v_add_f64 v[54:55], v[64:65], v[50:51]
	v_add_f64 v[56:57], v[64:65], -v[54:55]
	v_add_f64 v[50:51], v[50:51], v[56:57]
	v_mul_f64 v[56:57], v[58:59], v[54:55]
	v_mul_f64 v[60:61], v[48:49], v[56:57]
	v_fma_f64 v[48:49], v[56:57], v[48:49], -v[60:61]
	v_fmac_f64_e32 v[48:49], v[56:57], v[44:45]
	v_add_f64 v[44:45], v[60:61], v[48:49]
	v_add_f64 v[62:63], v[54:55], -v[44:45]
	v_add_f64 v[54:55], v[54:55], -v[62:63]
	;; [unrolled: 1-line block ×4, first 2 shown]
	v_add_f64 v[44:45], v[50:51], v[44:45]
	v_add_f64 v[48:49], v[60:61], -v[48:49]
	v_add_f64 v[44:45], v[48:49], v[44:45]
	v_add_f64 v[48:49], v[52:53], v[56:57]
	;; [unrolled: 1-line block ×3, first 2 shown]
	v_add_f64 v[50:51], v[48:49], -v[52:53]
	v_mul_f64 v[44:45], v[58:59], v[44:45]
	v_add_f64 v[50:51], v[56:57], -v[50:51]
	v_add_f64 v[44:45], v[50:51], v[44:45]
	v_add_f64 v[50:51], v[48:49], v[44:45]
	v_add_f64 v[48:49], v[50:51], -v[48:49]
	s_mov_b32 s18, 0xbf559e2b
	v_add_f64 v[44:45], v[44:45], -v[48:49]
	v_mul_f64 v[48:49], v[50:51], v[50:51]
	v_mov_b32_e32 v52, 0x6b47b09a
	v_mov_b32_e32 v53, 0x3fc38538
	s_mov_b32 s19, 0x3fc3ab76
	v_fmac_f64_e32 v[52:53], s[18:19], v[48:49]
	v_mov_b32_e32 v54, 0xd7f4df2e
	v_mov_b32_e32 v55, 0x3fc7474d
	v_fmac_f64_e32 v[54:55], v[48:49], v[52:53]
	v_mov_b32_e32 v52, 0x16291751
	v_mov_b32_e32 v53, 0x3fcc71c0
	;; [unrolled: 3-line block ×5, first 2 shown]
	v_fmac_f64_e32 v[54:55], v[48:49], v[52:53]
	v_cvt_f64_i32_e32 v[52:53], v66
	v_mul_f64 v[56:57], v[52:53], s[42:43]
	v_fma_f64 v[58:59], v[52:53], s[42:43], -v[56:57]
	v_fmac_f64_e32 v[58:59], s[44:45], v[52:53]
	v_add_f64 v[52:53], v[56:57], v[58:59]
	v_add_f64 v[56:57], v[52:53], -v[56:57]
	v_mul_f64 v[48:49], v[50:51], v[48:49]
	v_add_f64 v[56:57], v[58:59], -v[56:57]
	v_ldexp_f64 v[58:59], v[50:51], 1
	v_mul_f64 v[48:49], v[48:49], v[54:55]
	v_add_f64 v[50:51], v[58:59], v[48:49]
	v_add_f64 v[54:55], v[50:51], -v[58:59]
	v_ldexp_f64 v[44:45], v[44:45], 1
	v_add_f64 v[48:49], v[48:49], -v[54:55]
	v_add_f64 v[44:45], v[44:45], v[48:49]
	v_add_f64 v[48:49], v[50:51], v[44:45]
	v_add_f64 v[50:51], v[48:49], -v[50:51]
	v_add_f64 v[44:45], v[44:45], -v[50:51]
	v_add_f64 v[50:51], v[52:53], v[48:49]
	v_add_f64 v[54:55], v[50:51], -v[52:53]
	v_add_f64 v[58:59], v[50:51], -v[54:55]
	;; [unrolled: 1-line block ×4, first 2 shown]
	v_add_f64 v[48:49], v[48:49], v[52:53]
	v_add_f64 v[52:53], v[56:57], v[44:45]
	v_add_f64 v[54:55], v[52:53], -v[56:57]
	v_add_f64 v[48:49], v[52:53], v[48:49]
	v_add_f64 v[58:59], v[52:53], -v[54:55]
	;; [unrolled: 2-line block ×3, first 2 shown]
	v_add_f64 v[44:45], v[44:45], -v[54:55]
	v_add_f64 v[50:51], v[52:53], -v[50:51]
	v_add_f64 v[44:45], v[44:45], v[56:57]
	v_add_f64 v[48:49], v[48:49], -v[50:51]
	s_mov_b32 s18, 0
	v_add_f64 v[44:45], v[44:45], v[48:49]
	s_mov_b32 s19, 0x7ff00000
	v_add_f64 v[44:45], v[52:53], v[44:45]
	v_cmp_neq_f64_e64 s[18:19], s[18:19], v[42:43]
	s_nop 1
	v_cndmask_b32_e64 v45, v47, v45, s[18:19]
	v_mov_b32_e32 v47, 0x7ff80000
	v_cndmask_b32_e64 v45, v47, v45, s[20:21]
	v_cmp_nge_f64_e64 s[20:21], -1.0, v[42:43]
	s_and_b64 s[18:19], s[20:21], s[18:19]
	v_cndmask_b32_e64 v44, 0, v44, s[18:19]
	v_mov_b32_e32 v47, 0xfff00000
	v_cmp_neq_f64_e64 s[18:19], -1.0, v[42:43]
	s_nop 1
	v_cndmask_b32_e64 v45, v47, v45, s[18:19]
	v_add_f64 v[42:43], v[10:11], v[44:45]
.LBB66_198:
	s_or_b64 exec, exec, s[28:29]
	v_mov_b64_e32 v[10:11], v[42:43]
	v_mov_b32_e32 v44, v42
	v_mov_b32_e32 v45, v43
.LBB66_199:
	s_or_b64 exec, exec, s[24:25]
	v_and_b32_e32 v47, 16, v46
	v_mov_b32_dpp v42, v44 row_bcast:15 row_mask:0xf bank_mask:0xf
	v_mov_b32_dpp v43, v45 row_bcast:15 row_mask:0xf bank_mask:0xf
	v_cmp_ne_u32_e64 s[18:19], 0, v47
	s_and_saveexec_b64 s[24:25], s[18:19]
	s_cbranch_execz .LBB66_203
; %bb.200:
	v_max_f64 v[48:49], v[42:43], v[42:43]
	v_max_f64 v[50:51], v[10:11], v[10:11]
	v_min_f64 v[44:45], v[48:49], v[50:51]
	v_cmp_u_f64_e64 s[18:19], v[42:43], v[42:43]
	v_max_f64 v[48:49], v[48:49], v[50:51]
	v_cmp_u_f64_e64 s[20:21], v[10:11], v[10:11]
	v_cndmask_b32_e64 v45, v45, v43, s[18:19]
	v_cndmask_b32_e64 v44, v44, v42, s[18:19]
	;; [unrolled: 1-line block ×8, first 2 shown]
	s_movk_i32 s20, 0x1f8
	v_cmp_neq_f64_e64 s[18:19], v[44:45], v[10:11]
	v_cmp_class_f64_e64 s[20:21], v[44:45], s20
	s_or_b64 s[18:19], s[18:19], s[20:21]
	s_and_saveexec_b64 s[28:29], s[18:19]
	s_cbranch_execz .LBB66_202
; %bb.201:
	s_mov_b32 s18, 0x652b82fe
	v_add_f64 v[42:43], v[44:45], -v[10:11]
	s_mov_b32 s19, 0x3ff71547
	v_mul_f64 v[44:45], v[42:43], s[18:19]
	v_rndne_f64_e32 v[44:45], v[44:45]
	s_mov_b32 s43, 0xbfe62e42
	s_mov_b32 s42, 0xfefa39ef
	v_fma_f64 v[48:49], s[42:43], v[44:45], v[42:43]
	s_mov_b32 s45, 0xbc7abc9e
	s_mov_b32 s44, 0x3b39803f
	;; [unrolled: 1-line block ×3, first 2 shown]
	v_fmac_f64_e32 v[48:49], s[44:45], v[44:45]
	v_mov_b32_e32 v50, 0xfca7ab0c
	v_mov_b32_e32 v51, 0x3e928af3
	s_mov_b32 s19, 0x3e5ade15
	v_fmac_f64_e32 v[50:51], s[18:19], v[48:49]
	v_mov_b32_e32 v52, 0x623fde64
	v_mov_b32_e32 v53, 0x3ec71dee
	v_fmac_f64_e32 v[52:53], v[48:49], v[50:51]
	v_mov_b32_e32 v50, 0x7c89e6b0
	v_mov_b32_e32 v51, 0x3efa0199
	;; [unrolled: 3-line block ×8, first 2 shown]
	v_fmac_f64_e32 v[50:51], v[48:49], v[52:53]
	v_fma_f64 v[50:51], v[48:49], v[50:51], 1.0
	s_mov_b32 s18, 0
	s_mov_b32 s20, 0
	v_fma_f64 v[48:49], v[48:49], v[50:51], 1.0
	v_cvt_i32_f64_e32 v44, v[44:45]
	s_mov_b32 s19, 0x40900000
	s_mov_b32 s21, 0xc090cc00
	v_ldexp_f64 v[44:45], v[48:49], v44
	v_mov_b32_e32 v47, 0x7ff00000
	v_cmp_nlt_f64_e64 s[18:19], s[18:19], v[42:43]
	v_cmp_ngt_f64_e64 s[20:21], s[20:21], v[42:43]
	s_mov_b32 s43, 0x3fe62e42
	v_cndmask_b32_e64 v45, v47, v45, s[18:19]
	s_and_b64 s[18:19], s[20:21], s[18:19]
	v_cndmask_b32_e64 v43, 0, v45, s[20:21]
	v_cndmask_b32_e64 v42, 0, v44, s[18:19]
	v_add_f64 v[44:45], v[42:43], 1.0
	v_add_f64 v[48:49], v[44:45], -1.0
	v_add_f64 v[50:51], v[48:49], -v[44:45]
	v_add_f64 v[50:51], v[50:51], 1.0
	v_add_f64 v[48:49], v[42:43], -v[48:49]
	s_mov_b32 s18, 0x55555555
	v_add_f64 v[48:49], v[48:49], v[50:51]
	v_frexp_mant_f64_e32 v[50:51], v[44:45]
	s_mov_b32 s19, 0x3fe55555
	v_frexp_exp_i32_f64_e32 v52, v[44:45]
	v_cmp_gt_f64_e64 s[18:19], s[18:19], v[50:51]
	s_mov_b32 s45, 0x3c7abc9e
	v_cmp_ngt_f64_e64 s[20:21], -1.0, v[42:43]
	v_subbrev_co_u32_e64 v66, s[18:19], 0, v52, s[18:19]
	v_sub_u32_e32 v50, 0, v66
	v_ldexp_f64 v[44:45], v[44:45], v50
	v_ldexp_f64 v[48:49], v[48:49], v50
	v_add_f64 v[50:51], v[44:45], -1.0
	v_add_f64 v[56:57], v[44:45], 1.0
	v_add_f64 v[52:53], v[50:51], 1.0
	v_add_f64 v[58:59], v[56:57], -1.0
	v_add_f64 v[52:53], v[44:45], -v[52:53]
	v_add_f64 v[44:45], v[44:45], -v[58:59]
	v_add_f64 v[44:45], v[48:49], v[44:45]
	v_add_f64 v[52:53], v[48:49], v[52:53]
	;; [unrolled: 1-line block ×3, first 2 shown]
	v_rcp_f64_e32 v[58:59], v[48:49]
	v_add_f64 v[54:55], v[50:51], v[52:53]
	v_add_f64 v[50:51], v[54:55], -v[50:51]
	v_add_f64 v[50:51], v[52:53], -v[50:51]
	;; [unrolled: 1-line block ×4, first 2 shown]
	v_fma_f64 v[52:53], -v[48:49], v[58:59], 1.0
	v_fmac_f64_e32 v[58:59], v[52:53], v[58:59]
	v_fma_f64 v[52:53], -v[48:49], v[58:59], 1.0
	v_fmac_f64_e32 v[58:59], v[52:53], v[58:59]
	v_mul_f64 v[52:53], v[54:55], v[58:59]
	v_mul_f64 v[56:57], v[48:49], v[52:53]
	v_fma_f64 v[60:61], v[52:53], v[48:49], -v[56:57]
	v_fmac_f64_e32 v[60:61], v[52:53], v[44:45]
	v_add_f64 v[62:63], v[56:57], v[60:61]
	v_add_f64 v[64:65], v[54:55], -v[62:63]
	v_add_f64 v[54:55], v[54:55], -v[64:65]
	;; [unrolled: 1-line block ×4, first 2 shown]
	v_add_f64 v[50:51], v[50:51], v[54:55]
	v_add_f64 v[54:55], v[56:57], -v[60:61]
	v_add_f64 v[50:51], v[54:55], v[50:51]
	v_add_f64 v[54:55], v[64:65], v[50:51]
	v_add_f64 v[56:57], v[64:65], -v[54:55]
	v_add_f64 v[50:51], v[50:51], v[56:57]
	v_mul_f64 v[56:57], v[58:59], v[54:55]
	v_mul_f64 v[60:61], v[48:49], v[56:57]
	v_fma_f64 v[48:49], v[56:57], v[48:49], -v[60:61]
	v_fmac_f64_e32 v[48:49], v[56:57], v[44:45]
	v_add_f64 v[44:45], v[60:61], v[48:49]
	v_add_f64 v[62:63], v[54:55], -v[44:45]
	v_add_f64 v[54:55], v[54:55], -v[62:63]
	;; [unrolled: 1-line block ×4, first 2 shown]
	v_add_f64 v[44:45], v[50:51], v[44:45]
	v_add_f64 v[48:49], v[60:61], -v[48:49]
	v_add_f64 v[44:45], v[48:49], v[44:45]
	v_add_f64 v[48:49], v[52:53], v[56:57]
	;; [unrolled: 1-line block ×3, first 2 shown]
	v_add_f64 v[50:51], v[48:49], -v[52:53]
	v_mul_f64 v[44:45], v[58:59], v[44:45]
	v_add_f64 v[50:51], v[56:57], -v[50:51]
	v_add_f64 v[44:45], v[50:51], v[44:45]
	v_add_f64 v[50:51], v[48:49], v[44:45]
	v_add_f64 v[48:49], v[50:51], -v[48:49]
	s_mov_b32 s18, 0xbf559e2b
	v_add_f64 v[44:45], v[44:45], -v[48:49]
	v_mul_f64 v[48:49], v[50:51], v[50:51]
	v_mov_b32_e32 v52, 0x6b47b09a
	v_mov_b32_e32 v53, 0x3fc38538
	s_mov_b32 s19, 0x3fc3ab76
	v_fmac_f64_e32 v[52:53], s[18:19], v[48:49]
	v_mov_b32_e32 v54, 0xd7f4df2e
	v_mov_b32_e32 v55, 0x3fc7474d
	v_fmac_f64_e32 v[54:55], v[48:49], v[52:53]
	v_mov_b32_e32 v52, 0x16291751
	v_mov_b32_e32 v53, 0x3fcc71c0
	;; [unrolled: 3-line block ×5, first 2 shown]
	v_fmac_f64_e32 v[54:55], v[48:49], v[52:53]
	v_cvt_f64_i32_e32 v[52:53], v66
	v_mul_f64 v[56:57], v[52:53], s[42:43]
	v_fma_f64 v[58:59], v[52:53], s[42:43], -v[56:57]
	v_fmac_f64_e32 v[58:59], s[44:45], v[52:53]
	v_add_f64 v[52:53], v[56:57], v[58:59]
	v_add_f64 v[56:57], v[52:53], -v[56:57]
	v_mul_f64 v[48:49], v[50:51], v[48:49]
	v_add_f64 v[56:57], v[58:59], -v[56:57]
	v_ldexp_f64 v[58:59], v[50:51], 1
	v_mul_f64 v[48:49], v[48:49], v[54:55]
	v_add_f64 v[50:51], v[58:59], v[48:49]
	v_add_f64 v[54:55], v[50:51], -v[58:59]
	v_ldexp_f64 v[44:45], v[44:45], 1
	v_add_f64 v[48:49], v[48:49], -v[54:55]
	v_add_f64 v[44:45], v[44:45], v[48:49]
	v_add_f64 v[48:49], v[50:51], v[44:45]
	v_add_f64 v[50:51], v[48:49], -v[50:51]
	v_add_f64 v[44:45], v[44:45], -v[50:51]
	v_add_f64 v[50:51], v[52:53], v[48:49]
	v_add_f64 v[54:55], v[50:51], -v[52:53]
	v_add_f64 v[58:59], v[50:51], -v[54:55]
	v_add_f64 v[52:53], v[52:53], -v[58:59]
	v_add_f64 v[48:49], v[48:49], -v[54:55]
	v_add_f64 v[48:49], v[48:49], v[52:53]
	v_add_f64 v[52:53], v[56:57], v[44:45]
	v_add_f64 v[54:55], v[52:53], -v[56:57]
	v_add_f64 v[48:49], v[52:53], v[48:49]
	v_add_f64 v[58:59], v[52:53], -v[54:55]
	;; [unrolled: 2-line block ×3, first 2 shown]
	v_add_f64 v[44:45], v[44:45], -v[54:55]
	v_add_f64 v[50:51], v[52:53], -v[50:51]
	v_add_f64 v[44:45], v[44:45], v[56:57]
	v_add_f64 v[48:49], v[48:49], -v[50:51]
	s_mov_b32 s18, 0
	v_add_f64 v[44:45], v[44:45], v[48:49]
	s_mov_b32 s19, 0x7ff00000
	v_add_f64 v[44:45], v[52:53], v[44:45]
	v_cmp_neq_f64_e64 s[18:19], s[18:19], v[42:43]
	s_nop 1
	v_cndmask_b32_e64 v45, v47, v45, s[18:19]
	v_mov_b32_e32 v47, 0x7ff80000
	v_cndmask_b32_e64 v45, v47, v45, s[20:21]
	v_cmp_nge_f64_e64 s[20:21], -1.0, v[42:43]
	s_and_b64 s[18:19], s[20:21], s[18:19]
	v_cndmask_b32_e64 v44, 0, v44, s[18:19]
	v_mov_b32_e32 v47, 0xfff00000
	v_cmp_neq_f64_e64 s[18:19], -1.0, v[42:43]
	s_nop 1
	v_cndmask_b32_e64 v45, v47, v45, s[18:19]
	v_add_f64 v[42:43], v[10:11], v[44:45]
.LBB66_202:
	s_or_b64 exec, exec, s[28:29]
	v_mov_b32_e32 v44, v42
	v_mov_b32_e32 v45, v43
	v_mov_b64_e32 v[10:11], v[42:43]
.LBB66_203:
	s_or_b64 exec, exec, s[24:25]
	v_mov_b32_dpp v42, v44 row_bcast:31 row_mask:0xf bank_mask:0xf
	v_mov_b32_dpp v43, v45 row_bcast:31 row_mask:0xf bank_mask:0xf
	v_cmp_lt_u32_e64 s[18:19], 31, v46
	s_and_saveexec_b64 s[24:25], s[18:19]
	s_cbranch_execz .LBB66_207
; %bb.204:
	v_max_f64 v[48:49], v[42:43], v[42:43]
	v_max_f64 v[50:51], v[10:11], v[10:11]
	v_min_f64 v[44:45], v[48:49], v[50:51]
	v_cmp_u_f64_e64 s[18:19], v[42:43], v[42:43]
	v_max_f64 v[48:49], v[48:49], v[50:51]
	v_cmp_u_f64_e64 s[20:21], v[10:11], v[10:11]
	v_cndmask_b32_e64 v45, v45, v43, s[18:19]
	v_cndmask_b32_e64 v44, v44, v42, s[18:19]
	;; [unrolled: 1-line block ×8, first 2 shown]
	s_movk_i32 s20, 0x1f8
	v_cmp_neq_f64_e64 s[18:19], v[44:45], v[10:11]
	v_cmp_class_f64_e64 s[20:21], v[44:45], s20
	s_or_b64 s[18:19], s[18:19], s[20:21]
	s_and_saveexec_b64 s[28:29], s[18:19]
	s_cbranch_execz .LBB66_206
; %bb.205:
	s_mov_b32 s18, 0x652b82fe
	v_add_f64 v[42:43], v[44:45], -v[10:11]
	s_mov_b32 s19, 0x3ff71547
	v_mul_f64 v[44:45], v[42:43], s[18:19]
	v_rndne_f64_e32 v[44:45], v[44:45]
	s_mov_b32 s43, 0xbfe62e42
	s_mov_b32 s42, 0xfefa39ef
	v_fma_f64 v[48:49], s[42:43], v[44:45], v[42:43]
	s_mov_b32 s45, 0xbc7abc9e
	s_mov_b32 s44, 0x3b39803f
	;; [unrolled: 1-line block ×3, first 2 shown]
	v_fmac_f64_e32 v[48:49], s[44:45], v[44:45]
	v_mov_b32_e32 v50, 0xfca7ab0c
	v_mov_b32_e32 v51, 0x3e928af3
	s_mov_b32 s19, 0x3e5ade15
	v_fmac_f64_e32 v[50:51], s[18:19], v[48:49]
	v_mov_b32_e32 v52, 0x623fde64
	v_mov_b32_e32 v53, 0x3ec71dee
	v_fmac_f64_e32 v[52:53], v[48:49], v[50:51]
	v_mov_b32_e32 v50, 0x7c89e6b0
	v_mov_b32_e32 v51, 0x3efa0199
	;; [unrolled: 3-line block ×8, first 2 shown]
	v_fmac_f64_e32 v[50:51], v[48:49], v[52:53]
	v_fma_f64 v[50:51], v[48:49], v[50:51], 1.0
	s_mov_b32 s18, 0
	s_mov_b32 s20, 0
	v_fma_f64 v[48:49], v[48:49], v[50:51], 1.0
	v_cvt_i32_f64_e32 v44, v[44:45]
	s_mov_b32 s19, 0x40900000
	s_mov_b32 s21, 0xc090cc00
	v_ldexp_f64 v[44:45], v[48:49], v44
	v_mov_b32_e32 v47, 0x7ff00000
	v_cmp_nlt_f64_e64 s[18:19], s[18:19], v[42:43]
	v_cmp_ngt_f64_e64 s[20:21], s[20:21], v[42:43]
	s_mov_b32 s43, 0x3fe62e42
	v_cndmask_b32_e64 v45, v47, v45, s[18:19]
	s_and_b64 s[18:19], s[20:21], s[18:19]
	v_cndmask_b32_e64 v43, 0, v45, s[20:21]
	v_cndmask_b32_e64 v42, 0, v44, s[18:19]
	v_add_f64 v[44:45], v[42:43], 1.0
	v_add_f64 v[48:49], v[44:45], -1.0
	v_add_f64 v[50:51], v[48:49], -v[44:45]
	v_add_f64 v[50:51], v[50:51], 1.0
	v_add_f64 v[48:49], v[42:43], -v[48:49]
	s_mov_b32 s18, 0x55555555
	v_add_f64 v[48:49], v[48:49], v[50:51]
	v_frexp_mant_f64_e32 v[50:51], v[44:45]
	s_mov_b32 s19, 0x3fe55555
	v_frexp_exp_i32_f64_e32 v52, v[44:45]
	v_cmp_gt_f64_e64 s[18:19], s[18:19], v[50:51]
	s_mov_b32 s45, 0x3c7abc9e
	v_cmp_ngt_f64_e64 s[20:21], -1.0, v[42:43]
	v_subbrev_co_u32_e64 v66, s[18:19], 0, v52, s[18:19]
	v_sub_u32_e32 v50, 0, v66
	v_ldexp_f64 v[44:45], v[44:45], v50
	v_ldexp_f64 v[48:49], v[48:49], v50
	v_add_f64 v[50:51], v[44:45], -1.0
	v_add_f64 v[56:57], v[44:45], 1.0
	v_add_f64 v[52:53], v[50:51], 1.0
	v_add_f64 v[58:59], v[56:57], -1.0
	v_add_f64 v[52:53], v[44:45], -v[52:53]
	v_add_f64 v[44:45], v[44:45], -v[58:59]
	v_add_f64 v[44:45], v[48:49], v[44:45]
	v_add_f64 v[52:53], v[48:49], v[52:53]
	;; [unrolled: 1-line block ×3, first 2 shown]
	v_rcp_f64_e32 v[58:59], v[48:49]
	v_add_f64 v[54:55], v[50:51], v[52:53]
	v_add_f64 v[50:51], v[54:55], -v[50:51]
	v_add_f64 v[50:51], v[52:53], -v[50:51]
	;; [unrolled: 1-line block ×4, first 2 shown]
	v_fma_f64 v[52:53], -v[48:49], v[58:59], 1.0
	v_fmac_f64_e32 v[58:59], v[52:53], v[58:59]
	v_fma_f64 v[52:53], -v[48:49], v[58:59], 1.0
	v_fmac_f64_e32 v[58:59], v[52:53], v[58:59]
	v_mul_f64 v[52:53], v[54:55], v[58:59]
	v_mul_f64 v[56:57], v[48:49], v[52:53]
	v_fma_f64 v[60:61], v[52:53], v[48:49], -v[56:57]
	v_fmac_f64_e32 v[60:61], v[52:53], v[44:45]
	v_add_f64 v[62:63], v[56:57], v[60:61]
	v_add_f64 v[64:65], v[54:55], -v[62:63]
	v_add_f64 v[54:55], v[54:55], -v[64:65]
	v_add_f64 v[56:57], v[62:63], -v[56:57]
	v_add_f64 v[54:55], v[54:55], -v[62:63]
	v_add_f64 v[50:51], v[50:51], v[54:55]
	v_add_f64 v[54:55], v[56:57], -v[60:61]
	v_add_f64 v[50:51], v[54:55], v[50:51]
	v_add_f64 v[54:55], v[64:65], v[50:51]
	v_add_f64 v[56:57], v[64:65], -v[54:55]
	v_add_f64 v[50:51], v[50:51], v[56:57]
	v_mul_f64 v[56:57], v[58:59], v[54:55]
	v_mul_f64 v[60:61], v[48:49], v[56:57]
	v_fma_f64 v[48:49], v[56:57], v[48:49], -v[60:61]
	v_fmac_f64_e32 v[48:49], v[56:57], v[44:45]
	v_add_f64 v[44:45], v[60:61], v[48:49]
	v_add_f64 v[62:63], v[54:55], -v[44:45]
	v_add_f64 v[54:55], v[54:55], -v[62:63]
	;; [unrolled: 1-line block ×4, first 2 shown]
	v_add_f64 v[44:45], v[50:51], v[44:45]
	v_add_f64 v[48:49], v[60:61], -v[48:49]
	v_add_f64 v[44:45], v[48:49], v[44:45]
	v_add_f64 v[48:49], v[52:53], v[56:57]
	;; [unrolled: 1-line block ×3, first 2 shown]
	v_add_f64 v[50:51], v[48:49], -v[52:53]
	v_mul_f64 v[44:45], v[58:59], v[44:45]
	v_add_f64 v[50:51], v[56:57], -v[50:51]
	v_add_f64 v[44:45], v[50:51], v[44:45]
	v_add_f64 v[50:51], v[48:49], v[44:45]
	v_add_f64 v[48:49], v[50:51], -v[48:49]
	s_mov_b32 s18, 0xbf559e2b
	v_add_f64 v[44:45], v[44:45], -v[48:49]
	v_mul_f64 v[48:49], v[50:51], v[50:51]
	v_mov_b32_e32 v52, 0x6b47b09a
	v_mov_b32_e32 v53, 0x3fc38538
	s_mov_b32 s19, 0x3fc3ab76
	v_fmac_f64_e32 v[52:53], s[18:19], v[48:49]
	v_mov_b32_e32 v54, 0xd7f4df2e
	v_mov_b32_e32 v55, 0x3fc7474d
	v_fmac_f64_e32 v[54:55], v[48:49], v[52:53]
	v_mov_b32_e32 v52, 0x16291751
	v_mov_b32_e32 v53, 0x3fcc71c0
	;; [unrolled: 3-line block ×5, first 2 shown]
	v_fmac_f64_e32 v[54:55], v[48:49], v[52:53]
	v_cvt_f64_i32_e32 v[52:53], v66
	v_mul_f64 v[56:57], v[52:53], s[42:43]
	v_fma_f64 v[58:59], v[52:53], s[42:43], -v[56:57]
	v_fmac_f64_e32 v[58:59], s[44:45], v[52:53]
	v_add_f64 v[52:53], v[56:57], v[58:59]
	v_add_f64 v[56:57], v[52:53], -v[56:57]
	v_mul_f64 v[48:49], v[50:51], v[48:49]
	v_add_f64 v[56:57], v[58:59], -v[56:57]
	v_ldexp_f64 v[58:59], v[50:51], 1
	v_mul_f64 v[48:49], v[48:49], v[54:55]
	v_add_f64 v[50:51], v[58:59], v[48:49]
	v_add_f64 v[54:55], v[50:51], -v[58:59]
	v_ldexp_f64 v[44:45], v[44:45], 1
	v_add_f64 v[48:49], v[48:49], -v[54:55]
	v_add_f64 v[44:45], v[44:45], v[48:49]
	v_add_f64 v[48:49], v[50:51], v[44:45]
	v_add_f64 v[50:51], v[48:49], -v[50:51]
	v_add_f64 v[44:45], v[44:45], -v[50:51]
	v_add_f64 v[50:51], v[52:53], v[48:49]
	v_add_f64 v[54:55], v[50:51], -v[52:53]
	v_add_f64 v[58:59], v[50:51], -v[54:55]
	;; [unrolled: 1-line block ×4, first 2 shown]
	v_add_f64 v[48:49], v[48:49], v[52:53]
	v_add_f64 v[52:53], v[56:57], v[44:45]
	v_add_f64 v[54:55], v[52:53], -v[56:57]
	v_add_f64 v[48:49], v[52:53], v[48:49]
	v_add_f64 v[58:59], v[52:53], -v[54:55]
	;; [unrolled: 2-line block ×3, first 2 shown]
	v_add_f64 v[44:45], v[44:45], -v[54:55]
	v_add_f64 v[50:51], v[52:53], -v[50:51]
	v_add_f64 v[44:45], v[44:45], v[56:57]
	v_add_f64 v[48:49], v[48:49], -v[50:51]
	s_mov_b32 s18, 0
	v_add_f64 v[44:45], v[44:45], v[48:49]
	s_mov_b32 s19, 0x7ff00000
	v_add_f64 v[44:45], v[52:53], v[44:45]
	v_cmp_neq_f64_e64 s[18:19], s[18:19], v[42:43]
	s_nop 1
	v_cndmask_b32_e64 v45, v47, v45, s[18:19]
	v_mov_b32_e32 v47, 0x7ff80000
	v_cndmask_b32_e64 v45, v47, v45, s[20:21]
	v_cmp_nge_f64_e64 s[20:21], -1.0, v[42:43]
	s_and_b64 s[18:19], s[20:21], s[18:19]
	v_cndmask_b32_e64 v44, 0, v44, s[18:19]
	v_mov_b32_e32 v47, 0xfff00000
	v_cmp_neq_f64_e64 s[18:19], -1.0, v[42:43]
	s_nop 1
	v_cndmask_b32_e64 v45, v47, v45, s[18:19]
	v_add_f64 v[42:43], v[10:11], v[44:45]
.LBB66_206:
	s_or_b64 exec, exec, s[28:29]
	v_mov_b64_e32 v[10:11], v[42:43]
.LBB66_207:
	s_or_b64 exec, exec, s[24:25]
	v_add_u32_e32 v42, -1, v46
	v_and_b32_e32 v43, 64, v46
	v_cmp_lt_i32_e64 s[18:19], v42, v43
	s_movk_i32 s42, 0x1f8
	s_nop 0
	v_cndmask_b32_e64 v42, v42, v46, s[18:19]
	v_lshlrev_b32_e32 v42, 2, v42
	ds_bpermute_b32 v10, v42, v10
	ds_bpermute_b32 v11, v42, v11
	s_waitcnt lgkmcnt(0)
	v_max_f64 v[44:45], v[10:11], v[10:11]
	v_min_f64 v[42:43], v[44:45], v[40:41]
	v_cmp_u_f64_e64 s[18:19], v[10:11], v[10:11]
	v_max_f64 v[40:41], v[44:45], v[40:41]
	s_nop 0
	v_cndmask_b32_e64 v42, v42, v10, s[18:19]
	v_cndmask_b32_e64 v43, v43, v11, s[18:19]
	;; [unrolled: 1-line block ×8, first 2 shown]
	v_cmp_neq_f64_e64 s[16:17], v[42:43], v[8:9]
	v_cmp_class_f64_e64 s[18:19], v[42:43], s42
	s_or_b64 s[16:17], s[16:17], s[18:19]
	s_and_saveexec_b64 s[20:21], s[16:17]
	s_cbranch_execz .LBB66_209
; %bb.208:
	s_mov_b32 s16, 0x652b82fe
	v_add_f64 v[10:11], v[42:43], -v[8:9]
	s_mov_b32 s17, 0x3ff71547
	v_mul_f64 v[40:41], v[10:11], s[16:17]
	v_rndne_f64_e32 v[40:41], v[40:41]
	s_mov_b32 s25, 0xbfe62e42
	s_mov_b32 s24, 0xfefa39ef
	v_fma_f64 v[42:43], s[24:25], v[40:41], v[10:11]
	s_mov_b32 s29, 0xbc7abc9e
	s_mov_b32 s28, 0x3b39803f
	;; [unrolled: 1-line block ×3, first 2 shown]
	v_fmac_f64_e32 v[42:43], s[28:29], v[40:41]
	v_mov_b32_e32 v44, 0xfca7ab0c
	v_mov_b32_e32 v45, 0x3e928af3
	s_mov_b32 s17, 0x3e5ade15
	v_fmac_f64_e32 v[44:45], s[16:17], v[42:43]
	v_mov_b32_e32 v46, 0x623fde64
	v_mov_b32_e32 v47, 0x3ec71dee
	v_fmac_f64_e32 v[46:47], v[42:43], v[44:45]
	v_mov_b32_e32 v44, 0x7c89e6b0
	v_mov_b32_e32 v45, 0x3efa0199
	;; [unrolled: 3-line block ×8, first 2 shown]
	v_fmac_f64_e32 v[44:45], v[42:43], v[46:47]
	v_fma_f64 v[44:45], v[42:43], v[44:45], 1.0
	s_mov_b32 s16, 0
	s_mov_b32 s18, 0
	v_fma_f64 v[42:43], v[42:43], v[44:45], 1.0
	v_cvt_i32_f64_e32 v40, v[40:41]
	s_mov_b32 s17, 0x40900000
	s_mov_b32 s19, 0xc090cc00
	v_ldexp_f64 v[40:41], v[42:43], v40
	v_mov_b32_e32 v60, 0x7ff00000
	v_cmp_nlt_f64_e64 s[16:17], s[16:17], v[10:11]
	v_cmp_ngt_f64_e64 s[18:19], s[18:19], v[10:11]
	s_mov_b32 s25, 0x3fe62e42
	v_cndmask_b32_e64 v41, v60, v41, s[16:17]
	s_and_b64 s[16:17], s[18:19], s[16:17]
	v_cndmask_b32_e64 v11, 0, v41, s[18:19]
	v_cndmask_b32_e64 v10, 0, v40, s[16:17]
	v_add_f64 v[40:41], v[10:11], 1.0
	v_add_f64 v[42:43], v[40:41], -1.0
	v_add_f64 v[44:45], v[42:43], -v[40:41]
	v_add_f64 v[44:45], v[44:45], 1.0
	v_add_f64 v[42:43], v[10:11], -v[42:43]
	s_mov_b32 s16, 0x55555555
	v_add_f64 v[42:43], v[42:43], v[44:45]
	v_frexp_mant_f64_e32 v[44:45], v[40:41]
	s_mov_b32 s17, 0x3fe55555
	v_frexp_exp_i32_f64_e32 v46, v[40:41]
	v_cmp_gt_f64_e64 s[16:17], s[16:17], v[44:45]
	s_mov_b32 s29, 0x3c7abc9e
	v_cmp_ngt_f64_e64 s[18:19], -1.0, v[10:11]
	v_subbrev_co_u32_e64 v61, s[16:17], 0, v46, s[16:17]
	v_sub_u32_e32 v44, 0, v61
	v_ldexp_f64 v[40:41], v[40:41], v44
	v_ldexp_f64 v[42:43], v[42:43], v44
	v_add_f64 v[44:45], v[40:41], -1.0
	v_add_f64 v[50:51], v[40:41], 1.0
	v_add_f64 v[46:47], v[44:45], 1.0
	v_add_f64 v[52:53], v[50:51], -1.0
	v_add_f64 v[46:47], v[40:41], -v[46:47]
	v_add_f64 v[40:41], v[40:41], -v[52:53]
	v_add_f64 v[40:41], v[42:43], v[40:41]
	v_add_f64 v[46:47], v[42:43], v[46:47]
	;; [unrolled: 1-line block ×3, first 2 shown]
	v_rcp_f64_e32 v[52:53], v[42:43]
	v_add_f64 v[48:49], v[44:45], v[46:47]
	v_add_f64 v[44:45], v[48:49], -v[44:45]
	v_add_f64 v[44:45], v[46:47], -v[44:45]
	;; [unrolled: 1-line block ×4, first 2 shown]
	v_fma_f64 v[46:47], -v[42:43], v[52:53], 1.0
	v_fmac_f64_e32 v[52:53], v[46:47], v[52:53]
	v_fma_f64 v[46:47], -v[42:43], v[52:53], 1.0
	v_fmac_f64_e32 v[52:53], v[46:47], v[52:53]
	v_mul_f64 v[46:47], v[48:49], v[52:53]
	v_mul_f64 v[50:51], v[42:43], v[46:47]
	v_fma_f64 v[54:55], v[46:47], v[42:43], -v[50:51]
	v_fmac_f64_e32 v[54:55], v[46:47], v[40:41]
	v_add_f64 v[56:57], v[50:51], v[54:55]
	v_add_f64 v[58:59], v[48:49], -v[56:57]
	v_add_f64 v[48:49], v[48:49], -v[58:59]
	;; [unrolled: 1-line block ×4, first 2 shown]
	v_add_f64 v[44:45], v[44:45], v[48:49]
	v_add_f64 v[48:49], v[50:51], -v[54:55]
	v_add_f64 v[44:45], v[48:49], v[44:45]
	v_add_f64 v[48:49], v[58:59], v[44:45]
	v_add_f64 v[50:51], v[58:59], -v[48:49]
	v_add_f64 v[44:45], v[44:45], v[50:51]
	v_mul_f64 v[50:51], v[52:53], v[48:49]
	v_mul_f64 v[54:55], v[42:43], v[50:51]
	v_fma_f64 v[42:43], v[50:51], v[42:43], -v[54:55]
	v_fmac_f64_e32 v[42:43], v[50:51], v[40:41]
	v_add_f64 v[40:41], v[54:55], v[42:43]
	v_add_f64 v[56:57], v[48:49], -v[40:41]
	v_add_f64 v[48:49], v[48:49], -v[56:57]
	;; [unrolled: 1-line block ×4, first 2 shown]
	v_add_f64 v[40:41], v[44:45], v[40:41]
	v_add_f64 v[42:43], v[54:55], -v[42:43]
	v_add_f64 v[40:41], v[42:43], v[40:41]
	v_add_f64 v[42:43], v[46:47], v[50:51]
	;; [unrolled: 1-line block ×3, first 2 shown]
	v_add_f64 v[44:45], v[42:43], -v[46:47]
	v_mul_f64 v[40:41], v[52:53], v[40:41]
	v_add_f64 v[44:45], v[50:51], -v[44:45]
	v_add_f64 v[40:41], v[44:45], v[40:41]
	v_add_f64 v[44:45], v[42:43], v[40:41]
	v_add_f64 v[42:43], v[44:45], -v[42:43]
	s_mov_b32 s16, 0xbf559e2b
	v_add_f64 v[40:41], v[40:41], -v[42:43]
	v_mul_f64 v[42:43], v[44:45], v[44:45]
	v_mov_b32_e32 v46, 0x6b47b09a
	v_mov_b32_e32 v47, 0x3fc38538
	s_mov_b32 s17, 0x3fc3ab76
	v_fmac_f64_e32 v[46:47], s[16:17], v[42:43]
	v_mov_b32_e32 v48, 0xd7f4df2e
	v_mov_b32_e32 v49, 0x3fc7474d
	v_fmac_f64_e32 v[48:49], v[42:43], v[46:47]
	v_mov_b32_e32 v46, 0x16291751
	v_mov_b32_e32 v47, 0x3fcc71c0
	;; [unrolled: 3-line block ×5, first 2 shown]
	v_fmac_f64_e32 v[48:49], v[42:43], v[46:47]
	v_cvt_f64_i32_e32 v[46:47], v61
	v_mul_f64 v[50:51], v[46:47], s[24:25]
	v_fma_f64 v[52:53], v[46:47], s[24:25], -v[50:51]
	v_fmac_f64_e32 v[52:53], s[28:29], v[46:47]
	v_add_f64 v[46:47], v[50:51], v[52:53]
	v_add_f64 v[50:51], v[46:47], -v[50:51]
	v_mul_f64 v[42:43], v[44:45], v[42:43]
	v_add_f64 v[50:51], v[52:53], -v[50:51]
	v_ldexp_f64 v[52:53], v[44:45], 1
	v_mul_f64 v[42:43], v[42:43], v[48:49]
	v_add_f64 v[44:45], v[52:53], v[42:43]
	v_add_f64 v[48:49], v[44:45], -v[52:53]
	v_ldexp_f64 v[40:41], v[40:41], 1
	v_add_f64 v[42:43], v[42:43], -v[48:49]
	v_add_f64 v[40:41], v[40:41], v[42:43]
	v_add_f64 v[42:43], v[44:45], v[40:41]
	v_add_f64 v[44:45], v[42:43], -v[44:45]
	v_add_f64 v[40:41], v[40:41], -v[44:45]
	v_add_f64 v[44:45], v[46:47], v[42:43]
	v_add_f64 v[48:49], v[44:45], -v[46:47]
	v_add_f64 v[52:53], v[44:45], -v[48:49]
	;; [unrolled: 1-line block ×4, first 2 shown]
	v_add_f64 v[42:43], v[42:43], v[46:47]
	v_add_f64 v[46:47], v[50:51], v[40:41]
	v_add_f64 v[48:49], v[46:47], -v[50:51]
	v_add_f64 v[42:43], v[46:47], v[42:43]
	v_add_f64 v[52:53], v[46:47], -v[48:49]
	;; [unrolled: 2-line block ×3, first 2 shown]
	v_add_f64 v[40:41], v[40:41], -v[48:49]
	v_add_f64 v[44:45], v[46:47], -v[44:45]
	v_add_f64 v[40:41], v[40:41], v[50:51]
	v_add_f64 v[42:43], v[42:43], -v[44:45]
	s_mov_b32 s16, 0
	v_add_f64 v[40:41], v[40:41], v[42:43]
	s_mov_b32 s17, 0x7ff00000
	v_add_f64 v[40:41], v[46:47], v[40:41]
	v_cmp_neq_f64_e64 s[16:17], s[16:17], v[10:11]
	v_mov_b32_e32 v42, 0x7ff80000
	s_nop 0
	v_cndmask_b32_e64 v41, v60, v41, s[16:17]
	v_cndmask_b32_e64 v41, v42, v41, s[18:19]
	v_cmp_nge_f64_e64 s[18:19], -1.0, v[10:11]
	s_and_b64 s[16:17], s[18:19], s[16:17]
	v_cndmask_b32_e64 v40, 0, v40, s[16:17]
	v_mov_b32_e32 v42, 0xfff00000
	v_cmp_neq_f64_e64 s[16:17], -1.0, v[10:11]
	s_nop 1
	v_cndmask_b32_e64 v41, v42, v41, s[16:17]
	v_add_f64 v[10:11], v[8:9], v[40:41]
.LBB66_209:
	s_or_b64 exec, exec, s[20:21]
	v_cndmask_b32_e64 v11, v11, v39, s[4:5]
	v_cndmask_b32_e64 v10, v10, v38, s[4:5]
	; wave barrier
	ds_write_b64 v31, v[10:11]
	; wave barrier
	ds_read_b64 v[8:9], v31 offset:8
	v_max_f64 v[40:41], v[10:11], v[10:11]
	v_cmp_u_f64_e64 s[4:5], v[10:11], v[10:11]
	s_waitcnt lgkmcnt(0)
	v_max_f64 v[42:43], v[8:9], v[8:9]
	v_min_f64 v[38:39], v[40:41], v[42:43]
	v_max_f64 v[40:41], v[40:41], v[42:43]
	v_cndmask_b32_e64 v38, v38, v10, s[4:5]
	v_cndmask_b32_e64 v39, v39, v11, s[4:5]
	v_cmp_u_f64_e64 s[16:17], v[8:9], v[8:9]
	v_cndmask_b32_e64 v40, v40, v10, s[4:5]
	v_cndmask_b32_e64 v41, v41, v11, s[4:5]
	;; [unrolled: 1-line block ×6, first 2 shown]
	v_cmp_neq_f64_e64 s[4:5], v[38:39], v[8:9]
	v_cmp_class_f64_e64 s[16:17], v[38:39], s42
	s_or_b64 s[4:5], s[4:5], s[16:17]
	s_and_saveexec_b64 s[18:19], s[4:5]
	s_cbranch_execz .LBB66_211
; %bb.210:
	s_mov_b32 s4, 0x652b82fe
	v_add_f64 v[10:11], v[38:39], -v[8:9]
	s_mov_b32 s5, 0x3ff71547
	v_mul_f64 v[38:39], v[10:11], s[4:5]
	v_rndne_f64_e32 v[38:39], v[38:39]
	s_mov_b32 s21, 0xbfe62e42
	s_mov_b32 s20, 0xfefa39ef
	v_fma_f64 v[40:41], s[20:21], v[38:39], v[10:11]
	s_mov_b32 s25, 0xbc7abc9e
	s_mov_b32 s24, 0x3b39803f
	;; [unrolled: 1-line block ×3, first 2 shown]
	v_fmac_f64_e32 v[40:41], s[24:25], v[38:39]
	v_mov_b32_e32 v42, 0xfca7ab0c
	v_mov_b32_e32 v43, 0x3e928af3
	s_mov_b32 s5, 0x3e5ade15
	v_fmac_f64_e32 v[42:43], s[4:5], v[40:41]
	v_mov_b32_e32 v44, 0x623fde64
	v_mov_b32_e32 v45, 0x3ec71dee
	v_fmac_f64_e32 v[44:45], v[40:41], v[42:43]
	v_mov_b32_e32 v42, 0x7c89e6b0
	v_mov_b32_e32 v43, 0x3efa0199
	;; [unrolled: 3-line block ×8, first 2 shown]
	v_fmac_f64_e32 v[42:43], v[40:41], v[44:45]
	v_fma_f64 v[42:43], v[40:41], v[42:43], 1.0
	s_mov_b32 s4, 0
	s_mov_b32 s16, 0
	v_fma_f64 v[40:41], v[40:41], v[42:43], 1.0
	v_cvt_i32_f64_e32 v38, v[38:39]
	s_mov_b32 s5, 0x40900000
	s_mov_b32 s17, 0xc090cc00
	v_ldexp_f64 v[38:39], v[40:41], v38
	v_mov_b32_e32 v58, 0x7ff00000
	v_cmp_nlt_f64_e64 s[4:5], s[4:5], v[10:11]
	v_cmp_ngt_f64_e64 s[16:17], s[16:17], v[10:11]
	s_mov_b32 s21, 0x3fe62e42
	v_cndmask_b32_e64 v39, v58, v39, s[4:5]
	s_and_b64 s[4:5], s[16:17], s[4:5]
	v_cndmask_b32_e64 v11, 0, v39, s[16:17]
	v_cndmask_b32_e64 v10, 0, v38, s[4:5]
	v_add_f64 v[38:39], v[10:11], 1.0
	v_add_f64 v[40:41], v[38:39], -1.0
	v_add_f64 v[42:43], v[40:41], -v[38:39]
	v_add_f64 v[42:43], v[42:43], 1.0
	v_add_f64 v[40:41], v[10:11], -v[40:41]
	s_mov_b32 s4, 0x55555555
	v_add_f64 v[40:41], v[40:41], v[42:43]
	v_frexp_mant_f64_e32 v[42:43], v[38:39]
	s_mov_b32 s5, 0x3fe55555
	v_frexp_exp_i32_f64_e32 v44, v[38:39]
	v_cmp_gt_f64_e64 s[4:5], s[4:5], v[42:43]
	s_mov_b32 s25, 0x3c7abc9e
	v_cmp_ngt_f64_e64 s[16:17], -1.0, v[10:11]
	v_subbrev_co_u32_e64 v59, s[4:5], 0, v44, s[4:5]
	v_sub_u32_e32 v42, 0, v59
	v_ldexp_f64 v[38:39], v[38:39], v42
	v_ldexp_f64 v[40:41], v[40:41], v42
	v_add_f64 v[42:43], v[38:39], -1.0
	v_add_f64 v[48:49], v[38:39], 1.0
	v_add_f64 v[44:45], v[42:43], 1.0
	v_add_f64 v[50:51], v[48:49], -1.0
	v_add_f64 v[44:45], v[38:39], -v[44:45]
	v_add_f64 v[38:39], v[38:39], -v[50:51]
	v_add_f64 v[38:39], v[40:41], v[38:39]
	v_add_f64 v[44:45], v[40:41], v[44:45]
	;; [unrolled: 1-line block ×3, first 2 shown]
	v_rcp_f64_e32 v[50:51], v[40:41]
	v_add_f64 v[46:47], v[42:43], v[44:45]
	v_add_f64 v[42:43], v[46:47], -v[42:43]
	v_add_f64 v[42:43], v[44:45], -v[42:43]
	v_add_f64 v[44:45], v[40:41], -v[48:49]
	v_add_f64 v[38:39], v[38:39], -v[44:45]
	v_fma_f64 v[44:45], -v[40:41], v[50:51], 1.0
	v_fmac_f64_e32 v[50:51], v[44:45], v[50:51]
	v_fma_f64 v[44:45], -v[40:41], v[50:51], 1.0
	v_fmac_f64_e32 v[50:51], v[44:45], v[50:51]
	v_mul_f64 v[44:45], v[46:47], v[50:51]
	v_mul_f64 v[48:49], v[40:41], v[44:45]
	v_fma_f64 v[52:53], v[44:45], v[40:41], -v[48:49]
	v_fmac_f64_e32 v[52:53], v[44:45], v[38:39]
	v_add_f64 v[54:55], v[48:49], v[52:53]
	v_add_f64 v[56:57], v[46:47], -v[54:55]
	v_add_f64 v[46:47], v[46:47], -v[56:57]
	;; [unrolled: 1-line block ×4, first 2 shown]
	v_add_f64 v[42:43], v[42:43], v[46:47]
	v_add_f64 v[46:47], v[48:49], -v[52:53]
	v_add_f64 v[42:43], v[46:47], v[42:43]
	v_add_f64 v[46:47], v[56:57], v[42:43]
	v_add_f64 v[48:49], v[56:57], -v[46:47]
	v_add_f64 v[42:43], v[42:43], v[48:49]
	v_mul_f64 v[48:49], v[50:51], v[46:47]
	v_mul_f64 v[52:53], v[40:41], v[48:49]
	v_fma_f64 v[40:41], v[48:49], v[40:41], -v[52:53]
	v_fmac_f64_e32 v[40:41], v[48:49], v[38:39]
	v_add_f64 v[38:39], v[52:53], v[40:41]
	v_add_f64 v[54:55], v[46:47], -v[38:39]
	v_add_f64 v[46:47], v[46:47], -v[54:55]
	;; [unrolled: 1-line block ×4, first 2 shown]
	v_add_f64 v[38:39], v[42:43], v[38:39]
	v_add_f64 v[40:41], v[52:53], -v[40:41]
	v_add_f64 v[38:39], v[40:41], v[38:39]
	v_add_f64 v[40:41], v[44:45], v[48:49]
	;; [unrolled: 1-line block ×3, first 2 shown]
	v_add_f64 v[42:43], v[40:41], -v[44:45]
	v_mul_f64 v[38:39], v[50:51], v[38:39]
	v_add_f64 v[42:43], v[48:49], -v[42:43]
	v_add_f64 v[38:39], v[42:43], v[38:39]
	v_add_f64 v[42:43], v[40:41], v[38:39]
	v_add_f64 v[40:41], v[42:43], -v[40:41]
	s_mov_b32 s4, 0xbf559e2b
	v_add_f64 v[38:39], v[38:39], -v[40:41]
	v_mul_f64 v[40:41], v[42:43], v[42:43]
	v_mov_b32_e32 v44, 0x6b47b09a
	v_mov_b32_e32 v45, 0x3fc38538
	s_mov_b32 s5, 0x3fc3ab76
	v_fmac_f64_e32 v[44:45], s[4:5], v[40:41]
	v_mov_b32_e32 v46, 0xd7f4df2e
	v_mov_b32_e32 v47, 0x3fc7474d
	v_fmac_f64_e32 v[46:47], v[40:41], v[44:45]
	v_mov_b32_e32 v44, 0x16291751
	v_mov_b32_e32 v45, 0x3fcc71c0
	;; [unrolled: 3-line block ×5, first 2 shown]
	v_fmac_f64_e32 v[46:47], v[40:41], v[44:45]
	v_cvt_f64_i32_e32 v[44:45], v59
	v_mul_f64 v[48:49], v[44:45], s[20:21]
	v_fma_f64 v[50:51], v[44:45], s[20:21], -v[48:49]
	v_fmac_f64_e32 v[50:51], s[24:25], v[44:45]
	v_add_f64 v[44:45], v[48:49], v[50:51]
	v_add_f64 v[48:49], v[44:45], -v[48:49]
	v_mul_f64 v[40:41], v[42:43], v[40:41]
	v_add_f64 v[48:49], v[50:51], -v[48:49]
	v_ldexp_f64 v[50:51], v[42:43], 1
	v_mul_f64 v[40:41], v[40:41], v[46:47]
	v_add_f64 v[42:43], v[50:51], v[40:41]
	v_add_f64 v[46:47], v[42:43], -v[50:51]
	v_ldexp_f64 v[38:39], v[38:39], 1
	v_add_f64 v[40:41], v[40:41], -v[46:47]
	v_add_f64 v[38:39], v[38:39], v[40:41]
	v_add_f64 v[40:41], v[42:43], v[38:39]
	v_add_f64 v[42:43], v[40:41], -v[42:43]
	v_add_f64 v[38:39], v[38:39], -v[42:43]
	v_add_f64 v[42:43], v[44:45], v[40:41]
	v_add_f64 v[46:47], v[42:43], -v[44:45]
	v_add_f64 v[50:51], v[42:43], -v[46:47]
	;; [unrolled: 1-line block ×4, first 2 shown]
	v_add_f64 v[40:41], v[40:41], v[44:45]
	v_add_f64 v[44:45], v[48:49], v[38:39]
	v_add_f64 v[46:47], v[44:45], -v[48:49]
	v_add_f64 v[40:41], v[44:45], v[40:41]
	v_add_f64 v[50:51], v[44:45], -v[46:47]
	;; [unrolled: 2-line block ×3, first 2 shown]
	v_add_f64 v[38:39], v[38:39], -v[46:47]
	v_add_f64 v[42:43], v[44:45], -v[42:43]
	v_add_f64 v[38:39], v[38:39], v[48:49]
	v_add_f64 v[40:41], v[40:41], -v[42:43]
	s_mov_b32 s4, 0
	v_add_f64 v[38:39], v[38:39], v[40:41]
	s_mov_b32 s5, 0x7ff00000
	v_add_f64 v[38:39], v[44:45], v[38:39]
	v_cmp_neq_f64_e64 s[4:5], s[4:5], v[10:11]
	v_mov_b32_e32 v40, 0x7ff80000
	s_nop 0
	v_cndmask_b32_e64 v39, v58, v39, s[4:5]
	v_cndmask_b32_e64 v39, v40, v39, s[16:17]
	v_cmp_nge_f64_e64 s[16:17], -1.0, v[10:11]
	s_and_b64 s[4:5], s[16:17], s[4:5]
	v_cndmask_b32_e64 v38, 0, v38, s[4:5]
	v_mov_b32_e32 v40, 0xfff00000
	v_cmp_neq_f64_e64 s[4:5], -1.0, v[10:11]
	s_nop 1
	v_cndmask_b32_e64 v39, v40, v39, s[4:5]
	v_add_f64 v[10:11], v[8:9], v[38:39]
.LBB66_211:
	s_or_b64 exec, exec, s[18:19]
	ds_read_b64 v[8:9], v31 offset:16
	v_max_f64 v[40:41], v[10:11], v[10:11]
	v_cmp_u_f64_e64 s[4:5], v[10:11], v[10:11]
	s_movk_i32 s28, 0x1f8
	ds_write_b64 v31, v[10:11] offset:8
	s_waitcnt lgkmcnt(1)
	v_max_f64 v[42:43], v[8:9], v[8:9]
	v_min_f64 v[38:39], v[40:41], v[42:43]
	v_max_f64 v[40:41], v[40:41], v[42:43]
	v_cndmask_b32_e64 v38, v38, v10, s[4:5]
	v_cndmask_b32_e64 v39, v39, v11, s[4:5]
	v_cmp_u_f64_e64 s[16:17], v[8:9], v[8:9]
	v_cndmask_b32_e64 v40, v40, v10, s[4:5]
	v_cndmask_b32_e64 v41, v41, v11, s[4:5]
	;; [unrolled: 1-line block ×6, first 2 shown]
	v_cmp_neq_f64_e64 s[4:5], v[38:39], v[8:9]
	v_cmp_class_f64_e64 s[16:17], v[38:39], s28
	s_or_b64 s[4:5], s[4:5], s[16:17]
	s_and_saveexec_b64 s[18:19], s[4:5]
	s_cbranch_execz .LBB66_213
; %bb.212:
	s_mov_b32 s4, 0x652b82fe
	v_add_f64 v[10:11], v[38:39], -v[8:9]
	s_mov_b32 s5, 0x3ff71547
	v_mul_f64 v[38:39], v[10:11], s[4:5]
	v_rndne_f64_e32 v[38:39], v[38:39]
	s_mov_b32 s21, 0xbfe62e42
	s_mov_b32 s20, 0xfefa39ef
	v_fma_f64 v[40:41], s[20:21], v[38:39], v[10:11]
	s_mov_b32 s25, 0xbc7abc9e
	s_mov_b32 s24, 0x3b39803f
	;; [unrolled: 1-line block ×3, first 2 shown]
	v_fmac_f64_e32 v[40:41], s[24:25], v[38:39]
	v_mov_b32_e32 v42, 0xfca7ab0c
	v_mov_b32_e32 v43, 0x3e928af3
	s_mov_b32 s5, 0x3e5ade15
	v_fmac_f64_e32 v[42:43], s[4:5], v[40:41]
	v_mov_b32_e32 v44, 0x623fde64
	v_mov_b32_e32 v45, 0x3ec71dee
	v_fmac_f64_e32 v[44:45], v[40:41], v[42:43]
	v_mov_b32_e32 v42, 0x7c89e6b0
	v_mov_b32_e32 v43, 0x3efa0199
	;; [unrolled: 3-line block ×8, first 2 shown]
	v_fmac_f64_e32 v[42:43], v[40:41], v[44:45]
	v_fma_f64 v[42:43], v[40:41], v[42:43], 1.0
	s_mov_b32 s4, 0
	s_mov_b32 s16, 0
	v_fma_f64 v[40:41], v[40:41], v[42:43], 1.0
	v_cvt_i32_f64_e32 v38, v[38:39]
	s_mov_b32 s5, 0x40900000
	s_mov_b32 s17, 0xc090cc00
	v_ldexp_f64 v[38:39], v[40:41], v38
	v_mov_b32_e32 v58, 0x7ff00000
	v_cmp_nlt_f64_e64 s[4:5], s[4:5], v[10:11]
	v_cmp_ngt_f64_e64 s[16:17], s[16:17], v[10:11]
	s_mov_b32 s21, 0x3fe62e42
	v_cndmask_b32_e64 v39, v58, v39, s[4:5]
	s_and_b64 s[4:5], s[16:17], s[4:5]
	v_cndmask_b32_e64 v11, 0, v39, s[16:17]
	v_cndmask_b32_e64 v10, 0, v38, s[4:5]
	v_add_f64 v[38:39], v[10:11], 1.0
	v_add_f64 v[40:41], v[38:39], -1.0
	v_add_f64 v[42:43], v[40:41], -v[38:39]
	v_add_f64 v[42:43], v[42:43], 1.0
	v_add_f64 v[40:41], v[10:11], -v[40:41]
	s_mov_b32 s4, 0x55555555
	v_add_f64 v[40:41], v[40:41], v[42:43]
	v_frexp_mant_f64_e32 v[42:43], v[38:39]
	s_mov_b32 s5, 0x3fe55555
	v_frexp_exp_i32_f64_e32 v44, v[38:39]
	v_cmp_gt_f64_e64 s[4:5], s[4:5], v[42:43]
	s_mov_b32 s25, 0x3c7abc9e
	v_cmp_ngt_f64_e64 s[16:17], -1.0, v[10:11]
	v_subbrev_co_u32_e64 v59, s[4:5], 0, v44, s[4:5]
	v_sub_u32_e32 v42, 0, v59
	v_ldexp_f64 v[38:39], v[38:39], v42
	v_ldexp_f64 v[40:41], v[40:41], v42
	v_add_f64 v[42:43], v[38:39], -1.0
	v_add_f64 v[48:49], v[38:39], 1.0
	v_add_f64 v[44:45], v[42:43], 1.0
	v_add_f64 v[50:51], v[48:49], -1.0
	v_add_f64 v[44:45], v[38:39], -v[44:45]
	v_add_f64 v[38:39], v[38:39], -v[50:51]
	v_add_f64 v[38:39], v[40:41], v[38:39]
	v_add_f64 v[44:45], v[40:41], v[44:45]
	;; [unrolled: 1-line block ×3, first 2 shown]
	v_rcp_f64_e32 v[50:51], v[40:41]
	v_add_f64 v[46:47], v[42:43], v[44:45]
	v_add_f64 v[42:43], v[46:47], -v[42:43]
	v_add_f64 v[42:43], v[44:45], -v[42:43]
	;; [unrolled: 1-line block ×4, first 2 shown]
	v_fma_f64 v[44:45], -v[40:41], v[50:51], 1.0
	v_fmac_f64_e32 v[50:51], v[44:45], v[50:51]
	v_fma_f64 v[44:45], -v[40:41], v[50:51], 1.0
	v_fmac_f64_e32 v[50:51], v[44:45], v[50:51]
	v_mul_f64 v[44:45], v[46:47], v[50:51]
	v_mul_f64 v[48:49], v[40:41], v[44:45]
	v_fma_f64 v[52:53], v[44:45], v[40:41], -v[48:49]
	v_fmac_f64_e32 v[52:53], v[44:45], v[38:39]
	v_add_f64 v[54:55], v[48:49], v[52:53]
	v_add_f64 v[56:57], v[46:47], -v[54:55]
	v_add_f64 v[46:47], v[46:47], -v[56:57]
	;; [unrolled: 1-line block ×4, first 2 shown]
	v_add_f64 v[42:43], v[42:43], v[46:47]
	v_add_f64 v[46:47], v[48:49], -v[52:53]
	v_add_f64 v[42:43], v[46:47], v[42:43]
	v_add_f64 v[46:47], v[56:57], v[42:43]
	v_add_f64 v[48:49], v[56:57], -v[46:47]
	v_add_f64 v[42:43], v[42:43], v[48:49]
	v_mul_f64 v[48:49], v[50:51], v[46:47]
	v_mul_f64 v[52:53], v[40:41], v[48:49]
	v_fma_f64 v[40:41], v[48:49], v[40:41], -v[52:53]
	v_fmac_f64_e32 v[40:41], v[48:49], v[38:39]
	v_add_f64 v[38:39], v[52:53], v[40:41]
	v_add_f64 v[54:55], v[46:47], -v[38:39]
	v_add_f64 v[46:47], v[46:47], -v[54:55]
	;; [unrolled: 1-line block ×4, first 2 shown]
	v_add_f64 v[38:39], v[42:43], v[38:39]
	v_add_f64 v[40:41], v[52:53], -v[40:41]
	v_add_f64 v[38:39], v[40:41], v[38:39]
	v_add_f64 v[40:41], v[44:45], v[48:49]
	;; [unrolled: 1-line block ×3, first 2 shown]
	v_add_f64 v[42:43], v[40:41], -v[44:45]
	v_mul_f64 v[38:39], v[50:51], v[38:39]
	v_add_f64 v[42:43], v[48:49], -v[42:43]
	v_add_f64 v[38:39], v[42:43], v[38:39]
	v_add_f64 v[42:43], v[40:41], v[38:39]
	v_add_f64 v[40:41], v[42:43], -v[40:41]
	s_mov_b32 s4, 0xbf559e2b
	v_add_f64 v[38:39], v[38:39], -v[40:41]
	v_mul_f64 v[40:41], v[42:43], v[42:43]
	v_mov_b32_e32 v44, 0x6b47b09a
	v_mov_b32_e32 v45, 0x3fc38538
	s_mov_b32 s5, 0x3fc3ab76
	v_fmac_f64_e32 v[44:45], s[4:5], v[40:41]
	v_mov_b32_e32 v46, 0xd7f4df2e
	v_mov_b32_e32 v47, 0x3fc7474d
	v_fmac_f64_e32 v[46:47], v[40:41], v[44:45]
	v_mov_b32_e32 v44, 0x16291751
	v_mov_b32_e32 v45, 0x3fcc71c0
	;; [unrolled: 3-line block ×5, first 2 shown]
	v_fmac_f64_e32 v[46:47], v[40:41], v[44:45]
	v_cvt_f64_i32_e32 v[44:45], v59
	v_mul_f64 v[48:49], v[44:45], s[20:21]
	v_fma_f64 v[50:51], v[44:45], s[20:21], -v[48:49]
	v_fmac_f64_e32 v[50:51], s[24:25], v[44:45]
	v_add_f64 v[44:45], v[48:49], v[50:51]
	v_add_f64 v[48:49], v[44:45], -v[48:49]
	v_mul_f64 v[40:41], v[42:43], v[40:41]
	v_add_f64 v[48:49], v[50:51], -v[48:49]
	v_ldexp_f64 v[50:51], v[42:43], 1
	v_mul_f64 v[40:41], v[40:41], v[46:47]
	v_add_f64 v[42:43], v[50:51], v[40:41]
	v_add_f64 v[46:47], v[42:43], -v[50:51]
	v_ldexp_f64 v[38:39], v[38:39], 1
	v_add_f64 v[40:41], v[40:41], -v[46:47]
	v_add_f64 v[38:39], v[38:39], v[40:41]
	v_add_f64 v[40:41], v[42:43], v[38:39]
	v_add_f64 v[42:43], v[40:41], -v[42:43]
	v_add_f64 v[38:39], v[38:39], -v[42:43]
	v_add_f64 v[42:43], v[44:45], v[40:41]
	v_add_f64 v[46:47], v[42:43], -v[44:45]
	v_add_f64 v[50:51], v[42:43], -v[46:47]
	;; [unrolled: 1-line block ×4, first 2 shown]
	v_add_f64 v[40:41], v[40:41], v[44:45]
	v_add_f64 v[44:45], v[48:49], v[38:39]
	v_add_f64 v[46:47], v[44:45], -v[48:49]
	v_add_f64 v[40:41], v[44:45], v[40:41]
	v_add_f64 v[50:51], v[44:45], -v[46:47]
	;; [unrolled: 2-line block ×3, first 2 shown]
	v_add_f64 v[38:39], v[38:39], -v[46:47]
	v_add_f64 v[42:43], v[44:45], -v[42:43]
	v_add_f64 v[38:39], v[38:39], v[48:49]
	v_add_f64 v[40:41], v[40:41], -v[42:43]
	s_mov_b32 s4, 0
	v_add_f64 v[38:39], v[38:39], v[40:41]
	s_mov_b32 s5, 0x7ff00000
	v_add_f64 v[38:39], v[44:45], v[38:39]
	v_cmp_neq_f64_e64 s[4:5], s[4:5], v[10:11]
	v_mov_b32_e32 v40, 0x7ff80000
	s_nop 0
	v_cndmask_b32_e64 v39, v58, v39, s[4:5]
	v_cndmask_b32_e64 v39, v40, v39, s[16:17]
	v_cmp_nge_f64_e64 s[16:17], -1.0, v[10:11]
	s_and_b64 s[4:5], s[16:17], s[4:5]
	v_cndmask_b32_e64 v38, 0, v38, s[4:5]
	v_mov_b32_e32 v40, 0xfff00000
	v_cmp_neq_f64_e64 s[4:5], -1.0, v[10:11]
	s_nop 1
	v_cndmask_b32_e64 v39, v40, v39, s[4:5]
	v_add_f64 v[10:11], v[8:9], v[38:39]
.LBB66_213:
	s_or_b64 exec, exec, s[18:19]
	ds_read_b64 v[8:9], v31 offset:24
	v_max_f64 v[40:41], v[10:11], v[10:11]
	v_cmp_u_f64_e64 s[4:5], v[10:11], v[10:11]
	ds_write_b64 v31, v[10:11] offset:16
	s_waitcnt lgkmcnt(1)
	v_max_f64 v[42:43], v[8:9], v[8:9]
	v_min_f64 v[38:39], v[40:41], v[42:43]
	v_max_f64 v[40:41], v[40:41], v[42:43]
	v_cndmask_b32_e64 v38, v38, v10, s[4:5]
	v_cndmask_b32_e64 v39, v39, v11, s[4:5]
	v_cmp_u_f64_e64 s[16:17], v[8:9], v[8:9]
	v_cndmask_b32_e64 v40, v40, v10, s[4:5]
	v_cndmask_b32_e64 v41, v41, v11, s[4:5]
	;; [unrolled: 1-line block ×6, first 2 shown]
	v_cmp_neq_f64_e64 s[4:5], v[38:39], v[8:9]
	v_cmp_class_f64_e64 s[16:17], v[38:39], s28
	s_or_b64 s[4:5], s[4:5], s[16:17]
	s_and_saveexec_b64 s[18:19], s[4:5]
	s_cbranch_execz .LBB66_215
; %bb.214:
	s_mov_b32 s4, 0x652b82fe
	v_add_f64 v[10:11], v[38:39], -v[8:9]
	s_mov_b32 s5, 0x3ff71547
	v_mul_f64 v[38:39], v[10:11], s[4:5]
	v_rndne_f64_e32 v[38:39], v[38:39]
	s_mov_b32 s21, 0xbfe62e42
	s_mov_b32 s20, 0xfefa39ef
	v_fma_f64 v[40:41], s[20:21], v[38:39], v[10:11]
	s_mov_b32 s25, 0xbc7abc9e
	s_mov_b32 s24, 0x3b39803f
	s_mov_b32 s4, 0x6a5dcb37
	v_fmac_f64_e32 v[40:41], s[24:25], v[38:39]
	v_mov_b32_e32 v42, 0xfca7ab0c
	v_mov_b32_e32 v43, 0x3e928af3
	s_mov_b32 s5, 0x3e5ade15
	v_fmac_f64_e32 v[42:43], s[4:5], v[40:41]
	v_mov_b32_e32 v44, 0x623fde64
	v_mov_b32_e32 v45, 0x3ec71dee
	v_fmac_f64_e32 v[44:45], v[40:41], v[42:43]
	v_mov_b32_e32 v42, 0x7c89e6b0
	v_mov_b32_e32 v43, 0x3efa0199
	;; [unrolled: 3-line block ×8, first 2 shown]
	v_fmac_f64_e32 v[42:43], v[40:41], v[44:45]
	v_fma_f64 v[42:43], v[40:41], v[42:43], 1.0
	s_mov_b32 s4, 0
	s_mov_b32 s16, 0
	v_fma_f64 v[40:41], v[40:41], v[42:43], 1.0
	v_cvt_i32_f64_e32 v38, v[38:39]
	s_mov_b32 s5, 0x40900000
	s_mov_b32 s17, 0xc090cc00
	v_ldexp_f64 v[38:39], v[40:41], v38
	v_mov_b32_e32 v58, 0x7ff00000
	v_cmp_nlt_f64_e64 s[4:5], s[4:5], v[10:11]
	v_cmp_ngt_f64_e64 s[16:17], s[16:17], v[10:11]
	s_mov_b32 s21, 0x3fe62e42
	v_cndmask_b32_e64 v39, v58, v39, s[4:5]
	s_and_b64 s[4:5], s[16:17], s[4:5]
	v_cndmask_b32_e64 v11, 0, v39, s[16:17]
	v_cndmask_b32_e64 v10, 0, v38, s[4:5]
	v_add_f64 v[38:39], v[10:11], 1.0
	v_add_f64 v[40:41], v[38:39], -1.0
	v_add_f64 v[42:43], v[40:41], -v[38:39]
	v_add_f64 v[42:43], v[42:43], 1.0
	v_add_f64 v[40:41], v[10:11], -v[40:41]
	s_mov_b32 s4, 0x55555555
	v_add_f64 v[40:41], v[40:41], v[42:43]
	v_frexp_mant_f64_e32 v[42:43], v[38:39]
	s_mov_b32 s5, 0x3fe55555
	v_frexp_exp_i32_f64_e32 v44, v[38:39]
	v_cmp_gt_f64_e64 s[4:5], s[4:5], v[42:43]
	s_mov_b32 s25, 0x3c7abc9e
	v_cmp_ngt_f64_e64 s[16:17], -1.0, v[10:11]
	v_subbrev_co_u32_e64 v59, s[4:5], 0, v44, s[4:5]
	v_sub_u32_e32 v42, 0, v59
	v_ldexp_f64 v[38:39], v[38:39], v42
	v_ldexp_f64 v[40:41], v[40:41], v42
	v_add_f64 v[42:43], v[38:39], -1.0
	v_add_f64 v[48:49], v[38:39], 1.0
	v_add_f64 v[44:45], v[42:43], 1.0
	v_add_f64 v[50:51], v[48:49], -1.0
	v_add_f64 v[44:45], v[38:39], -v[44:45]
	v_add_f64 v[38:39], v[38:39], -v[50:51]
	v_add_f64 v[38:39], v[40:41], v[38:39]
	v_add_f64 v[44:45], v[40:41], v[44:45]
	v_add_f64 v[40:41], v[48:49], v[38:39]
	v_rcp_f64_e32 v[50:51], v[40:41]
	v_add_f64 v[46:47], v[42:43], v[44:45]
	v_add_f64 v[42:43], v[46:47], -v[42:43]
	v_add_f64 v[42:43], v[44:45], -v[42:43]
	;; [unrolled: 1-line block ×4, first 2 shown]
	v_fma_f64 v[44:45], -v[40:41], v[50:51], 1.0
	v_fmac_f64_e32 v[50:51], v[44:45], v[50:51]
	v_fma_f64 v[44:45], -v[40:41], v[50:51], 1.0
	v_fmac_f64_e32 v[50:51], v[44:45], v[50:51]
	v_mul_f64 v[44:45], v[46:47], v[50:51]
	v_mul_f64 v[48:49], v[40:41], v[44:45]
	v_fma_f64 v[52:53], v[44:45], v[40:41], -v[48:49]
	v_fmac_f64_e32 v[52:53], v[44:45], v[38:39]
	v_add_f64 v[54:55], v[48:49], v[52:53]
	v_add_f64 v[56:57], v[46:47], -v[54:55]
	v_add_f64 v[46:47], v[46:47], -v[56:57]
	;; [unrolled: 1-line block ×4, first 2 shown]
	v_add_f64 v[42:43], v[42:43], v[46:47]
	v_add_f64 v[46:47], v[48:49], -v[52:53]
	v_add_f64 v[42:43], v[46:47], v[42:43]
	v_add_f64 v[46:47], v[56:57], v[42:43]
	v_add_f64 v[48:49], v[56:57], -v[46:47]
	v_add_f64 v[42:43], v[42:43], v[48:49]
	v_mul_f64 v[48:49], v[50:51], v[46:47]
	v_mul_f64 v[52:53], v[40:41], v[48:49]
	v_fma_f64 v[40:41], v[48:49], v[40:41], -v[52:53]
	v_fmac_f64_e32 v[40:41], v[48:49], v[38:39]
	v_add_f64 v[38:39], v[52:53], v[40:41]
	v_add_f64 v[54:55], v[46:47], -v[38:39]
	v_add_f64 v[46:47], v[46:47], -v[54:55]
	;; [unrolled: 1-line block ×4, first 2 shown]
	v_add_f64 v[38:39], v[42:43], v[38:39]
	v_add_f64 v[40:41], v[52:53], -v[40:41]
	v_add_f64 v[38:39], v[40:41], v[38:39]
	v_add_f64 v[40:41], v[44:45], v[48:49]
	;; [unrolled: 1-line block ×3, first 2 shown]
	v_add_f64 v[42:43], v[40:41], -v[44:45]
	v_mul_f64 v[38:39], v[50:51], v[38:39]
	v_add_f64 v[42:43], v[48:49], -v[42:43]
	v_add_f64 v[38:39], v[42:43], v[38:39]
	v_add_f64 v[42:43], v[40:41], v[38:39]
	v_add_f64 v[40:41], v[42:43], -v[40:41]
	s_mov_b32 s4, 0xbf559e2b
	v_add_f64 v[38:39], v[38:39], -v[40:41]
	v_mul_f64 v[40:41], v[42:43], v[42:43]
	v_mov_b32_e32 v44, 0x6b47b09a
	v_mov_b32_e32 v45, 0x3fc38538
	s_mov_b32 s5, 0x3fc3ab76
	v_fmac_f64_e32 v[44:45], s[4:5], v[40:41]
	v_mov_b32_e32 v46, 0xd7f4df2e
	v_mov_b32_e32 v47, 0x3fc7474d
	v_fmac_f64_e32 v[46:47], v[40:41], v[44:45]
	v_mov_b32_e32 v44, 0x16291751
	v_mov_b32_e32 v45, 0x3fcc71c0
	;; [unrolled: 3-line block ×5, first 2 shown]
	v_fmac_f64_e32 v[46:47], v[40:41], v[44:45]
	v_cvt_f64_i32_e32 v[44:45], v59
	v_mul_f64 v[48:49], v[44:45], s[20:21]
	v_fma_f64 v[50:51], v[44:45], s[20:21], -v[48:49]
	v_fmac_f64_e32 v[50:51], s[24:25], v[44:45]
	v_add_f64 v[44:45], v[48:49], v[50:51]
	v_add_f64 v[48:49], v[44:45], -v[48:49]
	v_mul_f64 v[40:41], v[42:43], v[40:41]
	v_add_f64 v[48:49], v[50:51], -v[48:49]
	v_ldexp_f64 v[50:51], v[42:43], 1
	v_mul_f64 v[40:41], v[40:41], v[46:47]
	v_add_f64 v[42:43], v[50:51], v[40:41]
	v_add_f64 v[46:47], v[42:43], -v[50:51]
	v_ldexp_f64 v[38:39], v[38:39], 1
	v_add_f64 v[40:41], v[40:41], -v[46:47]
	v_add_f64 v[38:39], v[38:39], v[40:41]
	v_add_f64 v[40:41], v[42:43], v[38:39]
	v_add_f64 v[42:43], v[40:41], -v[42:43]
	v_add_f64 v[38:39], v[38:39], -v[42:43]
	v_add_f64 v[42:43], v[44:45], v[40:41]
	v_add_f64 v[46:47], v[42:43], -v[44:45]
	v_add_f64 v[50:51], v[42:43], -v[46:47]
	;; [unrolled: 1-line block ×4, first 2 shown]
	v_add_f64 v[40:41], v[40:41], v[44:45]
	v_add_f64 v[44:45], v[48:49], v[38:39]
	v_add_f64 v[46:47], v[44:45], -v[48:49]
	v_add_f64 v[40:41], v[44:45], v[40:41]
	v_add_f64 v[50:51], v[44:45], -v[46:47]
	;; [unrolled: 2-line block ×3, first 2 shown]
	v_add_f64 v[38:39], v[38:39], -v[46:47]
	v_add_f64 v[42:43], v[44:45], -v[42:43]
	v_add_f64 v[38:39], v[38:39], v[48:49]
	v_add_f64 v[40:41], v[40:41], -v[42:43]
	s_mov_b32 s4, 0
	v_add_f64 v[38:39], v[38:39], v[40:41]
	s_mov_b32 s5, 0x7ff00000
	v_add_f64 v[38:39], v[44:45], v[38:39]
	v_cmp_neq_f64_e64 s[4:5], s[4:5], v[10:11]
	v_mov_b32_e32 v40, 0x7ff80000
	s_nop 0
	v_cndmask_b32_e64 v39, v58, v39, s[4:5]
	v_cndmask_b32_e64 v39, v40, v39, s[16:17]
	v_cmp_nge_f64_e64 s[16:17], -1.0, v[10:11]
	s_and_b64 s[4:5], s[16:17], s[4:5]
	v_cndmask_b32_e64 v38, 0, v38, s[4:5]
	v_mov_b32_e32 v40, 0xfff00000
	v_cmp_neq_f64_e64 s[4:5], -1.0, v[10:11]
	s_nop 1
	v_cndmask_b32_e64 v39, v40, v39, s[4:5]
	v_add_f64 v[10:11], v[8:9], v[38:39]
.LBB66_215:
	s_or_b64 exec, exec, s[18:19]
	ds_write_b64 v31, v[10:11] offset:24
.LBB66_216:
	s_or_b64 exec, exec, s[22:23]
	s_waitcnt lgkmcnt(0)
	s_barrier
	s_and_saveexec_b64 s[16:17], s[2:3]
	s_cbranch_execz .LBB66_220
; %bb.217:
	v_add_u32_e32 v6, -1, v0
	v_lshrrev_b32_e32 v7, 2, v6
	v_and_b32_e32 v7, 0x3ffffff8, v7
	v_lshl_add_u32 v6, v6, 3, v7
	ds_read_b64 v[6:7], v6
	s_movk_i32 s4, 0x1f8
	s_waitcnt lgkmcnt(0)
	v_max_f64 v[8:9], v[6:7], v[6:7]
	v_min_f64 v[10:11], v[8:9], v[20:21]
	v_max_f64 v[20:21], v[8:9], v[20:21]
	v_cmp_u_f64_e64 s[2:3], v[6:7], v[6:7]
	s_nop 1
	v_cndmask_b32_e64 v8, v10, v6, s[2:3]
	v_cndmask_b32_e64 v9, v11, v7, s[2:3]
	;; [unrolled: 1-line block ×8, first 2 shown]
	v_cmp_neq_f64_e64 s[2:3], v[8:9], v[2:3]
	v_cmp_class_f64_e64 s[4:5], v[8:9], s4
	s_or_b64 s[2:3], s[2:3], s[4:5]
	s_and_saveexec_b64 s[14:15], s[2:3]
	s_cbranch_execz .LBB66_219
; %bb.218:
	s_mov_b32 s2, 0x652b82fe
	v_add_f64 v[6:7], v[8:9], -v[2:3]
	s_mov_b32 s3, 0x3ff71547
	v_mul_f64 v[8:9], v[6:7], s[2:3]
	v_rndne_f64_e32 v[8:9], v[8:9]
	s_mov_b32 s19, 0xbfe62e42
	s_mov_b32 s18, 0xfefa39ef
	v_fma_f64 v[10:11], s[18:19], v[8:9], v[6:7]
	s_mov_b32 s21, 0xbc7abc9e
	s_mov_b32 s20, 0x3b39803f
	;; [unrolled: 1-line block ×3, first 2 shown]
	v_fmac_f64_e32 v[10:11], s[20:21], v[8:9]
	v_mov_b32_e32 v20, 0xfca7ab0c
	v_mov_b32_e32 v21, 0x3e928af3
	s_mov_b32 s3, 0x3e5ade15
	v_fmac_f64_e32 v[20:21], s[2:3], v[10:11]
	v_mov_b32_e32 v34, 0x623fde64
	v_mov_b32_e32 v35, 0x3ec71dee
	v_fmac_f64_e32 v[34:35], v[10:11], v[20:21]
	v_mov_b32_e32 v20, 0x7c89e6b0
	v_mov_b32_e32 v21, 0x3efa0199
	;; [unrolled: 3-line block ×8, first 2 shown]
	v_fmac_f64_e32 v[20:21], v[10:11], v[34:35]
	v_fma_f64 v[20:21], v[10:11], v[20:21], 1.0
	s_mov_b32 s2, 0
	s_mov_b32 s4, 0
	v_fma_f64 v[10:11], v[10:11], v[20:21], 1.0
	v_cvt_i32_f64_e32 v8, v[8:9]
	s_mov_b32 s3, 0x40900000
	s_mov_b32 s5, 0xc090cc00
	v_ldexp_f64 v[8:9], v[10:11], v8
	v_mov_b32_e32 v31, 0x7ff00000
	v_cmp_nlt_f64_e64 s[2:3], s[2:3], v[6:7]
	v_cmp_ngt_f64_e64 s[4:5], s[4:5], v[6:7]
	s_mov_b32 s19, 0x3fe62e42
	v_cndmask_b32_e64 v9, v31, v9, s[2:3]
	s_and_b64 s[2:3], s[4:5], s[2:3]
	v_cndmask_b32_e64 v7, 0, v9, s[4:5]
	v_cndmask_b32_e64 v6, 0, v8, s[2:3]
	v_add_f64 v[8:9], v[6:7], 1.0
	v_add_f64 v[10:11], v[8:9], -1.0
	v_add_f64 v[20:21], v[10:11], -v[8:9]
	v_add_f64 v[20:21], v[20:21], 1.0
	v_add_f64 v[10:11], v[6:7], -v[10:11]
	s_mov_b32 s2, 0x55555555
	v_add_f64 v[10:11], v[10:11], v[20:21]
	v_frexp_mant_f64_e32 v[20:21], v[8:9]
	s_mov_b32 s3, 0x3fe55555
	v_frexp_exp_i32_f64_e32 v34, v[8:9]
	v_cmp_gt_f64_e64 s[2:3], s[2:3], v[20:21]
	s_mov_b32 s21, 0x3c7abc9e
	v_cmp_ngt_f64_e64 s[4:5], -1.0, v[6:7]
	v_subbrev_co_u32_e64 v48, s[2:3], 0, v34, s[2:3]
	v_sub_u32_e32 v20, 0, v48
	v_ldexp_f64 v[8:9], v[8:9], v20
	v_ldexp_f64 v[10:11], v[10:11], v20
	v_add_f64 v[20:21], v[8:9], -1.0
	v_add_f64 v[38:39], v[8:9], 1.0
	v_add_f64 v[34:35], v[20:21], 1.0
	v_add_f64 v[40:41], v[38:39], -1.0
	v_add_f64 v[34:35], v[8:9], -v[34:35]
	v_add_f64 v[8:9], v[8:9], -v[40:41]
	v_add_f64 v[8:9], v[10:11], v[8:9]
	v_add_f64 v[34:35], v[10:11], v[34:35]
	v_add_f64 v[10:11], v[38:39], v[8:9]
	v_rcp_f64_e32 v[40:41], v[10:11]
	v_add_f64 v[36:37], v[20:21], v[34:35]
	v_add_f64 v[20:21], v[36:37], -v[20:21]
	v_add_f64 v[20:21], v[34:35], -v[20:21]
	;; [unrolled: 1-line block ×4, first 2 shown]
	v_fma_f64 v[34:35], -v[10:11], v[40:41], 1.0
	v_fmac_f64_e32 v[40:41], v[34:35], v[40:41]
	v_fma_f64 v[34:35], -v[10:11], v[40:41], 1.0
	v_fmac_f64_e32 v[40:41], v[34:35], v[40:41]
	v_mul_f64 v[34:35], v[36:37], v[40:41]
	v_mul_f64 v[38:39], v[10:11], v[34:35]
	v_fma_f64 v[42:43], v[34:35], v[10:11], -v[38:39]
	v_fmac_f64_e32 v[42:43], v[34:35], v[8:9]
	v_add_f64 v[44:45], v[38:39], v[42:43]
	v_add_f64 v[46:47], v[36:37], -v[44:45]
	v_add_f64 v[36:37], v[36:37], -v[46:47]
	;; [unrolled: 1-line block ×4, first 2 shown]
	v_add_f64 v[20:21], v[20:21], v[36:37]
	v_add_f64 v[36:37], v[38:39], -v[42:43]
	v_add_f64 v[20:21], v[36:37], v[20:21]
	v_add_f64 v[36:37], v[46:47], v[20:21]
	v_add_f64 v[38:39], v[46:47], -v[36:37]
	v_add_f64 v[20:21], v[20:21], v[38:39]
	v_mul_f64 v[38:39], v[40:41], v[36:37]
	v_mul_f64 v[42:43], v[10:11], v[38:39]
	v_fma_f64 v[10:11], v[38:39], v[10:11], -v[42:43]
	v_fmac_f64_e32 v[10:11], v[38:39], v[8:9]
	v_add_f64 v[8:9], v[42:43], v[10:11]
	v_add_f64 v[44:45], v[36:37], -v[8:9]
	v_add_f64 v[36:37], v[36:37], -v[44:45]
	;; [unrolled: 1-line block ×4, first 2 shown]
	v_add_f64 v[8:9], v[20:21], v[8:9]
	v_add_f64 v[10:11], v[42:43], -v[10:11]
	v_add_f64 v[8:9], v[10:11], v[8:9]
	v_add_f64 v[10:11], v[34:35], v[38:39]
	v_add_f64 v[8:9], v[44:45], v[8:9]
	v_add_f64 v[20:21], v[10:11], -v[34:35]
	v_mul_f64 v[8:9], v[40:41], v[8:9]
	v_add_f64 v[20:21], v[38:39], -v[20:21]
	v_add_f64 v[8:9], v[20:21], v[8:9]
	v_add_f64 v[20:21], v[10:11], v[8:9]
	v_add_f64 v[10:11], v[20:21], -v[10:11]
	s_mov_b32 s2, 0xbf559e2b
	v_add_f64 v[8:9], v[8:9], -v[10:11]
	v_mul_f64 v[10:11], v[20:21], v[20:21]
	v_mov_b32_e32 v34, 0x6b47b09a
	v_mov_b32_e32 v35, 0x3fc38538
	s_mov_b32 s3, 0x3fc3ab76
	v_fmac_f64_e32 v[34:35], s[2:3], v[10:11]
	v_mov_b32_e32 v36, 0xd7f4df2e
	v_mov_b32_e32 v37, 0x3fc7474d
	v_fmac_f64_e32 v[36:37], v[10:11], v[34:35]
	v_mov_b32_e32 v34, 0x16291751
	v_mov_b32_e32 v35, 0x3fcc71c0
	;; [unrolled: 3-line block ×5, first 2 shown]
	v_fmac_f64_e32 v[36:37], v[10:11], v[34:35]
	v_cvt_f64_i32_e32 v[34:35], v48
	v_mul_f64 v[38:39], v[34:35], s[18:19]
	v_fma_f64 v[40:41], v[34:35], s[18:19], -v[38:39]
	v_fmac_f64_e32 v[40:41], s[20:21], v[34:35]
	v_add_f64 v[34:35], v[38:39], v[40:41]
	v_add_f64 v[38:39], v[34:35], -v[38:39]
	v_mul_f64 v[10:11], v[20:21], v[10:11]
	v_add_f64 v[38:39], v[40:41], -v[38:39]
	v_ldexp_f64 v[40:41], v[20:21], 1
	v_mul_f64 v[10:11], v[10:11], v[36:37]
	v_add_f64 v[20:21], v[40:41], v[10:11]
	v_add_f64 v[36:37], v[20:21], -v[40:41]
	v_ldexp_f64 v[8:9], v[8:9], 1
	v_add_f64 v[10:11], v[10:11], -v[36:37]
	v_add_f64 v[8:9], v[8:9], v[10:11]
	v_add_f64 v[10:11], v[20:21], v[8:9]
	v_add_f64 v[20:21], v[10:11], -v[20:21]
	v_add_f64 v[8:9], v[8:9], -v[20:21]
	v_add_f64 v[20:21], v[34:35], v[10:11]
	v_add_f64 v[36:37], v[20:21], -v[34:35]
	v_add_f64 v[40:41], v[20:21], -v[36:37]
	;; [unrolled: 1-line block ×4, first 2 shown]
	v_add_f64 v[10:11], v[10:11], v[34:35]
	v_add_f64 v[34:35], v[38:39], v[8:9]
	v_add_f64 v[36:37], v[34:35], -v[38:39]
	v_add_f64 v[10:11], v[34:35], v[10:11]
	v_add_f64 v[40:41], v[34:35], -v[36:37]
	;; [unrolled: 2-line block ×3, first 2 shown]
	v_add_f64 v[8:9], v[8:9], -v[36:37]
	v_add_f64 v[20:21], v[34:35], -v[20:21]
	v_add_f64 v[8:9], v[8:9], v[38:39]
	v_add_f64 v[10:11], v[10:11], -v[20:21]
	s_mov_b32 s2, 0
	v_add_f64 v[8:9], v[8:9], v[10:11]
	s_mov_b32 s3, 0x7ff00000
	v_add_f64 v[8:9], v[34:35], v[8:9]
	v_cmp_neq_f64_e64 s[2:3], s[2:3], v[6:7]
	v_mov_b32_e32 v10, 0x7ff80000
	s_nop 0
	v_cndmask_b32_e64 v9, v31, v9, s[2:3]
	v_cndmask_b32_e64 v9, v10, v9, s[4:5]
	v_cmp_nge_f64_e64 s[4:5], -1.0, v[6:7]
	s_and_b64 s[2:3], s[4:5], s[2:3]
	v_cndmask_b32_e64 v8, 0, v8, s[2:3]
	v_mov_b32_e32 v10, 0xfff00000
	v_cmp_neq_f64_e64 s[2:3], -1.0, v[6:7]
	s_nop 1
	v_cndmask_b32_e64 v9, v10, v9, s[2:3]
	v_add_f64 v[6:7], v[2:3], v[8:9]
.LBB66_219:
	s_or_b64 exec, exec, s[14:15]
	v_max_f64 v[2:3], v[6:7], v[6:7]
	v_min_f64 v[34:35], v[2:3], v[32:33]
	v_max_f64 v[36:37], v[2:3], v[32:33]
	v_mov_b64_e32 v[2:3], v[6:7]
	;;#ASMSTART
	;;#ASMEND
.LBB66_220:
	s_or_b64 exec, exec, s[16:17]
	v_cmp_u_f64_e64 s[2:3], v[2:3], v[2:3]
	s_movk_i32 s18, 0x1f8
	s_nop 0
	v_cndmask_b32_e64 v8, v34, v2, s[2:3]
	v_cndmask_b32_e64 v9, v35, v3, s[2:3]
	;; [unrolled: 1-line block ×4, first 2 shown]
	v_cndmask_b32_e32 v9, v9, v5, vcc
	v_cndmask_b32_e32 v8, v8, v4, vcc
	;; [unrolled: 1-line block ×4, first 2 shown]
	v_cmp_neq_f64_e32 vcc, v[8:9], v[4:5]
	v_cmp_class_f64_e64 s[2:3], v[8:9], s18
	s_or_b64 s[2:3], vcc, s[2:3]
	s_and_saveexec_b64 s[4:5], s[2:3]
	s_cbranch_execz .LBB66_222
; %bb.221:
	s_mov_b32 s2, 0x652b82fe
	v_add_f64 v[2:3], v[8:9], -v[4:5]
	s_mov_b32 s3, 0x3ff71547
	v_mul_f64 v[8:9], v[2:3], s[2:3]
	v_rndne_f64_e32 v[8:9], v[8:9]
	s_mov_b32 s15, 0xbfe62e42
	s_mov_b32 s14, 0xfefa39ef
	v_fma_f64 v[10:11], s[14:15], v[8:9], v[2:3]
	s_mov_b32 s17, 0xbc7abc9e
	s_mov_b32 s16, 0x3b39803f
	;; [unrolled: 1-line block ×3, first 2 shown]
	v_fmac_f64_e32 v[10:11], s[16:17], v[8:9]
	v_mov_b32_e32 v20, 0xfca7ab0c
	v_mov_b32_e32 v21, 0x3e928af3
	s_mov_b32 s3, 0x3e5ade15
	v_fmac_f64_e32 v[20:21], s[2:3], v[10:11]
	v_mov_b32_e32 v32, 0x623fde64
	v_mov_b32_e32 v33, 0x3ec71dee
	v_fmac_f64_e32 v[32:33], v[10:11], v[20:21]
	v_mov_b32_e32 v20, 0x7c89e6b0
	v_mov_b32_e32 v21, 0x3efa0199
	;; [unrolled: 3-line block ×8, first 2 shown]
	s_mov_b32 s2, 0
	v_fmac_f64_e32 v[20:21], v[10:11], v[32:33]
	s_mov_b32 s3, 0x40900000
	v_fma_f64 v[20:21], v[10:11], v[20:21], 1.0
	v_cmp_nlt_f64_e32 vcc, s[2:3], v[2:3]
	s_mov_b32 s2, 0
	v_fma_f64 v[10:11], v[10:11], v[20:21], 1.0
	v_cvt_i32_f64_e32 v8, v[8:9]
	s_mov_b32 s3, 0xc090cc00
	v_ldexp_f64 v[8:9], v[10:11], v8
	v_mov_b32_e32 v31, 0x7ff00000
	v_cmp_ngt_f64_e64 s[2:3], s[2:3], v[2:3]
	v_cndmask_b32_e32 v9, v31, v9, vcc
	s_and_b64 vcc, s[2:3], vcc
	v_cndmask_b32_e64 v3, 0, v9, s[2:3]
	v_cndmask_b32_e32 v2, 0, v8, vcc
	v_add_f64 v[8:9], v[2:3], 1.0
	v_add_f64 v[10:11], v[8:9], -1.0
	v_add_f64 v[20:21], v[10:11], -v[8:9]
	v_add_f64 v[20:21], v[20:21], 1.0
	v_add_f64 v[10:11], v[2:3], -v[10:11]
	s_mov_b32 s2, 0x55555555
	v_add_f64 v[10:11], v[10:11], v[20:21]
	v_frexp_mant_f64_e32 v[20:21], v[8:9]
	s_mov_b32 s3, 0x3fe55555
	v_frexp_exp_i32_f64_e32 v32, v[8:9]
	v_cmp_gt_f64_e32 vcc, s[2:3], v[20:21]
	s_mov_b32 s2, 0xbf559e2b
	s_mov_b32 s3, 0x3fc3ab76
	v_subbrev_co_u32_e32 v46, vcc, 0, v32, vcc
	v_sub_u32_e32 v20, 0, v46
	v_ldexp_f64 v[8:9], v[8:9], v20
	v_ldexp_f64 v[10:11], v[10:11], v20
	v_add_f64 v[20:21], v[8:9], -1.0
	v_add_f64 v[36:37], v[8:9], 1.0
	v_add_f64 v[32:33], v[20:21], 1.0
	v_add_f64 v[38:39], v[36:37], -1.0
	v_add_f64 v[32:33], v[8:9], -v[32:33]
	v_add_f64 v[8:9], v[8:9], -v[38:39]
	v_add_f64 v[8:9], v[10:11], v[8:9]
	v_add_f64 v[32:33], v[10:11], v[32:33]
	;; [unrolled: 1-line block ×3, first 2 shown]
	v_rcp_f64_e32 v[38:39], v[10:11]
	v_add_f64 v[34:35], v[20:21], v[32:33]
	v_add_f64 v[20:21], v[34:35], -v[20:21]
	v_add_f64 v[20:21], v[32:33], -v[20:21]
	;; [unrolled: 1-line block ×4, first 2 shown]
	v_fma_f64 v[32:33], -v[10:11], v[38:39], 1.0
	v_fmac_f64_e32 v[38:39], v[32:33], v[38:39]
	v_fma_f64 v[32:33], -v[10:11], v[38:39], 1.0
	v_fmac_f64_e32 v[38:39], v[32:33], v[38:39]
	v_mul_f64 v[32:33], v[34:35], v[38:39]
	v_mul_f64 v[36:37], v[10:11], v[32:33]
	v_fma_f64 v[40:41], v[32:33], v[10:11], -v[36:37]
	v_fmac_f64_e32 v[40:41], v[32:33], v[8:9]
	v_add_f64 v[42:43], v[36:37], v[40:41]
	v_add_f64 v[44:45], v[34:35], -v[42:43]
	v_add_f64 v[34:35], v[34:35], -v[44:45]
	;; [unrolled: 1-line block ×4, first 2 shown]
	v_add_f64 v[20:21], v[20:21], v[34:35]
	v_add_f64 v[34:35], v[36:37], -v[40:41]
	v_add_f64 v[20:21], v[34:35], v[20:21]
	v_add_f64 v[34:35], v[44:45], v[20:21]
	v_add_f64 v[36:37], v[44:45], -v[34:35]
	v_add_f64 v[20:21], v[20:21], v[36:37]
	v_mul_f64 v[36:37], v[38:39], v[34:35]
	v_mul_f64 v[40:41], v[10:11], v[36:37]
	v_fma_f64 v[10:11], v[36:37], v[10:11], -v[40:41]
	v_fmac_f64_e32 v[10:11], v[36:37], v[8:9]
	v_add_f64 v[8:9], v[40:41], v[10:11]
	v_add_f64 v[42:43], v[34:35], -v[8:9]
	v_add_f64 v[34:35], v[34:35], -v[42:43]
	;; [unrolled: 1-line block ×4, first 2 shown]
	v_add_f64 v[8:9], v[20:21], v[8:9]
	v_add_f64 v[10:11], v[40:41], -v[10:11]
	v_add_f64 v[8:9], v[10:11], v[8:9]
	v_add_f64 v[10:11], v[32:33], v[36:37]
	;; [unrolled: 1-line block ×3, first 2 shown]
	v_add_f64 v[20:21], v[10:11], -v[32:33]
	v_mul_f64 v[8:9], v[38:39], v[8:9]
	v_add_f64 v[20:21], v[36:37], -v[20:21]
	v_add_f64 v[8:9], v[20:21], v[8:9]
	v_add_f64 v[20:21], v[10:11], v[8:9]
	v_add_f64 v[10:11], v[20:21], -v[10:11]
	v_add_f64 v[8:9], v[8:9], -v[10:11]
	v_mul_f64 v[10:11], v[20:21], v[20:21]
	v_mov_b32_e32 v32, 0x6b47b09a
	v_mov_b32_e32 v33, 0x3fc38538
	v_fmac_f64_e32 v[32:33], s[2:3], v[10:11]
	v_mov_b32_e32 v34, 0xd7f4df2e
	v_mov_b32_e32 v35, 0x3fc7474d
	v_fmac_f64_e32 v[34:35], v[10:11], v[32:33]
	;; [unrolled: 3-line block ×6, first 2 shown]
	v_cvt_f64_i32_e32 v[32:33], v46
	s_mov_b32 s15, 0x3fe62e42
	v_mul_f64 v[36:37], v[32:33], s[14:15]
	v_fma_f64 v[38:39], v[32:33], s[14:15], -v[36:37]
	s_mov_b32 s17, 0x3c7abc9e
	v_fmac_f64_e32 v[38:39], s[16:17], v[32:33]
	v_add_f64 v[32:33], v[36:37], v[38:39]
	v_add_f64 v[36:37], v[32:33], -v[36:37]
	v_mul_f64 v[10:11], v[20:21], v[10:11]
	v_add_f64 v[36:37], v[38:39], -v[36:37]
	v_ldexp_f64 v[38:39], v[20:21], 1
	v_mul_f64 v[10:11], v[10:11], v[34:35]
	v_add_f64 v[20:21], v[38:39], v[10:11]
	v_add_f64 v[34:35], v[20:21], -v[38:39]
	v_ldexp_f64 v[8:9], v[8:9], 1
	v_add_f64 v[10:11], v[10:11], -v[34:35]
	v_add_f64 v[8:9], v[8:9], v[10:11]
	v_add_f64 v[10:11], v[20:21], v[8:9]
	v_add_f64 v[20:21], v[10:11], -v[20:21]
	v_add_f64 v[8:9], v[8:9], -v[20:21]
	v_add_f64 v[20:21], v[32:33], v[10:11]
	v_add_f64 v[34:35], v[20:21], -v[32:33]
	v_add_f64 v[38:39], v[20:21], -v[34:35]
	;; [unrolled: 1-line block ×4, first 2 shown]
	v_add_f64 v[10:11], v[10:11], v[32:33]
	v_add_f64 v[32:33], v[36:37], v[8:9]
	v_add_f64 v[34:35], v[32:33], -v[36:37]
	v_add_f64 v[10:11], v[32:33], v[10:11]
	v_add_f64 v[38:39], v[32:33], -v[34:35]
	;; [unrolled: 2-line block ×3, first 2 shown]
	v_add_f64 v[8:9], v[8:9], -v[34:35]
	v_add_f64 v[20:21], v[32:33], -v[20:21]
	v_add_f64 v[8:9], v[8:9], v[36:37]
	v_add_f64 v[10:11], v[10:11], -v[20:21]
	s_mov_b32 s2, 0
	v_add_f64 v[8:9], v[8:9], v[10:11]
	s_mov_b32 s3, 0x7ff00000
	v_add_f64 v[8:9], v[32:33], v[8:9]
	v_cmp_neq_f64_e32 vcc, s[2:3], v[2:3]
	v_mov_b32_e32 v10, 0x7ff80000
	v_cmp_ngt_f64_e64 s[2:3], -1.0, v[2:3]
	v_cndmask_b32_e32 v9, v31, v9, vcc
	s_nop 0
	v_cndmask_b32_e64 v9, v10, v9, s[2:3]
	v_cmp_nge_f64_e64 s[2:3], -1.0, v[2:3]
	s_and_b64 vcc, s[2:3], vcc
	v_cndmask_b32_e32 v8, 0, v8, vcc
	v_mov_b32_e32 v10, 0xfff00000
	v_cmp_neq_f64_e32 vcc, -1.0, v[2:3]
	s_nop 1
	v_cndmask_b32_e32 v9, v10, v9, vcc
	v_add_f64 v[2:3], v[4:5], v[8:9]
.LBB66_222:
	s_or_b64 exec, exec, s[4:5]
	v_max_f64 v[4:5], v[2:3], v[2:3]
	v_min_f64 v[8:9], v[4:5], v[12:13]
	v_cmp_u_f64_e32 vcc, v[2:3], v[2:3]
	v_max_f64 v[4:5], v[4:5], v[12:13]
	v_mov_b64_e32 v[10:11], v[2:3]
	v_cndmask_b32_e32 v8, v8, v2, vcc
	v_cndmask_b32_e32 v9, v9, v3, vcc
	;; [unrolled: 1-line block ×4, first 2 shown]
	v_cndmask_b32_e64 v9, v9, v27, s[6:7]
	v_cndmask_b32_e64 v8, v8, v26, s[6:7]
	;; [unrolled: 1-line block ×4, first 2 shown]
	v_cmp_neq_f64_e32 vcc, v[8:9], v[4:5]
	v_cmp_class_f64_e64 s[2:3], v[8:9], s18
	s_or_b64 s[2:3], vcc, s[2:3]
	s_and_saveexec_b64 s[4:5], s[2:3]
	s_cbranch_execz .LBB66_224
; %bb.223:
	s_mov_b32 s2, 0x652b82fe
	v_add_f64 v[8:9], v[8:9], -v[4:5]
	s_mov_b32 s3, 0x3ff71547
	v_mul_f64 v[10:11], v[8:9], s[2:3]
	v_rndne_f64_e32 v[10:11], v[10:11]
	s_mov_b32 s7, 0xbfe62e42
	s_mov_b32 s6, 0xfefa39ef
	v_fma_f64 v[12:13], s[6:7], v[10:11], v[8:9]
	s_mov_b32 s15, 0xbc7abc9e
	s_mov_b32 s14, 0x3b39803f
	;; [unrolled: 1-line block ×3, first 2 shown]
	v_fmac_f64_e32 v[12:13], s[14:15], v[10:11]
	v_mov_b32_e32 v20, 0xfca7ab0c
	v_mov_b32_e32 v21, 0x3e928af3
	s_mov_b32 s3, 0x3e5ade15
	v_fmac_f64_e32 v[20:21], s[2:3], v[12:13]
	v_mov_b32_e32 v26, 0x623fde64
	v_mov_b32_e32 v27, 0x3ec71dee
	v_fmac_f64_e32 v[26:27], v[12:13], v[20:21]
	v_mov_b32_e32 v20, 0x7c89e6b0
	v_mov_b32_e32 v21, 0x3efa0199
	;; [unrolled: 3-line block ×8, first 2 shown]
	s_mov_b32 s2, 0
	v_fmac_f64_e32 v[20:21], v[12:13], v[26:27]
	s_mov_b32 s3, 0x40900000
	v_fma_f64 v[20:21], v[12:13], v[20:21], 1.0
	v_cmp_nlt_f64_e32 vcc, s[2:3], v[8:9]
	s_mov_b32 s2, 0
	v_fma_f64 v[12:13], v[12:13], v[20:21], 1.0
	v_cvt_i32_f64_e32 v10, v[10:11]
	s_mov_b32 s3, 0xc090cc00
	v_ldexp_f64 v[10:11], v[12:13], v10
	v_mov_b32_e32 v31, 0x7ff00000
	v_cmp_ngt_f64_e64 s[2:3], s[2:3], v[8:9]
	v_cndmask_b32_e32 v11, v31, v11, vcc
	s_and_b64 vcc, s[2:3], vcc
	v_cndmask_b32_e64 v9, 0, v11, s[2:3]
	v_cndmask_b32_e32 v8, 0, v10, vcc
	v_add_f64 v[10:11], v[8:9], 1.0
	v_add_f64 v[12:13], v[10:11], -1.0
	v_add_f64 v[20:21], v[12:13], -v[10:11]
	v_add_f64 v[20:21], v[20:21], 1.0
	v_add_f64 v[12:13], v[8:9], -v[12:13]
	s_mov_b32 s2, 0x55555555
	v_add_f64 v[12:13], v[12:13], v[20:21]
	v_frexp_mant_f64_e32 v[20:21], v[10:11]
	s_mov_b32 s3, 0x3fe55555
	v_frexp_exp_i32_f64_e32 v26, v[10:11]
	v_cmp_gt_f64_e32 vcc, s[2:3], v[20:21]
	s_mov_b32 s2, 0xbf559e2b
	s_mov_b32 s3, 0x3fc3ab76
	v_subbrev_co_u32_e32 v44, vcc, 0, v26, vcc
	v_sub_u32_e32 v20, 0, v44
	v_ldexp_f64 v[10:11], v[10:11], v20
	v_ldexp_f64 v[12:13], v[12:13], v20
	v_add_f64 v[20:21], v[10:11], -1.0
	v_add_f64 v[34:35], v[10:11], 1.0
	v_add_f64 v[26:27], v[20:21], 1.0
	v_add_f64 v[36:37], v[34:35], -1.0
	v_add_f64 v[26:27], v[10:11], -v[26:27]
	v_add_f64 v[10:11], v[10:11], -v[36:37]
	v_add_f64 v[10:11], v[12:13], v[10:11]
	v_add_f64 v[26:27], v[12:13], v[26:27]
	v_add_f64 v[12:13], v[34:35], v[10:11]
	v_rcp_f64_e32 v[36:37], v[12:13]
	v_add_f64 v[32:33], v[20:21], v[26:27]
	v_add_f64 v[20:21], v[32:33], -v[20:21]
	v_add_f64 v[20:21], v[26:27], -v[20:21]
	;; [unrolled: 1-line block ×4, first 2 shown]
	v_fma_f64 v[26:27], -v[12:13], v[36:37], 1.0
	v_fmac_f64_e32 v[36:37], v[26:27], v[36:37]
	v_fma_f64 v[26:27], -v[12:13], v[36:37], 1.0
	v_fmac_f64_e32 v[36:37], v[26:27], v[36:37]
	v_mul_f64 v[26:27], v[32:33], v[36:37]
	v_mul_f64 v[34:35], v[12:13], v[26:27]
	v_fma_f64 v[38:39], v[26:27], v[12:13], -v[34:35]
	v_fmac_f64_e32 v[38:39], v[26:27], v[10:11]
	v_add_f64 v[40:41], v[34:35], v[38:39]
	v_add_f64 v[42:43], v[32:33], -v[40:41]
	v_add_f64 v[32:33], v[32:33], -v[42:43]
	v_add_f64 v[34:35], v[40:41], -v[34:35]
	v_add_f64 v[32:33], v[32:33], -v[40:41]
	v_add_f64 v[20:21], v[20:21], v[32:33]
	v_add_f64 v[32:33], v[34:35], -v[38:39]
	v_add_f64 v[20:21], v[32:33], v[20:21]
	v_add_f64 v[32:33], v[42:43], v[20:21]
	v_add_f64 v[34:35], v[42:43], -v[32:33]
	v_add_f64 v[20:21], v[20:21], v[34:35]
	v_mul_f64 v[34:35], v[36:37], v[32:33]
	v_mul_f64 v[38:39], v[12:13], v[34:35]
	v_fma_f64 v[12:13], v[34:35], v[12:13], -v[38:39]
	v_fmac_f64_e32 v[12:13], v[34:35], v[10:11]
	v_add_f64 v[10:11], v[38:39], v[12:13]
	v_add_f64 v[40:41], v[32:33], -v[10:11]
	v_add_f64 v[32:33], v[32:33], -v[40:41]
	;; [unrolled: 1-line block ×4, first 2 shown]
	v_add_f64 v[10:11], v[20:21], v[10:11]
	v_add_f64 v[12:13], v[38:39], -v[12:13]
	v_add_f64 v[10:11], v[12:13], v[10:11]
	v_add_f64 v[12:13], v[26:27], v[34:35]
	v_add_f64 v[10:11], v[40:41], v[10:11]
	v_add_f64 v[20:21], v[12:13], -v[26:27]
	v_mul_f64 v[10:11], v[36:37], v[10:11]
	v_add_f64 v[20:21], v[34:35], -v[20:21]
	v_add_f64 v[10:11], v[20:21], v[10:11]
	v_add_f64 v[20:21], v[12:13], v[10:11]
	v_add_f64 v[12:13], v[20:21], -v[12:13]
	v_add_f64 v[10:11], v[10:11], -v[12:13]
	v_mul_f64 v[12:13], v[20:21], v[20:21]
	v_mov_b32_e32 v26, 0x6b47b09a
	v_mov_b32_e32 v27, 0x3fc38538
	v_fmac_f64_e32 v[26:27], s[2:3], v[12:13]
	v_mov_b32_e32 v32, 0xd7f4df2e
	v_mov_b32_e32 v33, 0x3fc7474d
	v_fmac_f64_e32 v[32:33], v[12:13], v[26:27]
	;; [unrolled: 3-line block ×6, first 2 shown]
	v_cvt_f64_i32_e32 v[26:27], v44
	s_mov_b32 s7, 0x3fe62e42
	v_mul_f64 v[34:35], v[26:27], s[6:7]
	v_fma_f64 v[36:37], v[26:27], s[6:7], -v[34:35]
	s_mov_b32 s15, 0x3c7abc9e
	v_fmac_f64_e32 v[36:37], s[14:15], v[26:27]
	v_add_f64 v[26:27], v[34:35], v[36:37]
	v_add_f64 v[34:35], v[26:27], -v[34:35]
	v_mul_f64 v[12:13], v[20:21], v[12:13]
	v_add_f64 v[34:35], v[36:37], -v[34:35]
	v_ldexp_f64 v[36:37], v[20:21], 1
	v_mul_f64 v[12:13], v[12:13], v[32:33]
	v_add_f64 v[20:21], v[36:37], v[12:13]
	v_add_f64 v[32:33], v[20:21], -v[36:37]
	v_ldexp_f64 v[10:11], v[10:11], 1
	v_add_f64 v[12:13], v[12:13], -v[32:33]
	v_add_f64 v[10:11], v[10:11], v[12:13]
	v_add_f64 v[12:13], v[20:21], v[10:11]
	v_add_f64 v[20:21], v[12:13], -v[20:21]
	v_add_f64 v[10:11], v[10:11], -v[20:21]
	v_add_f64 v[20:21], v[26:27], v[12:13]
	v_add_f64 v[32:33], v[20:21], -v[26:27]
	v_add_f64 v[36:37], v[20:21], -v[32:33]
	;; [unrolled: 1-line block ×4, first 2 shown]
	v_add_f64 v[12:13], v[12:13], v[26:27]
	v_add_f64 v[26:27], v[34:35], v[10:11]
	v_add_f64 v[32:33], v[26:27], -v[34:35]
	v_add_f64 v[12:13], v[26:27], v[12:13]
	v_add_f64 v[36:37], v[26:27], -v[32:33]
	;; [unrolled: 2-line block ×3, first 2 shown]
	v_add_f64 v[10:11], v[10:11], -v[32:33]
	v_add_f64 v[20:21], v[26:27], -v[20:21]
	v_add_f64 v[10:11], v[10:11], v[34:35]
	v_add_f64 v[12:13], v[12:13], -v[20:21]
	s_mov_b32 s2, 0
	v_add_f64 v[10:11], v[10:11], v[12:13]
	s_mov_b32 s3, 0x7ff00000
	v_add_f64 v[10:11], v[26:27], v[10:11]
	v_cmp_neq_f64_e32 vcc, s[2:3], v[8:9]
	v_mov_b32_e32 v12, 0x7ff80000
	v_cmp_ngt_f64_e64 s[2:3], -1.0, v[8:9]
	v_cndmask_b32_e32 v11, v31, v11, vcc
	s_nop 0
	v_cndmask_b32_e64 v11, v12, v11, s[2:3]
	v_cmp_nge_f64_e64 s[2:3], -1.0, v[8:9]
	s_and_b64 vcc, s[2:3], vcc
	v_cndmask_b32_e32 v10, 0, v10, vcc
	v_mov_b32_e32 v12, 0xfff00000
	v_cmp_neq_f64_e32 vcc, -1.0, v[8:9]
	s_nop 1
	v_cndmask_b32_e32 v11, v12, v11, vcc
	v_add_f64 v[10:11], v[4:5], v[10:11]
.LBB66_224:
	s_or_b64 exec, exec, s[4:5]
	v_max_f64 v[4:5], v[10:11], v[10:11]
	v_min_f64 v[8:9], v[4:5], v[14:15]
	v_cmp_u_f64_e32 vcc, v[10:11], v[10:11]
	v_max_f64 v[4:5], v[4:5], v[14:15]
	s_movk_i32 s14, 0x1f8
	v_cndmask_b32_e32 v8, v8, v10, vcc
	v_cndmask_b32_e32 v9, v9, v11, vcc
	;; [unrolled: 1-line block ×4, first 2 shown]
	v_cndmask_b32_e64 v9, v9, v29, s[8:9]
	v_cndmask_b32_e64 v8, v8, v28, s[8:9]
	;; [unrolled: 1-line block ×4, first 2 shown]
	v_cmp_neq_f64_e32 vcc, v[8:9], v[4:5]
	v_cmp_class_f64_e64 s[2:3], v[8:9], s14
	s_or_b64 s[2:3], vcc, s[2:3]
	v_mov_b64_e32 v[12:13], v[10:11]
	s_and_saveexec_b64 s[4:5], s[2:3]
	s_cbranch_execz .LBB66_226
; %bb.225:
	s_mov_b32 s2, 0x652b82fe
	v_add_f64 v[8:9], v[8:9], -v[4:5]
	s_mov_b32 s3, 0x3ff71547
	v_mul_f64 v[12:13], v[8:9], s[2:3]
	v_rndne_f64_e32 v[12:13], v[12:13]
	s_mov_b32 s7, 0xbfe62e42
	s_mov_b32 s6, 0xfefa39ef
	v_fma_f64 v[14:15], s[6:7], v[12:13], v[8:9]
	s_mov_b32 s9, 0xbc7abc9e
	s_mov_b32 s8, 0x3b39803f
	;; [unrolled: 1-line block ×3, first 2 shown]
	v_fmac_f64_e32 v[14:15], s[8:9], v[12:13]
	v_mov_b32_e32 v20, 0xfca7ab0c
	v_mov_b32_e32 v21, 0x3e928af3
	s_mov_b32 s3, 0x3e5ade15
	v_fmac_f64_e32 v[20:21], s[2:3], v[14:15]
	v_mov_b32_e32 v26, 0x623fde64
	v_mov_b32_e32 v27, 0x3ec71dee
	v_fmac_f64_e32 v[26:27], v[14:15], v[20:21]
	v_mov_b32_e32 v20, 0x7c89e6b0
	v_mov_b32_e32 v21, 0x3efa0199
	;; [unrolled: 3-line block ×8, first 2 shown]
	s_mov_b32 s2, 0
	v_fmac_f64_e32 v[20:21], v[14:15], v[26:27]
	s_mov_b32 s3, 0x40900000
	v_fma_f64 v[20:21], v[14:15], v[20:21], 1.0
	v_cmp_nlt_f64_e32 vcc, s[2:3], v[8:9]
	s_mov_b32 s2, 0
	v_fma_f64 v[14:15], v[14:15], v[20:21], 1.0
	v_cvt_i32_f64_e32 v12, v[12:13]
	s_mov_b32 s3, 0xc090cc00
	v_ldexp_f64 v[12:13], v[14:15], v12
	v_mov_b32_e32 v31, 0x7ff00000
	v_cmp_ngt_f64_e64 s[2:3], s[2:3], v[8:9]
	v_cndmask_b32_e32 v13, v31, v13, vcc
	s_and_b64 vcc, s[2:3], vcc
	v_cndmask_b32_e64 v9, 0, v13, s[2:3]
	v_cndmask_b32_e32 v8, 0, v12, vcc
	v_add_f64 v[12:13], v[8:9], 1.0
	v_add_f64 v[14:15], v[12:13], -1.0
	v_add_f64 v[20:21], v[14:15], -v[12:13]
	v_add_f64 v[20:21], v[20:21], 1.0
	v_add_f64 v[14:15], v[8:9], -v[14:15]
	s_mov_b32 s2, 0x55555555
	v_add_f64 v[14:15], v[14:15], v[20:21]
	v_frexp_mant_f64_e32 v[20:21], v[12:13]
	s_mov_b32 s3, 0x3fe55555
	v_frexp_exp_i32_f64_e32 v26, v[12:13]
	v_cmp_gt_f64_e32 vcc, s[2:3], v[20:21]
	s_mov_b32 s2, 0xbf559e2b
	s_mov_b32 s3, 0x3fc3ab76
	v_subbrev_co_u32_e32 v42, vcc, 0, v26, vcc
	v_sub_u32_e32 v20, 0, v42
	v_ldexp_f64 v[12:13], v[12:13], v20
	v_ldexp_f64 v[14:15], v[14:15], v20
	v_add_f64 v[20:21], v[12:13], -1.0
	v_add_f64 v[32:33], v[12:13], 1.0
	v_add_f64 v[26:27], v[20:21], 1.0
	v_add_f64 v[34:35], v[32:33], -1.0
	v_add_f64 v[26:27], v[12:13], -v[26:27]
	v_add_f64 v[12:13], v[12:13], -v[34:35]
	v_add_f64 v[12:13], v[14:15], v[12:13]
	v_add_f64 v[26:27], v[14:15], v[26:27]
	;; [unrolled: 1-line block ×3, first 2 shown]
	v_rcp_f64_e32 v[34:35], v[14:15]
	v_add_f64 v[28:29], v[20:21], v[26:27]
	v_add_f64 v[20:21], v[28:29], -v[20:21]
	v_add_f64 v[20:21], v[26:27], -v[20:21]
	v_add_f64 v[26:27], v[14:15], -v[32:33]
	v_add_f64 v[12:13], v[12:13], -v[26:27]
	v_fma_f64 v[26:27], -v[14:15], v[34:35], 1.0
	v_fmac_f64_e32 v[34:35], v[26:27], v[34:35]
	v_fma_f64 v[26:27], -v[14:15], v[34:35], 1.0
	v_fmac_f64_e32 v[34:35], v[26:27], v[34:35]
	v_mul_f64 v[26:27], v[28:29], v[34:35]
	v_mul_f64 v[32:33], v[14:15], v[26:27]
	v_fma_f64 v[36:37], v[26:27], v[14:15], -v[32:33]
	v_fmac_f64_e32 v[36:37], v[26:27], v[12:13]
	v_add_f64 v[38:39], v[32:33], v[36:37]
	v_add_f64 v[40:41], v[28:29], -v[38:39]
	v_add_f64 v[28:29], v[28:29], -v[40:41]
	;; [unrolled: 1-line block ×4, first 2 shown]
	v_add_f64 v[20:21], v[20:21], v[28:29]
	v_add_f64 v[28:29], v[32:33], -v[36:37]
	v_add_f64 v[20:21], v[28:29], v[20:21]
	v_add_f64 v[28:29], v[40:41], v[20:21]
	v_add_f64 v[32:33], v[40:41], -v[28:29]
	v_add_f64 v[20:21], v[20:21], v[32:33]
	v_mul_f64 v[32:33], v[34:35], v[28:29]
	v_mul_f64 v[36:37], v[14:15], v[32:33]
	v_fma_f64 v[14:15], v[32:33], v[14:15], -v[36:37]
	v_fmac_f64_e32 v[14:15], v[32:33], v[12:13]
	v_add_f64 v[12:13], v[36:37], v[14:15]
	v_add_f64 v[38:39], v[28:29], -v[12:13]
	v_add_f64 v[28:29], v[28:29], -v[38:39]
	;; [unrolled: 1-line block ×4, first 2 shown]
	v_add_f64 v[12:13], v[20:21], v[12:13]
	v_add_f64 v[14:15], v[36:37], -v[14:15]
	v_add_f64 v[12:13], v[14:15], v[12:13]
	v_add_f64 v[14:15], v[26:27], v[32:33]
	;; [unrolled: 1-line block ×3, first 2 shown]
	v_add_f64 v[20:21], v[14:15], -v[26:27]
	v_mul_f64 v[12:13], v[34:35], v[12:13]
	v_add_f64 v[20:21], v[32:33], -v[20:21]
	v_add_f64 v[12:13], v[20:21], v[12:13]
	v_add_f64 v[20:21], v[14:15], v[12:13]
	v_add_f64 v[14:15], v[20:21], -v[14:15]
	v_add_f64 v[12:13], v[12:13], -v[14:15]
	v_mul_f64 v[14:15], v[20:21], v[20:21]
	v_mov_b32_e32 v26, 0x6b47b09a
	v_mov_b32_e32 v27, 0x3fc38538
	v_fmac_f64_e32 v[26:27], s[2:3], v[14:15]
	v_mov_b32_e32 v28, 0xd7f4df2e
	v_mov_b32_e32 v29, 0x3fc7474d
	v_fmac_f64_e32 v[28:29], v[14:15], v[26:27]
	;; [unrolled: 3-line block ×6, first 2 shown]
	v_cvt_f64_i32_e32 v[26:27], v42
	s_mov_b32 s7, 0x3fe62e42
	v_mul_f64 v[32:33], v[26:27], s[6:7]
	v_fma_f64 v[34:35], v[26:27], s[6:7], -v[32:33]
	s_mov_b32 s9, 0x3c7abc9e
	v_fmac_f64_e32 v[34:35], s[8:9], v[26:27]
	v_add_f64 v[26:27], v[32:33], v[34:35]
	v_add_f64 v[32:33], v[26:27], -v[32:33]
	v_mul_f64 v[14:15], v[20:21], v[14:15]
	v_add_f64 v[32:33], v[34:35], -v[32:33]
	v_ldexp_f64 v[34:35], v[20:21], 1
	v_mul_f64 v[14:15], v[14:15], v[28:29]
	v_add_f64 v[20:21], v[34:35], v[14:15]
	v_add_f64 v[28:29], v[20:21], -v[34:35]
	v_ldexp_f64 v[12:13], v[12:13], 1
	v_add_f64 v[14:15], v[14:15], -v[28:29]
	v_add_f64 v[12:13], v[12:13], v[14:15]
	v_add_f64 v[14:15], v[20:21], v[12:13]
	v_add_f64 v[20:21], v[14:15], -v[20:21]
	v_add_f64 v[12:13], v[12:13], -v[20:21]
	v_add_f64 v[20:21], v[26:27], v[14:15]
	v_add_f64 v[28:29], v[20:21], -v[26:27]
	v_add_f64 v[34:35], v[20:21], -v[28:29]
	;; [unrolled: 1-line block ×4, first 2 shown]
	v_add_f64 v[14:15], v[14:15], v[26:27]
	v_add_f64 v[26:27], v[32:33], v[12:13]
	v_add_f64 v[28:29], v[26:27], -v[32:33]
	v_add_f64 v[14:15], v[26:27], v[14:15]
	v_add_f64 v[34:35], v[26:27], -v[28:29]
	;; [unrolled: 2-line block ×3, first 2 shown]
	v_add_f64 v[12:13], v[12:13], -v[28:29]
	v_add_f64 v[20:21], v[26:27], -v[20:21]
	v_add_f64 v[12:13], v[12:13], v[32:33]
	v_add_f64 v[14:15], v[14:15], -v[20:21]
	s_mov_b32 s2, 0
	v_add_f64 v[12:13], v[12:13], v[14:15]
	s_mov_b32 s3, 0x7ff00000
	v_add_f64 v[12:13], v[26:27], v[12:13]
	v_cmp_neq_f64_e32 vcc, s[2:3], v[8:9]
	v_mov_b32_e32 v14, 0x7ff80000
	v_cmp_ngt_f64_e64 s[2:3], -1.0, v[8:9]
	v_cndmask_b32_e32 v13, v31, v13, vcc
	s_nop 0
	v_cndmask_b32_e64 v13, v14, v13, s[2:3]
	v_cmp_nge_f64_e64 s[2:3], -1.0, v[8:9]
	s_and_b64 vcc, s[2:3], vcc
	v_cndmask_b32_e32 v12, 0, v12, vcc
	v_mov_b32_e32 v14, 0xfff00000
	v_cmp_neq_f64_e32 vcc, -1.0, v[8:9]
	s_nop 1
	v_cndmask_b32_e32 v13, v14, v13, vcc
	v_add_f64 v[12:13], v[4:5], v[12:13]
.LBB66_226:
	s_or_b64 exec, exec, s[4:5]
	v_max_f64 v[4:5], v[12:13], v[12:13]
	v_min_f64 v[8:9], v[4:5], v[16:17]
	v_cmp_u_f64_e32 vcc, v[12:13], v[12:13]
	v_max_f64 v[4:5], v[4:5], v[16:17]
	v_mov_b64_e32 v[14:15], v[12:13]
	v_cndmask_b32_e32 v8, v8, v12, vcc
	v_cndmask_b32_e32 v9, v9, v13, vcc
	;; [unrolled: 1-line block ×4, first 2 shown]
	v_cndmask_b32_e64 v9, v9, v23, s[10:11]
	v_cndmask_b32_e64 v8, v8, v22, s[10:11]
	;; [unrolled: 1-line block ×4, first 2 shown]
	v_cmp_neq_f64_e32 vcc, v[8:9], v[4:5]
	v_cmp_class_f64_e64 s[2:3], v[8:9], s14
	s_or_b64 s[2:3], vcc, s[2:3]
	s_and_saveexec_b64 s[4:5], s[2:3]
	s_cbranch_execz .LBB66_228
; %bb.227:
	s_mov_b32 s2, 0x652b82fe
	v_add_f64 v[8:9], v[8:9], -v[4:5]
	s_mov_b32 s3, 0x3ff71547
	v_mul_f64 v[14:15], v[8:9], s[2:3]
	v_rndne_f64_e32 v[14:15], v[14:15]
	s_mov_b32 s7, 0xbfe62e42
	s_mov_b32 s6, 0xfefa39ef
	v_fma_f64 v[16:17], s[6:7], v[14:15], v[8:9]
	s_mov_b32 s9, 0xbc7abc9e
	s_mov_b32 s8, 0x3b39803f
	;; [unrolled: 1-line block ×3, first 2 shown]
	v_fmac_f64_e32 v[16:17], s[8:9], v[14:15]
	v_mov_b32_e32 v20, 0xfca7ab0c
	v_mov_b32_e32 v21, 0x3e928af3
	s_mov_b32 s3, 0x3e5ade15
	v_fmac_f64_e32 v[20:21], s[2:3], v[16:17]
	v_mov_b32_e32 v22, 0x623fde64
	v_mov_b32_e32 v23, 0x3ec71dee
	v_fmac_f64_e32 v[22:23], v[16:17], v[20:21]
	v_mov_b32_e32 v20, 0x7c89e6b0
	v_mov_b32_e32 v21, 0x3efa0199
	;; [unrolled: 3-line block ×8, first 2 shown]
	s_mov_b32 s2, 0
	v_fmac_f64_e32 v[20:21], v[16:17], v[22:23]
	s_mov_b32 s3, 0x40900000
	v_fma_f64 v[20:21], v[16:17], v[20:21], 1.0
	v_cmp_nlt_f64_e32 vcc, s[2:3], v[8:9]
	s_mov_b32 s2, 0
	v_fma_f64 v[16:17], v[16:17], v[20:21], 1.0
	v_cvt_i32_f64_e32 v14, v[14:15]
	s_mov_b32 s3, 0xc090cc00
	v_ldexp_f64 v[14:15], v[16:17], v14
	v_mov_b32_e32 v31, 0x7ff00000
	v_cmp_ngt_f64_e64 s[2:3], s[2:3], v[8:9]
	v_cndmask_b32_e32 v15, v31, v15, vcc
	s_and_b64 vcc, s[2:3], vcc
	v_cndmask_b32_e64 v9, 0, v15, s[2:3]
	v_cndmask_b32_e32 v8, 0, v14, vcc
	v_add_f64 v[14:15], v[8:9], 1.0
	v_add_f64 v[16:17], v[14:15], -1.0
	v_add_f64 v[20:21], v[16:17], -v[14:15]
	v_add_f64 v[20:21], v[20:21], 1.0
	v_add_f64 v[16:17], v[8:9], -v[16:17]
	s_mov_b32 s2, 0x55555555
	v_add_f64 v[16:17], v[16:17], v[20:21]
	v_frexp_mant_f64_e32 v[20:21], v[14:15]
	s_mov_b32 s3, 0x3fe55555
	v_frexp_exp_i32_f64_e32 v22, v[14:15]
	v_cmp_gt_f64_e32 vcc, s[2:3], v[20:21]
	s_mov_b32 s2, 0xbf559e2b
	s_mov_b32 s3, 0x3fc3ab76
	v_subbrev_co_u32_e32 v40, vcc, 0, v22, vcc
	v_sub_u32_e32 v20, 0, v40
	v_ldexp_f64 v[14:15], v[14:15], v20
	v_ldexp_f64 v[16:17], v[16:17], v20
	v_add_f64 v[20:21], v[14:15], -1.0
	v_add_f64 v[28:29], v[14:15], 1.0
	v_add_f64 v[22:23], v[20:21], 1.0
	v_add_f64 v[32:33], v[28:29], -1.0
	v_add_f64 v[22:23], v[14:15], -v[22:23]
	v_add_f64 v[14:15], v[14:15], -v[32:33]
	v_add_f64 v[14:15], v[16:17], v[14:15]
	v_add_f64 v[22:23], v[16:17], v[22:23]
	;; [unrolled: 1-line block ×3, first 2 shown]
	v_rcp_f64_e32 v[32:33], v[16:17]
	v_add_f64 v[26:27], v[20:21], v[22:23]
	v_add_f64 v[20:21], v[26:27], -v[20:21]
	v_add_f64 v[20:21], v[22:23], -v[20:21]
	;; [unrolled: 1-line block ×4, first 2 shown]
	v_fma_f64 v[22:23], -v[16:17], v[32:33], 1.0
	v_fmac_f64_e32 v[32:33], v[22:23], v[32:33]
	v_fma_f64 v[22:23], -v[16:17], v[32:33], 1.0
	v_fmac_f64_e32 v[32:33], v[22:23], v[32:33]
	v_mul_f64 v[22:23], v[26:27], v[32:33]
	v_mul_f64 v[28:29], v[16:17], v[22:23]
	v_fma_f64 v[34:35], v[22:23], v[16:17], -v[28:29]
	v_fmac_f64_e32 v[34:35], v[22:23], v[14:15]
	v_add_f64 v[36:37], v[28:29], v[34:35]
	v_add_f64 v[38:39], v[26:27], -v[36:37]
	v_add_f64 v[26:27], v[26:27], -v[38:39]
	;; [unrolled: 1-line block ×4, first 2 shown]
	v_add_f64 v[20:21], v[20:21], v[26:27]
	v_add_f64 v[26:27], v[28:29], -v[34:35]
	v_add_f64 v[20:21], v[26:27], v[20:21]
	v_add_f64 v[26:27], v[38:39], v[20:21]
	v_add_f64 v[28:29], v[38:39], -v[26:27]
	v_add_f64 v[20:21], v[20:21], v[28:29]
	v_mul_f64 v[28:29], v[32:33], v[26:27]
	v_mul_f64 v[34:35], v[16:17], v[28:29]
	v_fma_f64 v[16:17], v[28:29], v[16:17], -v[34:35]
	v_fmac_f64_e32 v[16:17], v[28:29], v[14:15]
	v_add_f64 v[14:15], v[34:35], v[16:17]
	v_add_f64 v[36:37], v[26:27], -v[14:15]
	v_add_f64 v[26:27], v[26:27], -v[36:37]
	;; [unrolled: 1-line block ×4, first 2 shown]
	v_add_f64 v[14:15], v[20:21], v[14:15]
	v_add_f64 v[16:17], v[34:35], -v[16:17]
	v_add_f64 v[14:15], v[16:17], v[14:15]
	v_add_f64 v[16:17], v[22:23], v[28:29]
	;; [unrolled: 1-line block ×3, first 2 shown]
	v_add_f64 v[20:21], v[16:17], -v[22:23]
	v_mul_f64 v[14:15], v[32:33], v[14:15]
	v_add_f64 v[20:21], v[28:29], -v[20:21]
	v_add_f64 v[14:15], v[20:21], v[14:15]
	v_add_f64 v[20:21], v[16:17], v[14:15]
	v_add_f64 v[16:17], v[20:21], -v[16:17]
	v_add_f64 v[14:15], v[14:15], -v[16:17]
	v_mul_f64 v[16:17], v[20:21], v[20:21]
	v_mov_b32_e32 v22, 0x6b47b09a
	v_mov_b32_e32 v23, 0x3fc38538
	v_fmac_f64_e32 v[22:23], s[2:3], v[16:17]
	v_mov_b32_e32 v26, 0xd7f4df2e
	v_mov_b32_e32 v27, 0x3fc7474d
	v_fmac_f64_e32 v[26:27], v[16:17], v[22:23]
	;; [unrolled: 3-line block ×6, first 2 shown]
	v_cvt_f64_i32_e32 v[22:23], v40
	s_mov_b32 s7, 0x3fe62e42
	v_mul_f64 v[28:29], v[22:23], s[6:7]
	v_fma_f64 v[32:33], v[22:23], s[6:7], -v[28:29]
	s_mov_b32 s9, 0x3c7abc9e
	v_fmac_f64_e32 v[32:33], s[8:9], v[22:23]
	v_add_f64 v[22:23], v[28:29], v[32:33]
	v_add_f64 v[28:29], v[22:23], -v[28:29]
	v_mul_f64 v[16:17], v[20:21], v[16:17]
	v_add_f64 v[28:29], v[32:33], -v[28:29]
	v_ldexp_f64 v[32:33], v[20:21], 1
	v_mul_f64 v[16:17], v[16:17], v[26:27]
	v_add_f64 v[20:21], v[32:33], v[16:17]
	v_add_f64 v[26:27], v[20:21], -v[32:33]
	v_ldexp_f64 v[14:15], v[14:15], 1
	v_add_f64 v[16:17], v[16:17], -v[26:27]
	v_add_f64 v[14:15], v[14:15], v[16:17]
	v_add_f64 v[16:17], v[20:21], v[14:15]
	v_add_f64 v[20:21], v[16:17], -v[20:21]
	v_add_f64 v[14:15], v[14:15], -v[20:21]
	v_add_f64 v[20:21], v[22:23], v[16:17]
	v_add_f64 v[26:27], v[20:21], -v[22:23]
	v_add_f64 v[32:33], v[20:21], -v[26:27]
	;; [unrolled: 1-line block ×4, first 2 shown]
	v_add_f64 v[16:17], v[16:17], v[22:23]
	v_add_f64 v[22:23], v[28:29], v[14:15]
	v_add_f64 v[26:27], v[22:23], -v[28:29]
	v_add_f64 v[16:17], v[22:23], v[16:17]
	v_add_f64 v[32:33], v[22:23], -v[26:27]
	;; [unrolled: 2-line block ×3, first 2 shown]
	v_add_f64 v[14:15], v[14:15], -v[26:27]
	v_add_f64 v[20:21], v[22:23], -v[20:21]
	v_add_f64 v[14:15], v[14:15], v[28:29]
	v_add_f64 v[16:17], v[16:17], -v[20:21]
	s_mov_b32 s2, 0
	v_add_f64 v[14:15], v[14:15], v[16:17]
	s_mov_b32 s3, 0x7ff00000
	v_add_f64 v[14:15], v[22:23], v[14:15]
	v_cmp_neq_f64_e32 vcc, s[2:3], v[8:9]
	v_mov_b32_e32 v16, 0x7ff80000
	v_cmp_ngt_f64_e64 s[2:3], -1.0, v[8:9]
	v_cndmask_b32_e32 v15, v31, v15, vcc
	s_nop 0
	v_cndmask_b32_e64 v15, v16, v15, s[2:3]
	v_cmp_nge_f64_e64 s[2:3], -1.0, v[8:9]
	s_and_b64 vcc, s[2:3], vcc
	v_cndmask_b32_e32 v14, 0, v14, vcc
	v_mov_b32_e32 v16, 0xfff00000
	v_cmp_neq_f64_e32 vcc, -1.0, v[8:9]
	s_nop 1
	v_cndmask_b32_e32 v15, v16, v15, vcc
	v_add_f64 v[14:15], v[4:5], v[14:15]
.LBB66_228:
	s_or_b64 exec, exec, s[4:5]
	v_max_f64 v[4:5], v[14:15], v[14:15]
	v_min_f64 v[8:9], v[4:5], v[18:19]
	v_cmp_u_f64_e32 vcc, v[14:15], v[14:15]
	v_max_f64 v[4:5], v[4:5], v[18:19]
	s_movk_i32 s2, 0x1f8
	v_cndmask_b32_e32 v8, v8, v14, vcc
	v_cndmask_b32_e32 v9, v9, v15, vcc
	;; [unrolled: 1-line block ×4, first 2 shown]
	v_cndmask_b32_e64 v9, v9, v25, s[12:13]
	v_cndmask_b32_e64 v8, v8, v24, s[12:13]
	;; [unrolled: 1-line block ×4, first 2 shown]
	v_cmp_neq_f64_e32 vcc, v[8:9], v[4:5]
	v_cmp_class_f64_e64 s[2:3], v[8:9], s2
	s_or_b64 s[2:3], vcc, s[2:3]
	v_mov_b64_e32 v[16:17], v[14:15]
	s_and_saveexec_b64 s[4:5], s[2:3]
	s_cbranch_execz .LBB66_230
; %bb.229:
	s_mov_b32 s2, 0x652b82fe
	v_add_f64 v[8:9], v[8:9], -v[4:5]
	s_mov_b32 s3, 0x3ff71547
	v_mul_f64 v[16:17], v[8:9], s[2:3]
	v_rndne_f64_e32 v[16:17], v[16:17]
	s_mov_b32 s7, 0xbfe62e42
	s_mov_b32 s6, 0xfefa39ef
	v_fma_f64 v[18:19], s[6:7], v[16:17], v[8:9]
	s_mov_b32 s9, 0xbc7abc9e
	s_mov_b32 s8, 0x3b39803f
	;; [unrolled: 1-line block ×3, first 2 shown]
	v_fmac_f64_e32 v[18:19], s[8:9], v[16:17]
	v_mov_b32_e32 v20, 0xfca7ab0c
	v_mov_b32_e32 v21, 0x3e928af3
	s_mov_b32 s3, 0x3e5ade15
	v_fmac_f64_e32 v[20:21], s[2:3], v[18:19]
	v_mov_b32_e32 v22, 0x623fde64
	v_mov_b32_e32 v23, 0x3ec71dee
	v_fmac_f64_e32 v[22:23], v[18:19], v[20:21]
	v_mov_b32_e32 v20, 0x7c89e6b0
	v_mov_b32_e32 v21, 0x3efa0199
	;; [unrolled: 3-line block ×8, first 2 shown]
	s_mov_b32 s2, 0
	v_fmac_f64_e32 v[20:21], v[18:19], v[22:23]
	s_mov_b32 s3, 0x40900000
	v_fma_f64 v[20:21], v[18:19], v[20:21], 1.0
	v_cmp_nlt_f64_e32 vcc, s[2:3], v[8:9]
	s_mov_b32 s2, 0
	v_fma_f64 v[18:19], v[18:19], v[20:21], 1.0
	v_cvt_i32_f64_e32 v16, v[16:17]
	s_mov_b32 s3, 0xc090cc00
	v_ldexp_f64 v[16:17], v[18:19], v16
	v_mov_b32_e32 v31, 0x7ff00000
	v_cmp_ngt_f64_e64 s[2:3], s[2:3], v[8:9]
	v_cndmask_b32_e32 v17, v31, v17, vcc
	s_and_b64 vcc, s[2:3], vcc
	v_cndmask_b32_e64 v9, 0, v17, s[2:3]
	v_cndmask_b32_e32 v8, 0, v16, vcc
	v_add_f64 v[16:17], v[8:9], 1.0
	v_add_f64 v[18:19], v[16:17], -1.0
	v_add_f64 v[20:21], v[18:19], -v[16:17]
	v_add_f64 v[20:21], v[20:21], 1.0
	v_add_f64 v[18:19], v[8:9], -v[18:19]
	s_mov_b32 s2, 0x55555555
	v_add_f64 v[18:19], v[18:19], v[20:21]
	v_frexp_mant_f64_e32 v[20:21], v[16:17]
	s_mov_b32 s3, 0x3fe55555
	v_frexp_exp_i32_f64_e32 v22, v[16:17]
	v_cmp_gt_f64_e32 vcc, s[2:3], v[20:21]
	s_mov_b32 s2, 0xbf559e2b
	s_mov_b32 s3, 0x3fc3ab76
	v_subbrev_co_u32_e32 v38, vcc, 0, v22, vcc
	v_sub_u32_e32 v20, 0, v38
	v_ldexp_f64 v[16:17], v[16:17], v20
	v_ldexp_f64 v[18:19], v[18:19], v20
	v_add_f64 v[20:21], v[16:17], -1.0
	v_add_f64 v[26:27], v[16:17], 1.0
	v_add_f64 v[22:23], v[20:21], 1.0
	v_add_f64 v[28:29], v[26:27], -1.0
	v_add_f64 v[22:23], v[16:17], -v[22:23]
	v_add_f64 v[16:17], v[16:17], -v[28:29]
	v_add_f64 v[16:17], v[18:19], v[16:17]
	v_add_f64 v[22:23], v[18:19], v[22:23]
	;; [unrolled: 1-line block ×3, first 2 shown]
	v_rcp_f64_e32 v[28:29], v[18:19]
	v_add_f64 v[24:25], v[20:21], v[22:23]
	v_add_f64 v[20:21], v[24:25], -v[20:21]
	v_add_f64 v[20:21], v[22:23], -v[20:21]
	;; [unrolled: 1-line block ×4, first 2 shown]
	v_fma_f64 v[22:23], -v[18:19], v[28:29], 1.0
	v_fmac_f64_e32 v[28:29], v[22:23], v[28:29]
	v_fma_f64 v[22:23], -v[18:19], v[28:29], 1.0
	v_fmac_f64_e32 v[28:29], v[22:23], v[28:29]
	v_mul_f64 v[22:23], v[24:25], v[28:29]
	v_mul_f64 v[26:27], v[18:19], v[22:23]
	v_fma_f64 v[32:33], v[22:23], v[18:19], -v[26:27]
	v_fmac_f64_e32 v[32:33], v[22:23], v[16:17]
	v_add_f64 v[34:35], v[26:27], v[32:33]
	v_add_f64 v[36:37], v[24:25], -v[34:35]
	v_add_f64 v[24:25], v[24:25], -v[36:37]
	;; [unrolled: 1-line block ×4, first 2 shown]
	v_add_f64 v[20:21], v[20:21], v[24:25]
	v_add_f64 v[24:25], v[26:27], -v[32:33]
	v_add_f64 v[20:21], v[24:25], v[20:21]
	v_add_f64 v[24:25], v[36:37], v[20:21]
	v_add_f64 v[26:27], v[36:37], -v[24:25]
	v_add_f64 v[20:21], v[20:21], v[26:27]
	v_mul_f64 v[26:27], v[28:29], v[24:25]
	v_mul_f64 v[32:33], v[18:19], v[26:27]
	v_fma_f64 v[18:19], v[26:27], v[18:19], -v[32:33]
	v_fmac_f64_e32 v[18:19], v[26:27], v[16:17]
	v_add_f64 v[16:17], v[32:33], v[18:19]
	v_add_f64 v[34:35], v[24:25], -v[16:17]
	v_add_f64 v[24:25], v[24:25], -v[34:35]
	;; [unrolled: 1-line block ×4, first 2 shown]
	v_add_f64 v[16:17], v[20:21], v[16:17]
	v_add_f64 v[18:19], v[32:33], -v[18:19]
	v_add_f64 v[16:17], v[18:19], v[16:17]
	v_add_f64 v[18:19], v[22:23], v[26:27]
	;; [unrolled: 1-line block ×3, first 2 shown]
	v_add_f64 v[20:21], v[18:19], -v[22:23]
	v_mul_f64 v[16:17], v[28:29], v[16:17]
	v_add_f64 v[20:21], v[26:27], -v[20:21]
	v_add_f64 v[16:17], v[20:21], v[16:17]
	v_add_f64 v[20:21], v[18:19], v[16:17]
	v_add_f64 v[18:19], v[20:21], -v[18:19]
	v_add_f64 v[16:17], v[16:17], -v[18:19]
	v_mul_f64 v[18:19], v[20:21], v[20:21]
	v_mov_b32_e32 v22, 0x6b47b09a
	v_mov_b32_e32 v23, 0x3fc38538
	v_fmac_f64_e32 v[22:23], s[2:3], v[18:19]
	v_mov_b32_e32 v24, 0xd7f4df2e
	v_mov_b32_e32 v25, 0x3fc7474d
	v_fmac_f64_e32 v[24:25], v[18:19], v[22:23]
	;; [unrolled: 3-line block ×6, first 2 shown]
	v_cvt_f64_i32_e32 v[22:23], v38
	s_mov_b32 s7, 0x3fe62e42
	v_mul_f64 v[26:27], v[22:23], s[6:7]
	v_fma_f64 v[28:29], v[22:23], s[6:7], -v[26:27]
	s_mov_b32 s9, 0x3c7abc9e
	v_fmac_f64_e32 v[28:29], s[8:9], v[22:23]
	v_add_f64 v[22:23], v[26:27], v[28:29]
	v_add_f64 v[26:27], v[22:23], -v[26:27]
	v_mul_f64 v[18:19], v[20:21], v[18:19]
	v_add_f64 v[26:27], v[28:29], -v[26:27]
	v_ldexp_f64 v[28:29], v[20:21], 1
	v_mul_f64 v[18:19], v[18:19], v[24:25]
	v_add_f64 v[20:21], v[28:29], v[18:19]
	v_add_f64 v[24:25], v[20:21], -v[28:29]
	v_ldexp_f64 v[16:17], v[16:17], 1
	v_add_f64 v[18:19], v[18:19], -v[24:25]
	v_add_f64 v[16:17], v[16:17], v[18:19]
	v_add_f64 v[18:19], v[20:21], v[16:17]
	v_add_f64 v[20:21], v[18:19], -v[20:21]
	v_add_f64 v[16:17], v[16:17], -v[20:21]
	v_add_f64 v[20:21], v[22:23], v[18:19]
	v_add_f64 v[24:25], v[20:21], -v[22:23]
	v_add_f64 v[28:29], v[20:21], -v[24:25]
	v_add_f64 v[22:23], v[22:23], -v[28:29]
	v_add_f64 v[18:19], v[18:19], -v[24:25]
	v_add_f64 v[18:19], v[18:19], v[22:23]
	v_add_f64 v[22:23], v[26:27], v[16:17]
	v_add_f64 v[24:25], v[22:23], -v[26:27]
	v_add_f64 v[18:19], v[22:23], v[18:19]
	v_add_f64 v[28:29], v[22:23], -v[24:25]
	;; [unrolled: 2-line block ×3, first 2 shown]
	v_add_f64 v[16:17], v[16:17], -v[24:25]
	v_add_f64 v[20:21], v[22:23], -v[20:21]
	v_add_f64 v[16:17], v[16:17], v[26:27]
	v_add_f64 v[18:19], v[18:19], -v[20:21]
	s_mov_b32 s2, 0
	v_add_f64 v[16:17], v[16:17], v[18:19]
	s_mov_b32 s3, 0x7ff00000
	v_add_f64 v[16:17], v[22:23], v[16:17]
	v_cmp_neq_f64_e32 vcc, s[2:3], v[8:9]
	v_mov_b32_e32 v18, 0x7ff80000
	v_cmp_ngt_f64_e64 s[2:3], -1.0, v[8:9]
	v_cndmask_b32_e32 v17, v31, v17, vcc
	s_nop 0
	v_cndmask_b32_e64 v17, v18, v17, s[2:3]
	v_cmp_nge_f64_e64 s[2:3], -1.0, v[8:9]
	s_and_b64 vcc, s[2:3], vcc
	v_cndmask_b32_e32 v16, 0, v16, vcc
	v_mov_b32_e32 v18, 0xfff00000
	v_cmp_neq_f64_e32 vcc, -1.0, v[8:9]
	s_nop 1
	v_cndmask_b32_e32 v17, v18, v17, vcc
	v_add_f64 v[16:17], v[4:5], v[16:17]
.LBB66_230:
	s_or_b64 exec, exec, s[4:5]
	s_movk_i32 s2, 0xff
	v_cmp_eq_u32_e32 vcc, s2, v0
	s_and_saveexec_b64 s[2:3], vcc
	s_cbranch_execz .LBB66_232
; %bb.231:
	s_add_u32 s4, s34, 0x400
	s_addc_u32 s5, s35, 0
	v_mov_b32_e32 v18, 2
	v_mov_b32_e32 v19, 0
	v_mov_b64_e32 v[4:5], s[4:5]
	;;#ASMSTART
	global_store_dwordx4 v[4:5], v[16:19] off sc1	
s_waitcnt vmcnt(0)
	;;#ASMEND
.LBB66_232:
	s_or_b64 exec, exec, s[2:3]
	v_mov_b32_e32 v8, v2
	v_mov_b32_e32 v9, v3
.LBB66_233:
	s_add_u32 s2, s40, s38
	s_addc_u32 s3, s41, s39
	s_add_u32 s2, s2, s36
	s_addc_u32 s3, s3, s37
	s_mov_b64 s[4:5], -1
	s_and_b64 vcc, exec, s[0:1]
	s_barrier
	s_cbranch_vccz .LBB66_235
; %bb.234:
	ds_write_b128 v1, v[6:9]
	ds_write_b128 v1, v[10:13] offset:16
	ds_write_b128 v1, v[14:17] offset:32
	s_waitcnt lgkmcnt(0)
	s_barrier
	ds_read2st64_b64 v[2:5], v30 offset1:4
	ds_read2st64_b64 v[18:21], v30 offset0:8 offset1:12
	ds_read2st64_b64 v[22:25], v30 offset0:16 offset1:20
	v_mov_b32_e32 v31, 0
	v_lshl_add_u64 v[26:27], s[2:3], 0, v[30:31]
	s_waitcnt lgkmcnt(2)
	global_store_dwordx2 v30, v[2:3], s[2:3]
	global_store_dwordx2 v30, v[4:5], s[2:3] offset:2048
	v_add_co_u32_e32 v2, vcc, 0x1000, v26
	s_mov_b64 s[4:5], 0
	s_nop 0
	v_addc_co_u32_e32 v3, vcc, 0, v27, vcc
	s_waitcnt lgkmcnt(1)
	global_store_dwordx2 v[2:3], v[18:19], off
	global_store_dwordx2 v[2:3], v[20:21], off offset:2048
	v_add_co_u32_e32 v2, vcc, 0x2000, v26
	s_nop 1
	v_addc_co_u32_e32 v3, vcc, 0, v27, vcc
	s_waitcnt lgkmcnt(0)
	global_store_dwordx2 v[2:3], v[22:23], off
	global_store_dwordx2 v[2:3], v[24:25], off offset:2048
.LBB66_235:
	s_andn2_b64 vcc, exec, s[4:5]
	s_cbranch_vccnz .LBB66_268
; %bb.236:
	ds_write_b128 v1, v[6:9]
	ds_write_b128 v1, v[10:13] offset:16
	ds_write_b128 v1, v[14:17] offset:32
	s_waitcnt lgkmcnt(0)
	s_barrier
	ds_read2st64_b64 v[4:7], v30 offset1:4
	ds_read2st64_b64 v[8:11], v30 offset0:8 offset1:12
	ds_read2st64_b64 v[12:15], v30 offset0:16 offset1:20
	v_mov_b32_e32 v31, 0
	v_lshl_add_u64 v[2:3], s[2:3], 0, v[30:31]
	v_cmp_gt_u32_e32 vcc, s33, v0
	s_and_saveexec_b64 s[0:1], vcc
	s_cbranch_execz .LBB66_238
; %bb.237:
	s_waitcnt lgkmcnt(2)
	global_store_dwordx2 v[2:3], v[4:5], off
.LBB66_238:
	s_or_b64 exec, exec, s[0:1]
	v_or_b32_e32 v1, 0x100, v0
	v_cmp_gt_u32_e32 vcc, s33, v1
	s_and_saveexec_b64 s[0:1], vcc
	s_cbranch_execz .LBB66_240
; %bb.239:
	s_waitcnt lgkmcnt(2)
	global_store_dwordx2 v[2:3], v[6:7], off offset:2048
.LBB66_240:
	s_or_b64 exec, exec, s[0:1]
	v_or_b32_e32 v1, 0x200, v0
	v_cmp_gt_u32_e32 vcc, s33, v1
	s_and_saveexec_b64 s[0:1], vcc
	s_cbranch_execz .LBB66_242
; %bb.241:
	v_add_co_u32_e32 v16, vcc, 0x1000, v2
	s_nop 1
	v_addc_co_u32_e32 v17, vcc, 0, v3, vcc
	s_waitcnt lgkmcnt(1)
	global_store_dwordx2 v[16:17], v[8:9], off
.LBB66_242:
	s_or_b64 exec, exec, s[0:1]
	v_or_b32_e32 v1, 0x300, v0
	v_cmp_gt_u32_e32 vcc, s33, v1
	s_and_saveexec_b64 s[0:1], vcc
	s_cbranch_execz .LBB66_244
; %bb.243:
	v_add_co_u32_e32 v16, vcc, 0x1000, v2
	s_nop 1
	v_addc_co_u32_e32 v17, vcc, 0, v3, vcc
	s_waitcnt lgkmcnt(1)
	global_store_dwordx2 v[16:17], v[10:11], off offset:2048
.LBB66_244:
	s_or_b64 exec, exec, s[0:1]
	v_or_b32_e32 v1, 0x400, v0
	v_cmp_gt_u32_e32 vcc, s33, v1
	s_and_saveexec_b64 s[0:1], vcc
	s_cbranch_execz .LBB66_246
; %bb.245:
	v_add_co_u32_e32 v16, vcc, 0x2000, v2
	s_nop 1
	v_addc_co_u32_e32 v17, vcc, 0, v3, vcc
	s_waitcnt lgkmcnt(0)
	global_store_dwordx2 v[16:17], v[12:13], off
.LBB66_246:
	s_or_b64 exec, exec, s[0:1]
	v_or_b32_e32 v1, 0x500, v0
	v_cmp_gt_u32_e32 vcc, s33, v1
	s_and_saveexec_b64 s[0:1], vcc
	s_cbranch_execz .LBB66_248
; %bb.247:
	v_add_co_u32_e32 v2, vcc, 0x2000, v2
	s_nop 1
	v_addc_co_u32_e32 v3, vcc, 0, v3, vcc
	s_waitcnt lgkmcnt(0)
	global_store_dwordx2 v[2:3], v[14:15], off offset:2048
.LBB66_248:
	s_or_b64 exec, exec, s[0:1]
	v_cmp_lt_u64_e64 s[0:1], s[30:31], 2
	s_and_b64 vcc, exec, s[0:1]
	s_cbranch_vccnz .LBB66_268
; %bb.249:
	s_add_u32 s0, s33, -1
	s_addc_u32 s1, s68, -1
	s_mul_i32 s5, s1, 0xaaaaaaab
	s_mul_hi_u32 s6, s0, 0xaaaaaaab
	s_mul_hi_u32 s4, s1, 0xaaaaaaab
	s_add_u32 s5, s5, s6
	s_mul_i32 s3, s0, 0xaaaaaaaa
	s_addc_u32 s4, s4, 0
	s_mul_hi_u32 s2, s0, 0xaaaaaaaa
	s_add_u32 s3, s3, s5
	s_addc_u32 s2, s2, 0
	s_add_u32 s2, s4, s2
	s_addc_u32 s3, 0, 0
	s_mul_i32 s5, s1, 0xaaaaaaaa
	s_mul_hi_u32 s4, s1, 0xaaaaaaaa
	s_add_u32 s2, s5, s2
	s_addc_u32 s3, s4, s3
	v_mov_b32_e32 v1, v31
	s_lshr_b64 s[2:3], s[2:3], 2
	v_cmp_eq_u64_e32 vcc, s[2:3], v[0:1]
	s_and_saveexec_b64 s[2:3], vcc
	s_cbranch_execz .LBB66_268
; %bb.250:
	v_mul_hi_u32_u24_e32 v1, 6, v0
	v_mul_u32_u24_e32 v0, 6, v0
	v_mov_b32_e32 v2, s1
	v_sub_co_u32_e32 v0, vcc, s0, v0
	s_nop 1
	v_subb_co_u32_e32 v1, vcc, v2, v1, vcc
	v_cmp_lt_i64_e32 vcc, 2, v[0:1]
	s_and_saveexec_b64 s[0:1], vcc
	s_xor_b64 s[0:1], exec, s[0:1]
	s_cbranch_execz .LBB66_260
; %bb.251:
	v_cmp_lt_i64_e32 vcc, 3, v[0:1]
	s_and_saveexec_b64 s[2:3], vcc
	s_xor_b64 s[2:3], exec, s[2:3]
	s_cbranch_execz .LBB66_257
; %bb.252:
	;; [unrolled: 5-line block ×3, first 2 shown]
	v_mov_b32_e32 v0, 0
	s_waitcnt lgkmcnt(0)
	global_store_dwordx2 v0, v[14:15], s[26:27]
                                        ; implicit-def: $vgpr12_vgpr13_vgpr14_vgpr15
.LBB66_254:
	s_andn2_saveexec_b64 s[4:5], s[4:5]
	s_cbranch_execz .LBB66_256
; %bb.255:
	v_mov_b32_e32 v0, 0
	s_waitcnt lgkmcnt(0)
	global_store_dwordx2 v0, v[12:13], s[26:27]
.LBB66_256:
	s_or_b64 exec, exec, s[4:5]
                                        ; implicit-def: $vgpr8_vgpr9_vgpr10_vgpr11
.LBB66_257:
	s_andn2_saveexec_b64 s[2:3], s[2:3]
	s_cbranch_execz .LBB66_259
; %bb.258:
	v_mov_b32_e32 v0, 0
	s_waitcnt lgkmcnt(1)
	global_store_dwordx2 v0, v[10:11], s[26:27]
.LBB66_259:
	s_or_b64 exec, exec, s[2:3]
                                        ; implicit-def: $vgpr0_vgpr1
                                        ; implicit-def: $vgpr8_vgpr9_vgpr10_vgpr11
                                        ; implicit-def: $vgpr4_vgpr5_vgpr6_vgpr7
.LBB66_260:
	s_andn2_saveexec_b64 s[0:1], s[0:1]
	s_cbranch_execz .LBB66_268
; %bb.261:
	v_cmp_lt_i64_e32 vcc, 1, v[0:1]
	s_and_saveexec_b64 s[0:1], vcc
	s_xor_b64 s[0:1], exec, s[0:1]
	s_cbranch_execz .LBB66_263
; %bb.262:
	v_mov_b32_e32 v0, 0
	s_waitcnt lgkmcnt(1)
	global_store_dwordx2 v0, v[8:9], s[26:27]
                                        ; implicit-def: $vgpr4_vgpr5_vgpr6_vgpr7
                                        ; implicit-def: $vgpr0_vgpr1
.LBB66_263:
	s_andn2_saveexec_b64 s[0:1], s[0:1]
	s_cbranch_execz .LBB66_268
; %bb.264:
	v_cmp_ne_u64_e32 vcc, 1, v[0:1]
	s_and_saveexec_b64 s[0:1], vcc
	s_xor_b64 s[0:1], exec, s[0:1]
	s_cbranch_execz .LBB66_266
; %bb.265:
	v_mov_b32_e32 v0, 0
	s_waitcnt lgkmcnt(2)
	global_store_dwordx2 v0, v[4:5], s[26:27]
                                        ; implicit-def: $vgpr4_vgpr5_vgpr6_vgpr7
.LBB66_266:
	s_andn2_saveexec_b64 s[0:1], s[0:1]
	s_cbranch_execz .LBB66_268
; %bb.267:
	v_mov_b32_e32 v0, 0
	s_waitcnt lgkmcnt(2)
	global_store_dwordx2 v0, v[6:7], s[26:27]
.LBB66_268:
	s_endpgm
	.section	.rodata,"a",@progbits
	.p2align	6, 0x0
	.amdhsa_kernel _ZN7rocprim17ROCPRIM_400000_NS6detail17trampoline_kernelINS0_14default_configENS1_20scan_config_selectorIdEEZZNS1_9scan_implILNS1_25lookback_scan_determinismE0ELb0ELb0ES3_PKdPddZZZN2at6native31launch_logcumsumexp_cuda_kernelERKNSB_10TensorBaseESF_lENKUlvE_clEvENKUlvE_clEvEUlddE_dEEDaPvRmT3_T4_T5_mT6_P12ihipStream_tbENKUlT_T0_E_clISt17integral_constantIbLb0EESV_IbLb1EEEEDaSR_SS_EUlSR_E_NS1_11comp_targetILNS1_3genE0ELNS1_11target_archE4294967295ELNS1_3gpuE0ELNS1_3repE0EEENS1_30default_config_static_selectorELNS0_4arch9wavefront6targetE1EEEvT1_
		.amdhsa_group_segment_fixed_size 12288
		.amdhsa_private_segment_fixed_size 0
		.amdhsa_kernarg_size 104
		.amdhsa_user_sgpr_count 2
		.amdhsa_user_sgpr_dispatch_ptr 0
		.amdhsa_user_sgpr_queue_ptr 0
		.amdhsa_user_sgpr_kernarg_segment_ptr 1
		.amdhsa_user_sgpr_dispatch_id 0
		.amdhsa_user_sgpr_kernarg_preload_length 0
		.amdhsa_user_sgpr_kernarg_preload_offset 0
		.amdhsa_user_sgpr_private_segment_size 0
		.amdhsa_uses_dynamic_stack 0
		.amdhsa_enable_private_segment 0
		.amdhsa_system_sgpr_workgroup_id_x 1
		.amdhsa_system_sgpr_workgroup_id_y 0
		.amdhsa_system_sgpr_workgroup_id_z 0
		.amdhsa_system_sgpr_workgroup_info 0
		.amdhsa_system_vgpr_workitem_id 0
		.amdhsa_next_free_vgpr 110
		.amdhsa_next_free_sgpr 71
		.amdhsa_accum_offset 112
		.amdhsa_reserve_vcc 1
		.amdhsa_float_round_mode_32 0
		.amdhsa_float_round_mode_16_64 0
		.amdhsa_float_denorm_mode_32 3
		.amdhsa_float_denorm_mode_16_64 3
		.amdhsa_dx10_clamp 1
		.amdhsa_ieee_mode 1
		.amdhsa_fp16_overflow 0
		.amdhsa_tg_split 0
		.amdhsa_exception_fp_ieee_invalid_op 0
		.amdhsa_exception_fp_denorm_src 0
		.amdhsa_exception_fp_ieee_div_zero 0
		.amdhsa_exception_fp_ieee_overflow 0
		.amdhsa_exception_fp_ieee_underflow 0
		.amdhsa_exception_fp_ieee_inexact 0
		.amdhsa_exception_int_div_zero 0
	.end_amdhsa_kernel
	.section	.text._ZN7rocprim17ROCPRIM_400000_NS6detail17trampoline_kernelINS0_14default_configENS1_20scan_config_selectorIdEEZZNS1_9scan_implILNS1_25lookback_scan_determinismE0ELb0ELb0ES3_PKdPddZZZN2at6native31launch_logcumsumexp_cuda_kernelERKNSB_10TensorBaseESF_lENKUlvE_clEvENKUlvE_clEvEUlddE_dEEDaPvRmT3_T4_T5_mT6_P12ihipStream_tbENKUlT_T0_E_clISt17integral_constantIbLb0EESV_IbLb1EEEEDaSR_SS_EUlSR_E_NS1_11comp_targetILNS1_3genE0ELNS1_11target_archE4294967295ELNS1_3gpuE0ELNS1_3repE0EEENS1_30default_config_static_selectorELNS0_4arch9wavefront6targetE1EEEvT1_,"axG",@progbits,_ZN7rocprim17ROCPRIM_400000_NS6detail17trampoline_kernelINS0_14default_configENS1_20scan_config_selectorIdEEZZNS1_9scan_implILNS1_25lookback_scan_determinismE0ELb0ELb0ES3_PKdPddZZZN2at6native31launch_logcumsumexp_cuda_kernelERKNSB_10TensorBaseESF_lENKUlvE_clEvENKUlvE_clEvEUlddE_dEEDaPvRmT3_T4_T5_mT6_P12ihipStream_tbENKUlT_T0_E_clISt17integral_constantIbLb0EESV_IbLb1EEEEDaSR_SS_EUlSR_E_NS1_11comp_targetILNS1_3genE0ELNS1_11target_archE4294967295ELNS1_3gpuE0ELNS1_3repE0EEENS1_30default_config_static_selectorELNS0_4arch9wavefront6targetE1EEEvT1_,comdat
.Lfunc_end66:
	.size	_ZN7rocprim17ROCPRIM_400000_NS6detail17trampoline_kernelINS0_14default_configENS1_20scan_config_selectorIdEEZZNS1_9scan_implILNS1_25lookback_scan_determinismE0ELb0ELb0ES3_PKdPddZZZN2at6native31launch_logcumsumexp_cuda_kernelERKNSB_10TensorBaseESF_lENKUlvE_clEvENKUlvE_clEvEUlddE_dEEDaPvRmT3_T4_T5_mT6_P12ihipStream_tbENKUlT_T0_E_clISt17integral_constantIbLb0EESV_IbLb1EEEEDaSR_SS_EUlSR_E_NS1_11comp_targetILNS1_3genE0ELNS1_11target_archE4294967295ELNS1_3gpuE0ELNS1_3repE0EEENS1_30default_config_static_selectorELNS0_4arch9wavefront6targetE1EEEvT1_, .Lfunc_end66-_ZN7rocprim17ROCPRIM_400000_NS6detail17trampoline_kernelINS0_14default_configENS1_20scan_config_selectorIdEEZZNS1_9scan_implILNS1_25lookback_scan_determinismE0ELb0ELb0ES3_PKdPddZZZN2at6native31launch_logcumsumexp_cuda_kernelERKNSB_10TensorBaseESF_lENKUlvE_clEvENKUlvE_clEvEUlddE_dEEDaPvRmT3_T4_T5_mT6_P12ihipStream_tbENKUlT_T0_E_clISt17integral_constantIbLb0EESV_IbLb1EEEEDaSR_SS_EUlSR_E_NS1_11comp_targetILNS1_3genE0ELNS1_11target_archE4294967295ELNS1_3gpuE0ELNS1_3repE0EEENS1_30default_config_static_selectorELNS0_4arch9wavefront6targetE1EEEvT1_
                                        ; -- End function
	.set _ZN7rocprim17ROCPRIM_400000_NS6detail17trampoline_kernelINS0_14default_configENS1_20scan_config_selectorIdEEZZNS1_9scan_implILNS1_25lookback_scan_determinismE0ELb0ELb0ES3_PKdPddZZZN2at6native31launch_logcumsumexp_cuda_kernelERKNSB_10TensorBaseESF_lENKUlvE_clEvENKUlvE_clEvEUlddE_dEEDaPvRmT3_T4_T5_mT6_P12ihipStream_tbENKUlT_T0_E_clISt17integral_constantIbLb0EESV_IbLb1EEEEDaSR_SS_EUlSR_E_NS1_11comp_targetILNS1_3genE0ELNS1_11target_archE4294967295ELNS1_3gpuE0ELNS1_3repE0EEENS1_30default_config_static_selectorELNS0_4arch9wavefront6targetE1EEEvT1_.num_vgpr, 110
	.set _ZN7rocprim17ROCPRIM_400000_NS6detail17trampoline_kernelINS0_14default_configENS1_20scan_config_selectorIdEEZZNS1_9scan_implILNS1_25lookback_scan_determinismE0ELb0ELb0ES3_PKdPddZZZN2at6native31launch_logcumsumexp_cuda_kernelERKNSB_10TensorBaseESF_lENKUlvE_clEvENKUlvE_clEvEUlddE_dEEDaPvRmT3_T4_T5_mT6_P12ihipStream_tbENKUlT_T0_E_clISt17integral_constantIbLb0EESV_IbLb1EEEEDaSR_SS_EUlSR_E_NS1_11comp_targetILNS1_3genE0ELNS1_11target_archE4294967295ELNS1_3gpuE0ELNS1_3repE0EEENS1_30default_config_static_selectorELNS0_4arch9wavefront6targetE1EEEvT1_.num_agpr, 0
	.set _ZN7rocprim17ROCPRIM_400000_NS6detail17trampoline_kernelINS0_14default_configENS1_20scan_config_selectorIdEEZZNS1_9scan_implILNS1_25lookback_scan_determinismE0ELb0ELb0ES3_PKdPddZZZN2at6native31launch_logcumsumexp_cuda_kernelERKNSB_10TensorBaseESF_lENKUlvE_clEvENKUlvE_clEvEUlddE_dEEDaPvRmT3_T4_T5_mT6_P12ihipStream_tbENKUlT_T0_E_clISt17integral_constantIbLb0EESV_IbLb1EEEEDaSR_SS_EUlSR_E_NS1_11comp_targetILNS1_3genE0ELNS1_11target_archE4294967295ELNS1_3gpuE0ELNS1_3repE0EEENS1_30default_config_static_selectorELNS0_4arch9wavefront6targetE1EEEvT1_.numbered_sgpr, 71
	.set _ZN7rocprim17ROCPRIM_400000_NS6detail17trampoline_kernelINS0_14default_configENS1_20scan_config_selectorIdEEZZNS1_9scan_implILNS1_25lookback_scan_determinismE0ELb0ELb0ES3_PKdPddZZZN2at6native31launch_logcumsumexp_cuda_kernelERKNSB_10TensorBaseESF_lENKUlvE_clEvENKUlvE_clEvEUlddE_dEEDaPvRmT3_T4_T5_mT6_P12ihipStream_tbENKUlT_T0_E_clISt17integral_constantIbLb0EESV_IbLb1EEEEDaSR_SS_EUlSR_E_NS1_11comp_targetILNS1_3genE0ELNS1_11target_archE4294967295ELNS1_3gpuE0ELNS1_3repE0EEENS1_30default_config_static_selectorELNS0_4arch9wavefront6targetE1EEEvT1_.num_named_barrier, 0
	.set _ZN7rocprim17ROCPRIM_400000_NS6detail17trampoline_kernelINS0_14default_configENS1_20scan_config_selectorIdEEZZNS1_9scan_implILNS1_25lookback_scan_determinismE0ELb0ELb0ES3_PKdPddZZZN2at6native31launch_logcumsumexp_cuda_kernelERKNSB_10TensorBaseESF_lENKUlvE_clEvENKUlvE_clEvEUlddE_dEEDaPvRmT3_T4_T5_mT6_P12ihipStream_tbENKUlT_T0_E_clISt17integral_constantIbLb0EESV_IbLb1EEEEDaSR_SS_EUlSR_E_NS1_11comp_targetILNS1_3genE0ELNS1_11target_archE4294967295ELNS1_3gpuE0ELNS1_3repE0EEENS1_30default_config_static_selectorELNS0_4arch9wavefront6targetE1EEEvT1_.private_seg_size, 0
	.set _ZN7rocprim17ROCPRIM_400000_NS6detail17trampoline_kernelINS0_14default_configENS1_20scan_config_selectorIdEEZZNS1_9scan_implILNS1_25lookback_scan_determinismE0ELb0ELb0ES3_PKdPddZZZN2at6native31launch_logcumsumexp_cuda_kernelERKNSB_10TensorBaseESF_lENKUlvE_clEvENKUlvE_clEvEUlddE_dEEDaPvRmT3_T4_T5_mT6_P12ihipStream_tbENKUlT_T0_E_clISt17integral_constantIbLb0EESV_IbLb1EEEEDaSR_SS_EUlSR_E_NS1_11comp_targetILNS1_3genE0ELNS1_11target_archE4294967295ELNS1_3gpuE0ELNS1_3repE0EEENS1_30default_config_static_selectorELNS0_4arch9wavefront6targetE1EEEvT1_.uses_vcc, 1
	.set _ZN7rocprim17ROCPRIM_400000_NS6detail17trampoline_kernelINS0_14default_configENS1_20scan_config_selectorIdEEZZNS1_9scan_implILNS1_25lookback_scan_determinismE0ELb0ELb0ES3_PKdPddZZZN2at6native31launch_logcumsumexp_cuda_kernelERKNSB_10TensorBaseESF_lENKUlvE_clEvENKUlvE_clEvEUlddE_dEEDaPvRmT3_T4_T5_mT6_P12ihipStream_tbENKUlT_T0_E_clISt17integral_constantIbLb0EESV_IbLb1EEEEDaSR_SS_EUlSR_E_NS1_11comp_targetILNS1_3genE0ELNS1_11target_archE4294967295ELNS1_3gpuE0ELNS1_3repE0EEENS1_30default_config_static_selectorELNS0_4arch9wavefront6targetE1EEEvT1_.uses_flat_scratch, 0
	.set _ZN7rocprim17ROCPRIM_400000_NS6detail17trampoline_kernelINS0_14default_configENS1_20scan_config_selectorIdEEZZNS1_9scan_implILNS1_25lookback_scan_determinismE0ELb0ELb0ES3_PKdPddZZZN2at6native31launch_logcumsumexp_cuda_kernelERKNSB_10TensorBaseESF_lENKUlvE_clEvENKUlvE_clEvEUlddE_dEEDaPvRmT3_T4_T5_mT6_P12ihipStream_tbENKUlT_T0_E_clISt17integral_constantIbLb0EESV_IbLb1EEEEDaSR_SS_EUlSR_E_NS1_11comp_targetILNS1_3genE0ELNS1_11target_archE4294967295ELNS1_3gpuE0ELNS1_3repE0EEENS1_30default_config_static_selectorELNS0_4arch9wavefront6targetE1EEEvT1_.has_dyn_sized_stack, 0
	.set _ZN7rocprim17ROCPRIM_400000_NS6detail17trampoline_kernelINS0_14default_configENS1_20scan_config_selectorIdEEZZNS1_9scan_implILNS1_25lookback_scan_determinismE0ELb0ELb0ES3_PKdPddZZZN2at6native31launch_logcumsumexp_cuda_kernelERKNSB_10TensorBaseESF_lENKUlvE_clEvENKUlvE_clEvEUlddE_dEEDaPvRmT3_T4_T5_mT6_P12ihipStream_tbENKUlT_T0_E_clISt17integral_constantIbLb0EESV_IbLb1EEEEDaSR_SS_EUlSR_E_NS1_11comp_targetILNS1_3genE0ELNS1_11target_archE4294967295ELNS1_3gpuE0ELNS1_3repE0EEENS1_30default_config_static_selectorELNS0_4arch9wavefront6targetE1EEEvT1_.has_recursion, 0
	.set _ZN7rocprim17ROCPRIM_400000_NS6detail17trampoline_kernelINS0_14default_configENS1_20scan_config_selectorIdEEZZNS1_9scan_implILNS1_25lookback_scan_determinismE0ELb0ELb0ES3_PKdPddZZZN2at6native31launch_logcumsumexp_cuda_kernelERKNSB_10TensorBaseESF_lENKUlvE_clEvENKUlvE_clEvEUlddE_dEEDaPvRmT3_T4_T5_mT6_P12ihipStream_tbENKUlT_T0_E_clISt17integral_constantIbLb0EESV_IbLb1EEEEDaSR_SS_EUlSR_E_NS1_11comp_targetILNS1_3genE0ELNS1_11target_archE4294967295ELNS1_3gpuE0ELNS1_3repE0EEENS1_30default_config_static_selectorELNS0_4arch9wavefront6targetE1EEEvT1_.has_indirect_call, 0
	.section	.AMDGPU.csdata,"",@progbits
; Kernel info:
; codeLenInByte = 103028
; TotalNumSgprs: 77
; NumVgprs: 110
; NumAgprs: 0
; TotalNumVgprs: 110
; ScratchSize: 0
; MemoryBound: 0
; FloatMode: 240
; IeeeMode: 1
; LDSByteSize: 12288 bytes/workgroup (compile time only)
; SGPRBlocks: 9
; VGPRBlocks: 13
; NumSGPRsForWavesPerEU: 77
; NumVGPRsForWavesPerEU: 110
; AccumOffset: 112
; Occupancy: 4
; WaveLimiterHint : 1
; COMPUTE_PGM_RSRC2:SCRATCH_EN: 0
; COMPUTE_PGM_RSRC2:USER_SGPR: 2
; COMPUTE_PGM_RSRC2:TRAP_HANDLER: 0
; COMPUTE_PGM_RSRC2:TGID_X_EN: 1
; COMPUTE_PGM_RSRC2:TGID_Y_EN: 0
; COMPUTE_PGM_RSRC2:TGID_Z_EN: 0
; COMPUTE_PGM_RSRC2:TIDIG_COMP_CNT: 0
; COMPUTE_PGM_RSRC3_GFX90A:ACCUM_OFFSET: 27
; COMPUTE_PGM_RSRC3_GFX90A:TG_SPLIT: 0
	.section	.text._ZN7rocprim17ROCPRIM_400000_NS6detail17trampoline_kernelINS0_14default_configENS1_20scan_config_selectorIdEEZZNS1_9scan_implILNS1_25lookback_scan_determinismE0ELb0ELb0ES3_PKdPddZZZN2at6native31launch_logcumsumexp_cuda_kernelERKNSB_10TensorBaseESF_lENKUlvE_clEvENKUlvE_clEvEUlddE_dEEDaPvRmT3_T4_T5_mT6_P12ihipStream_tbENKUlT_T0_E_clISt17integral_constantIbLb0EESV_IbLb1EEEEDaSR_SS_EUlSR_E_NS1_11comp_targetILNS1_3genE5ELNS1_11target_archE942ELNS1_3gpuE9ELNS1_3repE0EEENS1_30default_config_static_selectorELNS0_4arch9wavefront6targetE1EEEvT1_,"axG",@progbits,_ZN7rocprim17ROCPRIM_400000_NS6detail17trampoline_kernelINS0_14default_configENS1_20scan_config_selectorIdEEZZNS1_9scan_implILNS1_25lookback_scan_determinismE0ELb0ELb0ES3_PKdPddZZZN2at6native31launch_logcumsumexp_cuda_kernelERKNSB_10TensorBaseESF_lENKUlvE_clEvENKUlvE_clEvEUlddE_dEEDaPvRmT3_T4_T5_mT6_P12ihipStream_tbENKUlT_T0_E_clISt17integral_constantIbLb0EESV_IbLb1EEEEDaSR_SS_EUlSR_E_NS1_11comp_targetILNS1_3genE5ELNS1_11target_archE942ELNS1_3gpuE9ELNS1_3repE0EEENS1_30default_config_static_selectorELNS0_4arch9wavefront6targetE1EEEvT1_,comdat
	.globl	_ZN7rocprim17ROCPRIM_400000_NS6detail17trampoline_kernelINS0_14default_configENS1_20scan_config_selectorIdEEZZNS1_9scan_implILNS1_25lookback_scan_determinismE0ELb0ELb0ES3_PKdPddZZZN2at6native31launch_logcumsumexp_cuda_kernelERKNSB_10TensorBaseESF_lENKUlvE_clEvENKUlvE_clEvEUlddE_dEEDaPvRmT3_T4_T5_mT6_P12ihipStream_tbENKUlT_T0_E_clISt17integral_constantIbLb0EESV_IbLb1EEEEDaSR_SS_EUlSR_E_NS1_11comp_targetILNS1_3genE5ELNS1_11target_archE942ELNS1_3gpuE9ELNS1_3repE0EEENS1_30default_config_static_selectorELNS0_4arch9wavefront6targetE1EEEvT1_ ; -- Begin function _ZN7rocprim17ROCPRIM_400000_NS6detail17trampoline_kernelINS0_14default_configENS1_20scan_config_selectorIdEEZZNS1_9scan_implILNS1_25lookback_scan_determinismE0ELb0ELb0ES3_PKdPddZZZN2at6native31launch_logcumsumexp_cuda_kernelERKNSB_10TensorBaseESF_lENKUlvE_clEvENKUlvE_clEvEUlddE_dEEDaPvRmT3_T4_T5_mT6_P12ihipStream_tbENKUlT_T0_E_clISt17integral_constantIbLb0EESV_IbLb1EEEEDaSR_SS_EUlSR_E_NS1_11comp_targetILNS1_3genE5ELNS1_11target_archE942ELNS1_3gpuE9ELNS1_3repE0EEENS1_30default_config_static_selectorELNS0_4arch9wavefront6targetE1EEEvT1_
	.p2align	8
	.type	_ZN7rocprim17ROCPRIM_400000_NS6detail17trampoline_kernelINS0_14default_configENS1_20scan_config_selectorIdEEZZNS1_9scan_implILNS1_25lookback_scan_determinismE0ELb0ELb0ES3_PKdPddZZZN2at6native31launch_logcumsumexp_cuda_kernelERKNSB_10TensorBaseESF_lENKUlvE_clEvENKUlvE_clEvEUlddE_dEEDaPvRmT3_T4_T5_mT6_P12ihipStream_tbENKUlT_T0_E_clISt17integral_constantIbLb0EESV_IbLb1EEEEDaSR_SS_EUlSR_E_NS1_11comp_targetILNS1_3genE5ELNS1_11target_archE942ELNS1_3gpuE9ELNS1_3repE0EEENS1_30default_config_static_selectorELNS0_4arch9wavefront6targetE1EEEvT1_,@function
_ZN7rocprim17ROCPRIM_400000_NS6detail17trampoline_kernelINS0_14default_configENS1_20scan_config_selectorIdEEZZNS1_9scan_implILNS1_25lookback_scan_determinismE0ELb0ELb0ES3_PKdPddZZZN2at6native31launch_logcumsumexp_cuda_kernelERKNSB_10TensorBaseESF_lENKUlvE_clEvENKUlvE_clEvEUlddE_dEEDaPvRmT3_T4_T5_mT6_P12ihipStream_tbENKUlT_T0_E_clISt17integral_constantIbLb0EESV_IbLb1EEEEDaSR_SS_EUlSR_E_NS1_11comp_targetILNS1_3genE5ELNS1_11target_archE942ELNS1_3gpuE9ELNS1_3repE0EEENS1_30default_config_static_selectorELNS0_4arch9wavefront6targetE1EEEvT1_: ; @_ZN7rocprim17ROCPRIM_400000_NS6detail17trampoline_kernelINS0_14default_configENS1_20scan_config_selectorIdEEZZNS1_9scan_implILNS1_25lookback_scan_determinismE0ELb0ELb0ES3_PKdPddZZZN2at6native31launch_logcumsumexp_cuda_kernelERKNSB_10TensorBaseESF_lENKUlvE_clEvENKUlvE_clEvEUlddE_dEEDaPvRmT3_T4_T5_mT6_P12ihipStream_tbENKUlT_T0_E_clISt17integral_constantIbLb0EESV_IbLb1EEEEDaSR_SS_EUlSR_E_NS1_11comp_targetILNS1_3genE5ELNS1_11target_archE942ELNS1_3gpuE9ELNS1_3repE0EEENS1_30default_config_static_selectorELNS0_4arch9wavefront6targetE1EEEvT1_
; %bb.0:
	.section	.rodata,"a",@progbits
	.p2align	6, 0x0
	.amdhsa_kernel _ZN7rocprim17ROCPRIM_400000_NS6detail17trampoline_kernelINS0_14default_configENS1_20scan_config_selectorIdEEZZNS1_9scan_implILNS1_25lookback_scan_determinismE0ELb0ELb0ES3_PKdPddZZZN2at6native31launch_logcumsumexp_cuda_kernelERKNSB_10TensorBaseESF_lENKUlvE_clEvENKUlvE_clEvEUlddE_dEEDaPvRmT3_T4_T5_mT6_P12ihipStream_tbENKUlT_T0_E_clISt17integral_constantIbLb0EESV_IbLb1EEEEDaSR_SS_EUlSR_E_NS1_11comp_targetILNS1_3genE5ELNS1_11target_archE942ELNS1_3gpuE9ELNS1_3repE0EEENS1_30default_config_static_selectorELNS0_4arch9wavefront6targetE1EEEvT1_
		.amdhsa_group_segment_fixed_size 0
		.amdhsa_private_segment_fixed_size 0
		.amdhsa_kernarg_size 104
		.amdhsa_user_sgpr_count 2
		.amdhsa_user_sgpr_dispatch_ptr 0
		.amdhsa_user_sgpr_queue_ptr 0
		.amdhsa_user_sgpr_kernarg_segment_ptr 1
		.amdhsa_user_sgpr_dispatch_id 0
		.amdhsa_user_sgpr_kernarg_preload_length 0
		.amdhsa_user_sgpr_kernarg_preload_offset 0
		.amdhsa_user_sgpr_private_segment_size 0
		.amdhsa_uses_dynamic_stack 0
		.amdhsa_enable_private_segment 0
		.amdhsa_system_sgpr_workgroup_id_x 1
		.amdhsa_system_sgpr_workgroup_id_y 0
		.amdhsa_system_sgpr_workgroup_id_z 0
		.amdhsa_system_sgpr_workgroup_info 0
		.amdhsa_system_vgpr_workitem_id 0
		.amdhsa_next_free_vgpr 1
		.amdhsa_next_free_sgpr 0
		.amdhsa_accum_offset 4
		.amdhsa_reserve_vcc 0
		.amdhsa_float_round_mode_32 0
		.amdhsa_float_round_mode_16_64 0
		.amdhsa_float_denorm_mode_32 3
		.amdhsa_float_denorm_mode_16_64 3
		.amdhsa_dx10_clamp 1
		.amdhsa_ieee_mode 1
		.amdhsa_fp16_overflow 0
		.amdhsa_tg_split 0
		.amdhsa_exception_fp_ieee_invalid_op 0
		.amdhsa_exception_fp_denorm_src 0
		.amdhsa_exception_fp_ieee_div_zero 0
		.amdhsa_exception_fp_ieee_overflow 0
		.amdhsa_exception_fp_ieee_underflow 0
		.amdhsa_exception_fp_ieee_inexact 0
		.amdhsa_exception_int_div_zero 0
	.end_amdhsa_kernel
	.section	.text._ZN7rocprim17ROCPRIM_400000_NS6detail17trampoline_kernelINS0_14default_configENS1_20scan_config_selectorIdEEZZNS1_9scan_implILNS1_25lookback_scan_determinismE0ELb0ELb0ES3_PKdPddZZZN2at6native31launch_logcumsumexp_cuda_kernelERKNSB_10TensorBaseESF_lENKUlvE_clEvENKUlvE_clEvEUlddE_dEEDaPvRmT3_T4_T5_mT6_P12ihipStream_tbENKUlT_T0_E_clISt17integral_constantIbLb0EESV_IbLb1EEEEDaSR_SS_EUlSR_E_NS1_11comp_targetILNS1_3genE5ELNS1_11target_archE942ELNS1_3gpuE9ELNS1_3repE0EEENS1_30default_config_static_selectorELNS0_4arch9wavefront6targetE1EEEvT1_,"axG",@progbits,_ZN7rocprim17ROCPRIM_400000_NS6detail17trampoline_kernelINS0_14default_configENS1_20scan_config_selectorIdEEZZNS1_9scan_implILNS1_25lookback_scan_determinismE0ELb0ELb0ES3_PKdPddZZZN2at6native31launch_logcumsumexp_cuda_kernelERKNSB_10TensorBaseESF_lENKUlvE_clEvENKUlvE_clEvEUlddE_dEEDaPvRmT3_T4_T5_mT6_P12ihipStream_tbENKUlT_T0_E_clISt17integral_constantIbLb0EESV_IbLb1EEEEDaSR_SS_EUlSR_E_NS1_11comp_targetILNS1_3genE5ELNS1_11target_archE942ELNS1_3gpuE9ELNS1_3repE0EEENS1_30default_config_static_selectorELNS0_4arch9wavefront6targetE1EEEvT1_,comdat
.Lfunc_end67:
	.size	_ZN7rocprim17ROCPRIM_400000_NS6detail17trampoline_kernelINS0_14default_configENS1_20scan_config_selectorIdEEZZNS1_9scan_implILNS1_25lookback_scan_determinismE0ELb0ELb0ES3_PKdPddZZZN2at6native31launch_logcumsumexp_cuda_kernelERKNSB_10TensorBaseESF_lENKUlvE_clEvENKUlvE_clEvEUlddE_dEEDaPvRmT3_T4_T5_mT6_P12ihipStream_tbENKUlT_T0_E_clISt17integral_constantIbLb0EESV_IbLb1EEEEDaSR_SS_EUlSR_E_NS1_11comp_targetILNS1_3genE5ELNS1_11target_archE942ELNS1_3gpuE9ELNS1_3repE0EEENS1_30default_config_static_selectorELNS0_4arch9wavefront6targetE1EEEvT1_, .Lfunc_end67-_ZN7rocprim17ROCPRIM_400000_NS6detail17trampoline_kernelINS0_14default_configENS1_20scan_config_selectorIdEEZZNS1_9scan_implILNS1_25lookback_scan_determinismE0ELb0ELb0ES3_PKdPddZZZN2at6native31launch_logcumsumexp_cuda_kernelERKNSB_10TensorBaseESF_lENKUlvE_clEvENKUlvE_clEvEUlddE_dEEDaPvRmT3_T4_T5_mT6_P12ihipStream_tbENKUlT_T0_E_clISt17integral_constantIbLb0EESV_IbLb1EEEEDaSR_SS_EUlSR_E_NS1_11comp_targetILNS1_3genE5ELNS1_11target_archE942ELNS1_3gpuE9ELNS1_3repE0EEENS1_30default_config_static_selectorELNS0_4arch9wavefront6targetE1EEEvT1_
                                        ; -- End function
	.set _ZN7rocprim17ROCPRIM_400000_NS6detail17trampoline_kernelINS0_14default_configENS1_20scan_config_selectorIdEEZZNS1_9scan_implILNS1_25lookback_scan_determinismE0ELb0ELb0ES3_PKdPddZZZN2at6native31launch_logcumsumexp_cuda_kernelERKNSB_10TensorBaseESF_lENKUlvE_clEvENKUlvE_clEvEUlddE_dEEDaPvRmT3_T4_T5_mT6_P12ihipStream_tbENKUlT_T0_E_clISt17integral_constantIbLb0EESV_IbLb1EEEEDaSR_SS_EUlSR_E_NS1_11comp_targetILNS1_3genE5ELNS1_11target_archE942ELNS1_3gpuE9ELNS1_3repE0EEENS1_30default_config_static_selectorELNS0_4arch9wavefront6targetE1EEEvT1_.num_vgpr, 0
	.set _ZN7rocprim17ROCPRIM_400000_NS6detail17trampoline_kernelINS0_14default_configENS1_20scan_config_selectorIdEEZZNS1_9scan_implILNS1_25lookback_scan_determinismE0ELb0ELb0ES3_PKdPddZZZN2at6native31launch_logcumsumexp_cuda_kernelERKNSB_10TensorBaseESF_lENKUlvE_clEvENKUlvE_clEvEUlddE_dEEDaPvRmT3_T4_T5_mT6_P12ihipStream_tbENKUlT_T0_E_clISt17integral_constantIbLb0EESV_IbLb1EEEEDaSR_SS_EUlSR_E_NS1_11comp_targetILNS1_3genE5ELNS1_11target_archE942ELNS1_3gpuE9ELNS1_3repE0EEENS1_30default_config_static_selectorELNS0_4arch9wavefront6targetE1EEEvT1_.num_agpr, 0
	.set _ZN7rocprim17ROCPRIM_400000_NS6detail17trampoline_kernelINS0_14default_configENS1_20scan_config_selectorIdEEZZNS1_9scan_implILNS1_25lookback_scan_determinismE0ELb0ELb0ES3_PKdPddZZZN2at6native31launch_logcumsumexp_cuda_kernelERKNSB_10TensorBaseESF_lENKUlvE_clEvENKUlvE_clEvEUlddE_dEEDaPvRmT3_T4_T5_mT6_P12ihipStream_tbENKUlT_T0_E_clISt17integral_constantIbLb0EESV_IbLb1EEEEDaSR_SS_EUlSR_E_NS1_11comp_targetILNS1_3genE5ELNS1_11target_archE942ELNS1_3gpuE9ELNS1_3repE0EEENS1_30default_config_static_selectorELNS0_4arch9wavefront6targetE1EEEvT1_.numbered_sgpr, 0
	.set _ZN7rocprim17ROCPRIM_400000_NS6detail17trampoline_kernelINS0_14default_configENS1_20scan_config_selectorIdEEZZNS1_9scan_implILNS1_25lookback_scan_determinismE0ELb0ELb0ES3_PKdPddZZZN2at6native31launch_logcumsumexp_cuda_kernelERKNSB_10TensorBaseESF_lENKUlvE_clEvENKUlvE_clEvEUlddE_dEEDaPvRmT3_T4_T5_mT6_P12ihipStream_tbENKUlT_T0_E_clISt17integral_constantIbLb0EESV_IbLb1EEEEDaSR_SS_EUlSR_E_NS1_11comp_targetILNS1_3genE5ELNS1_11target_archE942ELNS1_3gpuE9ELNS1_3repE0EEENS1_30default_config_static_selectorELNS0_4arch9wavefront6targetE1EEEvT1_.num_named_barrier, 0
	.set _ZN7rocprim17ROCPRIM_400000_NS6detail17trampoline_kernelINS0_14default_configENS1_20scan_config_selectorIdEEZZNS1_9scan_implILNS1_25lookback_scan_determinismE0ELb0ELb0ES3_PKdPddZZZN2at6native31launch_logcumsumexp_cuda_kernelERKNSB_10TensorBaseESF_lENKUlvE_clEvENKUlvE_clEvEUlddE_dEEDaPvRmT3_T4_T5_mT6_P12ihipStream_tbENKUlT_T0_E_clISt17integral_constantIbLb0EESV_IbLb1EEEEDaSR_SS_EUlSR_E_NS1_11comp_targetILNS1_3genE5ELNS1_11target_archE942ELNS1_3gpuE9ELNS1_3repE0EEENS1_30default_config_static_selectorELNS0_4arch9wavefront6targetE1EEEvT1_.private_seg_size, 0
	.set _ZN7rocprim17ROCPRIM_400000_NS6detail17trampoline_kernelINS0_14default_configENS1_20scan_config_selectorIdEEZZNS1_9scan_implILNS1_25lookback_scan_determinismE0ELb0ELb0ES3_PKdPddZZZN2at6native31launch_logcumsumexp_cuda_kernelERKNSB_10TensorBaseESF_lENKUlvE_clEvENKUlvE_clEvEUlddE_dEEDaPvRmT3_T4_T5_mT6_P12ihipStream_tbENKUlT_T0_E_clISt17integral_constantIbLb0EESV_IbLb1EEEEDaSR_SS_EUlSR_E_NS1_11comp_targetILNS1_3genE5ELNS1_11target_archE942ELNS1_3gpuE9ELNS1_3repE0EEENS1_30default_config_static_selectorELNS0_4arch9wavefront6targetE1EEEvT1_.uses_vcc, 0
	.set _ZN7rocprim17ROCPRIM_400000_NS6detail17trampoline_kernelINS0_14default_configENS1_20scan_config_selectorIdEEZZNS1_9scan_implILNS1_25lookback_scan_determinismE0ELb0ELb0ES3_PKdPddZZZN2at6native31launch_logcumsumexp_cuda_kernelERKNSB_10TensorBaseESF_lENKUlvE_clEvENKUlvE_clEvEUlddE_dEEDaPvRmT3_T4_T5_mT6_P12ihipStream_tbENKUlT_T0_E_clISt17integral_constantIbLb0EESV_IbLb1EEEEDaSR_SS_EUlSR_E_NS1_11comp_targetILNS1_3genE5ELNS1_11target_archE942ELNS1_3gpuE9ELNS1_3repE0EEENS1_30default_config_static_selectorELNS0_4arch9wavefront6targetE1EEEvT1_.uses_flat_scratch, 0
	.set _ZN7rocprim17ROCPRIM_400000_NS6detail17trampoline_kernelINS0_14default_configENS1_20scan_config_selectorIdEEZZNS1_9scan_implILNS1_25lookback_scan_determinismE0ELb0ELb0ES3_PKdPddZZZN2at6native31launch_logcumsumexp_cuda_kernelERKNSB_10TensorBaseESF_lENKUlvE_clEvENKUlvE_clEvEUlddE_dEEDaPvRmT3_T4_T5_mT6_P12ihipStream_tbENKUlT_T0_E_clISt17integral_constantIbLb0EESV_IbLb1EEEEDaSR_SS_EUlSR_E_NS1_11comp_targetILNS1_3genE5ELNS1_11target_archE942ELNS1_3gpuE9ELNS1_3repE0EEENS1_30default_config_static_selectorELNS0_4arch9wavefront6targetE1EEEvT1_.has_dyn_sized_stack, 0
	.set _ZN7rocprim17ROCPRIM_400000_NS6detail17trampoline_kernelINS0_14default_configENS1_20scan_config_selectorIdEEZZNS1_9scan_implILNS1_25lookback_scan_determinismE0ELb0ELb0ES3_PKdPddZZZN2at6native31launch_logcumsumexp_cuda_kernelERKNSB_10TensorBaseESF_lENKUlvE_clEvENKUlvE_clEvEUlddE_dEEDaPvRmT3_T4_T5_mT6_P12ihipStream_tbENKUlT_T0_E_clISt17integral_constantIbLb0EESV_IbLb1EEEEDaSR_SS_EUlSR_E_NS1_11comp_targetILNS1_3genE5ELNS1_11target_archE942ELNS1_3gpuE9ELNS1_3repE0EEENS1_30default_config_static_selectorELNS0_4arch9wavefront6targetE1EEEvT1_.has_recursion, 0
	.set _ZN7rocprim17ROCPRIM_400000_NS6detail17trampoline_kernelINS0_14default_configENS1_20scan_config_selectorIdEEZZNS1_9scan_implILNS1_25lookback_scan_determinismE0ELb0ELb0ES3_PKdPddZZZN2at6native31launch_logcumsumexp_cuda_kernelERKNSB_10TensorBaseESF_lENKUlvE_clEvENKUlvE_clEvEUlddE_dEEDaPvRmT3_T4_T5_mT6_P12ihipStream_tbENKUlT_T0_E_clISt17integral_constantIbLb0EESV_IbLb1EEEEDaSR_SS_EUlSR_E_NS1_11comp_targetILNS1_3genE5ELNS1_11target_archE942ELNS1_3gpuE9ELNS1_3repE0EEENS1_30default_config_static_selectorELNS0_4arch9wavefront6targetE1EEEvT1_.has_indirect_call, 0
	.section	.AMDGPU.csdata,"",@progbits
; Kernel info:
; codeLenInByte = 0
; TotalNumSgprs: 6
; NumVgprs: 0
; NumAgprs: 0
; TotalNumVgprs: 0
; ScratchSize: 0
; MemoryBound: 0
; FloatMode: 240
; IeeeMode: 1
; LDSByteSize: 0 bytes/workgroup (compile time only)
; SGPRBlocks: 0
; VGPRBlocks: 0
; NumSGPRsForWavesPerEU: 6
; NumVGPRsForWavesPerEU: 1
; AccumOffset: 4
; Occupancy: 8
; WaveLimiterHint : 0
; COMPUTE_PGM_RSRC2:SCRATCH_EN: 0
; COMPUTE_PGM_RSRC2:USER_SGPR: 2
; COMPUTE_PGM_RSRC2:TRAP_HANDLER: 0
; COMPUTE_PGM_RSRC2:TGID_X_EN: 1
; COMPUTE_PGM_RSRC2:TGID_Y_EN: 0
; COMPUTE_PGM_RSRC2:TGID_Z_EN: 0
; COMPUTE_PGM_RSRC2:TIDIG_COMP_CNT: 0
; COMPUTE_PGM_RSRC3_GFX90A:ACCUM_OFFSET: 0
; COMPUTE_PGM_RSRC3_GFX90A:TG_SPLIT: 0
	.section	.text._ZN7rocprim17ROCPRIM_400000_NS6detail17trampoline_kernelINS0_14default_configENS1_20scan_config_selectorIdEEZZNS1_9scan_implILNS1_25lookback_scan_determinismE0ELb0ELb0ES3_PKdPddZZZN2at6native31launch_logcumsumexp_cuda_kernelERKNSB_10TensorBaseESF_lENKUlvE_clEvENKUlvE_clEvEUlddE_dEEDaPvRmT3_T4_T5_mT6_P12ihipStream_tbENKUlT_T0_E_clISt17integral_constantIbLb0EESV_IbLb1EEEEDaSR_SS_EUlSR_E_NS1_11comp_targetILNS1_3genE4ELNS1_11target_archE910ELNS1_3gpuE8ELNS1_3repE0EEENS1_30default_config_static_selectorELNS0_4arch9wavefront6targetE1EEEvT1_,"axG",@progbits,_ZN7rocprim17ROCPRIM_400000_NS6detail17trampoline_kernelINS0_14default_configENS1_20scan_config_selectorIdEEZZNS1_9scan_implILNS1_25lookback_scan_determinismE0ELb0ELb0ES3_PKdPddZZZN2at6native31launch_logcumsumexp_cuda_kernelERKNSB_10TensorBaseESF_lENKUlvE_clEvENKUlvE_clEvEUlddE_dEEDaPvRmT3_T4_T5_mT6_P12ihipStream_tbENKUlT_T0_E_clISt17integral_constantIbLb0EESV_IbLb1EEEEDaSR_SS_EUlSR_E_NS1_11comp_targetILNS1_3genE4ELNS1_11target_archE910ELNS1_3gpuE8ELNS1_3repE0EEENS1_30default_config_static_selectorELNS0_4arch9wavefront6targetE1EEEvT1_,comdat
	.globl	_ZN7rocprim17ROCPRIM_400000_NS6detail17trampoline_kernelINS0_14default_configENS1_20scan_config_selectorIdEEZZNS1_9scan_implILNS1_25lookback_scan_determinismE0ELb0ELb0ES3_PKdPddZZZN2at6native31launch_logcumsumexp_cuda_kernelERKNSB_10TensorBaseESF_lENKUlvE_clEvENKUlvE_clEvEUlddE_dEEDaPvRmT3_T4_T5_mT6_P12ihipStream_tbENKUlT_T0_E_clISt17integral_constantIbLb0EESV_IbLb1EEEEDaSR_SS_EUlSR_E_NS1_11comp_targetILNS1_3genE4ELNS1_11target_archE910ELNS1_3gpuE8ELNS1_3repE0EEENS1_30default_config_static_selectorELNS0_4arch9wavefront6targetE1EEEvT1_ ; -- Begin function _ZN7rocprim17ROCPRIM_400000_NS6detail17trampoline_kernelINS0_14default_configENS1_20scan_config_selectorIdEEZZNS1_9scan_implILNS1_25lookback_scan_determinismE0ELb0ELb0ES3_PKdPddZZZN2at6native31launch_logcumsumexp_cuda_kernelERKNSB_10TensorBaseESF_lENKUlvE_clEvENKUlvE_clEvEUlddE_dEEDaPvRmT3_T4_T5_mT6_P12ihipStream_tbENKUlT_T0_E_clISt17integral_constantIbLb0EESV_IbLb1EEEEDaSR_SS_EUlSR_E_NS1_11comp_targetILNS1_3genE4ELNS1_11target_archE910ELNS1_3gpuE8ELNS1_3repE0EEENS1_30default_config_static_selectorELNS0_4arch9wavefront6targetE1EEEvT1_
	.p2align	8
	.type	_ZN7rocprim17ROCPRIM_400000_NS6detail17trampoline_kernelINS0_14default_configENS1_20scan_config_selectorIdEEZZNS1_9scan_implILNS1_25lookback_scan_determinismE0ELb0ELb0ES3_PKdPddZZZN2at6native31launch_logcumsumexp_cuda_kernelERKNSB_10TensorBaseESF_lENKUlvE_clEvENKUlvE_clEvEUlddE_dEEDaPvRmT3_T4_T5_mT6_P12ihipStream_tbENKUlT_T0_E_clISt17integral_constantIbLb0EESV_IbLb1EEEEDaSR_SS_EUlSR_E_NS1_11comp_targetILNS1_3genE4ELNS1_11target_archE910ELNS1_3gpuE8ELNS1_3repE0EEENS1_30default_config_static_selectorELNS0_4arch9wavefront6targetE1EEEvT1_,@function
_ZN7rocprim17ROCPRIM_400000_NS6detail17trampoline_kernelINS0_14default_configENS1_20scan_config_selectorIdEEZZNS1_9scan_implILNS1_25lookback_scan_determinismE0ELb0ELb0ES3_PKdPddZZZN2at6native31launch_logcumsumexp_cuda_kernelERKNSB_10TensorBaseESF_lENKUlvE_clEvENKUlvE_clEvEUlddE_dEEDaPvRmT3_T4_T5_mT6_P12ihipStream_tbENKUlT_T0_E_clISt17integral_constantIbLb0EESV_IbLb1EEEEDaSR_SS_EUlSR_E_NS1_11comp_targetILNS1_3genE4ELNS1_11target_archE910ELNS1_3gpuE8ELNS1_3repE0EEENS1_30default_config_static_selectorELNS0_4arch9wavefront6targetE1EEEvT1_: ; @_ZN7rocprim17ROCPRIM_400000_NS6detail17trampoline_kernelINS0_14default_configENS1_20scan_config_selectorIdEEZZNS1_9scan_implILNS1_25lookback_scan_determinismE0ELb0ELb0ES3_PKdPddZZZN2at6native31launch_logcumsumexp_cuda_kernelERKNSB_10TensorBaseESF_lENKUlvE_clEvENKUlvE_clEvEUlddE_dEEDaPvRmT3_T4_T5_mT6_P12ihipStream_tbENKUlT_T0_E_clISt17integral_constantIbLb0EESV_IbLb1EEEEDaSR_SS_EUlSR_E_NS1_11comp_targetILNS1_3genE4ELNS1_11target_archE910ELNS1_3gpuE8ELNS1_3repE0EEENS1_30default_config_static_selectorELNS0_4arch9wavefront6targetE1EEEvT1_
; %bb.0:
	.section	.rodata,"a",@progbits
	.p2align	6, 0x0
	.amdhsa_kernel _ZN7rocprim17ROCPRIM_400000_NS6detail17trampoline_kernelINS0_14default_configENS1_20scan_config_selectorIdEEZZNS1_9scan_implILNS1_25lookback_scan_determinismE0ELb0ELb0ES3_PKdPddZZZN2at6native31launch_logcumsumexp_cuda_kernelERKNSB_10TensorBaseESF_lENKUlvE_clEvENKUlvE_clEvEUlddE_dEEDaPvRmT3_T4_T5_mT6_P12ihipStream_tbENKUlT_T0_E_clISt17integral_constantIbLb0EESV_IbLb1EEEEDaSR_SS_EUlSR_E_NS1_11comp_targetILNS1_3genE4ELNS1_11target_archE910ELNS1_3gpuE8ELNS1_3repE0EEENS1_30default_config_static_selectorELNS0_4arch9wavefront6targetE1EEEvT1_
		.amdhsa_group_segment_fixed_size 0
		.amdhsa_private_segment_fixed_size 0
		.amdhsa_kernarg_size 104
		.amdhsa_user_sgpr_count 2
		.amdhsa_user_sgpr_dispatch_ptr 0
		.amdhsa_user_sgpr_queue_ptr 0
		.amdhsa_user_sgpr_kernarg_segment_ptr 1
		.amdhsa_user_sgpr_dispatch_id 0
		.amdhsa_user_sgpr_kernarg_preload_length 0
		.amdhsa_user_sgpr_kernarg_preload_offset 0
		.amdhsa_user_sgpr_private_segment_size 0
		.amdhsa_uses_dynamic_stack 0
		.amdhsa_enable_private_segment 0
		.amdhsa_system_sgpr_workgroup_id_x 1
		.amdhsa_system_sgpr_workgroup_id_y 0
		.amdhsa_system_sgpr_workgroup_id_z 0
		.amdhsa_system_sgpr_workgroup_info 0
		.amdhsa_system_vgpr_workitem_id 0
		.amdhsa_next_free_vgpr 1
		.amdhsa_next_free_sgpr 0
		.amdhsa_accum_offset 4
		.amdhsa_reserve_vcc 0
		.amdhsa_float_round_mode_32 0
		.amdhsa_float_round_mode_16_64 0
		.amdhsa_float_denorm_mode_32 3
		.amdhsa_float_denorm_mode_16_64 3
		.amdhsa_dx10_clamp 1
		.amdhsa_ieee_mode 1
		.amdhsa_fp16_overflow 0
		.amdhsa_tg_split 0
		.amdhsa_exception_fp_ieee_invalid_op 0
		.amdhsa_exception_fp_denorm_src 0
		.amdhsa_exception_fp_ieee_div_zero 0
		.amdhsa_exception_fp_ieee_overflow 0
		.amdhsa_exception_fp_ieee_underflow 0
		.amdhsa_exception_fp_ieee_inexact 0
		.amdhsa_exception_int_div_zero 0
	.end_amdhsa_kernel
	.section	.text._ZN7rocprim17ROCPRIM_400000_NS6detail17trampoline_kernelINS0_14default_configENS1_20scan_config_selectorIdEEZZNS1_9scan_implILNS1_25lookback_scan_determinismE0ELb0ELb0ES3_PKdPddZZZN2at6native31launch_logcumsumexp_cuda_kernelERKNSB_10TensorBaseESF_lENKUlvE_clEvENKUlvE_clEvEUlddE_dEEDaPvRmT3_T4_T5_mT6_P12ihipStream_tbENKUlT_T0_E_clISt17integral_constantIbLb0EESV_IbLb1EEEEDaSR_SS_EUlSR_E_NS1_11comp_targetILNS1_3genE4ELNS1_11target_archE910ELNS1_3gpuE8ELNS1_3repE0EEENS1_30default_config_static_selectorELNS0_4arch9wavefront6targetE1EEEvT1_,"axG",@progbits,_ZN7rocprim17ROCPRIM_400000_NS6detail17trampoline_kernelINS0_14default_configENS1_20scan_config_selectorIdEEZZNS1_9scan_implILNS1_25lookback_scan_determinismE0ELb0ELb0ES3_PKdPddZZZN2at6native31launch_logcumsumexp_cuda_kernelERKNSB_10TensorBaseESF_lENKUlvE_clEvENKUlvE_clEvEUlddE_dEEDaPvRmT3_T4_T5_mT6_P12ihipStream_tbENKUlT_T0_E_clISt17integral_constantIbLb0EESV_IbLb1EEEEDaSR_SS_EUlSR_E_NS1_11comp_targetILNS1_3genE4ELNS1_11target_archE910ELNS1_3gpuE8ELNS1_3repE0EEENS1_30default_config_static_selectorELNS0_4arch9wavefront6targetE1EEEvT1_,comdat
.Lfunc_end68:
	.size	_ZN7rocprim17ROCPRIM_400000_NS6detail17trampoline_kernelINS0_14default_configENS1_20scan_config_selectorIdEEZZNS1_9scan_implILNS1_25lookback_scan_determinismE0ELb0ELb0ES3_PKdPddZZZN2at6native31launch_logcumsumexp_cuda_kernelERKNSB_10TensorBaseESF_lENKUlvE_clEvENKUlvE_clEvEUlddE_dEEDaPvRmT3_T4_T5_mT6_P12ihipStream_tbENKUlT_T0_E_clISt17integral_constantIbLb0EESV_IbLb1EEEEDaSR_SS_EUlSR_E_NS1_11comp_targetILNS1_3genE4ELNS1_11target_archE910ELNS1_3gpuE8ELNS1_3repE0EEENS1_30default_config_static_selectorELNS0_4arch9wavefront6targetE1EEEvT1_, .Lfunc_end68-_ZN7rocprim17ROCPRIM_400000_NS6detail17trampoline_kernelINS0_14default_configENS1_20scan_config_selectorIdEEZZNS1_9scan_implILNS1_25lookback_scan_determinismE0ELb0ELb0ES3_PKdPddZZZN2at6native31launch_logcumsumexp_cuda_kernelERKNSB_10TensorBaseESF_lENKUlvE_clEvENKUlvE_clEvEUlddE_dEEDaPvRmT3_T4_T5_mT6_P12ihipStream_tbENKUlT_T0_E_clISt17integral_constantIbLb0EESV_IbLb1EEEEDaSR_SS_EUlSR_E_NS1_11comp_targetILNS1_3genE4ELNS1_11target_archE910ELNS1_3gpuE8ELNS1_3repE0EEENS1_30default_config_static_selectorELNS0_4arch9wavefront6targetE1EEEvT1_
                                        ; -- End function
	.set _ZN7rocprim17ROCPRIM_400000_NS6detail17trampoline_kernelINS0_14default_configENS1_20scan_config_selectorIdEEZZNS1_9scan_implILNS1_25lookback_scan_determinismE0ELb0ELb0ES3_PKdPddZZZN2at6native31launch_logcumsumexp_cuda_kernelERKNSB_10TensorBaseESF_lENKUlvE_clEvENKUlvE_clEvEUlddE_dEEDaPvRmT3_T4_T5_mT6_P12ihipStream_tbENKUlT_T0_E_clISt17integral_constantIbLb0EESV_IbLb1EEEEDaSR_SS_EUlSR_E_NS1_11comp_targetILNS1_3genE4ELNS1_11target_archE910ELNS1_3gpuE8ELNS1_3repE0EEENS1_30default_config_static_selectorELNS0_4arch9wavefront6targetE1EEEvT1_.num_vgpr, 0
	.set _ZN7rocprim17ROCPRIM_400000_NS6detail17trampoline_kernelINS0_14default_configENS1_20scan_config_selectorIdEEZZNS1_9scan_implILNS1_25lookback_scan_determinismE0ELb0ELb0ES3_PKdPddZZZN2at6native31launch_logcumsumexp_cuda_kernelERKNSB_10TensorBaseESF_lENKUlvE_clEvENKUlvE_clEvEUlddE_dEEDaPvRmT3_T4_T5_mT6_P12ihipStream_tbENKUlT_T0_E_clISt17integral_constantIbLb0EESV_IbLb1EEEEDaSR_SS_EUlSR_E_NS1_11comp_targetILNS1_3genE4ELNS1_11target_archE910ELNS1_3gpuE8ELNS1_3repE0EEENS1_30default_config_static_selectorELNS0_4arch9wavefront6targetE1EEEvT1_.num_agpr, 0
	.set _ZN7rocprim17ROCPRIM_400000_NS6detail17trampoline_kernelINS0_14default_configENS1_20scan_config_selectorIdEEZZNS1_9scan_implILNS1_25lookback_scan_determinismE0ELb0ELb0ES3_PKdPddZZZN2at6native31launch_logcumsumexp_cuda_kernelERKNSB_10TensorBaseESF_lENKUlvE_clEvENKUlvE_clEvEUlddE_dEEDaPvRmT3_T4_T5_mT6_P12ihipStream_tbENKUlT_T0_E_clISt17integral_constantIbLb0EESV_IbLb1EEEEDaSR_SS_EUlSR_E_NS1_11comp_targetILNS1_3genE4ELNS1_11target_archE910ELNS1_3gpuE8ELNS1_3repE0EEENS1_30default_config_static_selectorELNS0_4arch9wavefront6targetE1EEEvT1_.numbered_sgpr, 0
	.set _ZN7rocprim17ROCPRIM_400000_NS6detail17trampoline_kernelINS0_14default_configENS1_20scan_config_selectorIdEEZZNS1_9scan_implILNS1_25lookback_scan_determinismE0ELb0ELb0ES3_PKdPddZZZN2at6native31launch_logcumsumexp_cuda_kernelERKNSB_10TensorBaseESF_lENKUlvE_clEvENKUlvE_clEvEUlddE_dEEDaPvRmT3_T4_T5_mT6_P12ihipStream_tbENKUlT_T0_E_clISt17integral_constantIbLb0EESV_IbLb1EEEEDaSR_SS_EUlSR_E_NS1_11comp_targetILNS1_3genE4ELNS1_11target_archE910ELNS1_3gpuE8ELNS1_3repE0EEENS1_30default_config_static_selectorELNS0_4arch9wavefront6targetE1EEEvT1_.num_named_barrier, 0
	.set _ZN7rocprim17ROCPRIM_400000_NS6detail17trampoline_kernelINS0_14default_configENS1_20scan_config_selectorIdEEZZNS1_9scan_implILNS1_25lookback_scan_determinismE0ELb0ELb0ES3_PKdPddZZZN2at6native31launch_logcumsumexp_cuda_kernelERKNSB_10TensorBaseESF_lENKUlvE_clEvENKUlvE_clEvEUlddE_dEEDaPvRmT3_T4_T5_mT6_P12ihipStream_tbENKUlT_T0_E_clISt17integral_constantIbLb0EESV_IbLb1EEEEDaSR_SS_EUlSR_E_NS1_11comp_targetILNS1_3genE4ELNS1_11target_archE910ELNS1_3gpuE8ELNS1_3repE0EEENS1_30default_config_static_selectorELNS0_4arch9wavefront6targetE1EEEvT1_.private_seg_size, 0
	.set _ZN7rocprim17ROCPRIM_400000_NS6detail17trampoline_kernelINS0_14default_configENS1_20scan_config_selectorIdEEZZNS1_9scan_implILNS1_25lookback_scan_determinismE0ELb0ELb0ES3_PKdPddZZZN2at6native31launch_logcumsumexp_cuda_kernelERKNSB_10TensorBaseESF_lENKUlvE_clEvENKUlvE_clEvEUlddE_dEEDaPvRmT3_T4_T5_mT6_P12ihipStream_tbENKUlT_T0_E_clISt17integral_constantIbLb0EESV_IbLb1EEEEDaSR_SS_EUlSR_E_NS1_11comp_targetILNS1_3genE4ELNS1_11target_archE910ELNS1_3gpuE8ELNS1_3repE0EEENS1_30default_config_static_selectorELNS0_4arch9wavefront6targetE1EEEvT1_.uses_vcc, 0
	.set _ZN7rocprim17ROCPRIM_400000_NS6detail17trampoline_kernelINS0_14default_configENS1_20scan_config_selectorIdEEZZNS1_9scan_implILNS1_25lookback_scan_determinismE0ELb0ELb0ES3_PKdPddZZZN2at6native31launch_logcumsumexp_cuda_kernelERKNSB_10TensorBaseESF_lENKUlvE_clEvENKUlvE_clEvEUlddE_dEEDaPvRmT3_T4_T5_mT6_P12ihipStream_tbENKUlT_T0_E_clISt17integral_constantIbLb0EESV_IbLb1EEEEDaSR_SS_EUlSR_E_NS1_11comp_targetILNS1_3genE4ELNS1_11target_archE910ELNS1_3gpuE8ELNS1_3repE0EEENS1_30default_config_static_selectorELNS0_4arch9wavefront6targetE1EEEvT1_.uses_flat_scratch, 0
	.set _ZN7rocprim17ROCPRIM_400000_NS6detail17trampoline_kernelINS0_14default_configENS1_20scan_config_selectorIdEEZZNS1_9scan_implILNS1_25lookback_scan_determinismE0ELb0ELb0ES3_PKdPddZZZN2at6native31launch_logcumsumexp_cuda_kernelERKNSB_10TensorBaseESF_lENKUlvE_clEvENKUlvE_clEvEUlddE_dEEDaPvRmT3_T4_T5_mT6_P12ihipStream_tbENKUlT_T0_E_clISt17integral_constantIbLb0EESV_IbLb1EEEEDaSR_SS_EUlSR_E_NS1_11comp_targetILNS1_3genE4ELNS1_11target_archE910ELNS1_3gpuE8ELNS1_3repE0EEENS1_30default_config_static_selectorELNS0_4arch9wavefront6targetE1EEEvT1_.has_dyn_sized_stack, 0
	.set _ZN7rocprim17ROCPRIM_400000_NS6detail17trampoline_kernelINS0_14default_configENS1_20scan_config_selectorIdEEZZNS1_9scan_implILNS1_25lookback_scan_determinismE0ELb0ELb0ES3_PKdPddZZZN2at6native31launch_logcumsumexp_cuda_kernelERKNSB_10TensorBaseESF_lENKUlvE_clEvENKUlvE_clEvEUlddE_dEEDaPvRmT3_T4_T5_mT6_P12ihipStream_tbENKUlT_T0_E_clISt17integral_constantIbLb0EESV_IbLb1EEEEDaSR_SS_EUlSR_E_NS1_11comp_targetILNS1_3genE4ELNS1_11target_archE910ELNS1_3gpuE8ELNS1_3repE0EEENS1_30default_config_static_selectorELNS0_4arch9wavefront6targetE1EEEvT1_.has_recursion, 0
	.set _ZN7rocprim17ROCPRIM_400000_NS6detail17trampoline_kernelINS0_14default_configENS1_20scan_config_selectorIdEEZZNS1_9scan_implILNS1_25lookback_scan_determinismE0ELb0ELb0ES3_PKdPddZZZN2at6native31launch_logcumsumexp_cuda_kernelERKNSB_10TensorBaseESF_lENKUlvE_clEvENKUlvE_clEvEUlddE_dEEDaPvRmT3_T4_T5_mT6_P12ihipStream_tbENKUlT_T0_E_clISt17integral_constantIbLb0EESV_IbLb1EEEEDaSR_SS_EUlSR_E_NS1_11comp_targetILNS1_3genE4ELNS1_11target_archE910ELNS1_3gpuE8ELNS1_3repE0EEENS1_30default_config_static_selectorELNS0_4arch9wavefront6targetE1EEEvT1_.has_indirect_call, 0
	.section	.AMDGPU.csdata,"",@progbits
; Kernel info:
; codeLenInByte = 0
; TotalNumSgprs: 6
; NumVgprs: 0
; NumAgprs: 0
; TotalNumVgprs: 0
; ScratchSize: 0
; MemoryBound: 0
; FloatMode: 240
; IeeeMode: 1
; LDSByteSize: 0 bytes/workgroup (compile time only)
; SGPRBlocks: 0
; VGPRBlocks: 0
; NumSGPRsForWavesPerEU: 6
; NumVGPRsForWavesPerEU: 1
; AccumOffset: 4
; Occupancy: 8
; WaveLimiterHint : 0
; COMPUTE_PGM_RSRC2:SCRATCH_EN: 0
; COMPUTE_PGM_RSRC2:USER_SGPR: 2
; COMPUTE_PGM_RSRC2:TRAP_HANDLER: 0
; COMPUTE_PGM_RSRC2:TGID_X_EN: 1
; COMPUTE_PGM_RSRC2:TGID_Y_EN: 0
; COMPUTE_PGM_RSRC2:TGID_Z_EN: 0
; COMPUTE_PGM_RSRC2:TIDIG_COMP_CNT: 0
; COMPUTE_PGM_RSRC3_GFX90A:ACCUM_OFFSET: 0
; COMPUTE_PGM_RSRC3_GFX90A:TG_SPLIT: 0
	.section	.text._ZN7rocprim17ROCPRIM_400000_NS6detail17trampoline_kernelINS0_14default_configENS1_20scan_config_selectorIdEEZZNS1_9scan_implILNS1_25lookback_scan_determinismE0ELb0ELb0ES3_PKdPddZZZN2at6native31launch_logcumsumexp_cuda_kernelERKNSB_10TensorBaseESF_lENKUlvE_clEvENKUlvE_clEvEUlddE_dEEDaPvRmT3_T4_T5_mT6_P12ihipStream_tbENKUlT_T0_E_clISt17integral_constantIbLb0EESV_IbLb1EEEEDaSR_SS_EUlSR_E_NS1_11comp_targetILNS1_3genE3ELNS1_11target_archE908ELNS1_3gpuE7ELNS1_3repE0EEENS1_30default_config_static_selectorELNS0_4arch9wavefront6targetE1EEEvT1_,"axG",@progbits,_ZN7rocprim17ROCPRIM_400000_NS6detail17trampoline_kernelINS0_14default_configENS1_20scan_config_selectorIdEEZZNS1_9scan_implILNS1_25lookback_scan_determinismE0ELb0ELb0ES3_PKdPddZZZN2at6native31launch_logcumsumexp_cuda_kernelERKNSB_10TensorBaseESF_lENKUlvE_clEvENKUlvE_clEvEUlddE_dEEDaPvRmT3_T4_T5_mT6_P12ihipStream_tbENKUlT_T0_E_clISt17integral_constantIbLb0EESV_IbLb1EEEEDaSR_SS_EUlSR_E_NS1_11comp_targetILNS1_3genE3ELNS1_11target_archE908ELNS1_3gpuE7ELNS1_3repE0EEENS1_30default_config_static_selectorELNS0_4arch9wavefront6targetE1EEEvT1_,comdat
	.globl	_ZN7rocprim17ROCPRIM_400000_NS6detail17trampoline_kernelINS0_14default_configENS1_20scan_config_selectorIdEEZZNS1_9scan_implILNS1_25lookback_scan_determinismE0ELb0ELb0ES3_PKdPddZZZN2at6native31launch_logcumsumexp_cuda_kernelERKNSB_10TensorBaseESF_lENKUlvE_clEvENKUlvE_clEvEUlddE_dEEDaPvRmT3_T4_T5_mT6_P12ihipStream_tbENKUlT_T0_E_clISt17integral_constantIbLb0EESV_IbLb1EEEEDaSR_SS_EUlSR_E_NS1_11comp_targetILNS1_3genE3ELNS1_11target_archE908ELNS1_3gpuE7ELNS1_3repE0EEENS1_30default_config_static_selectorELNS0_4arch9wavefront6targetE1EEEvT1_ ; -- Begin function _ZN7rocprim17ROCPRIM_400000_NS6detail17trampoline_kernelINS0_14default_configENS1_20scan_config_selectorIdEEZZNS1_9scan_implILNS1_25lookback_scan_determinismE0ELb0ELb0ES3_PKdPddZZZN2at6native31launch_logcumsumexp_cuda_kernelERKNSB_10TensorBaseESF_lENKUlvE_clEvENKUlvE_clEvEUlddE_dEEDaPvRmT3_T4_T5_mT6_P12ihipStream_tbENKUlT_T0_E_clISt17integral_constantIbLb0EESV_IbLb1EEEEDaSR_SS_EUlSR_E_NS1_11comp_targetILNS1_3genE3ELNS1_11target_archE908ELNS1_3gpuE7ELNS1_3repE0EEENS1_30default_config_static_selectorELNS0_4arch9wavefront6targetE1EEEvT1_
	.p2align	8
	.type	_ZN7rocprim17ROCPRIM_400000_NS6detail17trampoline_kernelINS0_14default_configENS1_20scan_config_selectorIdEEZZNS1_9scan_implILNS1_25lookback_scan_determinismE0ELb0ELb0ES3_PKdPddZZZN2at6native31launch_logcumsumexp_cuda_kernelERKNSB_10TensorBaseESF_lENKUlvE_clEvENKUlvE_clEvEUlddE_dEEDaPvRmT3_T4_T5_mT6_P12ihipStream_tbENKUlT_T0_E_clISt17integral_constantIbLb0EESV_IbLb1EEEEDaSR_SS_EUlSR_E_NS1_11comp_targetILNS1_3genE3ELNS1_11target_archE908ELNS1_3gpuE7ELNS1_3repE0EEENS1_30default_config_static_selectorELNS0_4arch9wavefront6targetE1EEEvT1_,@function
_ZN7rocprim17ROCPRIM_400000_NS6detail17trampoline_kernelINS0_14default_configENS1_20scan_config_selectorIdEEZZNS1_9scan_implILNS1_25lookback_scan_determinismE0ELb0ELb0ES3_PKdPddZZZN2at6native31launch_logcumsumexp_cuda_kernelERKNSB_10TensorBaseESF_lENKUlvE_clEvENKUlvE_clEvEUlddE_dEEDaPvRmT3_T4_T5_mT6_P12ihipStream_tbENKUlT_T0_E_clISt17integral_constantIbLb0EESV_IbLb1EEEEDaSR_SS_EUlSR_E_NS1_11comp_targetILNS1_3genE3ELNS1_11target_archE908ELNS1_3gpuE7ELNS1_3repE0EEENS1_30default_config_static_selectorELNS0_4arch9wavefront6targetE1EEEvT1_: ; @_ZN7rocprim17ROCPRIM_400000_NS6detail17trampoline_kernelINS0_14default_configENS1_20scan_config_selectorIdEEZZNS1_9scan_implILNS1_25lookback_scan_determinismE0ELb0ELb0ES3_PKdPddZZZN2at6native31launch_logcumsumexp_cuda_kernelERKNSB_10TensorBaseESF_lENKUlvE_clEvENKUlvE_clEvEUlddE_dEEDaPvRmT3_T4_T5_mT6_P12ihipStream_tbENKUlT_T0_E_clISt17integral_constantIbLb0EESV_IbLb1EEEEDaSR_SS_EUlSR_E_NS1_11comp_targetILNS1_3genE3ELNS1_11target_archE908ELNS1_3gpuE7ELNS1_3repE0EEENS1_30default_config_static_selectorELNS0_4arch9wavefront6targetE1EEEvT1_
; %bb.0:
	.section	.rodata,"a",@progbits
	.p2align	6, 0x0
	.amdhsa_kernel _ZN7rocprim17ROCPRIM_400000_NS6detail17trampoline_kernelINS0_14default_configENS1_20scan_config_selectorIdEEZZNS1_9scan_implILNS1_25lookback_scan_determinismE0ELb0ELb0ES3_PKdPddZZZN2at6native31launch_logcumsumexp_cuda_kernelERKNSB_10TensorBaseESF_lENKUlvE_clEvENKUlvE_clEvEUlddE_dEEDaPvRmT3_T4_T5_mT6_P12ihipStream_tbENKUlT_T0_E_clISt17integral_constantIbLb0EESV_IbLb1EEEEDaSR_SS_EUlSR_E_NS1_11comp_targetILNS1_3genE3ELNS1_11target_archE908ELNS1_3gpuE7ELNS1_3repE0EEENS1_30default_config_static_selectorELNS0_4arch9wavefront6targetE1EEEvT1_
		.amdhsa_group_segment_fixed_size 0
		.amdhsa_private_segment_fixed_size 0
		.amdhsa_kernarg_size 104
		.amdhsa_user_sgpr_count 2
		.amdhsa_user_sgpr_dispatch_ptr 0
		.amdhsa_user_sgpr_queue_ptr 0
		.amdhsa_user_sgpr_kernarg_segment_ptr 1
		.amdhsa_user_sgpr_dispatch_id 0
		.amdhsa_user_sgpr_kernarg_preload_length 0
		.amdhsa_user_sgpr_kernarg_preload_offset 0
		.amdhsa_user_sgpr_private_segment_size 0
		.amdhsa_uses_dynamic_stack 0
		.amdhsa_enable_private_segment 0
		.amdhsa_system_sgpr_workgroup_id_x 1
		.amdhsa_system_sgpr_workgroup_id_y 0
		.amdhsa_system_sgpr_workgroup_id_z 0
		.amdhsa_system_sgpr_workgroup_info 0
		.amdhsa_system_vgpr_workitem_id 0
		.amdhsa_next_free_vgpr 1
		.amdhsa_next_free_sgpr 0
		.amdhsa_accum_offset 4
		.amdhsa_reserve_vcc 0
		.amdhsa_float_round_mode_32 0
		.amdhsa_float_round_mode_16_64 0
		.amdhsa_float_denorm_mode_32 3
		.amdhsa_float_denorm_mode_16_64 3
		.amdhsa_dx10_clamp 1
		.amdhsa_ieee_mode 1
		.amdhsa_fp16_overflow 0
		.amdhsa_tg_split 0
		.amdhsa_exception_fp_ieee_invalid_op 0
		.amdhsa_exception_fp_denorm_src 0
		.amdhsa_exception_fp_ieee_div_zero 0
		.amdhsa_exception_fp_ieee_overflow 0
		.amdhsa_exception_fp_ieee_underflow 0
		.amdhsa_exception_fp_ieee_inexact 0
		.amdhsa_exception_int_div_zero 0
	.end_amdhsa_kernel
	.section	.text._ZN7rocprim17ROCPRIM_400000_NS6detail17trampoline_kernelINS0_14default_configENS1_20scan_config_selectorIdEEZZNS1_9scan_implILNS1_25lookback_scan_determinismE0ELb0ELb0ES3_PKdPddZZZN2at6native31launch_logcumsumexp_cuda_kernelERKNSB_10TensorBaseESF_lENKUlvE_clEvENKUlvE_clEvEUlddE_dEEDaPvRmT3_T4_T5_mT6_P12ihipStream_tbENKUlT_T0_E_clISt17integral_constantIbLb0EESV_IbLb1EEEEDaSR_SS_EUlSR_E_NS1_11comp_targetILNS1_3genE3ELNS1_11target_archE908ELNS1_3gpuE7ELNS1_3repE0EEENS1_30default_config_static_selectorELNS0_4arch9wavefront6targetE1EEEvT1_,"axG",@progbits,_ZN7rocprim17ROCPRIM_400000_NS6detail17trampoline_kernelINS0_14default_configENS1_20scan_config_selectorIdEEZZNS1_9scan_implILNS1_25lookback_scan_determinismE0ELb0ELb0ES3_PKdPddZZZN2at6native31launch_logcumsumexp_cuda_kernelERKNSB_10TensorBaseESF_lENKUlvE_clEvENKUlvE_clEvEUlddE_dEEDaPvRmT3_T4_T5_mT6_P12ihipStream_tbENKUlT_T0_E_clISt17integral_constantIbLb0EESV_IbLb1EEEEDaSR_SS_EUlSR_E_NS1_11comp_targetILNS1_3genE3ELNS1_11target_archE908ELNS1_3gpuE7ELNS1_3repE0EEENS1_30default_config_static_selectorELNS0_4arch9wavefront6targetE1EEEvT1_,comdat
.Lfunc_end69:
	.size	_ZN7rocprim17ROCPRIM_400000_NS6detail17trampoline_kernelINS0_14default_configENS1_20scan_config_selectorIdEEZZNS1_9scan_implILNS1_25lookback_scan_determinismE0ELb0ELb0ES3_PKdPddZZZN2at6native31launch_logcumsumexp_cuda_kernelERKNSB_10TensorBaseESF_lENKUlvE_clEvENKUlvE_clEvEUlddE_dEEDaPvRmT3_T4_T5_mT6_P12ihipStream_tbENKUlT_T0_E_clISt17integral_constantIbLb0EESV_IbLb1EEEEDaSR_SS_EUlSR_E_NS1_11comp_targetILNS1_3genE3ELNS1_11target_archE908ELNS1_3gpuE7ELNS1_3repE0EEENS1_30default_config_static_selectorELNS0_4arch9wavefront6targetE1EEEvT1_, .Lfunc_end69-_ZN7rocprim17ROCPRIM_400000_NS6detail17trampoline_kernelINS0_14default_configENS1_20scan_config_selectorIdEEZZNS1_9scan_implILNS1_25lookback_scan_determinismE0ELb0ELb0ES3_PKdPddZZZN2at6native31launch_logcumsumexp_cuda_kernelERKNSB_10TensorBaseESF_lENKUlvE_clEvENKUlvE_clEvEUlddE_dEEDaPvRmT3_T4_T5_mT6_P12ihipStream_tbENKUlT_T0_E_clISt17integral_constantIbLb0EESV_IbLb1EEEEDaSR_SS_EUlSR_E_NS1_11comp_targetILNS1_3genE3ELNS1_11target_archE908ELNS1_3gpuE7ELNS1_3repE0EEENS1_30default_config_static_selectorELNS0_4arch9wavefront6targetE1EEEvT1_
                                        ; -- End function
	.set _ZN7rocprim17ROCPRIM_400000_NS6detail17trampoline_kernelINS0_14default_configENS1_20scan_config_selectorIdEEZZNS1_9scan_implILNS1_25lookback_scan_determinismE0ELb0ELb0ES3_PKdPddZZZN2at6native31launch_logcumsumexp_cuda_kernelERKNSB_10TensorBaseESF_lENKUlvE_clEvENKUlvE_clEvEUlddE_dEEDaPvRmT3_T4_T5_mT6_P12ihipStream_tbENKUlT_T0_E_clISt17integral_constantIbLb0EESV_IbLb1EEEEDaSR_SS_EUlSR_E_NS1_11comp_targetILNS1_3genE3ELNS1_11target_archE908ELNS1_3gpuE7ELNS1_3repE0EEENS1_30default_config_static_selectorELNS0_4arch9wavefront6targetE1EEEvT1_.num_vgpr, 0
	.set _ZN7rocprim17ROCPRIM_400000_NS6detail17trampoline_kernelINS0_14default_configENS1_20scan_config_selectorIdEEZZNS1_9scan_implILNS1_25lookback_scan_determinismE0ELb0ELb0ES3_PKdPddZZZN2at6native31launch_logcumsumexp_cuda_kernelERKNSB_10TensorBaseESF_lENKUlvE_clEvENKUlvE_clEvEUlddE_dEEDaPvRmT3_T4_T5_mT6_P12ihipStream_tbENKUlT_T0_E_clISt17integral_constantIbLb0EESV_IbLb1EEEEDaSR_SS_EUlSR_E_NS1_11comp_targetILNS1_3genE3ELNS1_11target_archE908ELNS1_3gpuE7ELNS1_3repE0EEENS1_30default_config_static_selectorELNS0_4arch9wavefront6targetE1EEEvT1_.num_agpr, 0
	.set _ZN7rocprim17ROCPRIM_400000_NS6detail17trampoline_kernelINS0_14default_configENS1_20scan_config_selectorIdEEZZNS1_9scan_implILNS1_25lookback_scan_determinismE0ELb0ELb0ES3_PKdPddZZZN2at6native31launch_logcumsumexp_cuda_kernelERKNSB_10TensorBaseESF_lENKUlvE_clEvENKUlvE_clEvEUlddE_dEEDaPvRmT3_T4_T5_mT6_P12ihipStream_tbENKUlT_T0_E_clISt17integral_constantIbLb0EESV_IbLb1EEEEDaSR_SS_EUlSR_E_NS1_11comp_targetILNS1_3genE3ELNS1_11target_archE908ELNS1_3gpuE7ELNS1_3repE0EEENS1_30default_config_static_selectorELNS0_4arch9wavefront6targetE1EEEvT1_.numbered_sgpr, 0
	.set _ZN7rocprim17ROCPRIM_400000_NS6detail17trampoline_kernelINS0_14default_configENS1_20scan_config_selectorIdEEZZNS1_9scan_implILNS1_25lookback_scan_determinismE0ELb0ELb0ES3_PKdPddZZZN2at6native31launch_logcumsumexp_cuda_kernelERKNSB_10TensorBaseESF_lENKUlvE_clEvENKUlvE_clEvEUlddE_dEEDaPvRmT3_T4_T5_mT6_P12ihipStream_tbENKUlT_T0_E_clISt17integral_constantIbLb0EESV_IbLb1EEEEDaSR_SS_EUlSR_E_NS1_11comp_targetILNS1_3genE3ELNS1_11target_archE908ELNS1_3gpuE7ELNS1_3repE0EEENS1_30default_config_static_selectorELNS0_4arch9wavefront6targetE1EEEvT1_.num_named_barrier, 0
	.set _ZN7rocprim17ROCPRIM_400000_NS6detail17trampoline_kernelINS0_14default_configENS1_20scan_config_selectorIdEEZZNS1_9scan_implILNS1_25lookback_scan_determinismE0ELb0ELb0ES3_PKdPddZZZN2at6native31launch_logcumsumexp_cuda_kernelERKNSB_10TensorBaseESF_lENKUlvE_clEvENKUlvE_clEvEUlddE_dEEDaPvRmT3_T4_T5_mT6_P12ihipStream_tbENKUlT_T0_E_clISt17integral_constantIbLb0EESV_IbLb1EEEEDaSR_SS_EUlSR_E_NS1_11comp_targetILNS1_3genE3ELNS1_11target_archE908ELNS1_3gpuE7ELNS1_3repE0EEENS1_30default_config_static_selectorELNS0_4arch9wavefront6targetE1EEEvT1_.private_seg_size, 0
	.set _ZN7rocprim17ROCPRIM_400000_NS6detail17trampoline_kernelINS0_14default_configENS1_20scan_config_selectorIdEEZZNS1_9scan_implILNS1_25lookback_scan_determinismE0ELb0ELb0ES3_PKdPddZZZN2at6native31launch_logcumsumexp_cuda_kernelERKNSB_10TensorBaseESF_lENKUlvE_clEvENKUlvE_clEvEUlddE_dEEDaPvRmT3_T4_T5_mT6_P12ihipStream_tbENKUlT_T0_E_clISt17integral_constantIbLb0EESV_IbLb1EEEEDaSR_SS_EUlSR_E_NS1_11comp_targetILNS1_3genE3ELNS1_11target_archE908ELNS1_3gpuE7ELNS1_3repE0EEENS1_30default_config_static_selectorELNS0_4arch9wavefront6targetE1EEEvT1_.uses_vcc, 0
	.set _ZN7rocprim17ROCPRIM_400000_NS6detail17trampoline_kernelINS0_14default_configENS1_20scan_config_selectorIdEEZZNS1_9scan_implILNS1_25lookback_scan_determinismE0ELb0ELb0ES3_PKdPddZZZN2at6native31launch_logcumsumexp_cuda_kernelERKNSB_10TensorBaseESF_lENKUlvE_clEvENKUlvE_clEvEUlddE_dEEDaPvRmT3_T4_T5_mT6_P12ihipStream_tbENKUlT_T0_E_clISt17integral_constantIbLb0EESV_IbLb1EEEEDaSR_SS_EUlSR_E_NS1_11comp_targetILNS1_3genE3ELNS1_11target_archE908ELNS1_3gpuE7ELNS1_3repE0EEENS1_30default_config_static_selectorELNS0_4arch9wavefront6targetE1EEEvT1_.uses_flat_scratch, 0
	.set _ZN7rocprim17ROCPRIM_400000_NS6detail17trampoline_kernelINS0_14default_configENS1_20scan_config_selectorIdEEZZNS1_9scan_implILNS1_25lookback_scan_determinismE0ELb0ELb0ES3_PKdPddZZZN2at6native31launch_logcumsumexp_cuda_kernelERKNSB_10TensorBaseESF_lENKUlvE_clEvENKUlvE_clEvEUlddE_dEEDaPvRmT3_T4_T5_mT6_P12ihipStream_tbENKUlT_T0_E_clISt17integral_constantIbLb0EESV_IbLb1EEEEDaSR_SS_EUlSR_E_NS1_11comp_targetILNS1_3genE3ELNS1_11target_archE908ELNS1_3gpuE7ELNS1_3repE0EEENS1_30default_config_static_selectorELNS0_4arch9wavefront6targetE1EEEvT1_.has_dyn_sized_stack, 0
	.set _ZN7rocprim17ROCPRIM_400000_NS6detail17trampoline_kernelINS0_14default_configENS1_20scan_config_selectorIdEEZZNS1_9scan_implILNS1_25lookback_scan_determinismE0ELb0ELb0ES3_PKdPddZZZN2at6native31launch_logcumsumexp_cuda_kernelERKNSB_10TensorBaseESF_lENKUlvE_clEvENKUlvE_clEvEUlddE_dEEDaPvRmT3_T4_T5_mT6_P12ihipStream_tbENKUlT_T0_E_clISt17integral_constantIbLb0EESV_IbLb1EEEEDaSR_SS_EUlSR_E_NS1_11comp_targetILNS1_3genE3ELNS1_11target_archE908ELNS1_3gpuE7ELNS1_3repE0EEENS1_30default_config_static_selectorELNS0_4arch9wavefront6targetE1EEEvT1_.has_recursion, 0
	.set _ZN7rocprim17ROCPRIM_400000_NS6detail17trampoline_kernelINS0_14default_configENS1_20scan_config_selectorIdEEZZNS1_9scan_implILNS1_25lookback_scan_determinismE0ELb0ELb0ES3_PKdPddZZZN2at6native31launch_logcumsumexp_cuda_kernelERKNSB_10TensorBaseESF_lENKUlvE_clEvENKUlvE_clEvEUlddE_dEEDaPvRmT3_T4_T5_mT6_P12ihipStream_tbENKUlT_T0_E_clISt17integral_constantIbLb0EESV_IbLb1EEEEDaSR_SS_EUlSR_E_NS1_11comp_targetILNS1_3genE3ELNS1_11target_archE908ELNS1_3gpuE7ELNS1_3repE0EEENS1_30default_config_static_selectorELNS0_4arch9wavefront6targetE1EEEvT1_.has_indirect_call, 0
	.section	.AMDGPU.csdata,"",@progbits
; Kernel info:
; codeLenInByte = 0
; TotalNumSgprs: 6
; NumVgprs: 0
; NumAgprs: 0
; TotalNumVgprs: 0
; ScratchSize: 0
; MemoryBound: 0
; FloatMode: 240
; IeeeMode: 1
; LDSByteSize: 0 bytes/workgroup (compile time only)
; SGPRBlocks: 0
; VGPRBlocks: 0
; NumSGPRsForWavesPerEU: 6
; NumVGPRsForWavesPerEU: 1
; AccumOffset: 4
; Occupancy: 8
; WaveLimiterHint : 0
; COMPUTE_PGM_RSRC2:SCRATCH_EN: 0
; COMPUTE_PGM_RSRC2:USER_SGPR: 2
; COMPUTE_PGM_RSRC2:TRAP_HANDLER: 0
; COMPUTE_PGM_RSRC2:TGID_X_EN: 1
; COMPUTE_PGM_RSRC2:TGID_Y_EN: 0
; COMPUTE_PGM_RSRC2:TGID_Z_EN: 0
; COMPUTE_PGM_RSRC2:TIDIG_COMP_CNT: 0
; COMPUTE_PGM_RSRC3_GFX90A:ACCUM_OFFSET: 0
; COMPUTE_PGM_RSRC3_GFX90A:TG_SPLIT: 0
	.section	.text._ZN7rocprim17ROCPRIM_400000_NS6detail17trampoline_kernelINS0_14default_configENS1_20scan_config_selectorIdEEZZNS1_9scan_implILNS1_25lookback_scan_determinismE0ELb0ELb0ES3_PKdPddZZZN2at6native31launch_logcumsumexp_cuda_kernelERKNSB_10TensorBaseESF_lENKUlvE_clEvENKUlvE_clEvEUlddE_dEEDaPvRmT3_T4_T5_mT6_P12ihipStream_tbENKUlT_T0_E_clISt17integral_constantIbLb0EESV_IbLb1EEEEDaSR_SS_EUlSR_E_NS1_11comp_targetILNS1_3genE2ELNS1_11target_archE906ELNS1_3gpuE6ELNS1_3repE0EEENS1_30default_config_static_selectorELNS0_4arch9wavefront6targetE1EEEvT1_,"axG",@progbits,_ZN7rocprim17ROCPRIM_400000_NS6detail17trampoline_kernelINS0_14default_configENS1_20scan_config_selectorIdEEZZNS1_9scan_implILNS1_25lookback_scan_determinismE0ELb0ELb0ES3_PKdPddZZZN2at6native31launch_logcumsumexp_cuda_kernelERKNSB_10TensorBaseESF_lENKUlvE_clEvENKUlvE_clEvEUlddE_dEEDaPvRmT3_T4_T5_mT6_P12ihipStream_tbENKUlT_T0_E_clISt17integral_constantIbLb0EESV_IbLb1EEEEDaSR_SS_EUlSR_E_NS1_11comp_targetILNS1_3genE2ELNS1_11target_archE906ELNS1_3gpuE6ELNS1_3repE0EEENS1_30default_config_static_selectorELNS0_4arch9wavefront6targetE1EEEvT1_,comdat
	.globl	_ZN7rocprim17ROCPRIM_400000_NS6detail17trampoline_kernelINS0_14default_configENS1_20scan_config_selectorIdEEZZNS1_9scan_implILNS1_25lookback_scan_determinismE0ELb0ELb0ES3_PKdPddZZZN2at6native31launch_logcumsumexp_cuda_kernelERKNSB_10TensorBaseESF_lENKUlvE_clEvENKUlvE_clEvEUlddE_dEEDaPvRmT3_T4_T5_mT6_P12ihipStream_tbENKUlT_T0_E_clISt17integral_constantIbLb0EESV_IbLb1EEEEDaSR_SS_EUlSR_E_NS1_11comp_targetILNS1_3genE2ELNS1_11target_archE906ELNS1_3gpuE6ELNS1_3repE0EEENS1_30default_config_static_selectorELNS0_4arch9wavefront6targetE1EEEvT1_ ; -- Begin function _ZN7rocprim17ROCPRIM_400000_NS6detail17trampoline_kernelINS0_14default_configENS1_20scan_config_selectorIdEEZZNS1_9scan_implILNS1_25lookback_scan_determinismE0ELb0ELb0ES3_PKdPddZZZN2at6native31launch_logcumsumexp_cuda_kernelERKNSB_10TensorBaseESF_lENKUlvE_clEvENKUlvE_clEvEUlddE_dEEDaPvRmT3_T4_T5_mT6_P12ihipStream_tbENKUlT_T0_E_clISt17integral_constantIbLb0EESV_IbLb1EEEEDaSR_SS_EUlSR_E_NS1_11comp_targetILNS1_3genE2ELNS1_11target_archE906ELNS1_3gpuE6ELNS1_3repE0EEENS1_30default_config_static_selectorELNS0_4arch9wavefront6targetE1EEEvT1_
	.p2align	8
	.type	_ZN7rocprim17ROCPRIM_400000_NS6detail17trampoline_kernelINS0_14default_configENS1_20scan_config_selectorIdEEZZNS1_9scan_implILNS1_25lookback_scan_determinismE0ELb0ELb0ES3_PKdPddZZZN2at6native31launch_logcumsumexp_cuda_kernelERKNSB_10TensorBaseESF_lENKUlvE_clEvENKUlvE_clEvEUlddE_dEEDaPvRmT3_T4_T5_mT6_P12ihipStream_tbENKUlT_T0_E_clISt17integral_constantIbLb0EESV_IbLb1EEEEDaSR_SS_EUlSR_E_NS1_11comp_targetILNS1_3genE2ELNS1_11target_archE906ELNS1_3gpuE6ELNS1_3repE0EEENS1_30default_config_static_selectorELNS0_4arch9wavefront6targetE1EEEvT1_,@function
_ZN7rocprim17ROCPRIM_400000_NS6detail17trampoline_kernelINS0_14default_configENS1_20scan_config_selectorIdEEZZNS1_9scan_implILNS1_25lookback_scan_determinismE0ELb0ELb0ES3_PKdPddZZZN2at6native31launch_logcumsumexp_cuda_kernelERKNSB_10TensorBaseESF_lENKUlvE_clEvENKUlvE_clEvEUlddE_dEEDaPvRmT3_T4_T5_mT6_P12ihipStream_tbENKUlT_T0_E_clISt17integral_constantIbLb0EESV_IbLb1EEEEDaSR_SS_EUlSR_E_NS1_11comp_targetILNS1_3genE2ELNS1_11target_archE906ELNS1_3gpuE6ELNS1_3repE0EEENS1_30default_config_static_selectorELNS0_4arch9wavefront6targetE1EEEvT1_: ; @_ZN7rocprim17ROCPRIM_400000_NS6detail17trampoline_kernelINS0_14default_configENS1_20scan_config_selectorIdEEZZNS1_9scan_implILNS1_25lookback_scan_determinismE0ELb0ELb0ES3_PKdPddZZZN2at6native31launch_logcumsumexp_cuda_kernelERKNSB_10TensorBaseESF_lENKUlvE_clEvENKUlvE_clEvEUlddE_dEEDaPvRmT3_T4_T5_mT6_P12ihipStream_tbENKUlT_T0_E_clISt17integral_constantIbLb0EESV_IbLb1EEEEDaSR_SS_EUlSR_E_NS1_11comp_targetILNS1_3genE2ELNS1_11target_archE906ELNS1_3gpuE6ELNS1_3repE0EEENS1_30default_config_static_selectorELNS0_4arch9wavefront6targetE1EEEvT1_
; %bb.0:
	.section	.rodata,"a",@progbits
	.p2align	6, 0x0
	.amdhsa_kernel _ZN7rocprim17ROCPRIM_400000_NS6detail17trampoline_kernelINS0_14default_configENS1_20scan_config_selectorIdEEZZNS1_9scan_implILNS1_25lookback_scan_determinismE0ELb0ELb0ES3_PKdPddZZZN2at6native31launch_logcumsumexp_cuda_kernelERKNSB_10TensorBaseESF_lENKUlvE_clEvENKUlvE_clEvEUlddE_dEEDaPvRmT3_T4_T5_mT6_P12ihipStream_tbENKUlT_T0_E_clISt17integral_constantIbLb0EESV_IbLb1EEEEDaSR_SS_EUlSR_E_NS1_11comp_targetILNS1_3genE2ELNS1_11target_archE906ELNS1_3gpuE6ELNS1_3repE0EEENS1_30default_config_static_selectorELNS0_4arch9wavefront6targetE1EEEvT1_
		.amdhsa_group_segment_fixed_size 0
		.amdhsa_private_segment_fixed_size 0
		.amdhsa_kernarg_size 104
		.amdhsa_user_sgpr_count 2
		.amdhsa_user_sgpr_dispatch_ptr 0
		.amdhsa_user_sgpr_queue_ptr 0
		.amdhsa_user_sgpr_kernarg_segment_ptr 1
		.amdhsa_user_sgpr_dispatch_id 0
		.amdhsa_user_sgpr_kernarg_preload_length 0
		.amdhsa_user_sgpr_kernarg_preload_offset 0
		.amdhsa_user_sgpr_private_segment_size 0
		.amdhsa_uses_dynamic_stack 0
		.amdhsa_enable_private_segment 0
		.amdhsa_system_sgpr_workgroup_id_x 1
		.amdhsa_system_sgpr_workgroup_id_y 0
		.amdhsa_system_sgpr_workgroup_id_z 0
		.amdhsa_system_sgpr_workgroup_info 0
		.amdhsa_system_vgpr_workitem_id 0
		.amdhsa_next_free_vgpr 1
		.amdhsa_next_free_sgpr 0
		.amdhsa_accum_offset 4
		.amdhsa_reserve_vcc 0
		.amdhsa_float_round_mode_32 0
		.amdhsa_float_round_mode_16_64 0
		.amdhsa_float_denorm_mode_32 3
		.amdhsa_float_denorm_mode_16_64 3
		.amdhsa_dx10_clamp 1
		.amdhsa_ieee_mode 1
		.amdhsa_fp16_overflow 0
		.amdhsa_tg_split 0
		.amdhsa_exception_fp_ieee_invalid_op 0
		.amdhsa_exception_fp_denorm_src 0
		.amdhsa_exception_fp_ieee_div_zero 0
		.amdhsa_exception_fp_ieee_overflow 0
		.amdhsa_exception_fp_ieee_underflow 0
		.amdhsa_exception_fp_ieee_inexact 0
		.amdhsa_exception_int_div_zero 0
	.end_amdhsa_kernel
	.section	.text._ZN7rocprim17ROCPRIM_400000_NS6detail17trampoline_kernelINS0_14default_configENS1_20scan_config_selectorIdEEZZNS1_9scan_implILNS1_25lookback_scan_determinismE0ELb0ELb0ES3_PKdPddZZZN2at6native31launch_logcumsumexp_cuda_kernelERKNSB_10TensorBaseESF_lENKUlvE_clEvENKUlvE_clEvEUlddE_dEEDaPvRmT3_T4_T5_mT6_P12ihipStream_tbENKUlT_T0_E_clISt17integral_constantIbLb0EESV_IbLb1EEEEDaSR_SS_EUlSR_E_NS1_11comp_targetILNS1_3genE2ELNS1_11target_archE906ELNS1_3gpuE6ELNS1_3repE0EEENS1_30default_config_static_selectorELNS0_4arch9wavefront6targetE1EEEvT1_,"axG",@progbits,_ZN7rocprim17ROCPRIM_400000_NS6detail17trampoline_kernelINS0_14default_configENS1_20scan_config_selectorIdEEZZNS1_9scan_implILNS1_25lookback_scan_determinismE0ELb0ELb0ES3_PKdPddZZZN2at6native31launch_logcumsumexp_cuda_kernelERKNSB_10TensorBaseESF_lENKUlvE_clEvENKUlvE_clEvEUlddE_dEEDaPvRmT3_T4_T5_mT6_P12ihipStream_tbENKUlT_T0_E_clISt17integral_constantIbLb0EESV_IbLb1EEEEDaSR_SS_EUlSR_E_NS1_11comp_targetILNS1_3genE2ELNS1_11target_archE906ELNS1_3gpuE6ELNS1_3repE0EEENS1_30default_config_static_selectorELNS0_4arch9wavefront6targetE1EEEvT1_,comdat
.Lfunc_end70:
	.size	_ZN7rocprim17ROCPRIM_400000_NS6detail17trampoline_kernelINS0_14default_configENS1_20scan_config_selectorIdEEZZNS1_9scan_implILNS1_25lookback_scan_determinismE0ELb0ELb0ES3_PKdPddZZZN2at6native31launch_logcumsumexp_cuda_kernelERKNSB_10TensorBaseESF_lENKUlvE_clEvENKUlvE_clEvEUlddE_dEEDaPvRmT3_T4_T5_mT6_P12ihipStream_tbENKUlT_T0_E_clISt17integral_constantIbLb0EESV_IbLb1EEEEDaSR_SS_EUlSR_E_NS1_11comp_targetILNS1_3genE2ELNS1_11target_archE906ELNS1_3gpuE6ELNS1_3repE0EEENS1_30default_config_static_selectorELNS0_4arch9wavefront6targetE1EEEvT1_, .Lfunc_end70-_ZN7rocprim17ROCPRIM_400000_NS6detail17trampoline_kernelINS0_14default_configENS1_20scan_config_selectorIdEEZZNS1_9scan_implILNS1_25lookback_scan_determinismE0ELb0ELb0ES3_PKdPddZZZN2at6native31launch_logcumsumexp_cuda_kernelERKNSB_10TensorBaseESF_lENKUlvE_clEvENKUlvE_clEvEUlddE_dEEDaPvRmT3_T4_T5_mT6_P12ihipStream_tbENKUlT_T0_E_clISt17integral_constantIbLb0EESV_IbLb1EEEEDaSR_SS_EUlSR_E_NS1_11comp_targetILNS1_3genE2ELNS1_11target_archE906ELNS1_3gpuE6ELNS1_3repE0EEENS1_30default_config_static_selectorELNS0_4arch9wavefront6targetE1EEEvT1_
                                        ; -- End function
	.set _ZN7rocprim17ROCPRIM_400000_NS6detail17trampoline_kernelINS0_14default_configENS1_20scan_config_selectorIdEEZZNS1_9scan_implILNS1_25lookback_scan_determinismE0ELb0ELb0ES3_PKdPddZZZN2at6native31launch_logcumsumexp_cuda_kernelERKNSB_10TensorBaseESF_lENKUlvE_clEvENKUlvE_clEvEUlddE_dEEDaPvRmT3_T4_T5_mT6_P12ihipStream_tbENKUlT_T0_E_clISt17integral_constantIbLb0EESV_IbLb1EEEEDaSR_SS_EUlSR_E_NS1_11comp_targetILNS1_3genE2ELNS1_11target_archE906ELNS1_3gpuE6ELNS1_3repE0EEENS1_30default_config_static_selectorELNS0_4arch9wavefront6targetE1EEEvT1_.num_vgpr, 0
	.set _ZN7rocprim17ROCPRIM_400000_NS6detail17trampoline_kernelINS0_14default_configENS1_20scan_config_selectorIdEEZZNS1_9scan_implILNS1_25lookback_scan_determinismE0ELb0ELb0ES3_PKdPddZZZN2at6native31launch_logcumsumexp_cuda_kernelERKNSB_10TensorBaseESF_lENKUlvE_clEvENKUlvE_clEvEUlddE_dEEDaPvRmT3_T4_T5_mT6_P12ihipStream_tbENKUlT_T0_E_clISt17integral_constantIbLb0EESV_IbLb1EEEEDaSR_SS_EUlSR_E_NS1_11comp_targetILNS1_3genE2ELNS1_11target_archE906ELNS1_3gpuE6ELNS1_3repE0EEENS1_30default_config_static_selectorELNS0_4arch9wavefront6targetE1EEEvT1_.num_agpr, 0
	.set _ZN7rocprim17ROCPRIM_400000_NS6detail17trampoline_kernelINS0_14default_configENS1_20scan_config_selectorIdEEZZNS1_9scan_implILNS1_25lookback_scan_determinismE0ELb0ELb0ES3_PKdPddZZZN2at6native31launch_logcumsumexp_cuda_kernelERKNSB_10TensorBaseESF_lENKUlvE_clEvENKUlvE_clEvEUlddE_dEEDaPvRmT3_T4_T5_mT6_P12ihipStream_tbENKUlT_T0_E_clISt17integral_constantIbLb0EESV_IbLb1EEEEDaSR_SS_EUlSR_E_NS1_11comp_targetILNS1_3genE2ELNS1_11target_archE906ELNS1_3gpuE6ELNS1_3repE0EEENS1_30default_config_static_selectorELNS0_4arch9wavefront6targetE1EEEvT1_.numbered_sgpr, 0
	.set _ZN7rocprim17ROCPRIM_400000_NS6detail17trampoline_kernelINS0_14default_configENS1_20scan_config_selectorIdEEZZNS1_9scan_implILNS1_25lookback_scan_determinismE0ELb0ELb0ES3_PKdPddZZZN2at6native31launch_logcumsumexp_cuda_kernelERKNSB_10TensorBaseESF_lENKUlvE_clEvENKUlvE_clEvEUlddE_dEEDaPvRmT3_T4_T5_mT6_P12ihipStream_tbENKUlT_T0_E_clISt17integral_constantIbLb0EESV_IbLb1EEEEDaSR_SS_EUlSR_E_NS1_11comp_targetILNS1_3genE2ELNS1_11target_archE906ELNS1_3gpuE6ELNS1_3repE0EEENS1_30default_config_static_selectorELNS0_4arch9wavefront6targetE1EEEvT1_.num_named_barrier, 0
	.set _ZN7rocprim17ROCPRIM_400000_NS6detail17trampoline_kernelINS0_14default_configENS1_20scan_config_selectorIdEEZZNS1_9scan_implILNS1_25lookback_scan_determinismE0ELb0ELb0ES3_PKdPddZZZN2at6native31launch_logcumsumexp_cuda_kernelERKNSB_10TensorBaseESF_lENKUlvE_clEvENKUlvE_clEvEUlddE_dEEDaPvRmT3_T4_T5_mT6_P12ihipStream_tbENKUlT_T0_E_clISt17integral_constantIbLb0EESV_IbLb1EEEEDaSR_SS_EUlSR_E_NS1_11comp_targetILNS1_3genE2ELNS1_11target_archE906ELNS1_3gpuE6ELNS1_3repE0EEENS1_30default_config_static_selectorELNS0_4arch9wavefront6targetE1EEEvT1_.private_seg_size, 0
	.set _ZN7rocprim17ROCPRIM_400000_NS6detail17trampoline_kernelINS0_14default_configENS1_20scan_config_selectorIdEEZZNS1_9scan_implILNS1_25lookback_scan_determinismE0ELb0ELb0ES3_PKdPddZZZN2at6native31launch_logcumsumexp_cuda_kernelERKNSB_10TensorBaseESF_lENKUlvE_clEvENKUlvE_clEvEUlddE_dEEDaPvRmT3_T4_T5_mT6_P12ihipStream_tbENKUlT_T0_E_clISt17integral_constantIbLb0EESV_IbLb1EEEEDaSR_SS_EUlSR_E_NS1_11comp_targetILNS1_3genE2ELNS1_11target_archE906ELNS1_3gpuE6ELNS1_3repE0EEENS1_30default_config_static_selectorELNS0_4arch9wavefront6targetE1EEEvT1_.uses_vcc, 0
	.set _ZN7rocprim17ROCPRIM_400000_NS6detail17trampoline_kernelINS0_14default_configENS1_20scan_config_selectorIdEEZZNS1_9scan_implILNS1_25lookback_scan_determinismE0ELb0ELb0ES3_PKdPddZZZN2at6native31launch_logcumsumexp_cuda_kernelERKNSB_10TensorBaseESF_lENKUlvE_clEvENKUlvE_clEvEUlddE_dEEDaPvRmT3_T4_T5_mT6_P12ihipStream_tbENKUlT_T0_E_clISt17integral_constantIbLb0EESV_IbLb1EEEEDaSR_SS_EUlSR_E_NS1_11comp_targetILNS1_3genE2ELNS1_11target_archE906ELNS1_3gpuE6ELNS1_3repE0EEENS1_30default_config_static_selectorELNS0_4arch9wavefront6targetE1EEEvT1_.uses_flat_scratch, 0
	.set _ZN7rocprim17ROCPRIM_400000_NS6detail17trampoline_kernelINS0_14default_configENS1_20scan_config_selectorIdEEZZNS1_9scan_implILNS1_25lookback_scan_determinismE0ELb0ELb0ES3_PKdPddZZZN2at6native31launch_logcumsumexp_cuda_kernelERKNSB_10TensorBaseESF_lENKUlvE_clEvENKUlvE_clEvEUlddE_dEEDaPvRmT3_T4_T5_mT6_P12ihipStream_tbENKUlT_T0_E_clISt17integral_constantIbLb0EESV_IbLb1EEEEDaSR_SS_EUlSR_E_NS1_11comp_targetILNS1_3genE2ELNS1_11target_archE906ELNS1_3gpuE6ELNS1_3repE0EEENS1_30default_config_static_selectorELNS0_4arch9wavefront6targetE1EEEvT1_.has_dyn_sized_stack, 0
	.set _ZN7rocprim17ROCPRIM_400000_NS6detail17trampoline_kernelINS0_14default_configENS1_20scan_config_selectorIdEEZZNS1_9scan_implILNS1_25lookback_scan_determinismE0ELb0ELb0ES3_PKdPddZZZN2at6native31launch_logcumsumexp_cuda_kernelERKNSB_10TensorBaseESF_lENKUlvE_clEvENKUlvE_clEvEUlddE_dEEDaPvRmT3_T4_T5_mT6_P12ihipStream_tbENKUlT_T0_E_clISt17integral_constantIbLb0EESV_IbLb1EEEEDaSR_SS_EUlSR_E_NS1_11comp_targetILNS1_3genE2ELNS1_11target_archE906ELNS1_3gpuE6ELNS1_3repE0EEENS1_30default_config_static_selectorELNS0_4arch9wavefront6targetE1EEEvT1_.has_recursion, 0
	.set _ZN7rocprim17ROCPRIM_400000_NS6detail17trampoline_kernelINS0_14default_configENS1_20scan_config_selectorIdEEZZNS1_9scan_implILNS1_25lookback_scan_determinismE0ELb0ELb0ES3_PKdPddZZZN2at6native31launch_logcumsumexp_cuda_kernelERKNSB_10TensorBaseESF_lENKUlvE_clEvENKUlvE_clEvEUlddE_dEEDaPvRmT3_T4_T5_mT6_P12ihipStream_tbENKUlT_T0_E_clISt17integral_constantIbLb0EESV_IbLb1EEEEDaSR_SS_EUlSR_E_NS1_11comp_targetILNS1_3genE2ELNS1_11target_archE906ELNS1_3gpuE6ELNS1_3repE0EEENS1_30default_config_static_selectorELNS0_4arch9wavefront6targetE1EEEvT1_.has_indirect_call, 0
	.section	.AMDGPU.csdata,"",@progbits
; Kernel info:
; codeLenInByte = 0
; TotalNumSgprs: 6
; NumVgprs: 0
; NumAgprs: 0
; TotalNumVgprs: 0
; ScratchSize: 0
; MemoryBound: 0
; FloatMode: 240
; IeeeMode: 1
; LDSByteSize: 0 bytes/workgroup (compile time only)
; SGPRBlocks: 0
; VGPRBlocks: 0
; NumSGPRsForWavesPerEU: 6
; NumVGPRsForWavesPerEU: 1
; AccumOffset: 4
; Occupancy: 8
; WaveLimiterHint : 0
; COMPUTE_PGM_RSRC2:SCRATCH_EN: 0
; COMPUTE_PGM_RSRC2:USER_SGPR: 2
; COMPUTE_PGM_RSRC2:TRAP_HANDLER: 0
; COMPUTE_PGM_RSRC2:TGID_X_EN: 1
; COMPUTE_PGM_RSRC2:TGID_Y_EN: 0
; COMPUTE_PGM_RSRC2:TGID_Z_EN: 0
; COMPUTE_PGM_RSRC2:TIDIG_COMP_CNT: 0
; COMPUTE_PGM_RSRC3_GFX90A:ACCUM_OFFSET: 0
; COMPUTE_PGM_RSRC3_GFX90A:TG_SPLIT: 0
	.section	.text._ZN7rocprim17ROCPRIM_400000_NS6detail17trampoline_kernelINS0_14default_configENS1_20scan_config_selectorIdEEZZNS1_9scan_implILNS1_25lookback_scan_determinismE0ELb0ELb0ES3_PKdPddZZZN2at6native31launch_logcumsumexp_cuda_kernelERKNSB_10TensorBaseESF_lENKUlvE_clEvENKUlvE_clEvEUlddE_dEEDaPvRmT3_T4_T5_mT6_P12ihipStream_tbENKUlT_T0_E_clISt17integral_constantIbLb0EESV_IbLb1EEEEDaSR_SS_EUlSR_E_NS1_11comp_targetILNS1_3genE10ELNS1_11target_archE1201ELNS1_3gpuE5ELNS1_3repE0EEENS1_30default_config_static_selectorELNS0_4arch9wavefront6targetE1EEEvT1_,"axG",@progbits,_ZN7rocprim17ROCPRIM_400000_NS6detail17trampoline_kernelINS0_14default_configENS1_20scan_config_selectorIdEEZZNS1_9scan_implILNS1_25lookback_scan_determinismE0ELb0ELb0ES3_PKdPddZZZN2at6native31launch_logcumsumexp_cuda_kernelERKNSB_10TensorBaseESF_lENKUlvE_clEvENKUlvE_clEvEUlddE_dEEDaPvRmT3_T4_T5_mT6_P12ihipStream_tbENKUlT_T0_E_clISt17integral_constantIbLb0EESV_IbLb1EEEEDaSR_SS_EUlSR_E_NS1_11comp_targetILNS1_3genE10ELNS1_11target_archE1201ELNS1_3gpuE5ELNS1_3repE0EEENS1_30default_config_static_selectorELNS0_4arch9wavefront6targetE1EEEvT1_,comdat
	.globl	_ZN7rocprim17ROCPRIM_400000_NS6detail17trampoline_kernelINS0_14default_configENS1_20scan_config_selectorIdEEZZNS1_9scan_implILNS1_25lookback_scan_determinismE0ELb0ELb0ES3_PKdPddZZZN2at6native31launch_logcumsumexp_cuda_kernelERKNSB_10TensorBaseESF_lENKUlvE_clEvENKUlvE_clEvEUlddE_dEEDaPvRmT3_T4_T5_mT6_P12ihipStream_tbENKUlT_T0_E_clISt17integral_constantIbLb0EESV_IbLb1EEEEDaSR_SS_EUlSR_E_NS1_11comp_targetILNS1_3genE10ELNS1_11target_archE1201ELNS1_3gpuE5ELNS1_3repE0EEENS1_30default_config_static_selectorELNS0_4arch9wavefront6targetE1EEEvT1_ ; -- Begin function _ZN7rocprim17ROCPRIM_400000_NS6detail17trampoline_kernelINS0_14default_configENS1_20scan_config_selectorIdEEZZNS1_9scan_implILNS1_25lookback_scan_determinismE0ELb0ELb0ES3_PKdPddZZZN2at6native31launch_logcumsumexp_cuda_kernelERKNSB_10TensorBaseESF_lENKUlvE_clEvENKUlvE_clEvEUlddE_dEEDaPvRmT3_T4_T5_mT6_P12ihipStream_tbENKUlT_T0_E_clISt17integral_constantIbLb0EESV_IbLb1EEEEDaSR_SS_EUlSR_E_NS1_11comp_targetILNS1_3genE10ELNS1_11target_archE1201ELNS1_3gpuE5ELNS1_3repE0EEENS1_30default_config_static_selectorELNS0_4arch9wavefront6targetE1EEEvT1_
	.p2align	8
	.type	_ZN7rocprim17ROCPRIM_400000_NS6detail17trampoline_kernelINS0_14default_configENS1_20scan_config_selectorIdEEZZNS1_9scan_implILNS1_25lookback_scan_determinismE0ELb0ELb0ES3_PKdPddZZZN2at6native31launch_logcumsumexp_cuda_kernelERKNSB_10TensorBaseESF_lENKUlvE_clEvENKUlvE_clEvEUlddE_dEEDaPvRmT3_T4_T5_mT6_P12ihipStream_tbENKUlT_T0_E_clISt17integral_constantIbLb0EESV_IbLb1EEEEDaSR_SS_EUlSR_E_NS1_11comp_targetILNS1_3genE10ELNS1_11target_archE1201ELNS1_3gpuE5ELNS1_3repE0EEENS1_30default_config_static_selectorELNS0_4arch9wavefront6targetE1EEEvT1_,@function
_ZN7rocprim17ROCPRIM_400000_NS6detail17trampoline_kernelINS0_14default_configENS1_20scan_config_selectorIdEEZZNS1_9scan_implILNS1_25lookback_scan_determinismE0ELb0ELb0ES3_PKdPddZZZN2at6native31launch_logcumsumexp_cuda_kernelERKNSB_10TensorBaseESF_lENKUlvE_clEvENKUlvE_clEvEUlddE_dEEDaPvRmT3_T4_T5_mT6_P12ihipStream_tbENKUlT_T0_E_clISt17integral_constantIbLb0EESV_IbLb1EEEEDaSR_SS_EUlSR_E_NS1_11comp_targetILNS1_3genE10ELNS1_11target_archE1201ELNS1_3gpuE5ELNS1_3repE0EEENS1_30default_config_static_selectorELNS0_4arch9wavefront6targetE1EEEvT1_: ; @_ZN7rocprim17ROCPRIM_400000_NS6detail17trampoline_kernelINS0_14default_configENS1_20scan_config_selectorIdEEZZNS1_9scan_implILNS1_25lookback_scan_determinismE0ELb0ELb0ES3_PKdPddZZZN2at6native31launch_logcumsumexp_cuda_kernelERKNSB_10TensorBaseESF_lENKUlvE_clEvENKUlvE_clEvEUlddE_dEEDaPvRmT3_T4_T5_mT6_P12ihipStream_tbENKUlT_T0_E_clISt17integral_constantIbLb0EESV_IbLb1EEEEDaSR_SS_EUlSR_E_NS1_11comp_targetILNS1_3genE10ELNS1_11target_archE1201ELNS1_3gpuE5ELNS1_3repE0EEENS1_30default_config_static_selectorELNS0_4arch9wavefront6targetE1EEEvT1_
; %bb.0:
	.section	.rodata,"a",@progbits
	.p2align	6, 0x0
	.amdhsa_kernel _ZN7rocprim17ROCPRIM_400000_NS6detail17trampoline_kernelINS0_14default_configENS1_20scan_config_selectorIdEEZZNS1_9scan_implILNS1_25lookback_scan_determinismE0ELb0ELb0ES3_PKdPddZZZN2at6native31launch_logcumsumexp_cuda_kernelERKNSB_10TensorBaseESF_lENKUlvE_clEvENKUlvE_clEvEUlddE_dEEDaPvRmT3_T4_T5_mT6_P12ihipStream_tbENKUlT_T0_E_clISt17integral_constantIbLb0EESV_IbLb1EEEEDaSR_SS_EUlSR_E_NS1_11comp_targetILNS1_3genE10ELNS1_11target_archE1201ELNS1_3gpuE5ELNS1_3repE0EEENS1_30default_config_static_selectorELNS0_4arch9wavefront6targetE1EEEvT1_
		.amdhsa_group_segment_fixed_size 0
		.amdhsa_private_segment_fixed_size 0
		.amdhsa_kernarg_size 104
		.amdhsa_user_sgpr_count 2
		.amdhsa_user_sgpr_dispatch_ptr 0
		.amdhsa_user_sgpr_queue_ptr 0
		.amdhsa_user_sgpr_kernarg_segment_ptr 1
		.amdhsa_user_sgpr_dispatch_id 0
		.amdhsa_user_sgpr_kernarg_preload_length 0
		.amdhsa_user_sgpr_kernarg_preload_offset 0
		.amdhsa_user_sgpr_private_segment_size 0
		.amdhsa_uses_dynamic_stack 0
		.amdhsa_enable_private_segment 0
		.amdhsa_system_sgpr_workgroup_id_x 1
		.amdhsa_system_sgpr_workgroup_id_y 0
		.amdhsa_system_sgpr_workgroup_id_z 0
		.amdhsa_system_sgpr_workgroup_info 0
		.amdhsa_system_vgpr_workitem_id 0
		.amdhsa_next_free_vgpr 1
		.amdhsa_next_free_sgpr 0
		.amdhsa_accum_offset 4
		.amdhsa_reserve_vcc 0
		.amdhsa_float_round_mode_32 0
		.amdhsa_float_round_mode_16_64 0
		.amdhsa_float_denorm_mode_32 3
		.amdhsa_float_denorm_mode_16_64 3
		.amdhsa_dx10_clamp 1
		.amdhsa_ieee_mode 1
		.amdhsa_fp16_overflow 0
		.amdhsa_tg_split 0
		.amdhsa_exception_fp_ieee_invalid_op 0
		.amdhsa_exception_fp_denorm_src 0
		.amdhsa_exception_fp_ieee_div_zero 0
		.amdhsa_exception_fp_ieee_overflow 0
		.amdhsa_exception_fp_ieee_underflow 0
		.amdhsa_exception_fp_ieee_inexact 0
		.amdhsa_exception_int_div_zero 0
	.end_amdhsa_kernel
	.section	.text._ZN7rocprim17ROCPRIM_400000_NS6detail17trampoline_kernelINS0_14default_configENS1_20scan_config_selectorIdEEZZNS1_9scan_implILNS1_25lookback_scan_determinismE0ELb0ELb0ES3_PKdPddZZZN2at6native31launch_logcumsumexp_cuda_kernelERKNSB_10TensorBaseESF_lENKUlvE_clEvENKUlvE_clEvEUlddE_dEEDaPvRmT3_T4_T5_mT6_P12ihipStream_tbENKUlT_T0_E_clISt17integral_constantIbLb0EESV_IbLb1EEEEDaSR_SS_EUlSR_E_NS1_11comp_targetILNS1_3genE10ELNS1_11target_archE1201ELNS1_3gpuE5ELNS1_3repE0EEENS1_30default_config_static_selectorELNS0_4arch9wavefront6targetE1EEEvT1_,"axG",@progbits,_ZN7rocprim17ROCPRIM_400000_NS6detail17trampoline_kernelINS0_14default_configENS1_20scan_config_selectorIdEEZZNS1_9scan_implILNS1_25lookback_scan_determinismE0ELb0ELb0ES3_PKdPddZZZN2at6native31launch_logcumsumexp_cuda_kernelERKNSB_10TensorBaseESF_lENKUlvE_clEvENKUlvE_clEvEUlddE_dEEDaPvRmT3_T4_T5_mT6_P12ihipStream_tbENKUlT_T0_E_clISt17integral_constantIbLb0EESV_IbLb1EEEEDaSR_SS_EUlSR_E_NS1_11comp_targetILNS1_3genE10ELNS1_11target_archE1201ELNS1_3gpuE5ELNS1_3repE0EEENS1_30default_config_static_selectorELNS0_4arch9wavefront6targetE1EEEvT1_,comdat
.Lfunc_end71:
	.size	_ZN7rocprim17ROCPRIM_400000_NS6detail17trampoline_kernelINS0_14default_configENS1_20scan_config_selectorIdEEZZNS1_9scan_implILNS1_25lookback_scan_determinismE0ELb0ELb0ES3_PKdPddZZZN2at6native31launch_logcumsumexp_cuda_kernelERKNSB_10TensorBaseESF_lENKUlvE_clEvENKUlvE_clEvEUlddE_dEEDaPvRmT3_T4_T5_mT6_P12ihipStream_tbENKUlT_T0_E_clISt17integral_constantIbLb0EESV_IbLb1EEEEDaSR_SS_EUlSR_E_NS1_11comp_targetILNS1_3genE10ELNS1_11target_archE1201ELNS1_3gpuE5ELNS1_3repE0EEENS1_30default_config_static_selectorELNS0_4arch9wavefront6targetE1EEEvT1_, .Lfunc_end71-_ZN7rocprim17ROCPRIM_400000_NS6detail17trampoline_kernelINS0_14default_configENS1_20scan_config_selectorIdEEZZNS1_9scan_implILNS1_25lookback_scan_determinismE0ELb0ELb0ES3_PKdPddZZZN2at6native31launch_logcumsumexp_cuda_kernelERKNSB_10TensorBaseESF_lENKUlvE_clEvENKUlvE_clEvEUlddE_dEEDaPvRmT3_T4_T5_mT6_P12ihipStream_tbENKUlT_T0_E_clISt17integral_constantIbLb0EESV_IbLb1EEEEDaSR_SS_EUlSR_E_NS1_11comp_targetILNS1_3genE10ELNS1_11target_archE1201ELNS1_3gpuE5ELNS1_3repE0EEENS1_30default_config_static_selectorELNS0_4arch9wavefront6targetE1EEEvT1_
                                        ; -- End function
	.set _ZN7rocprim17ROCPRIM_400000_NS6detail17trampoline_kernelINS0_14default_configENS1_20scan_config_selectorIdEEZZNS1_9scan_implILNS1_25lookback_scan_determinismE0ELb0ELb0ES3_PKdPddZZZN2at6native31launch_logcumsumexp_cuda_kernelERKNSB_10TensorBaseESF_lENKUlvE_clEvENKUlvE_clEvEUlddE_dEEDaPvRmT3_T4_T5_mT6_P12ihipStream_tbENKUlT_T0_E_clISt17integral_constantIbLb0EESV_IbLb1EEEEDaSR_SS_EUlSR_E_NS1_11comp_targetILNS1_3genE10ELNS1_11target_archE1201ELNS1_3gpuE5ELNS1_3repE0EEENS1_30default_config_static_selectorELNS0_4arch9wavefront6targetE1EEEvT1_.num_vgpr, 0
	.set _ZN7rocprim17ROCPRIM_400000_NS6detail17trampoline_kernelINS0_14default_configENS1_20scan_config_selectorIdEEZZNS1_9scan_implILNS1_25lookback_scan_determinismE0ELb0ELb0ES3_PKdPddZZZN2at6native31launch_logcumsumexp_cuda_kernelERKNSB_10TensorBaseESF_lENKUlvE_clEvENKUlvE_clEvEUlddE_dEEDaPvRmT3_T4_T5_mT6_P12ihipStream_tbENKUlT_T0_E_clISt17integral_constantIbLb0EESV_IbLb1EEEEDaSR_SS_EUlSR_E_NS1_11comp_targetILNS1_3genE10ELNS1_11target_archE1201ELNS1_3gpuE5ELNS1_3repE0EEENS1_30default_config_static_selectorELNS0_4arch9wavefront6targetE1EEEvT1_.num_agpr, 0
	.set _ZN7rocprim17ROCPRIM_400000_NS6detail17trampoline_kernelINS0_14default_configENS1_20scan_config_selectorIdEEZZNS1_9scan_implILNS1_25lookback_scan_determinismE0ELb0ELb0ES3_PKdPddZZZN2at6native31launch_logcumsumexp_cuda_kernelERKNSB_10TensorBaseESF_lENKUlvE_clEvENKUlvE_clEvEUlddE_dEEDaPvRmT3_T4_T5_mT6_P12ihipStream_tbENKUlT_T0_E_clISt17integral_constantIbLb0EESV_IbLb1EEEEDaSR_SS_EUlSR_E_NS1_11comp_targetILNS1_3genE10ELNS1_11target_archE1201ELNS1_3gpuE5ELNS1_3repE0EEENS1_30default_config_static_selectorELNS0_4arch9wavefront6targetE1EEEvT1_.numbered_sgpr, 0
	.set _ZN7rocprim17ROCPRIM_400000_NS6detail17trampoline_kernelINS0_14default_configENS1_20scan_config_selectorIdEEZZNS1_9scan_implILNS1_25lookback_scan_determinismE0ELb0ELb0ES3_PKdPddZZZN2at6native31launch_logcumsumexp_cuda_kernelERKNSB_10TensorBaseESF_lENKUlvE_clEvENKUlvE_clEvEUlddE_dEEDaPvRmT3_T4_T5_mT6_P12ihipStream_tbENKUlT_T0_E_clISt17integral_constantIbLb0EESV_IbLb1EEEEDaSR_SS_EUlSR_E_NS1_11comp_targetILNS1_3genE10ELNS1_11target_archE1201ELNS1_3gpuE5ELNS1_3repE0EEENS1_30default_config_static_selectorELNS0_4arch9wavefront6targetE1EEEvT1_.num_named_barrier, 0
	.set _ZN7rocprim17ROCPRIM_400000_NS6detail17trampoline_kernelINS0_14default_configENS1_20scan_config_selectorIdEEZZNS1_9scan_implILNS1_25lookback_scan_determinismE0ELb0ELb0ES3_PKdPddZZZN2at6native31launch_logcumsumexp_cuda_kernelERKNSB_10TensorBaseESF_lENKUlvE_clEvENKUlvE_clEvEUlddE_dEEDaPvRmT3_T4_T5_mT6_P12ihipStream_tbENKUlT_T0_E_clISt17integral_constantIbLb0EESV_IbLb1EEEEDaSR_SS_EUlSR_E_NS1_11comp_targetILNS1_3genE10ELNS1_11target_archE1201ELNS1_3gpuE5ELNS1_3repE0EEENS1_30default_config_static_selectorELNS0_4arch9wavefront6targetE1EEEvT1_.private_seg_size, 0
	.set _ZN7rocprim17ROCPRIM_400000_NS6detail17trampoline_kernelINS0_14default_configENS1_20scan_config_selectorIdEEZZNS1_9scan_implILNS1_25lookback_scan_determinismE0ELb0ELb0ES3_PKdPddZZZN2at6native31launch_logcumsumexp_cuda_kernelERKNSB_10TensorBaseESF_lENKUlvE_clEvENKUlvE_clEvEUlddE_dEEDaPvRmT3_T4_T5_mT6_P12ihipStream_tbENKUlT_T0_E_clISt17integral_constantIbLb0EESV_IbLb1EEEEDaSR_SS_EUlSR_E_NS1_11comp_targetILNS1_3genE10ELNS1_11target_archE1201ELNS1_3gpuE5ELNS1_3repE0EEENS1_30default_config_static_selectorELNS0_4arch9wavefront6targetE1EEEvT1_.uses_vcc, 0
	.set _ZN7rocprim17ROCPRIM_400000_NS6detail17trampoline_kernelINS0_14default_configENS1_20scan_config_selectorIdEEZZNS1_9scan_implILNS1_25lookback_scan_determinismE0ELb0ELb0ES3_PKdPddZZZN2at6native31launch_logcumsumexp_cuda_kernelERKNSB_10TensorBaseESF_lENKUlvE_clEvENKUlvE_clEvEUlddE_dEEDaPvRmT3_T4_T5_mT6_P12ihipStream_tbENKUlT_T0_E_clISt17integral_constantIbLb0EESV_IbLb1EEEEDaSR_SS_EUlSR_E_NS1_11comp_targetILNS1_3genE10ELNS1_11target_archE1201ELNS1_3gpuE5ELNS1_3repE0EEENS1_30default_config_static_selectorELNS0_4arch9wavefront6targetE1EEEvT1_.uses_flat_scratch, 0
	.set _ZN7rocprim17ROCPRIM_400000_NS6detail17trampoline_kernelINS0_14default_configENS1_20scan_config_selectorIdEEZZNS1_9scan_implILNS1_25lookback_scan_determinismE0ELb0ELb0ES3_PKdPddZZZN2at6native31launch_logcumsumexp_cuda_kernelERKNSB_10TensorBaseESF_lENKUlvE_clEvENKUlvE_clEvEUlddE_dEEDaPvRmT3_T4_T5_mT6_P12ihipStream_tbENKUlT_T0_E_clISt17integral_constantIbLb0EESV_IbLb1EEEEDaSR_SS_EUlSR_E_NS1_11comp_targetILNS1_3genE10ELNS1_11target_archE1201ELNS1_3gpuE5ELNS1_3repE0EEENS1_30default_config_static_selectorELNS0_4arch9wavefront6targetE1EEEvT1_.has_dyn_sized_stack, 0
	.set _ZN7rocprim17ROCPRIM_400000_NS6detail17trampoline_kernelINS0_14default_configENS1_20scan_config_selectorIdEEZZNS1_9scan_implILNS1_25lookback_scan_determinismE0ELb0ELb0ES3_PKdPddZZZN2at6native31launch_logcumsumexp_cuda_kernelERKNSB_10TensorBaseESF_lENKUlvE_clEvENKUlvE_clEvEUlddE_dEEDaPvRmT3_T4_T5_mT6_P12ihipStream_tbENKUlT_T0_E_clISt17integral_constantIbLb0EESV_IbLb1EEEEDaSR_SS_EUlSR_E_NS1_11comp_targetILNS1_3genE10ELNS1_11target_archE1201ELNS1_3gpuE5ELNS1_3repE0EEENS1_30default_config_static_selectorELNS0_4arch9wavefront6targetE1EEEvT1_.has_recursion, 0
	.set _ZN7rocprim17ROCPRIM_400000_NS6detail17trampoline_kernelINS0_14default_configENS1_20scan_config_selectorIdEEZZNS1_9scan_implILNS1_25lookback_scan_determinismE0ELb0ELb0ES3_PKdPddZZZN2at6native31launch_logcumsumexp_cuda_kernelERKNSB_10TensorBaseESF_lENKUlvE_clEvENKUlvE_clEvEUlddE_dEEDaPvRmT3_T4_T5_mT6_P12ihipStream_tbENKUlT_T0_E_clISt17integral_constantIbLb0EESV_IbLb1EEEEDaSR_SS_EUlSR_E_NS1_11comp_targetILNS1_3genE10ELNS1_11target_archE1201ELNS1_3gpuE5ELNS1_3repE0EEENS1_30default_config_static_selectorELNS0_4arch9wavefront6targetE1EEEvT1_.has_indirect_call, 0
	.section	.AMDGPU.csdata,"",@progbits
; Kernel info:
; codeLenInByte = 0
; TotalNumSgprs: 6
; NumVgprs: 0
; NumAgprs: 0
; TotalNumVgprs: 0
; ScratchSize: 0
; MemoryBound: 0
; FloatMode: 240
; IeeeMode: 1
; LDSByteSize: 0 bytes/workgroup (compile time only)
; SGPRBlocks: 0
; VGPRBlocks: 0
; NumSGPRsForWavesPerEU: 6
; NumVGPRsForWavesPerEU: 1
; AccumOffset: 4
; Occupancy: 8
; WaveLimiterHint : 0
; COMPUTE_PGM_RSRC2:SCRATCH_EN: 0
; COMPUTE_PGM_RSRC2:USER_SGPR: 2
; COMPUTE_PGM_RSRC2:TRAP_HANDLER: 0
; COMPUTE_PGM_RSRC2:TGID_X_EN: 1
; COMPUTE_PGM_RSRC2:TGID_Y_EN: 0
; COMPUTE_PGM_RSRC2:TGID_Z_EN: 0
; COMPUTE_PGM_RSRC2:TIDIG_COMP_CNT: 0
; COMPUTE_PGM_RSRC3_GFX90A:ACCUM_OFFSET: 0
; COMPUTE_PGM_RSRC3_GFX90A:TG_SPLIT: 0
	.section	.text._ZN7rocprim17ROCPRIM_400000_NS6detail17trampoline_kernelINS0_14default_configENS1_20scan_config_selectorIdEEZZNS1_9scan_implILNS1_25lookback_scan_determinismE0ELb0ELb0ES3_PKdPddZZZN2at6native31launch_logcumsumexp_cuda_kernelERKNSB_10TensorBaseESF_lENKUlvE_clEvENKUlvE_clEvEUlddE_dEEDaPvRmT3_T4_T5_mT6_P12ihipStream_tbENKUlT_T0_E_clISt17integral_constantIbLb0EESV_IbLb1EEEEDaSR_SS_EUlSR_E_NS1_11comp_targetILNS1_3genE10ELNS1_11target_archE1200ELNS1_3gpuE4ELNS1_3repE0EEENS1_30default_config_static_selectorELNS0_4arch9wavefront6targetE1EEEvT1_,"axG",@progbits,_ZN7rocprim17ROCPRIM_400000_NS6detail17trampoline_kernelINS0_14default_configENS1_20scan_config_selectorIdEEZZNS1_9scan_implILNS1_25lookback_scan_determinismE0ELb0ELb0ES3_PKdPddZZZN2at6native31launch_logcumsumexp_cuda_kernelERKNSB_10TensorBaseESF_lENKUlvE_clEvENKUlvE_clEvEUlddE_dEEDaPvRmT3_T4_T5_mT6_P12ihipStream_tbENKUlT_T0_E_clISt17integral_constantIbLb0EESV_IbLb1EEEEDaSR_SS_EUlSR_E_NS1_11comp_targetILNS1_3genE10ELNS1_11target_archE1200ELNS1_3gpuE4ELNS1_3repE0EEENS1_30default_config_static_selectorELNS0_4arch9wavefront6targetE1EEEvT1_,comdat
	.globl	_ZN7rocprim17ROCPRIM_400000_NS6detail17trampoline_kernelINS0_14default_configENS1_20scan_config_selectorIdEEZZNS1_9scan_implILNS1_25lookback_scan_determinismE0ELb0ELb0ES3_PKdPddZZZN2at6native31launch_logcumsumexp_cuda_kernelERKNSB_10TensorBaseESF_lENKUlvE_clEvENKUlvE_clEvEUlddE_dEEDaPvRmT3_T4_T5_mT6_P12ihipStream_tbENKUlT_T0_E_clISt17integral_constantIbLb0EESV_IbLb1EEEEDaSR_SS_EUlSR_E_NS1_11comp_targetILNS1_3genE10ELNS1_11target_archE1200ELNS1_3gpuE4ELNS1_3repE0EEENS1_30default_config_static_selectorELNS0_4arch9wavefront6targetE1EEEvT1_ ; -- Begin function _ZN7rocprim17ROCPRIM_400000_NS6detail17trampoline_kernelINS0_14default_configENS1_20scan_config_selectorIdEEZZNS1_9scan_implILNS1_25lookback_scan_determinismE0ELb0ELb0ES3_PKdPddZZZN2at6native31launch_logcumsumexp_cuda_kernelERKNSB_10TensorBaseESF_lENKUlvE_clEvENKUlvE_clEvEUlddE_dEEDaPvRmT3_T4_T5_mT6_P12ihipStream_tbENKUlT_T0_E_clISt17integral_constantIbLb0EESV_IbLb1EEEEDaSR_SS_EUlSR_E_NS1_11comp_targetILNS1_3genE10ELNS1_11target_archE1200ELNS1_3gpuE4ELNS1_3repE0EEENS1_30default_config_static_selectorELNS0_4arch9wavefront6targetE1EEEvT1_
	.p2align	8
	.type	_ZN7rocprim17ROCPRIM_400000_NS6detail17trampoline_kernelINS0_14default_configENS1_20scan_config_selectorIdEEZZNS1_9scan_implILNS1_25lookback_scan_determinismE0ELb0ELb0ES3_PKdPddZZZN2at6native31launch_logcumsumexp_cuda_kernelERKNSB_10TensorBaseESF_lENKUlvE_clEvENKUlvE_clEvEUlddE_dEEDaPvRmT3_T4_T5_mT6_P12ihipStream_tbENKUlT_T0_E_clISt17integral_constantIbLb0EESV_IbLb1EEEEDaSR_SS_EUlSR_E_NS1_11comp_targetILNS1_3genE10ELNS1_11target_archE1200ELNS1_3gpuE4ELNS1_3repE0EEENS1_30default_config_static_selectorELNS0_4arch9wavefront6targetE1EEEvT1_,@function
_ZN7rocprim17ROCPRIM_400000_NS6detail17trampoline_kernelINS0_14default_configENS1_20scan_config_selectorIdEEZZNS1_9scan_implILNS1_25lookback_scan_determinismE0ELb0ELb0ES3_PKdPddZZZN2at6native31launch_logcumsumexp_cuda_kernelERKNSB_10TensorBaseESF_lENKUlvE_clEvENKUlvE_clEvEUlddE_dEEDaPvRmT3_T4_T5_mT6_P12ihipStream_tbENKUlT_T0_E_clISt17integral_constantIbLb0EESV_IbLb1EEEEDaSR_SS_EUlSR_E_NS1_11comp_targetILNS1_3genE10ELNS1_11target_archE1200ELNS1_3gpuE4ELNS1_3repE0EEENS1_30default_config_static_selectorELNS0_4arch9wavefront6targetE1EEEvT1_: ; @_ZN7rocprim17ROCPRIM_400000_NS6detail17trampoline_kernelINS0_14default_configENS1_20scan_config_selectorIdEEZZNS1_9scan_implILNS1_25lookback_scan_determinismE0ELb0ELb0ES3_PKdPddZZZN2at6native31launch_logcumsumexp_cuda_kernelERKNSB_10TensorBaseESF_lENKUlvE_clEvENKUlvE_clEvEUlddE_dEEDaPvRmT3_T4_T5_mT6_P12ihipStream_tbENKUlT_T0_E_clISt17integral_constantIbLb0EESV_IbLb1EEEEDaSR_SS_EUlSR_E_NS1_11comp_targetILNS1_3genE10ELNS1_11target_archE1200ELNS1_3gpuE4ELNS1_3repE0EEENS1_30default_config_static_selectorELNS0_4arch9wavefront6targetE1EEEvT1_
; %bb.0:
	.section	.rodata,"a",@progbits
	.p2align	6, 0x0
	.amdhsa_kernel _ZN7rocprim17ROCPRIM_400000_NS6detail17trampoline_kernelINS0_14default_configENS1_20scan_config_selectorIdEEZZNS1_9scan_implILNS1_25lookback_scan_determinismE0ELb0ELb0ES3_PKdPddZZZN2at6native31launch_logcumsumexp_cuda_kernelERKNSB_10TensorBaseESF_lENKUlvE_clEvENKUlvE_clEvEUlddE_dEEDaPvRmT3_T4_T5_mT6_P12ihipStream_tbENKUlT_T0_E_clISt17integral_constantIbLb0EESV_IbLb1EEEEDaSR_SS_EUlSR_E_NS1_11comp_targetILNS1_3genE10ELNS1_11target_archE1200ELNS1_3gpuE4ELNS1_3repE0EEENS1_30default_config_static_selectorELNS0_4arch9wavefront6targetE1EEEvT1_
		.amdhsa_group_segment_fixed_size 0
		.amdhsa_private_segment_fixed_size 0
		.amdhsa_kernarg_size 104
		.amdhsa_user_sgpr_count 2
		.amdhsa_user_sgpr_dispatch_ptr 0
		.amdhsa_user_sgpr_queue_ptr 0
		.amdhsa_user_sgpr_kernarg_segment_ptr 1
		.amdhsa_user_sgpr_dispatch_id 0
		.amdhsa_user_sgpr_kernarg_preload_length 0
		.amdhsa_user_sgpr_kernarg_preload_offset 0
		.amdhsa_user_sgpr_private_segment_size 0
		.amdhsa_uses_dynamic_stack 0
		.amdhsa_enable_private_segment 0
		.amdhsa_system_sgpr_workgroup_id_x 1
		.amdhsa_system_sgpr_workgroup_id_y 0
		.amdhsa_system_sgpr_workgroup_id_z 0
		.amdhsa_system_sgpr_workgroup_info 0
		.amdhsa_system_vgpr_workitem_id 0
		.amdhsa_next_free_vgpr 1
		.amdhsa_next_free_sgpr 0
		.amdhsa_accum_offset 4
		.amdhsa_reserve_vcc 0
		.amdhsa_float_round_mode_32 0
		.amdhsa_float_round_mode_16_64 0
		.amdhsa_float_denorm_mode_32 3
		.amdhsa_float_denorm_mode_16_64 3
		.amdhsa_dx10_clamp 1
		.amdhsa_ieee_mode 1
		.amdhsa_fp16_overflow 0
		.amdhsa_tg_split 0
		.amdhsa_exception_fp_ieee_invalid_op 0
		.amdhsa_exception_fp_denorm_src 0
		.amdhsa_exception_fp_ieee_div_zero 0
		.amdhsa_exception_fp_ieee_overflow 0
		.amdhsa_exception_fp_ieee_underflow 0
		.amdhsa_exception_fp_ieee_inexact 0
		.amdhsa_exception_int_div_zero 0
	.end_amdhsa_kernel
	.section	.text._ZN7rocprim17ROCPRIM_400000_NS6detail17trampoline_kernelINS0_14default_configENS1_20scan_config_selectorIdEEZZNS1_9scan_implILNS1_25lookback_scan_determinismE0ELb0ELb0ES3_PKdPddZZZN2at6native31launch_logcumsumexp_cuda_kernelERKNSB_10TensorBaseESF_lENKUlvE_clEvENKUlvE_clEvEUlddE_dEEDaPvRmT3_T4_T5_mT6_P12ihipStream_tbENKUlT_T0_E_clISt17integral_constantIbLb0EESV_IbLb1EEEEDaSR_SS_EUlSR_E_NS1_11comp_targetILNS1_3genE10ELNS1_11target_archE1200ELNS1_3gpuE4ELNS1_3repE0EEENS1_30default_config_static_selectorELNS0_4arch9wavefront6targetE1EEEvT1_,"axG",@progbits,_ZN7rocprim17ROCPRIM_400000_NS6detail17trampoline_kernelINS0_14default_configENS1_20scan_config_selectorIdEEZZNS1_9scan_implILNS1_25lookback_scan_determinismE0ELb0ELb0ES3_PKdPddZZZN2at6native31launch_logcumsumexp_cuda_kernelERKNSB_10TensorBaseESF_lENKUlvE_clEvENKUlvE_clEvEUlddE_dEEDaPvRmT3_T4_T5_mT6_P12ihipStream_tbENKUlT_T0_E_clISt17integral_constantIbLb0EESV_IbLb1EEEEDaSR_SS_EUlSR_E_NS1_11comp_targetILNS1_3genE10ELNS1_11target_archE1200ELNS1_3gpuE4ELNS1_3repE0EEENS1_30default_config_static_selectorELNS0_4arch9wavefront6targetE1EEEvT1_,comdat
.Lfunc_end72:
	.size	_ZN7rocprim17ROCPRIM_400000_NS6detail17trampoline_kernelINS0_14default_configENS1_20scan_config_selectorIdEEZZNS1_9scan_implILNS1_25lookback_scan_determinismE0ELb0ELb0ES3_PKdPddZZZN2at6native31launch_logcumsumexp_cuda_kernelERKNSB_10TensorBaseESF_lENKUlvE_clEvENKUlvE_clEvEUlddE_dEEDaPvRmT3_T4_T5_mT6_P12ihipStream_tbENKUlT_T0_E_clISt17integral_constantIbLb0EESV_IbLb1EEEEDaSR_SS_EUlSR_E_NS1_11comp_targetILNS1_3genE10ELNS1_11target_archE1200ELNS1_3gpuE4ELNS1_3repE0EEENS1_30default_config_static_selectorELNS0_4arch9wavefront6targetE1EEEvT1_, .Lfunc_end72-_ZN7rocprim17ROCPRIM_400000_NS6detail17trampoline_kernelINS0_14default_configENS1_20scan_config_selectorIdEEZZNS1_9scan_implILNS1_25lookback_scan_determinismE0ELb0ELb0ES3_PKdPddZZZN2at6native31launch_logcumsumexp_cuda_kernelERKNSB_10TensorBaseESF_lENKUlvE_clEvENKUlvE_clEvEUlddE_dEEDaPvRmT3_T4_T5_mT6_P12ihipStream_tbENKUlT_T0_E_clISt17integral_constantIbLb0EESV_IbLb1EEEEDaSR_SS_EUlSR_E_NS1_11comp_targetILNS1_3genE10ELNS1_11target_archE1200ELNS1_3gpuE4ELNS1_3repE0EEENS1_30default_config_static_selectorELNS0_4arch9wavefront6targetE1EEEvT1_
                                        ; -- End function
	.set _ZN7rocprim17ROCPRIM_400000_NS6detail17trampoline_kernelINS0_14default_configENS1_20scan_config_selectorIdEEZZNS1_9scan_implILNS1_25lookback_scan_determinismE0ELb0ELb0ES3_PKdPddZZZN2at6native31launch_logcumsumexp_cuda_kernelERKNSB_10TensorBaseESF_lENKUlvE_clEvENKUlvE_clEvEUlddE_dEEDaPvRmT3_T4_T5_mT6_P12ihipStream_tbENKUlT_T0_E_clISt17integral_constantIbLb0EESV_IbLb1EEEEDaSR_SS_EUlSR_E_NS1_11comp_targetILNS1_3genE10ELNS1_11target_archE1200ELNS1_3gpuE4ELNS1_3repE0EEENS1_30default_config_static_selectorELNS0_4arch9wavefront6targetE1EEEvT1_.num_vgpr, 0
	.set _ZN7rocprim17ROCPRIM_400000_NS6detail17trampoline_kernelINS0_14default_configENS1_20scan_config_selectorIdEEZZNS1_9scan_implILNS1_25lookback_scan_determinismE0ELb0ELb0ES3_PKdPddZZZN2at6native31launch_logcumsumexp_cuda_kernelERKNSB_10TensorBaseESF_lENKUlvE_clEvENKUlvE_clEvEUlddE_dEEDaPvRmT3_T4_T5_mT6_P12ihipStream_tbENKUlT_T0_E_clISt17integral_constantIbLb0EESV_IbLb1EEEEDaSR_SS_EUlSR_E_NS1_11comp_targetILNS1_3genE10ELNS1_11target_archE1200ELNS1_3gpuE4ELNS1_3repE0EEENS1_30default_config_static_selectorELNS0_4arch9wavefront6targetE1EEEvT1_.num_agpr, 0
	.set _ZN7rocprim17ROCPRIM_400000_NS6detail17trampoline_kernelINS0_14default_configENS1_20scan_config_selectorIdEEZZNS1_9scan_implILNS1_25lookback_scan_determinismE0ELb0ELb0ES3_PKdPddZZZN2at6native31launch_logcumsumexp_cuda_kernelERKNSB_10TensorBaseESF_lENKUlvE_clEvENKUlvE_clEvEUlddE_dEEDaPvRmT3_T4_T5_mT6_P12ihipStream_tbENKUlT_T0_E_clISt17integral_constantIbLb0EESV_IbLb1EEEEDaSR_SS_EUlSR_E_NS1_11comp_targetILNS1_3genE10ELNS1_11target_archE1200ELNS1_3gpuE4ELNS1_3repE0EEENS1_30default_config_static_selectorELNS0_4arch9wavefront6targetE1EEEvT1_.numbered_sgpr, 0
	.set _ZN7rocprim17ROCPRIM_400000_NS6detail17trampoline_kernelINS0_14default_configENS1_20scan_config_selectorIdEEZZNS1_9scan_implILNS1_25lookback_scan_determinismE0ELb0ELb0ES3_PKdPddZZZN2at6native31launch_logcumsumexp_cuda_kernelERKNSB_10TensorBaseESF_lENKUlvE_clEvENKUlvE_clEvEUlddE_dEEDaPvRmT3_T4_T5_mT6_P12ihipStream_tbENKUlT_T0_E_clISt17integral_constantIbLb0EESV_IbLb1EEEEDaSR_SS_EUlSR_E_NS1_11comp_targetILNS1_3genE10ELNS1_11target_archE1200ELNS1_3gpuE4ELNS1_3repE0EEENS1_30default_config_static_selectorELNS0_4arch9wavefront6targetE1EEEvT1_.num_named_barrier, 0
	.set _ZN7rocprim17ROCPRIM_400000_NS6detail17trampoline_kernelINS0_14default_configENS1_20scan_config_selectorIdEEZZNS1_9scan_implILNS1_25lookback_scan_determinismE0ELb0ELb0ES3_PKdPddZZZN2at6native31launch_logcumsumexp_cuda_kernelERKNSB_10TensorBaseESF_lENKUlvE_clEvENKUlvE_clEvEUlddE_dEEDaPvRmT3_T4_T5_mT6_P12ihipStream_tbENKUlT_T0_E_clISt17integral_constantIbLb0EESV_IbLb1EEEEDaSR_SS_EUlSR_E_NS1_11comp_targetILNS1_3genE10ELNS1_11target_archE1200ELNS1_3gpuE4ELNS1_3repE0EEENS1_30default_config_static_selectorELNS0_4arch9wavefront6targetE1EEEvT1_.private_seg_size, 0
	.set _ZN7rocprim17ROCPRIM_400000_NS6detail17trampoline_kernelINS0_14default_configENS1_20scan_config_selectorIdEEZZNS1_9scan_implILNS1_25lookback_scan_determinismE0ELb0ELb0ES3_PKdPddZZZN2at6native31launch_logcumsumexp_cuda_kernelERKNSB_10TensorBaseESF_lENKUlvE_clEvENKUlvE_clEvEUlddE_dEEDaPvRmT3_T4_T5_mT6_P12ihipStream_tbENKUlT_T0_E_clISt17integral_constantIbLb0EESV_IbLb1EEEEDaSR_SS_EUlSR_E_NS1_11comp_targetILNS1_3genE10ELNS1_11target_archE1200ELNS1_3gpuE4ELNS1_3repE0EEENS1_30default_config_static_selectorELNS0_4arch9wavefront6targetE1EEEvT1_.uses_vcc, 0
	.set _ZN7rocprim17ROCPRIM_400000_NS6detail17trampoline_kernelINS0_14default_configENS1_20scan_config_selectorIdEEZZNS1_9scan_implILNS1_25lookback_scan_determinismE0ELb0ELb0ES3_PKdPddZZZN2at6native31launch_logcumsumexp_cuda_kernelERKNSB_10TensorBaseESF_lENKUlvE_clEvENKUlvE_clEvEUlddE_dEEDaPvRmT3_T4_T5_mT6_P12ihipStream_tbENKUlT_T0_E_clISt17integral_constantIbLb0EESV_IbLb1EEEEDaSR_SS_EUlSR_E_NS1_11comp_targetILNS1_3genE10ELNS1_11target_archE1200ELNS1_3gpuE4ELNS1_3repE0EEENS1_30default_config_static_selectorELNS0_4arch9wavefront6targetE1EEEvT1_.uses_flat_scratch, 0
	.set _ZN7rocprim17ROCPRIM_400000_NS6detail17trampoline_kernelINS0_14default_configENS1_20scan_config_selectorIdEEZZNS1_9scan_implILNS1_25lookback_scan_determinismE0ELb0ELb0ES3_PKdPddZZZN2at6native31launch_logcumsumexp_cuda_kernelERKNSB_10TensorBaseESF_lENKUlvE_clEvENKUlvE_clEvEUlddE_dEEDaPvRmT3_T4_T5_mT6_P12ihipStream_tbENKUlT_T0_E_clISt17integral_constantIbLb0EESV_IbLb1EEEEDaSR_SS_EUlSR_E_NS1_11comp_targetILNS1_3genE10ELNS1_11target_archE1200ELNS1_3gpuE4ELNS1_3repE0EEENS1_30default_config_static_selectorELNS0_4arch9wavefront6targetE1EEEvT1_.has_dyn_sized_stack, 0
	.set _ZN7rocprim17ROCPRIM_400000_NS6detail17trampoline_kernelINS0_14default_configENS1_20scan_config_selectorIdEEZZNS1_9scan_implILNS1_25lookback_scan_determinismE0ELb0ELb0ES3_PKdPddZZZN2at6native31launch_logcumsumexp_cuda_kernelERKNSB_10TensorBaseESF_lENKUlvE_clEvENKUlvE_clEvEUlddE_dEEDaPvRmT3_T4_T5_mT6_P12ihipStream_tbENKUlT_T0_E_clISt17integral_constantIbLb0EESV_IbLb1EEEEDaSR_SS_EUlSR_E_NS1_11comp_targetILNS1_3genE10ELNS1_11target_archE1200ELNS1_3gpuE4ELNS1_3repE0EEENS1_30default_config_static_selectorELNS0_4arch9wavefront6targetE1EEEvT1_.has_recursion, 0
	.set _ZN7rocprim17ROCPRIM_400000_NS6detail17trampoline_kernelINS0_14default_configENS1_20scan_config_selectorIdEEZZNS1_9scan_implILNS1_25lookback_scan_determinismE0ELb0ELb0ES3_PKdPddZZZN2at6native31launch_logcumsumexp_cuda_kernelERKNSB_10TensorBaseESF_lENKUlvE_clEvENKUlvE_clEvEUlddE_dEEDaPvRmT3_T4_T5_mT6_P12ihipStream_tbENKUlT_T0_E_clISt17integral_constantIbLb0EESV_IbLb1EEEEDaSR_SS_EUlSR_E_NS1_11comp_targetILNS1_3genE10ELNS1_11target_archE1200ELNS1_3gpuE4ELNS1_3repE0EEENS1_30default_config_static_selectorELNS0_4arch9wavefront6targetE1EEEvT1_.has_indirect_call, 0
	.section	.AMDGPU.csdata,"",@progbits
; Kernel info:
; codeLenInByte = 0
; TotalNumSgprs: 6
; NumVgprs: 0
; NumAgprs: 0
; TotalNumVgprs: 0
; ScratchSize: 0
; MemoryBound: 0
; FloatMode: 240
; IeeeMode: 1
; LDSByteSize: 0 bytes/workgroup (compile time only)
; SGPRBlocks: 0
; VGPRBlocks: 0
; NumSGPRsForWavesPerEU: 6
; NumVGPRsForWavesPerEU: 1
; AccumOffset: 4
; Occupancy: 8
; WaveLimiterHint : 0
; COMPUTE_PGM_RSRC2:SCRATCH_EN: 0
; COMPUTE_PGM_RSRC2:USER_SGPR: 2
; COMPUTE_PGM_RSRC2:TRAP_HANDLER: 0
; COMPUTE_PGM_RSRC2:TGID_X_EN: 1
; COMPUTE_PGM_RSRC2:TGID_Y_EN: 0
; COMPUTE_PGM_RSRC2:TGID_Z_EN: 0
; COMPUTE_PGM_RSRC2:TIDIG_COMP_CNT: 0
; COMPUTE_PGM_RSRC3_GFX90A:ACCUM_OFFSET: 0
; COMPUTE_PGM_RSRC3_GFX90A:TG_SPLIT: 0
	.section	.text._ZN7rocprim17ROCPRIM_400000_NS6detail17trampoline_kernelINS0_14default_configENS1_20scan_config_selectorIdEEZZNS1_9scan_implILNS1_25lookback_scan_determinismE0ELb0ELb0ES3_PKdPddZZZN2at6native31launch_logcumsumexp_cuda_kernelERKNSB_10TensorBaseESF_lENKUlvE_clEvENKUlvE_clEvEUlddE_dEEDaPvRmT3_T4_T5_mT6_P12ihipStream_tbENKUlT_T0_E_clISt17integral_constantIbLb0EESV_IbLb1EEEEDaSR_SS_EUlSR_E_NS1_11comp_targetILNS1_3genE9ELNS1_11target_archE1100ELNS1_3gpuE3ELNS1_3repE0EEENS1_30default_config_static_selectorELNS0_4arch9wavefront6targetE1EEEvT1_,"axG",@progbits,_ZN7rocprim17ROCPRIM_400000_NS6detail17trampoline_kernelINS0_14default_configENS1_20scan_config_selectorIdEEZZNS1_9scan_implILNS1_25lookback_scan_determinismE0ELb0ELb0ES3_PKdPddZZZN2at6native31launch_logcumsumexp_cuda_kernelERKNSB_10TensorBaseESF_lENKUlvE_clEvENKUlvE_clEvEUlddE_dEEDaPvRmT3_T4_T5_mT6_P12ihipStream_tbENKUlT_T0_E_clISt17integral_constantIbLb0EESV_IbLb1EEEEDaSR_SS_EUlSR_E_NS1_11comp_targetILNS1_3genE9ELNS1_11target_archE1100ELNS1_3gpuE3ELNS1_3repE0EEENS1_30default_config_static_selectorELNS0_4arch9wavefront6targetE1EEEvT1_,comdat
	.globl	_ZN7rocprim17ROCPRIM_400000_NS6detail17trampoline_kernelINS0_14default_configENS1_20scan_config_selectorIdEEZZNS1_9scan_implILNS1_25lookback_scan_determinismE0ELb0ELb0ES3_PKdPddZZZN2at6native31launch_logcumsumexp_cuda_kernelERKNSB_10TensorBaseESF_lENKUlvE_clEvENKUlvE_clEvEUlddE_dEEDaPvRmT3_T4_T5_mT6_P12ihipStream_tbENKUlT_T0_E_clISt17integral_constantIbLb0EESV_IbLb1EEEEDaSR_SS_EUlSR_E_NS1_11comp_targetILNS1_3genE9ELNS1_11target_archE1100ELNS1_3gpuE3ELNS1_3repE0EEENS1_30default_config_static_selectorELNS0_4arch9wavefront6targetE1EEEvT1_ ; -- Begin function _ZN7rocprim17ROCPRIM_400000_NS6detail17trampoline_kernelINS0_14default_configENS1_20scan_config_selectorIdEEZZNS1_9scan_implILNS1_25lookback_scan_determinismE0ELb0ELb0ES3_PKdPddZZZN2at6native31launch_logcumsumexp_cuda_kernelERKNSB_10TensorBaseESF_lENKUlvE_clEvENKUlvE_clEvEUlddE_dEEDaPvRmT3_T4_T5_mT6_P12ihipStream_tbENKUlT_T0_E_clISt17integral_constantIbLb0EESV_IbLb1EEEEDaSR_SS_EUlSR_E_NS1_11comp_targetILNS1_3genE9ELNS1_11target_archE1100ELNS1_3gpuE3ELNS1_3repE0EEENS1_30default_config_static_selectorELNS0_4arch9wavefront6targetE1EEEvT1_
	.p2align	8
	.type	_ZN7rocprim17ROCPRIM_400000_NS6detail17trampoline_kernelINS0_14default_configENS1_20scan_config_selectorIdEEZZNS1_9scan_implILNS1_25lookback_scan_determinismE0ELb0ELb0ES3_PKdPddZZZN2at6native31launch_logcumsumexp_cuda_kernelERKNSB_10TensorBaseESF_lENKUlvE_clEvENKUlvE_clEvEUlddE_dEEDaPvRmT3_T4_T5_mT6_P12ihipStream_tbENKUlT_T0_E_clISt17integral_constantIbLb0EESV_IbLb1EEEEDaSR_SS_EUlSR_E_NS1_11comp_targetILNS1_3genE9ELNS1_11target_archE1100ELNS1_3gpuE3ELNS1_3repE0EEENS1_30default_config_static_selectorELNS0_4arch9wavefront6targetE1EEEvT1_,@function
_ZN7rocprim17ROCPRIM_400000_NS6detail17trampoline_kernelINS0_14default_configENS1_20scan_config_selectorIdEEZZNS1_9scan_implILNS1_25lookback_scan_determinismE0ELb0ELb0ES3_PKdPddZZZN2at6native31launch_logcumsumexp_cuda_kernelERKNSB_10TensorBaseESF_lENKUlvE_clEvENKUlvE_clEvEUlddE_dEEDaPvRmT3_T4_T5_mT6_P12ihipStream_tbENKUlT_T0_E_clISt17integral_constantIbLb0EESV_IbLb1EEEEDaSR_SS_EUlSR_E_NS1_11comp_targetILNS1_3genE9ELNS1_11target_archE1100ELNS1_3gpuE3ELNS1_3repE0EEENS1_30default_config_static_selectorELNS0_4arch9wavefront6targetE1EEEvT1_: ; @_ZN7rocprim17ROCPRIM_400000_NS6detail17trampoline_kernelINS0_14default_configENS1_20scan_config_selectorIdEEZZNS1_9scan_implILNS1_25lookback_scan_determinismE0ELb0ELb0ES3_PKdPddZZZN2at6native31launch_logcumsumexp_cuda_kernelERKNSB_10TensorBaseESF_lENKUlvE_clEvENKUlvE_clEvEUlddE_dEEDaPvRmT3_T4_T5_mT6_P12ihipStream_tbENKUlT_T0_E_clISt17integral_constantIbLb0EESV_IbLb1EEEEDaSR_SS_EUlSR_E_NS1_11comp_targetILNS1_3genE9ELNS1_11target_archE1100ELNS1_3gpuE3ELNS1_3repE0EEENS1_30default_config_static_selectorELNS0_4arch9wavefront6targetE1EEEvT1_
; %bb.0:
	.section	.rodata,"a",@progbits
	.p2align	6, 0x0
	.amdhsa_kernel _ZN7rocprim17ROCPRIM_400000_NS6detail17trampoline_kernelINS0_14default_configENS1_20scan_config_selectorIdEEZZNS1_9scan_implILNS1_25lookback_scan_determinismE0ELb0ELb0ES3_PKdPddZZZN2at6native31launch_logcumsumexp_cuda_kernelERKNSB_10TensorBaseESF_lENKUlvE_clEvENKUlvE_clEvEUlddE_dEEDaPvRmT3_T4_T5_mT6_P12ihipStream_tbENKUlT_T0_E_clISt17integral_constantIbLb0EESV_IbLb1EEEEDaSR_SS_EUlSR_E_NS1_11comp_targetILNS1_3genE9ELNS1_11target_archE1100ELNS1_3gpuE3ELNS1_3repE0EEENS1_30default_config_static_selectorELNS0_4arch9wavefront6targetE1EEEvT1_
		.amdhsa_group_segment_fixed_size 0
		.amdhsa_private_segment_fixed_size 0
		.amdhsa_kernarg_size 104
		.amdhsa_user_sgpr_count 2
		.amdhsa_user_sgpr_dispatch_ptr 0
		.amdhsa_user_sgpr_queue_ptr 0
		.amdhsa_user_sgpr_kernarg_segment_ptr 1
		.amdhsa_user_sgpr_dispatch_id 0
		.amdhsa_user_sgpr_kernarg_preload_length 0
		.amdhsa_user_sgpr_kernarg_preload_offset 0
		.amdhsa_user_sgpr_private_segment_size 0
		.amdhsa_uses_dynamic_stack 0
		.amdhsa_enable_private_segment 0
		.amdhsa_system_sgpr_workgroup_id_x 1
		.amdhsa_system_sgpr_workgroup_id_y 0
		.amdhsa_system_sgpr_workgroup_id_z 0
		.amdhsa_system_sgpr_workgroup_info 0
		.amdhsa_system_vgpr_workitem_id 0
		.amdhsa_next_free_vgpr 1
		.amdhsa_next_free_sgpr 0
		.amdhsa_accum_offset 4
		.amdhsa_reserve_vcc 0
		.amdhsa_float_round_mode_32 0
		.amdhsa_float_round_mode_16_64 0
		.amdhsa_float_denorm_mode_32 3
		.amdhsa_float_denorm_mode_16_64 3
		.amdhsa_dx10_clamp 1
		.amdhsa_ieee_mode 1
		.amdhsa_fp16_overflow 0
		.amdhsa_tg_split 0
		.amdhsa_exception_fp_ieee_invalid_op 0
		.amdhsa_exception_fp_denorm_src 0
		.amdhsa_exception_fp_ieee_div_zero 0
		.amdhsa_exception_fp_ieee_overflow 0
		.amdhsa_exception_fp_ieee_underflow 0
		.amdhsa_exception_fp_ieee_inexact 0
		.amdhsa_exception_int_div_zero 0
	.end_amdhsa_kernel
	.section	.text._ZN7rocprim17ROCPRIM_400000_NS6detail17trampoline_kernelINS0_14default_configENS1_20scan_config_selectorIdEEZZNS1_9scan_implILNS1_25lookback_scan_determinismE0ELb0ELb0ES3_PKdPddZZZN2at6native31launch_logcumsumexp_cuda_kernelERKNSB_10TensorBaseESF_lENKUlvE_clEvENKUlvE_clEvEUlddE_dEEDaPvRmT3_T4_T5_mT6_P12ihipStream_tbENKUlT_T0_E_clISt17integral_constantIbLb0EESV_IbLb1EEEEDaSR_SS_EUlSR_E_NS1_11comp_targetILNS1_3genE9ELNS1_11target_archE1100ELNS1_3gpuE3ELNS1_3repE0EEENS1_30default_config_static_selectorELNS0_4arch9wavefront6targetE1EEEvT1_,"axG",@progbits,_ZN7rocprim17ROCPRIM_400000_NS6detail17trampoline_kernelINS0_14default_configENS1_20scan_config_selectorIdEEZZNS1_9scan_implILNS1_25lookback_scan_determinismE0ELb0ELb0ES3_PKdPddZZZN2at6native31launch_logcumsumexp_cuda_kernelERKNSB_10TensorBaseESF_lENKUlvE_clEvENKUlvE_clEvEUlddE_dEEDaPvRmT3_T4_T5_mT6_P12ihipStream_tbENKUlT_T0_E_clISt17integral_constantIbLb0EESV_IbLb1EEEEDaSR_SS_EUlSR_E_NS1_11comp_targetILNS1_3genE9ELNS1_11target_archE1100ELNS1_3gpuE3ELNS1_3repE0EEENS1_30default_config_static_selectorELNS0_4arch9wavefront6targetE1EEEvT1_,comdat
.Lfunc_end73:
	.size	_ZN7rocprim17ROCPRIM_400000_NS6detail17trampoline_kernelINS0_14default_configENS1_20scan_config_selectorIdEEZZNS1_9scan_implILNS1_25lookback_scan_determinismE0ELb0ELb0ES3_PKdPddZZZN2at6native31launch_logcumsumexp_cuda_kernelERKNSB_10TensorBaseESF_lENKUlvE_clEvENKUlvE_clEvEUlddE_dEEDaPvRmT3_T4_T5_mT6_P12ihipStream_tbENKUlT_T0_E_clISt17integral_constantIbLb0EESV_IbLb1EEEEDaSR_SS_EUlSR_E_NS1_11comp_targetILNS1_3genE9ELNS1_11target_archE1100ELNS1_3gpuE3ELNS1_3repE0EEENS1_30default_config_static_selectorELNS0_4arch9wavefront6targetE1EEEvT1_, .Lfunc_end73-_ZN7rocprim17ROCPRIM_400000_NS6detail17trampoline_kernelINS0_14default_configENS1_20scan_config_selectorIdEEZZNS1_9scan_implILNS1_25lookback_scan_determinismE0ELb0ELb0ES3_PKdPddZZZN2at6native31launch_logcumsumexp_cuda_kernelERKNSB_10TensorBaseESF_lENKUlvE_clEvENKUlvE_clEvEUlddE_dEEDaPvRmT3_T4_T5_mT6_P12ihipStream_tbENKUlT_T0_E_clISt17integral_constantIbLb0EESV_IbLb1EEEEDaSR_SS_EUlSR_E_NS1_11comp_targetILNS1_3genE9ELNS1_11target_archE1100ELNS1_3gpuE3ELNS1_3repE0EEENS1_30default_config_static_selectorELNS0_4arch9wavefront6targetE1EEEvT1_
                                        ; -- End function
	.set _ZN7rocprim17ROCPRIM_400000_NS6detail17trampoline_kernelINS0_14default_configENS1_20scan_config_selectorIdEEZZNS1_9scan_implILNS1_25lookback_scan_determinismE0ELb0ELb0ES3_PKdPddZZZN2at6native31launch_logcumsumexp_cuda_kernelERKNSB_10TensorBaseESF_lENKUlvE_clEvENKUlvE_clEvEUlddE_dEEDaPvRmT3_T4_T5_mT6_P12ihipStream_tbENKUlT_T0_E_clISt17integral_constantIbLb0EESV_IbLb1EEEEDaSR_SS_EUlSR_E_NS1_11comp_targetILNS1_3genE9ELNS1_11target_archE1100ELNS1_3gpuE3ELNS1_3repE0EEENS1_30default_config_static_selectorELNS0_4arch9wavefront6targetE1EEEvT1_.num_vgpr, 0
	.set _ZN7rocprim17ROCPRIM_400000_NS6detail17trampoline_kernelINS0_14default_configENS1_20scan_config_selectorIdEEZZNS1_9scan_implILNS1_25lookback_scan_determinismE0ELb0ELb0ES3_PKdPddZZZN2at6native31launch_logcumsumexp_cuda_kernelERKNSB_10TensorBaseESF_lENKUlvE_clEvENKUlvE_clEvEUlddE_dEEDaPvRmT3_T4_T5_mT6_P12ihipStream_tbENKUlT_T0_E_clISt17integral_constantIbLb0EESV_IbLb1EEEEDaSR_SS_EUlSR_E_NS1_11comp_targetILNS1_3genE9ELNS1_11target_archE1100ELNS1_3gpuE3ELNS1_3repE0EEENS1_30default_config_static_selectorELNS0_4arch9wavefront6targetE1EEEvT1_.num_agpr, 0
	.set _ZN7rocprim17ROCPRIM_400000_NS6detail17trampoline_kernelINS0_14default_configENS1_20scan_config_selectorIdEEZZNS1_9scan_implILNS1_25lookback_scan_determinismE0ELb0ELb0ES3_PKdPddZZZN2at6native31launch_logcumsumexp_cuda_kernelERKNSB_10TensorBaseESF_lENKUlvE_clEvENKUlvE_clEvEUlddE_dEEDaPvRmT3_T4_T5_mT6_P12ihipStream_tbENKUlT_T0_E_clISt17integral_constantIbLb0EESV_IbLb1EEEEDaSR_SS_EUlSR_E_NS1_11comp_targetILNS1_3genE9ELNS1_11target_archE1100ELNS1_3gpuE3ELNS1_3repE0EEENS1_30default_config_static_selectorELNS0_4arch9wavefront6targetE1EEEvT1_.numbered_sgpr, 0
	.set _ZN7rocprim17ROCPRIM_400000_NS6detail17trampoline_kernelINS0_14default_configENS1_20scan_config_selectorIdEEZZNS1_9scan_implILNS1_25lookback_scan_determinismE0ELb0ELb0ES3_PKdPddZZZN2at6native31launch_logcumsumexp_cuda_kernelERKNSB_10TensorBaseESF_lENKUlvE_clEvENKUlvE_clEvEUlddE_dEEDaPvRmT3_T4_T5_mT6_P12ihipStream_tbENKUlT_T0_E_clISt17integral_constantIbLb0EESV_IbLb1EEEEDaSR_SS_EUlSR_E_NS1_11comp_targetILNS1_3genE9ELNS1_11target_archE1100ELNS1_3gpuE3ELNS1_3repE0EEENS1_30default_config_static_selectorELNS0_4arch9wavefront6targetE1EEEvT1_.num_named_barrier, 0
	.set _ZN7rocprim17ROCPRIM_400000_NS6detail17trampoline_kernelINS0_14default_configENS1_20scan_config_selectorIdEEZZNS1_9scan_implILNS1_25lookback_scan_determinismE0ELb0ELb0ES3_PKdPddZZZN2at6native31launch_logcumsumexp_cuda_kernelERKNSB_10TensorBaseESF_lENKUlvE_clEvENKUlvE_clEvEUlddE_dEEDaPvRmT3_T4_T5_mT6_P12ihipStream_tbENKUlT_T0_E_clISt17integral_constantIbLb0EESV_IbLb1EEEEDaSR_SS_EUlSR_E_NS1_11comp_targetILNS1_3genE9ELNS1_11target_archE1100ELNS1_3gpuE3ELNS1_3repE0EEENS1_30default_config_static_selectorELNS0_4arch9wavefront6targetE1EEEvT1_.private_seg_size, 0
	.set _ZN7rocprim17ROCPRIM_400000_NS6detail17trampoline_kernelINS0_14default_configENS1_20scan_config_selectorIdEEZZNS1_9scan_implILNS1_25lookback_scan_determinismE0ELb0ELb0ES3_PKdPddZZZN2at6native31launch_logcumsumexp_cuda_kernelERKNSB_10TensorBaseESF_lENKUlvE_clEvENKUlvE_clEvEUlddE_dEEDaPvRmT3_T4_T5_mT6_P12ihipStream_tbENKUlT_T0_E_clISt17integral_constantIbLb0EESV_IbLb1EEEEDaSR_SS_EUlSR_E_NS1_11comp_targetILNS1_3genE9ELNS1_11target_archE1100ELNS1_3gpuE3ELNS1_3repE0EEENS1_30default_config_static_selectorELNS0_4arch9wavefront6targetE1EEEvT1_.uses_vcc, 0
	.set _ZN7rocprim17ROCPRIM_400000_NS6detail17trampoline_kernelINS0_14default_configENS1_20scan_config_selectorIdEEZZNS1_9scan_implILNS1_25lookback_scan_determinismE0ELb0ELb0ES3_PKdPddZZZN2at6native31launch_logcumsumexp_cuda_kernelERKNSB_10TensorBaseESF_lENKUlvE_clEvENKUlvE_clEvEUlddE_dEEDaPvRmT3_T4_T5_mT6_P12ihipStream_tbENKUlT_T0_E_clISt17integral_constantIbLb0EESV_IbLb1EEEEDaSR_SS_EUlSR_E_NS1_11comp_targetILNS1_3genE9ELNS1_11target_archE1100ELNS1_3gpuE3ELNS1_3repE0EEENS1_30default_config_static_selectorELNS0_4arch9wavefront6targetE1EEEvT1_.uses_flat_scratch, 0
	.set _ZN7rocprim17ROCPRIM_400000_NS6detail17trampoline_kernelINS0_14default_configENS1_20scan_config_selectorIdEEZZNS1_9scan_implILNS1_25lookback_scan_determinismE0ELb0ELb0ES3_PKdPddZZZN2at6native31launch_logcumsumexp_cuda_kernelERKNSB_10TensorBaseESF_lENKUlvE_clEvENKUlvE_clEvEUlddE_dEEDaPvRmT3_T4_T5_mT6_P12ihipStream_tbENKUlT_T0_E_clISt17integral_constantIbLb0EESV_IbLb1EEEEDaSR_SS_EUlSR_E_NS1_11comp_targetILNS1_3genE9ELNS1_11target_archE1100ELNS1_3gpuE3ELNS1_3repE0EEENS1_30default_config_static_selectorELNS0_4arch9wavefront6targetE1EEEvT1_.has_dyn_sized_stack, 0
	.set _ZN7rocprim17ROCPRIM_400000_NS6detail17trampoline_kernelINS0_14default_configENS1_20scan_config_selectorIdEEZZNS1_9scan_implILNS1_25lookback_scan_determinismE0ELb0ELb0ES3_PKdPddZZZN2at6native31launch_logcumsumexp_cuda_kernelERKNSB_10TensorBaseESF_lENKUlvE_clEvENKUlvE_clEvEUlddE_dEEDaPvRmT3_T4_T5_mT6_P12ihipStream_tbENKUlT_T0_E_clISt17integral_constantIbLb0EESV_IbLb1EEEEDaSR_SS_EUlSR_E_NS1_11comp_targetILNS1_3genE9ELNS1_11target_archE1100ELNS1_3gpuE3ELNS1_3repE0EEENS1_30default_config_static_selectorELNS0_4arch9wavefront6targetE1EEEvT1_.has_recursion, 0
	.set _ZN7rocprim17ROCPRIM_400000_NS6detail17trampoline_kernelINS0_14default_configENS1_20scan_config_selectorIdEEZZNS1_9scan_implILNS1_25lookback_scan_determinismE0ELb0ELb0ES3_PKdPddZZZN2at6native31launch_logcumsumexp_cuda_kernelERKNSB_10TensorBaseESF_lENKUlvE_clEvENKUlvE_clEvEUlddE_dEEDaPvRmT3_T4_T5_mT6_P12ihipStream_tbENKUlT_T0_E_clISt17integral_constantIbLb0EESV_IbLb1EEEEDaSR_SS_EUlSR_E_NS1_11comp_targetILNS1_3genE9ELNS1_11target_archE1100ELNS1_3gpuE3ELNS1_3repE0EEENS1_30default_config_static_selectorELNS0_4arch9wavefront6targetE1EEEvT1_.has_indirect_call, 0
	.section	.AMDGPU.csdata,"",@progbits
; Kernel info:
; codeLenInByte = 0
; TotalNumSgprs: 6
; NumVgprs: 0
; NumAgprs: 0
; TotalNumVgprs: 0
; ScratchSize: 0
; MemoryBound: 0
; FloatMode: 240
; IeeeMode: 1
; LDSByteSize: 0 bytes/workgroup (compile time only)
; SGPRBlocks: 0
; VGPRBlocks: 0
; NumSGPRsForWavesPerEU: 6
; NumVGPRsForWavesPerEU: 1
; AccumOffset: 4
; Occupancy: 8
; WaveLimiterHint : 0
; COMPUTE_PGM_RSRC2:SCRATCH_EN: 0
; COMPUTE_PGM_RSRC2:USER_SGPR: 2
; COMPUTE_PGM_RSRC2:TRAP_HANDLER: 0
; COMPUTE_PGM_RSRC2:TGID_X_EN: 1
; COMPUTE_PGM_RSRC2:TGID_Y_EN: 0
; COMPUTE_PGM_RSRC2:TGID_Z_EN: 0
; COMPUTE_PGM_RSRC2:TIDIG_COMP_CNT: 0
; COMPUTE_PGM_RSRC3_GFX90A:ACCUM_OFFSET: 0
; COMPUTE_PGM_RSRC3_GFX90A:TG_SPLIT: 0
	.section	.text._ZN7rocprim17ROCPRIM_400000_NS6detail17trampoline_kernelINS0_14default_configENS1_20scan_config_selectorIdEEZZNS1_9scan_implILNS1_25lookback_scan_determinismE0ELb0ELb0ES3_PKdPddZZZN2at6native31launch_logcumsumexp_cuda_kernelERKNSB_10TensorBaseESF_lENKUlvE_clEvENKUlvE_clEvEUlddE_dEEDaPvRmT3_T4_T5_mT6_P12ihipStream_tbENKUlT_T0_E_clISt17integral_constantIbLb0EESV_IbLb1EEEEDaSR_SS_EUlSR_E_NS1_11comp_targetILNS1_3genE8ELNS1_11target_archE1030ELNS1_3gpuE2ELNS1_3repE0EEENS1_30default_config_static_selectorELNS0_4arch9wavefront6targetE1EEEvT1_,"axG",@progbits,_ZN7rocprim17ROCPRIM_400000_NS6detail17trampoline_kernelINS0_14default_configENS1_20scan_config_selectorIdEEZZNS1_9scan_implILNS1_25lookback_scan_determinismE0ELb0ELb0ES3_PKdPddZZZN2at6native31launch_logcumsumexp_cuda_kernelERKNSB_10TensorBaseESF_lENKUlvE_clEvENKUlvE_clEvEUlddE_dEEDaPvRmT3_T4_T5_mT6_P12ihipStream_tbENKUlT_T0_E_clISt17integral_constantIbLb0EESV_IbLb1EEEEDaSR_SS_EUlSR_E_NS1_11comp_targetILNS1_3genE8ELNS1_11target_archE1030ELNS1_3gpuE2ELNS1_3repE0EEENS1_30default_config_static_selectorELNS0_4arch9wavefront6targetE1EEEvT1_,comdat
	.globl	_ZN7rocprim17ROCPRIM_400000_NS6detail17trampoline_kernelINS0_14default_configENS1_20scan_config_selectorIdEEZZNS1_9scan_implILNS1_25lookback_scan_determinismE0ELb0ELb0ES3_PKdPddZZZN2at6native31launch_logcumsumexp_cuda_kernelERKNSB_10TensorBaseESF_lENKUlvE_clEvENKUlvE_clEvEUlddE_dEEDaPvRmT3_T4_T5_mT6_P12ihipStream_tbENKUlT_T0_E_clISt17integral_constantIbLb0EESV_IbLb1EEEEDaSR_SS_EUlSR_E_NS1_11comp_targetILNS1_3genE8ELNS1_11target_archE1030ELNS1_3gpuE2ELNS1_3repE0EEENS1_30default_config_static_selectorELNS0_4arch9wavefront6targetE1EEEvT1_ ; -- Begin function _ZN7rocprim17ROCPRIM_400000_NS6detail17trampoline_kernelINS0_14default_configENS1_20scan_config_selectorIdEEZZNS1_9scan_implILNS1_25lookback_scan_determinismE0ELb0ELb0ES3_PKdPddZZZN2at6native31launch_logcumsumexp_cuda_kernelERKNSB_10TensorBaseESF_lENKUlvE_clEvENKUlvE_clEvEUlddE_dEEDaPvRmT3_T4_T5_mT6_P12ihipStream_tbENKUlT_T0_E_clISt17integral_constantIbLb0EESV_IbLb1EEEEDaSR_SS_EUlSR_E_NS1_11comp_targetILNS1_3genE8ELNS1_11target_archE1030ELNS1_3gpuE2ELNS1_3repE0EEENS1_30default_config_static_selectorELNS0_4arch9wavefront6targetE1EEEvT1_
	.p2align	8
	.type	_ZN7rocprim17ROCPRIM_400000_NS6detail17trampoline_kernelINS0_14default_configENS1_20scan_config_selectorIdEEZZNS1_9scan_implILNS1_25lookback_scan_determinismE0ELb0ELb0ES3_PKdPddZZZN2at6native31launch_logcumsumexp_cuda_kernelERKNSB_10TensorBaseESF_lENKUlvE_clEvENKUlvE_clEvEUlddE_dEEDaPvRmT3_T4_T5_mT6_P12ihipStream_tbENKUlT_T0_E_clISt17integral_constantIbLb0EESV_IbLb1EEEEDaSR_SS_EUlSR_E_NS1_11comp_targetILNS1_3genE8ELNS1_11target_archE1030ELNS1_3gpuE2ELNS1_3repE0EEENS1_30default_config_static_selectorELNS0_4arch9wavefront6targetE1EEEvT1_,@function
_ZN7rocprim17ROCPRIM_400000_NS6detail17trampoline_kernelINS0_14default_configENS1_20scan_config_selectorIdEEZZNS1_9scan_implILNS1_25lookback_scan_determinismE0ELb0ELb0ES3_PKdPddZZZN2at6native31launch_logcumsumexp_cuda_kernelERKNSB_10TensorBaseESF_lENKUlvE_clEvENKUlvE_clEvEUlddE_dEEDaPvRmT3_T4_T5_mT6_P12ihipStream_tbENKUlT_T0_E_clISt17integral_constantIbLb0EESV_IbLb1EEEEDaSR_SS_EUlSR_E_NS1_11comp_targetILNS1_3genE8ELNS1_11target_archE1030ELNS1_3gpuE2ELNS1_3repE0EEENS1_30default_config_static_selectorELNS0_4arch9wavefront6targetE1EEEvT1_: ; @_ZN7rocprim17ROCPRIM_400000_NS6detail17trampoline_kernelINS0_14default_configENS1_20scan_config_selectorIdEEZZNS1_9scan_implILNS1_25lookback_scan_determinismE0ELb0ELb0ES3_PKdPddZZZN2at6native31launch_logcumsumexp_cuda_kernelERKNSB_10TensorBaseESF_lENKUlvE_clEvENKUlvE_clEvEUlddE_dEEDaPvRmT3_T4_T5_mT6_P12ihipStream_tbENKUlT_T0_E_clISt17integral_constantIbLb0EESV_IbLb1EEEEDaSR_SS_EUlSR_E_NS1_11comp_targetILNS1_3genE8ELNS1_11target_archE1030ELNS1_3gpuE2ELNS1_3repE0EEENS1_30default_config_static_selectorELNS0_4arch9wavefront6targetE1EEEvT1_
; %bb.0:
	.section	.rodata,"a",@progbits
	.p2align	6, 0x0
	.amdhsa_kernel _ZN7rocprim17ROCPRIM_400000_NS6detail17trampoline_kernelINS0_14default_configENS1_20scan_config_selectorIdEEZZNS1_9scan_implILNS1_25lookback_scan_determinismE0ELb0ELb0ES3_PKdPddZZZN2at6native31launch_logcumsumexp_cuda_kernelERKNSB_10TensorBaseESF_lENKUlvE_clEvENKUlvE_clEvEUlddE_dEEDaPvRmT3_T4_T5_mT6_P12ihipStream_tbENKUlT_T0_E_clISt17integral_constantIbLb0EESV_IbLb1EEEEDaSR_SS_EUlSR_E_NS1_11comp_targetILNS1_3genE8ELNS1_11target_archE1030ELNS1_3gpuE2ELNS1_3repE0EEENS1_30default_config_static_selectorELNS0_4arch9wavefront6targetE1EEEvT1_
		.amdhsa_group_segment_fixed_size 0
		.amdhsa_private_segment_fixed_size 0
		.amdhsa_kernarg_size 104
		.amdhsa_user_sgpr_count 2
		.amdhsa_user_sgpr_dispatch_ptr 0
		.amdhsa_user_sgpr_queue_ptr 0
		.amdhsa_user_sgpr_kernarg_segment_ptr 1
		.amdhsa_user_sgpr_dispatch_id 0
		.amdhsa_user_sgpr_kernarg_preload_length 0
		.amdhsa_user_sgpr_kernarg_preload_offset 0
		.amdhsa_user_sgpr_private_segment_size 0
		.amdhsa_uses_dynamic_stack 0
		.amdhsa_enable_private_segment 0
		.amdhsa_system_sgpr_workgroup_id_x 1
		.amdhsa_system_sgpr_workgroup_id_y 0
		.amdhsa_system_sgpr_workgroup_id_z 0
		.amdhsa_system_sgpr_workgroup_info 0
		.amdhsa_system_vgpr_workitem_id 0
		.amdhsa_next_free_vgpr 1
		.amdhsa_next_free_sgpr 0
		.amdhsa_accum_offset 4
		.amdhsa_reserve_vcc 0
		.amdhsa_float_round_mode_32 0
		.amdhsa_float_round_mode_16_64 0
		.amdhsa_float_denorm_mode_32 3
		.amdhsa_float_denorm_mode_16_64 3
		.amdhsa_dx10_clamp 1
		.amdhsa_ieee_mode 1
		.amdhsa_fp16_overflow 0
		.amdhsa_tg_split 0
		.amdhsa_exception_fp_ieee_invalid_op 0
		.amdhsa_exception_fp_denorm_src 0
		.amdhsa_exception_fp_ieee_div_zero 0
		.amdhsa_exception_fp_ieee_overflow 0
		.amdhsa_exception_fp_ieee_underflow 0
		.amdhsa_exception_fp_ieee_inexact 0
		.amdhsa_exception_int_div_zero 0
	.end_amdhsa_kernel
	.section	.text._ZN7rocprim17ROCPRIM_400000_NS6detail17trampoline_kernelINS0_14default_configENS1_20scan_config_selectorIdEEZZNS1_9scan_implILNS1_25lookback_scan_determinismE0ELb0ELb0ES3_PKdPddZZZN2at6native31launch_logcumsumexp_cuda_kernelERKNSB_10TensorBaseESF_lENKUlvE_clEvENKUlvE_clEvEUlddE_dEEDaPvRmT3_T4_T5_mT6_P12ihipStream_tbENKUlT_T0_E_clISt17integral_constantIbLb0EESV_IbLb1EEEEDaSR_SS_EUlSR_E_NS1_11comp_targetILNS1_3genE8ELNS1_11target_archE1030ELNS1_3gpuE2ELNS1_3repE0EEENS1_30default_config_static_selectorELNS0_4arch9wavefront6targetE1EEEvT1_,"axG",@progbits,_ZN7rocprim17ROCPRIM_400000_NS6detail17trampoline_kernelINS0_14default_configENS1_20scan_config_selectorIdEEZZNS1_9scan_implILNS1_25lookback_scan_determinismE0ELb0ELb0ES3_PKdPddZZZN2at6native31launch_logcumsumexp_cuda_kernelERKNSB_10TensorBaseESF_lENKUlvE_clEvENKUlvE_clEvEUlddE_dEEDaPvRmT3_T4_T5_mT6_P12ihipStream_tbENKUlT_T0_E_clISt17integral_constantIbLb0EESV_IbLb1EEEEDaSR_SS_EUlSR_E_NS1_11comp_targetILNS1_3genE8ELNS1_11target_archE1030ELNS1_3gpuE2ELNS1_3repE0EEENS1_30default_config_static_selectorELNS0_4arch9wavefront6targetE1EEEvT1_,comdat
.Lfunc_end74:
	.size	_ZN7rocprim17ROCPRIM_400000_NS6detail17trampoline_kernelINS0_14default_configENS1_20scan_config_selectorIdEEZZNS1_9scan_implILNS1_25lookback_scan_determinismE0ELb0ELb0ES3_PKdPddZZZN2at6native31launch_logcumsumexp_cuda_kernelERKNSB_10TensorBaseESF_lENKUlvE_clEvENKUlvE_clEvEUlddE_dEEDaPvRmT3_T4_T5_mT6_P12ihipStream_tbENKUlT_T0_E_clISt17integral_constantIbLb0EESV_IbLb1EEEEDaSR_SS_EUlSR_E_NS1_11comp_targetILNS1_3genE8ELNS1_11target_archE1030ELNS1_3gpuE2ELNS1_3repE0EEENS1_30default_config_static_selectorELNS0_4arch9wavefront6targetE1EEEvT1_, .Lfunc_end74-_ZN7rocprim17ROCPRIM_400000_NS6detail17trampoline_kernelINS0_14default_configENS1_20scan_config_selectorIdEEZZNS1_9scan_implILNS1_25lookback_scan_determinismE0ELb0ELb0ES3_PKdPddZZZN2at6native31launch_logcumsumexp_cuda_kernelERKNSB_10TensorBaseESF_lENKUlvE_clEvENKUlvE_clEvEUlddE_dEEDaPvRmT3_T4_T5_mT6_P12ihipStream_tbENKUlT_T0_E_clISt17integral_constantIbLb0EESV_IbLb1EEEEDaSR_SS_EUlSR_E_NS1_11comp_targetILNS1_3genE8ELNS1_11target_archE1030ELNS1_3gpuE2ELNS1_3repE0EEENS1_30default_config_static_selectorELNS0_4arch9wavefront6targetE1EEEvT1_
                                        ; -- End function
	.set _ZN7rocprim17ROCPRIM_400000_NS6detail17trampoline_kernelINS0_14default_configENS1_20scan_config_selectorIdEEZZNS1_9scan_implILNS1_25lookback_scan_determinismE0ELb0ELb0ES3_PKdPddZZZN2at6native31launch_logcumsumexp_cuda_kernelERKNSB_10TensorBaseESF_lENKUlvE_clEvENKUlvE_clEvEUlddE_dEEDaPvRmT3_T4_T5_mT6_P12ihipStream_tbENKUlT_T0_E_clISt17integral_constantIbLb0EESV_IbLb1EEEEDaSR_SS_EUlSR_E_NS1_11comp_targetILNS1_3genE8ELNS1_11target_archE1030ELNS1_3gpuE2ELNS1_3repE0EEENS1_30default_config_static_selectorELNS0_4arch9wavefront6targetE1EEEvT1_.num_vgpr, 0
	.set _ZN7rocprim17ROCPRIM_400000_NS6detail17trampoline_kernelINS0_14default_configENS1_20scan_config_selectorIdEEZZNS1_9scan_implILNS1_25lookback_scan_determinismE0ELb0ELb0ES3_PKdPddZZZN2at6native31launch_logcumsumexp_cuda_kernelERKNSB_10TensorBaseESF_lENKUlvE_clEvENKUlvE_clEvEUlddE_dEEDaPvRmT3_T4_T5_mT6_P12ihipStream_tbENKUlT_T0_E_clISt17integral_constantIbLb0EESV_IbLb1EEEEDaSR_SS_EUlSR_E_NS1_11comp_targetILNS1_3genE8ELNS1_11target_archE1030ELNS1_3gpuE2ELNS1_3repE0EEENS1_30default_config_static_selectorELNS0_4arch9wavefront6targetE1EEEvT1_.num_agpr, 0
	.set _ZN7rocprim17ROCPRIM_400000_NS6detail17trampoline_kernelINS0_14default_configENS1_20scan_config_selectorIdEEZZNS1_9scan_implILNS1_25lookback_scan_determinismE0ELb0ELb0ES3_PKdPddZZZN2at6native31launch_logcumsumexp_cuda_kernelERKNSB_10TensorBaseESF_lENKUlvE_clEvENKUlvE_clEvEUlddE_dEEDaPvRmT3_T4_T5_mT6_P12ihipStream_tbENKUlT_T0_E_clISt17integral_constantIbLb0EESV_IbLb1EEEEDaSR_SS_EUlSR_E_NS1_11comp_targetILNS1_3genE8ELNS1_11target_archE1030ELNS1_3gpuE2ELNS1_3repE0EEENS1_30default_config_static_selectorELNS0_4arch9wavefront6targetE1EEEvT1_.numbered_sgpr, 0
	.set _ZN7rocprim17ROCPRIM_400000_NS6detail17trampoline_kernelINS0_14default_configENS1_20scan_config_selectorIdEEZZNS1_9scan_implILNS1_25lookback_scan_determinismE0ELb0ELb0ES3_PKdPddZZZN2at6native31launch_logcumsumexp_cuda_kernelERKNSB_10TensorBaseESF_lENKUlvE_clEvENKUlvE_clEvEUlddE_dEEDaPvRmT3_T4_T5_mT6_P12ihipStream_tbENKUlT_T0_E_clISt17integral_constantIbLb0EESV_IbLb1EEEEDaSR_SS_EUlSR_E_NS1_11comp_targetILNS1_3genE8ELNS1_11target_archE1030ELNS1_3gpuE2ELNS1_3repE0EEENS1_30default_config_static_selectorELNS0_4arch9wavefront6targetE1EEEvT1_.num_named_barrier, 0
	.set _ZN7rocprim17ROCPRIM_400000_NS6detail17trampoline_kernelINS0_14default_configENS1_20scan_config_selectorIdEEZZNS1_9scan_implILNS1_25lookback_scan_determinismE0ELb0ELb0ES3_PKdPddZZZN2at6native31launch_logcumsumexp_cuda_kernelERKNSB_10TensorBaseESF_lENKUlvE_clEvENKUlvE_clEvEUlddE_dEEDaPvRmT3_T4_T5_mT6_P12ihipStream_tbENKUlT_T0_E_clISt17integral_constantIbLb0EESV_IbLb1EEEEDaSR_SS_EUlSR_E_NS1_11comp_targetILNS1_3genE8ELNS1_11target_archE1030ELNS1_3gpuE2ELNS1_3repE0EEENS1_30default_config_static_selectorELNS0_4arch9wavefront6targetE1EEEvT1_.private_seg_size, 0
	.set _ZN7rocprim17ROCPRIM_400000_NS6detail17trampoline_kernelINS0_14default_configENS1_20scan_config_selectorIdEEZZNS1_9scan_implILNS1_25lookback_scan_determinismE0ELb0ELb0ES3_PKdPddZZZN2at6native31launch_logcumsumexp_cuda_kernelERKNSB_10TensorBaseESF_lENKUlvE_clEvENKUlvE_clEvEUlddE_dEEDaPvRmT3_T4_T5_mT6_P12ihipStream_tbENKUlT_T0_E_clISt17integral_constantIbLb0EESV_IbLb1EEEEDaSR_SS_EUlSR_E_NS1_11comp_targetILNS1_3genE8ELNS1_11target_archE1030ELNS1_3gpuE2ELNS1_3repE0EEENS1_30default_config_static_selectorELNS0_4arch9wavefront6targetE1EEEvT1_.uses_vcc, 0
	.set _ZN7rocprim17ROCPRIM_400000_NS6detail17trampoline_kernelINS0_14default_configENS1_20scan_config_selectorIdEEZZNS1_9scan_implILNS1_25lookback_scan_determinismE0ELb0ELb0ES3_PKdPddZZZN2at6native31launch_logcumsumexp_cuda_kernelERKNSB_10TensorBaseESF_lENKUlvE_clEvENKUlvE_clEvEUlddE_dEEDaPvRmT3_T4_T5_mT6_P12ihipStream_tbENKUlT_T0_E_clISt17integral_constantIbLb0EESV_IbLb1EEEEDaSR_SS_EUlSR_E_NS1_11comp_targetILNS1_3genE8ELNS1_11target_archE1030ELNS1_3gpuE2ELNS1_3repE0EEENS1_30default_config_static_selectorELNS0_4arch9wavefront6targetE1EEEvT1_.uses_flat_scratch, 0
	.set _ZN7rocprim17ROCPRIM_400000_NS6detail17trampoline_kernelINS0_14default_configENS1_20scan_config_selectorIdEEZZNS1_9scan_implILNS1_25lookback_scan_determinismE0ELb0ELb0ES3_PKdPddZZZN2at6native31launch_logcumsumexp_cuda_kernelERKNSB_10TensorBaseESF_lENKUlvE_clEvENKUlvE_clEvEUlddE_dEEDaPvRmT3_T4_T5_mT6_P12ihipStream_tbENKUlT_T0_E_clISt17integral_constantIbLb0EESV_IbLb1EEEEDaSR_SS_EUlSR_E_NS1_11comp_targetILNS1_3genE8ELNS1_11target_archE1030ELNS1_3gpuE2ELNS1_3repE0EEENS1_30default_config_static_selectorELNS0_4arch9wavefront6targetE1EEEvT1_.has_dyn_sized_stack, 0
	.set _ZN7rocprim17ROCPRIM_400000_NS6detail17trampoline_kernelINS0_14default_configENS1_20scan_config_selectorIdEEZZNS1_9scan_implILNS1_25lookback_scan_determinismE0ELb0ELb0ES3_PKdPddZZZN2at6native31launch_logcumsumexp_cuda_kernelERKNSB_10TensorBaseESF_lENKUlvE_clEvENKUlvE_clEvEUlddE_dEEDaPvRmT3_T4_T5_mT6_P12ihipStream_tbENKUlT_T0_E_clISt17integral_constantIbLb0EESV_IbLb1EEEEDaSR_SS_EUlSR_E_NS1_11comp_targetILNS1_3genE8ELNS1_11target_archE1030ELNS1_3gpuE2ELNS1_3repE0EEENS1_30default_config_static_selectorELNS0_4arch9wavefront6targetE1EEEvT1_.has_recursion, 0
	.set _ZN7rocprim17ROCPRIM_400000_NS6detail17trampoline_kernelINS0_14default_configENS1_20scan_config_selectorIdEEZZNS1_9scan_implILNS1_25lookback_scan_determinismE0ELb0ELb0ES3_PKdPddZZZN2at6native31launch_logcumsumexp_cuda_kernelERKNSB_10TensorBaseESF_lENKUlvE_clEvENKUlvE_clEvEUlddE_dEEDaPvRmT3_T4_T5_mT6_P12ihipStream_tbENKUlT_T0_E_clISt17integral_constantIbLb0EESV_IbLb1EEEEDaSR_SS_EUlSR_E_NS1_11comp_targetILNS1_3genE8ELNS1_11target_archE1030ELNS1_3gpuE2ELNS1_3repE0EEENS1_30default_config_static_selectorELNS0_4arch9wavefront6targetE1EEEvT1_.has_indirect_call, 0
	.section	.AMDGPU.csdata,"",@progbits
; Kernel info:
; codeLenInByte = 0
; TotalNumSgprs: 6
; NumVgprs: 0
; NumAgprs: 0
; TotalNumVgprs: 0
; ScratchSize: 0
; MemoryBound: 0
; FloatMode: 240
; IeeeMode: 1
; LDSByteSize: 0 bytes/workgroup (compile time only)
; SGPRBlocks: 0
; VGPRBlocks: 0
; NumSGPRsForWavesPerEU: 6
; NumVGPRsForWavesPerEU: 1
; AccumOffset: 4
; Occupancy: 8
; WaveLimiterHint : 0
; COMPUTE_PGM_RSRC2:SCRATCH_EN: 0
; COMPUTE_PGM_RSRC2:USER_SGPR: 2
; COMPUTE_PGM_RSRC2:TRAP_HANDLER: 0
; COMPUTE_PGM_RSRC2:TGID_X_EN: 1
; COMPUTE_PGM_RSRC2:TGID_Y_EN: 0
; COMPUTE_PGM_RSRC2:TGID_Z_EN: 0
; COMPUTE_PGM_RSRC2:TIDIG_COMP_CNT: 0
; COMPUTE_PGM_RSRC3_GFX90A:ACCUM_OFFSET: 0
; COMPUTE_PGM_RSRC3_GFX90A:TG_SPLIT: 0
	.section	.text._ZN7rocprim17ROCPRIM_400000_NS6detail17trampoline_kernelINS0_14default_configENS1_20scan_config_selectorIdEEZZNS1_9scan_implILNS1_25lookback_scan_determinismE0ELb0ELb0ES3_PKdPddZZZN2at6native31launch_logcumsumexp_cuda_kernelERKNSB_10TensorBaseESF_lENKUlvE_clEvENKUlvE_clEvEUlddE_dEEDaPvRmT3_T4_T5_mT6_P12ihipStream_tbENKUlT_T0_E_clISt17integral_constantIbLb0EESV_IbLb1EEEEDaSR_SS_EUlSR_E0_NS1_11comp_targetILNS1_3genE0ELNS1_11target_archE4294967295ELNS1_3gpuE0ELNS1_3repE0EEENS1_30default_config_static_selectorELNS0_4arch9wavefront6targetE1EEEvT1_,"axG",@progbits,_ZN7rocprim17ROCPRIM_400000_NS6detail17trampoline_kernelINS0_14default_configENS1_20scan_config_selectorIdEEZZNS1_9scan_implILNS1_25lookback_scan_determinismE0ELb0ELb0ES3_PKdPddZZZN2at6native31launch_logcumsumexp_cuda_kernelERKNSB_10TensorBaseESF_lENKUlvE_clEvENKUlvE_clEvEUlddE_dEEDaPvRmT3_T4_T5_mT6_P12ihipStream_tbENKUlT_T0_E_clISt17integral_constantIbLb0EESV_IbLb1EEEEDaSR_SS_EUlSR_E0_NS1_11comp_targetILNS1_3genE0ELNS1_11target_archE4294967295ELNS1_3gpuE0ELNS1_3repE0EEENS1_30default_config_static_selectorELNS0_4arch9wavefront6targetE1EEEvT1_,comdat
	.globl	_ZN7rocprim17ROCPRIM_400000_NS6detail17trampoline_kernelINS0_14default_configENS1_20scan_config_selectorIdEEZZNS1_9scan_implILNS1_25lookback_scan_determinismE0ELb0ELb0ES3_PKdPddZZZN2at6native31launch_logcumsumexp_cuda_kernelERKNSB_10TensorBaseESF_lENKUlvE_clEvENKUlvE_clEvEUlddE_dEEDaPvRmT3_T4_T5_mT6_P12ihipStream_tbENKUlT_T0_E_clISt17integral_constantIbLb0EESV_IbLb1EEEEDaSR_SS_EUlSR_E0_NS1_11comp_targetILNS1_3genE0ELNS1_11target_archE4294967295ELNS1_3gpuE0ELNS1_3repE0EEENS1_30default_config_static_selectorELNS0_4arch9wavefront6targetE1EEEvT1_ ; -- Begin function _ZN7rocprim17ROCPRIM_400000_NS6detail17trampoline_kernelINS0_14default_configENS1_20scan_config_selectorIdEEZZNS1_9scan_implILNS1_25lookback_scan_determinismE0ELb0ELb0ES3_PKdPddZZZN2at6native31launch_logcumsumexp_cuda_kernelERKNSB_10TensorBaseESF_lENKUlvE_clEvENKUlvE_clEvEUlddE_dEEDaPvRmT3_T4_T5_mT6_P12ihipStream_tbENKUlT_T0_E_clISt17integral_constantIbLb0EESV_IbLb1EEEEDaSR_SS_EUlSR_E0_NS1_11comp_targetILNS1_3genE0ELNS1_11target_archE4294967295ELNS1_3gpuE0ELNS1_3repE0EEENS1_30default_config_static_selectorELNS0_4arch9wavefront6targetE1EEEvT1_
	.p2align	8
	.type	_ZN7rocprim17ROCPRIM_400000_NS6detail17trampoline_kernelINS0_14default_configENS1_20scan_config_selectorIdEEZZNS1_9scan_implILNS1_25lookback_scan_determinismE0ELb0ELb0ES3_PKdPddZZZN2at6native31launch_logcumsumexp_cuda_kernelERKNSB_10TensorBaseESF_lENKUlvE_clEvENKUlvE_clEvEUlddE_dEEDaPvRmT3_T4_T5_mT6_P12ihipStream_tbENKUlT_T0_E_clISt17integral_constantIbLb0EESV_IbLb1EEEEDaSR_SS_EUlSR_E0_NS1_11comp_targetILNS1_3genE0ELNS1_11target_archE4294967295ELNS1_3gpuE0ELNS1_3repE0EEENS1_30default_config_static_selectorELNS0_4arch9wavefront6targetE1EEEvT1_,@function
_ZN7rocprim17ROCPRIM_400000_NS6detail17trampoline_kernelINS0_14default_configENS1_20scan_config_selectorIdEEZZNS1_9scan_implILNS1_25lookback_scan_determinismE0ELb0ELb0ES3_PKdPddZZZN2at6native31launch_logcumsumexp_cuda_kernelERKNSB_10TensorBaseESF_lENKUlvE_clEvENKUlvE_clEvEUlddE_dEEDaPvRmT3_T4_T5_mT6_P12ihipStream_tbENKUlT_T0_E_clISt17integral_constantIbLb0EESV_IbLb1EEEEDaSR_SS_EUlSR_E0_NS1_11comp_targetILNS1_3genE0ELNS1_11target_archE4294967295ELNS1_3gpuE0ELNS1_3repE0EEENS1_30default_config_static_selectorELNS0_4arch9wavefront6targetE1EEEvT1_: ; @_ZN7rocprim17ROCPRIM_400000_NS6detail17trampoline_kernelINS0_14default_configENS1_20scan_config_selectorIdEEZZNS1_9scan_implILNS1_25lookback_scan_determinismE0ELb0ELb0ES3_PKdPddZZZN2at6native31launch_logcumsumexp_cuda_kernelERKNSB_10TensorBaseESF_lENKUlvE_clEvENKUlvE_clEvEUlddE_dEEDaPvRmT3_T4_T5_mT6_P12ihipStream_tbENKUlT_T0_E_clISt17integral_constantIbLb0EESV_IbLb1EEEEDaSR_SS_EUlSR_E0_NS1_11comp_targetILNS1_3genE0ELNS1_11target_archE4294967295ELNS1_3gpuE0ELNS1_3repE0EEENS1_30default_config_static_selectorELNS0_4arch9wavefront6targetE1EEEvT1_
; %bb.0:
	s_load_dwordx4 s[12:15], s[0:1], 0x0
	v_lshlrev_b32_e32 v18, 3, v0
	s_waitcnt lgkmcnt(0)
	s_load_dwordx2 s[10:11], s[12:13], 0x0
	v_cmp_gt_u32_e32 vcc, s14, v0
	s_waitcnt lgkmcnt(0)
	v_mov_b64_e32 v[2:3], s[10:11]
	s_and_saveexec_b64 s[2:3], vcc
	s_cbranch_execz .LBB75_2
; %bb.1:
	global_load_dwordx2 v[2:3], v18, s[12:13]
.LBB75_2:
	s_or_b64 exec, exec, s[2:3]
	v_or_b32_e32 v1, 0x100, v0
	v_cmp_gt_u32_e64 s[20:21], s14, v1
	v_mov_b64_e32 v[4:5], s[10:11]
	s_and_saveexec_b64 s[2:3], s[20:21]
	s_cbranch_execz .LBB75_4
; %bb.3:
	global_load_dwordx2 v[4:5], v18, s[12:13] offset:2048
.LBB75_4:
	s_or_b64 exec, exec, s[2:3]
	v_or_b32_e32 v1, 0x200, v0
	v_cmp_gt_u32_e64 s[2:3], s14, v1
	v_mov_b64_e32 v[6:7], s[10:11]
	s_and_saveexec_b64 s[4:5], s[2:3]
	s_cbranch_execz .LBB75_6
; %bb.5:
	v_lshlrev_b32_e32 v1, 3, v1
	global_load_dwordx2 v[6:7], v1, s[12:13]
.LBB75_6:
	s_or_b64 exec, exec, s[4:5]
	v_or_b32_e32 v1, 0x300, v0
	v_cmp_gt_u32_e64 s[4:5], s14, v1
	v_mov_b64_e32 v[8:9], s[10:11]
	s_and_saveexec_b64 s[6:7], s[4:5]
	s_cbranch_execz .LBB75_8
; %bb.7:
	v_lshlrev_b32_e32 v1, 3, v1
	global_load_dwordx2 v[8:9], v1, s[12:13]
.LBB75_8:
	;; [unrolled: 10-line block ×4, first 2 shown]
	s_or_b64 exec, exec, s[10:11]
	v_mad_u32_u24 v1, v0, 40, v18
	s_waitcnt vmcnt(0)
	ds_write2st64_b64 v18, v[2:3], v[4:5] offset1:4
	ds_write2st64_b64 v18, v[6:7], v[8:9] offset0:8 offset1:12
	ds_write2st64_b64 v18, v[10:11], v[12:13] offset0:16 offset1:20
	s_waitcnt lgkmcnt(0)
	s_barrier
	ds_read_b128 v[2:5], v1
	ds_read_b128 v[10:13], v1 offset:16
	ds_read_b128 v[6:9], v1 offset:32
	s_movk_i32 s26, 0x1f8
	s_waitcnt lgkmcnt(0)
	v_max_f64 v[28:29], v[4:5], v[4:5]
	v_max_f64 v[30:31], v[2:3], v[2:3]
	v_min_f64 v[32:33], v[30:31], v[28:29]
	v_cmp_u_f64_e64 s[22:23], v[2:3], v[2:3]
	v_cmp_u_f64_e64 s[10:11], v[4:5], v[4:5]
	v_max_f64 v[34:35], v[30:31], v[28:29]
	v_cndmask_b32_e64 v1, v32, v2, s[22:23]
	v_cndmask_b32_e64 v14, v33, v3, s[22:23]
	;; [unrolled: 1-line block ×8, first 2 shown]
	v_cmp_neq_f64_e64 s[12:13], v[16:17], v[14:15]
	v_cmp_class_f64_e64 s[14:15], v[16:17], s26
	s_or_b64 s[12:13], s[12:13], s[14:15]
	v_mov_b64_e32 v[36:37], v[2:3]
	s_barrier
	s_and_saveexec_b64 s[16:17], s[12:13]
	s_cbranch_execz .LBB75_14
; %bb.13:
	s_mov_b32 s12, 0x652b82fe
	v_add_f64 v[16:17], v[16:17], -v[14:15]
	s_mov_b32 s13, 0x3ff71547
	v_mul_f64 v[20:21], v[16:17], s[12:13]
	v_rndne_f64_e32 v[20:21], v[20:21]
	s_mov_b32 s19, 0xbfe62e42
	s_mov_b32 s18, 0xfefa39ef
	v_fma_f64 v[22:23], s[18:19], v[20:21], v[16:17]
	s_mov_b32 s25, 0xbc7abc9e
	s_mov_b32 s24, 0x3b39803f
	;; [unrolled: 1-line block ×3, first 2 shown]
	v_fmac_f64_e32 v[22:23], s[24:25], v[20:21]
	v_mov_b32_e32 v24, 0xfca7ab0c
	v_mov_b32_e32 v25, 0x3e928af3
	s_mov_b32 s13, 0x3e5ade15
	v_fmac_f64_e32 v[24:25], s[12:13], v[22:23]
	v_mov_b32_e32 v26, 0x623fde64
	v_mov_b32_e32 v27, 0x3ec71dee
	v_fmac_f64_e32 v[26:27], v[22:23], v[24:25]
	v_mov_b32_e32 v24, 0x7c89e6b0
	v_mov_b32_e32 v25, 0x3efa0199
	;; [unrolled: 3-line block ×8, first 2 shown]
	v_fmac_f64_e32 v[24:25], v[22:23], v[26:27]
	v_fma_f64 v[24:25], v[22:23], v[24:25], 1.0
	s_mov_b32 s12, 0
	s_mov_b32 s14, 0
	v_fma_f64 v[22:23], v[22:23], v[24:25], 1.0
	v_cvt_i32_f64_e32 v1, v[20:21]
	s_mov_b32 s13, 0x40900000
	s_mov_b32 s15, 0xc090cc00
	v_ldexp_f64 v[20:21], v[22:23], v1
	v_mov_b32_e32 v1, 0x7ff00000
	v_cmp_nlt_f64_e64 s[12:13], s[12:13], v[16:17]
	v_cmp_ngt_f64_e64 s[14:15], s[14:15], v[16:17]
	s_mov_b32 s19, 0x3fe62e42
	v_cndmask_b32_e64 v19, v1, v21, s[12:13]
	s_and_b64 s[12:13], s[14:15], s[12:13]
	v_cndmask_b32_e64 v17, 0, v19, s[14:15]
	v_cndmask_b32_e64 v16, 0, v20, s[12:13]
	v_add_f64 v[20:21], v[16:17], 1.0
	v_add_f64 v[22:23], v[20:21], -1.0
	v_add_f64 v[24:25], v[22:23], -v[20:21]
	v_add_f64 v[24:25], v[24:25], 1.0
	v_add_f64 v[22:23], v[16:17], -v[22:23]
	s_mov_b32 s12, 0x55555555
	v_add_f64 v[22:23], v[22:23], v[24:25]
	v_frexp_mant_f64_e32 v[24:25], v[20:21]
	s_mov_b32 s13, 0x3fe55555
	v_frexp_exp_i32_f64_e32 v19, v[20:21]
	v_cmp_gt_f64_e64 s[12:13], s[12:13], v[24:25]
	s_mov_b32 s25, 0x3c7abc9e
	v_cmp_ngt_f64_e64 s[14:15], -1.0, v[16:17]
	v_subbrev_co_u32_e64 v19, s[12:13], 0, v19, s[12:13]
	v_sub_u32_e32 v24, 0, v19
	v_ldexp_f64 v[20:21], v[20:21], v24
	v_ldexp_f64 v[22:23], v[22:23], v24
	v_add_f64 v[24:25], v[20:21], -1.0
	v_add_f64 v[38:39], v[20:21], 1.0
	v_add_f64 v[26:27], v[24:25], 1.0
	v_add_f64 v[40:41], v[38:39], -1.0
	v_add_f64 v[26:27], v[20:21], -v[26:27]
	v_add_f64 v[20:21], v[20:21], -v[40:41]
	v_add_f64 v[20:21], v[22:23], v[20:21]
	v_add_f64 v[26:27], v[22:23], v[26:27]
	;; [unrolled: 1-line block ×3, first 2 shown]
	v_rcp_f64_e32 v[40:41], v[22:23]
	v_add_f64 v[36:37], v[24:25], v[26:27]
	v_add_f64 v[24:25], v[36:37], -v[24:25]
	v_add_f64 v[24:25], v[26:27], -v[24:25]
	;; [unrolled: 1-line block ×4, first 2 shown]
	v_fma_f64 v[26:27], -v[22:23], v[40:41], 1.0
	v_fmac_f64_e32 v[40:41], v[26:27], v[40:41]
	v_fma_f64 v[26:27], -v[22:23], v[40:41], 1.0
	v_fmac_f64_e32 v[40:41], v[26:27], v[40:41]
	v_mul_f64 v[26:27], v[36:37], v[40:41]
	v_mul_f64 v[38:39], v[22:23], v[26:27]
	v_fma_f64 v[42:43], v[26:27], v[22:23], -v[38:39]
	v_fmac_f64_e32 v[42:43], v[26:27], v[20:21]
	v_add_f64 v[44:45], v[38:39], v[42:43]
	v_add_f64 v[46:47], v[36:37], -v[44:45]
	v_add_f64 v[36:37], v[36:37], -v[46:47]
	;; [unrolled: 1-line block ×4, first 2 shown]
	v_add_f64 v[24:25], v[24:25], v[36:37]
	v_add_f64 v[36:37], v[38:39], -v[42:43]
	v_add_f64 v[24:25], v[36:37], v[24:25]
	v_add_f64 v[36:37], v[46:47], v[24:25]
	v_add_f64 v[38:39], v[46:47], -v[36:37]
	v_add_f64 v[24:25], v[24:25], v[38:39]
	v_mul_f64 v[38:39], v[40:41], v[36:37]
	v_mul_f64 v[42:43], v[22:23], v[38:39]
	v_fma_f64 v[22:23], v[38:39], v[22:23], -v[42:43]
	v_fmac_f64_e32 v[22:23], v[38:39], v[20:21]
	v_add_f64 v[20:21], v[42:43], v[22:23]
	v_add_f64 v[44:45], v[36:37], -v[20:21]
	v_add_f64 v[36:37], v[36:37], -v[44:45]
	;; [unrolled: 1-line block ×4, first 2 shown]
	v_add_f64 v[20:21], v[24:25], v[20:21]
	v_add_f64 v[22:23], v[42:43], -v[22:23]
	v_add_f64 v[20:21], v[22:23], v[20:21]
	v_add_f64 v[22:23], v[26:27], v[38:39]
	;; [unrolled: 1-line block ×3, first 2 shown]
	v_add_f64 v[24:25], v[22:23], -v[26:27]
	v_mul_f64 v[20:21], v[40:41], v[20:21]
	v_add_f64 v[24:25], v[38:39], -v[24:25]
	v_add_f64 v[20:21], v[24:25], v[20:21]
	v_add_f64 v[24:25], v[22:23], v[20:21]
	v_add_f64 v[22:23], v[24:25], -v[22:23]
	s_mov_b32 s12, 0xbf559e2b
	v_add_f64 v[20:21], v[20:21], -v[22:23]
	v_mul_f64 v[22:23], v[24:25], v[24:25]
	v_mov_b32_e32 v26, 0x6b47b09a
	v_mov_b32_e32 v27, 0x3fc38538
	s_mov_b32 s13, 0x3fc3ab76
	v_fmac_f64_e32 v[26:27], s[12:13], v[22:23]
	v_mov_b32_e32 v36, 0xd7f4df2e
	v_mov_b32_e32 v37, 0x3fc7474d
	v_fmac_f64_e32 v[36:37], v[22:23], v[26:27]
	v_mov_b32_e32 v26, 0x16291751
	v_mov_b32_e32 v27, 0x3fcc71c0
	;; [unrolled: 3-line block ×5, first 2 shown]
	v_fmac_f64_e32 v[36:37], v[22:23], v[26:27]
	v_cvt_f64_i32_e32 v[26:27], v19
	v_mul_f64 v[38:39], v[26:27], s[18:19]
	v_fma_f64 v[40:41], v[26:27], s[18:19], -v[38:39]
	v_fmac_f64_e32 v[40:41], s[24:25], v[26:27]
	v_add_f64 v[26:27], v[38:39], v[40:41]
	v_add_f64 v[38:39], v[26:27], -v[38:39]
	v_mul_f64 v[22:23], v[24:25], v[22:23]
	v_add_f64 v[38:39], v[40:41], -v[38:39]
	v_ldexp_f64 v[40:41], v[24:25], 1
	v_mul_f64 v[22:23], v[22:23], v[36:37]
	v_add_f64 v[24:25], v[40:41], v[22:23]
	v_add_f64 v[36:37], v[24:25], -v[40:41]
	v_ldexp_f64 v[20:21], v[20:21], 1
	v_add_f64 v[22:23], v[22:23], -v[36:37]
	v_add_f64 v[20:21], v[20:21], v[22:23]
	v_add_f64 v[22:23], v[24:25], v[20:21]
	v_add_f64 v[24:25], v[22:23], -v[24:25]
	v_add_f64 v[20:21], v[20:21], -v[24:25]
	v_add_f64 v[24:25], v[26:27], v[22:23]
	v_add_f64 v[36:37], v[24:25], -v[26:27]
	v_add_f64 v[40:41], v[24:25], -v[36:37]
	;; [unrolled: 1-line block ×4, first 2 shown]
	v_add_f64 v[22:23], v[22:23], v[26:27]
	v_add_f64 v[26:27], v[38:39], v[20:21]
	v_add_f64 v[36:37], v[26:27], -v[38:39]
	v_add_f64 v[22:23], v[26:27], v[22:23]
	v_add_f64 v[40:41], v[26:27], -v[36:37]
	;; [unrolled: 2-line block ×3, first 2 shown]
	v_add_f64 v[20:21], v[20:21], -v[36:37]
	v_add_f64 v[24:25], v[26:27], -v[24:25]
	v_add_f64 v[20:21], v[20:21], v[38:39]
	v_add_f64 v[22:23], v[22:23], -v[24:25]
	s_mov_b32 s12, 0
	v_add_f64 v[20:21], v[20:21], v[22:23]
	s_mov_b32 s13, 0x7ff00000
	v_add_f64 v[20:21], v[26:27], v[20:21]
	v_cmp_neq_f64_e64 s[12:13], s[12:13], v[16:17]
	v_mov_b32_e32 v19, 0x7ff80000
	s_nop 0
	v_cndmask_b32_e64 v1, v1, v21, s[12:13]
	v_cndmask_b32_e64 v1, v19, v1, s[14:15]
	v_cmp_nge_f64_e64 s[14:15], -1.0, v[16:17]
	s_and_b64 s[12:13], s[14:15], s[12:13]
	v_cndmask_b32_e64 v20, 0, v20, s[12:13]
	v_mov_b32_e32 v19, 0xfff00000
	v_cmp_neq_f64_e64 s[12:13], -1.0, v[16:17]
	s_nop 1
	v_cndmask_b32_e64 v21, v19, v1, s[12:13]
	v_add_f64 v[36:37], v[14:15], v[20:21]
.LBB75_14:
	s_or_b64 exec, exec, s[16:17]
	v_max_f64 v[20:21], v[10:11], v[10:11]
	v_max_f64 v[14:15], v[36:37], v[36:37]
	v_min_f64 v[16:17], v[14:15], v[20:21]
	v_cmp_u_f64_e64 s[14:15], v[36:37], v[36:37]
	v_cmp_u_f64_e64 s[12:13], v[10:11], v[10:11]
	v_max_f64 v[14:15], v[14:15], v[20:21]
	v_cndmask_b32_e64 v1, v16, v36, s[14:15]
	v_cndmask_b32_e64 v16, v17, v37, s[14:15]
	;; [unrolled: 1-line block ×8, first 2 shown]
	v_cmp_neq_f64_e64 s[14:15], v[16:17], v[14:15]
	v_cmp_class_f64_e64 s[16:17], v[16:17], s26
	s_or_b64 s[14:15], s[14:15], s[16:17]
	s_and_saveexec_b64 s[18:19], s[14:15]
	s_cbranch_execz .LBB75_16
; %bb.15:
	s_mov_b32 s14, 0x652b82fe
	v_add_f64 v[16:17], v[16:17], -v[14:15]
	s_mov_b32 s15, 0x3ff71547
	v_mul_f64 v[22:23], v[16:17], s[14:15]
	v_rndne_f64_e32 v[22:23], v[22:23]
	s_mov_b32 s25, 0xbfe62e42
	s_mov_b32 s24, 0xfefa39ef
	v_fma_f64 v[24:25], s[24:25], v[22:23], v[16:17]
	s_mov_b32 s27, 0xbc7abc9e
	s_mov_b32 s26, 0x3b39803f
	;; [unrolled: 1-line block ×3, first 2 shown]
	v_fmac_f64_e32 v[24:25], s[26:27], v[22:23]
	v_mov_b32_e32 v26, 0xfca7ab0c
	v_mov_b32_e32 v27, 0x3e928af3
	s_mov_b32 s15, 0x3e5ade15
	v_fmac_f64_e32 v[26:27], s[14:15], v[24:25]
	v_mov_b32_e32 v36, 0x623fde64
	v_mov_b32_e32 v37, 0x3ec71dee
	v_fmac_f64_e32 v[36:37], v[24:25], v[26:27]
	v_mov_b32_e32 v26, 0x7c89e6b0
	v_mov_b32_e32 v27, 0x3efa0199
	;; [unrolled: 3-line block ×8, first 2 shown]
	v_fmac_f64_e32 v[26:27], v[24:25], v[36:37]
	v_fma_f64 v[26:27], v[24:25], v[26:27], 1.0
	s_mov_b32 s14, 0
	s_mov_b32 s16, 0
	v_fma_f64 v[24:25], v[24:25], v[26:27], 1.0
	v_cvt_i32_f64_e32 v1, v[22:23]
	s_mov_b32 s15, 0x40900000
	s_mov_b32 s17, 0xc090cc00
	v_ldexp_f64 v[22:23], v[24:25], v1
	v_mov_b32_e32 v1, 0x7ff00000
	v_cmp_nlt_f64_e64 s[14:15], s[14:15], v[16:17]
	v_cmp_ngt_f64_e64 s[16:17], s[16:17], v[16:17]
	s_mov_b32 s25, 0x3fe62e42
	v_cndmask_b32_e64 v19, v1, v23, s[14:15]
	s_and_b64 s[14:15], s[16:17], s[14:15]
	v_cndmask_b32_e64 v17, 0, v19, s[16:17]
	v_cndmask_b32_e64 v16, 0, v22, s[14:15]
	v_add_f64 v[22:23], v[16:17], 1.0
	v_add_f64 v[24:25], v[22:23], -1.0
	v_add_f64 v[26:27], v[24:25], -v[22:23]
	v_add_f64 v[26:27], v[26:27], 1.0
	v_add_f64 v[24:25], v[16:17], -v[24:25]
	s_mov_b32 s14, 0x55555555
	v_add_f64 v[24:25], v[24:25], v[26:27]
	v_frexp_mant_f64_e32 v[26:27], v[22:23]
	s_mov_b32 s15, 0x3fe55555
	v_frexp_exp_i32_f64_e32 v19, v[22:23]
	v_cmp_gt_f64_e64 s[14:15], s[14:15], v[26:27]
	s_mov_b32 s27, 0x3c7abc9e
	v_cmp_ngt_f64_e64 s[16:17], -1.0, v[16:17]
	v_subbrev_co_u32_e64 v19, s[14:15], 0, v19, s[14:15]
	v_sub_u32_e32 v26, 0, v19
	v_ldexp_f64 v[22:23], v[22:23], v26
	v_ldexp_f64 v[24:25], v[24:25], v26
	v_add_f64 v[26:27], v[22:23], -1.0
	v_add_f64 v[40:41], v[22:23], 1.0
	v_add_f64 v[36:37], v[26:27], 1.0
	v_add_f64 v[42:43], v[40:41], -1.0
	v_add_f64 v[36:37], v[22:23], -v[36:37]
	v_add_f64 v[22:23], v[22:23], -v[42:43]
	v_add_f64 v[22:23], v[24:25], v[22:23]
	v_add_f64 v[36:37], v[24:25], v[36:37]
	;; [unrolled: 1-line block ×3, first 2 shown]
	v_rcp_f64_e32 v[42:43], v[24:25]
	v_add_f64 v[38:39], v[26:27], v[36:37]
	v_add_f64 v[26:27], v[38:39], -v[26:27]
	v_add_f64 v[26:27], v[36:37], -v[26:27]
	;; [unrolled: 1-line block ×4, first 2 shown]
	v_fma_f64 v[36:37], -v[24:25], v[42:43], 1.0
	v_fmac_f64_e32 v[42:43], v[36:37], v[42:43]
	v_fma_f64 v[36:37], -v[24:25], v[42:43], 1.0
	v_fmac_f64_e32 v[42:43], v[36:37], v[42:43]
	v_mul_f64 v[36:37], v[38:39], v[42:43]
	v_mul_f64 v[40:41], v[24:25], v[36:37]
	v_fma_f64 v[44:45], v[36:37], v[24:25], -v[40:41]
	v_fmac_f64_e32 v[44:45], v[36:37], v[22:23]
	v_add_f64 v[46:47], v[40:41], v[44:45]
	v_add_f64 v[48:49], v[38:39], -v[46:47]
	v_add_f64 v[38:39], v[38:39], -v[48:49]
	;; [unrolled: 1-line block ×4, first 2 shown]
	v_add_f64 v[26:27], v[26:27], v[38:39]
	v_add_f64 v[38:39], v[40:41], -v[44:45]
	v_add_f64 v[26:27], v[38:39], v[26:27]
	v_add_f64 v[38:39], v[48:49], v[26:27]
	v_add_f64 v[40:41], v[48:49], -v[38:39]
	v_add_f64 v[26:27], v[26:27], v[40:41]
	v_mul_f64 v[40:41], v[42:43], v[38:39]
	v_mul_f64 v[44:45], v[24:25], v[40:41]
	v_fma_f64 v[24:25], v[40:41], v[24:25], -v[44:45]
	v_fmac_f64_e32 v[24:25], v[40:41], v[22:23]
	v_add_f64 v[22:23], v[44:45], v[24:25]
	v_add_f64 v[46:47], v[38:39], -v[22:23]
	v_add_f64 v[38:39], v[38:39], -v[46:47]
	;; [unrolled: 1-line block ×4, first 2 shown]
	v_add_f64 v[22:23], v[26:27], v[22:23]
	v_add_f64 v[24:25], v[44:45], -v[24:25]
	v_add_f64 v[22:23], v[24:25], v[22:23]
	v_add_f64 v[24:25], v[36:37], v[40:41]
	;; [unrolled: 1-line block ×3, first 2 shown]
	v_add_f64 v[26:27], v[24:25], -v[36:37]
	v_mul_f64 v[22:23], v[42:43], v[22:23]
	v_add_f64 v[26:27], v[40:41], -v[26:27]
	v_add_f64 v[22:23], v[26:27], v[22:23]
	v_add_f64 v[26:27], v[24:25], v[22:23]
	v_add_f64 v[24:25], v[26:27], -v[24:25]
	s_mov_b32 s14, 0xbf559e2b
	v_add_f64 v[22:23], v[22:23], -v[24:25]
	v_mul_f64 v[24:25], v[26:27], v[26:27]
	v_mov_b32_e32 v36, 0x6b47b09a
	v_mov_b32_e32 v37, 0x3fc38538
	s_mov_b32 s15, 0x3fc3ab76
	v_fmac_f64_e32 v[36:37], s[14:15], v[24:25]
	v_mov_b32_e32 v38, 0xd7f4df2e
	v_mov_b32_e32 v39, 0x3fc7474d
	v_fmac_f64_e32 v[38:39], v[24:25], v[36:37]
	v_mov_b32_e32 v36, 0x16291751
	v_mov_b32_e32 v37, 0x3fcc71c0
	;; [unrolled: 3-line block ×5, first 2 shown]
	v_fmac_f64_e32 v[38:39], v[24:25], v[36:37]
	v_cvt_f64_i32_e32 v[36:37], v19
	v_mul_f64 v[40:41], v[36:37], s[24:25]
	v_fma_f64 v[42:43], v[36:37], s[24:25], -v[40:41]
	v_fmac_f64_e32 v[42:43], s[26:27], v[36:37]
	v_add_f64 v[36:37], v[40:41], v[42:43]
	v_add_f64 v[40:41], v[36:37], -v[40:41]
	v_mul_f64 v[24:25], v[26:27], v[24:25]
	v_add_f64 v[40:41], v[42:43], -v[40:41]
	v_ldexp_f64 v[42:43], v[26:27], 1
	v_mul_f64 v[24:25], v[24:25], v[38:39]
	v_add_f64 v[26:27], v[42:43], v[24:25]
	v_add_f64 v[38:39], v[26:27], -v[42:43]
	v_ldexp_f64 v[22:23], v[22:23], 1
	v_add_f64 v[24:25], v[24:25], -v[38:39]
	v_add_f64 v[22:23], v[22:23], v[24:25]
	v_add_f64 v[24:25], v[26:27], v[22:23]
	v_add_f64 v[26:27], v[24:25], -v[26:27]
	v_add_f64 v[22:23], v[22:23], -v[26:27]
	v_add_f64 v[26:27], v[36:37], v[24:25]
	v_add_f64 v[38:39], v[26:27], -v[36:37]
	v_add_f64 v[42:43], v[26:27], -v[38:39]
	;; [unrolled: 1-line block ×4, first 2 shown]
	v_add_f64 v[24:25], v[24:25], v[36:37]
	v_add_f64 v[36:37], v[40:41], v[22:23]
	v_add_f64 v[38:39], v[36:37], -v[40:41]
	v_add_f64 v[24:25], v[36:37], v[24:25]
	v_add_f64 v[42:43], v[36:37], -v[38:39]
	;; [unrolled: 2-line block ×3, first 2 shown]
	v_add_f64 v[22:23], v[22:23], -v[38:39]
	v_add_f64 v[26:27], v[36:37], -v[26:27]
	v_add_f64 v[22:23], v[22:23], v[40:41]
	v_add_f64 v[24:25], v[24:25], -v[26:27]
	s_mov_b32 s14, 0
	v_add_f64 v[22:23], v[22:23], v[24:25]
	s_mov_b32 s15, 0x7ff00000
	v_add_f64 v[22:23], v[36:37], v[22:23]
	v_cmp_neq_f64_e64 s[14:15], s[14:15], v[16:17]
	v_mov_b32_e32 v19, 0x7ff80000
	s_nop 0
	v_cndmask_b32_e64 v1, v1, v23, s[14:15]
	v_cndmask_b32_e64 v1, v19, v1, s[16:17]
	v_cmp_nge_f64_e64 s[16:17], -1.0, v[16:17]
	s_and_b64 s[14:15], s[16:17], s[14:15]
	v_cndmask_b32_e64 v22, 0, v22, s[14:15]
	v_mov_b32_e32 v19, 0xfff00000
	v_cmp_neq_f64_e64 s[14:15], -1.0, v[16:17]
	s_nop 1
	v_cndmask_b32_e64 v23, v19, v1, s[14:15]
	v_add_f64 v[36:37], v[14:15], v[22:23]
.LBB75_16:
	s_or_b64 exec, exec, s[18:19]
	v_max_f64 v[22:23], v[12:13], v[12:13]
	v_max_f64 v[14:15], v[36:37], v[36:37]
	v_min_f64 v[16:17], v[14:15], v[22:23]
	v_cmp_u_f64_e64 s[16:17], v[36:37], v[36:37]
	v_cmp_u_f64_e64 s[14:15], v[12:13], v[12:13]
	v_max_f64 v[14:15], v[14:15], v[22:23]
	v_cndmask_b32_e64 v1, v16, v36, s[16:17]
	v_cndmask_b32_e64 v16, v17, v37, s[16:17]
	;; [unrolled: 1-line block ×8, first 2 shown]
	s_movk_i32 s30, 0x1f8
	v_cmp_neq_f64_e64 s[16:17], v[16:17], v[14:15]
	v_cmp_class_f64_e64 s[18:19], v[16:17], s30
	s_or_b64 s[16:17], s[16:17], s[18:19]
	s_and_saveexec_b64 s[24:25], s[16:17]
	s_cbranch_execz .LBB75_18
; %bb.17:
	s_mov_b32 s16, 0x652b82fe
	v_add_f64 v[16:17], v[16:17], -v[14:15]
	s_mov_b32 s17, 0x3ff71547
	v_mul_f64 v[24:25], v[16:17], s[16:17]
	v_rndne_f64_e32 v[24:25], v[24:25]
	s_mov_b32 s27, 0xbfe62e42
	s_mov_b32 s26, 0xfefa39ef
	v_fma_f64 v[26:27], s[26:27], v[24:25], v[16:17]
	s_mov_b32 s29, 0xbc7abc9e
	s_mov_b32 s28, 0x3b39803f
	s_mov_b32 s16, 0x6a5dcb37
	v_fmac_f64_e32 v[26:27], s[28:29], v[24:25]
	v_mov_b32_e32 v36, 0xfca7ab0c
	v_mov_b32_e32 v37, 0x3e928af3
	s_mov_b32 s17, 0x3e5ade15
	v_fmac_f64_e32 v[36:37], s[16:17], v[26:27]
	v_mov_b32_e32 v38, 0x623fde64
	v_mov_b32_e32 v39, 0x3ec71dee
	v_fmac_f64_e32 v[38:39], v[26:27], v[36:37]
	v_mov_b32_e32 v36, 0x7c89e6b0
	v_mov_b32_e32 v37, 0x3efa0199
	;; [unrolled: 3-line block ×8, first 2 shown]
	v_fmac_f64_e32 v[36:37], v[26:27], v[38:39]
	v_fma_f64 v[36:37], v[26:27], v[36:37], 1.0
	s_mov_b32 s16, 0
	s_mov_b32 s18, 0
	v_fma_f64 v[26:27], v[26:27], v[36:37], 1.0
	v_cvt_i32_f64_e32 v1, v[24:25]
	s_mov_b32 s17, 0x40900000
	s_mov_b32 s19, 0xc090cc00
	v_ldexp_f64 v[24:25], v[26:27], v1
	v_mov_b32_e32 v1, 0x7ff00000
	v_cmp_nlt_f64_e64 s[16:17], s[16:17], v[16:17]
	v_cmp_ngt_f64_e64 s[18:19], s[18:19], v[16:17]
	s_mov_b32 s27, 0x3fe62e42
	v_cndmask_b32_e64 v19, v1, v25, s[16:17]
	s_and_b64 s[16:17], s[18:19], s[16:17]
	v_cndmask_b32_e64 v17, 0, v19, s[18:19]
	v_cndmask_b32_e64 v16, 0, v24, s[16:17]
	v_add_f64 v[24:25], v[16:17], 1.0
	v_add_f64 v[26:27], v[24:25], -1.0
	v_add_f64 v[36:37], v[26:27], -v[24:25]
	v_add_f64 v[36:37], v[36:37], 1.0
	v_add_f64 v[26:27], v[16:17], -v[26:27]
	s_mov_b32 s16, 0x55555555
	v_add_f64 v[26:27], v[26:27], v[36:37]
	v_frexp_mant_f64_e32 v[36:37], v[24:25]
	s_mov_b32 s17, 0x3fe55555
	v_frexp_exp_i32_f64_e32 v19, v[24:25]
	v_cmp_gt_f64_e64 s[16:17], s[16:17], v[36:37]
	s_mov_b32 s29, 0x3c7abc9e
	v_cmp_ngt_f64_e64 s[18:19], -1.0, v[16:17]
	v_subbrev_co_u32_e64 v19, s[16:17], 0, v19, s[16:17]
	v_sub_u32_e32 v36, 0, v19
	v_ldexp_f64 v[24:25], v[24:25], v36
	v_ldexp_f64 v[26:27], v[26:27], v36
	v_add_f64 v[36:37], v[24:25], -1.0
	v_add_f64 v[42:43], v[24:25], 1.0
	v_add_f64 v[38:39], v[36:37], 1.0
	v_add_f64 v[44:45], v[42:43], -1.0
	v_add_f64 v[38:39], v[24:25], -v[38:39]
	v_add_f64 v[24:25], v[24:25], -v[44:45]
	v_add_f64 v[24:25], v[26:27], v[24:25]
	v_add_f64 v[38:39], v[26:27], v[38:39]
	;; [unrolled: 1-line block ×3, first 2 shown]
	v_rcp_f64_e32 v[44:45], v[26:27]
	v_add_f64 v[40:41], v[36:37], v[38:39]
	v_add_f64 v[36:37], v[40:41], -v[36:37]
	v_add_f64 v[36:37], v[38:39], -v[36:37]
	v_add_f64 v[38:39], v[26:27], -v[42:43]
	v_add_f64 v[24:25], v[24:25], -v[38:39]
	v_fma_f64 v[38:39], -v[26:27], v[44:45], 1.0
	v_fmac_f64_e32 v[44:45], v[38:39], v[44:45]
	v_fma_f64 v[38:39], -v[26:27], v[44:45], 1.0
	v_fmac_f64_e32 v[44:45], v[38:39], v[44:45]
	v_mul_f64 v[38:39], v[40:41], v[44:45]
	v_mul_f64 v[42:43], v[26:27], v[38:39]
	v_fma_f64 v[46:47], v[38:39], v[26:27], -v[42:43]
	v_fmac_f64_e32 v[46:47], v[38:39], v[24:25]
	v_add_f64 v[48:49], v[42:43], v[46:47]
	v_add_f64 v[50:51], v[40:41], -v[48:49]
	v_add_f64 v[40:41], v[40:41], -v[50:51]
	;; [unrolled: 1-line block ×4, first 2 shown]
	v_add_f64 v[36:37], v[36:37], v[40:41]
	v_add_f64 v[40:41], v[42:43], -v[46:47]
	v_add_f64 v[36:37], v[40:41], v[36:37]
	v_add_f64 v[40:41], v[50:51], v[36:37]
	v_add_f64 v[42:43], v[50:51], -v[40:41]
	v_add_f64 v[36:37], v[36:37], v[42:43]
	v_mul_f64 v[42:43], v[44:45], v[40:41]
	v_mul_f64 v[46:47], v[26:27], v[42:43]
	v_fma_f64 v[26:27], v[42:43], v[26:27], -v[46:47]
	v_fmac_f64_e32 v[26:27], v[42:43], v[24:25]
	v_add_f64 v[24:25], v[46:47], v[26:27]
	v_add_f64 v[48:49], v[40:41], -v[24:25]
	v_add_f64 v[40:41], v[40:41], -v[48:49]
	;; [unrolled: 1-line block ×4, first 2 shown]
	v_add_f64 v[24:25], v[36:37], v[24:25]
	v_add_f64 v[26:27], v[46:47], -v[26:27]
	v_add_f64 v[24:25], v[26:27], v[24:25]
	v_add_f64 v[26:27], v[38:39], v[42:43]
	;; [unrolled: 1-line block ×3, first 2 shown]
	v_add_f64 v[36:37], v[26:27], -v[38:39]
	v_mul_f64 v[24:25], v[44:45], v[24:25]
	v_add_f64 v[36:37], v[42:43], -v[36:37]
	v_add_f64 v[24:25], v[36:37], v[24:25]
	v_add_f64 v[36:37], v[26:27], v[24:25]
	v_add_f64 v[26:27], v[36:37], -v[26:27]
	s_mov_b32 s16, 0xbf559e2b
	v_add_f64 v[24:25], v[24:25], -v[26:27]
	v_mul_f64 v[26:27], v[36:37], v[36:37]
	v_mov_b32_e32 v38, 0x6b47b09a
	v_mov_b32_e32 v39, 0x3fc38538
	s_mov_b32 s17, 0x3fc3ab76
	v_fmac_f64_e32 v[38:39], s[16:17], v[26:27]
	v_mov_b32_e32 v40, 0xd7f4df2e
	v_mov_b32_e32 v41, 0x3fc7474d
	v_fmac_f64_e32 v[40:41], v[26:27], v[38:39]
	v_mov_b32_e32 v38, 0x16291751
	v_mov_b32_e32 v39, 0x3fcc71c0
	;; [unrolled: 3-line block ×5, first 2 shown]
	v_fmac_f64_e32 v[40:41], v[26:27], v[38:39]
	v_cvt_f64_i32_e32 v[38:39], v19
	v_mul_f64 v[42:43], v[38:39], s[26:27]
	v_fma_f64 v[44:45], v[38:39], s[26:27], -v[42:43]
	v_fmac_f64_e32 v[44:45], s[28:29], v[38:39]
	v_add_f64 v[38:39], v[42:43], v[44:45]
	v_add_f64 v[42:43], v[38:39], -v[42:43]
	v_mul_f64 v[26:27], v[36:37], v[26:27]
	v_add_f64 v[42:43], v[44:45], -v[42:43]
	v_ldexp_f64 v[44:45], v[36:37], 1
	v_mul_f64 v[26:27], v[26:27], v[40:41]
	v_add_f64 v[36:37], v[44:45], v[26:27]
	v_add_f64 v[40:41], v[36:37], -v[44:45]
	v_ldexp_f64 v[24:25], v[24:25], 1
	v_add_f64 v[26:27], v[26:27], -v[40:41]
	v_add_f64 v[24:25], v[24:25], v[26:27]
	v_add_f64 v[26:27], v[36:37], v[24:25]
	v_add_f64 v[36:37], v[26:27], -v[36:37]
	v_add_f64 v[24:25], v[24:25], -v[36:37]
	v_add_f64 v[36:37], v[38:39], v[26:27]
	v_add_f64 v[40:41], v[36:37], -v[38:39]
	v_add_f64 v[44:45], v[36:37], -v[40:41]
	;; [unrolled: 1-line block ×4, first 2 shown]
	v_add_f64 v[26:27], v[26:27], v[38:39]
	v_add_f64 v[38:39], v[42:43], v[24:25]
	v_add_f64 v[40:41], v[38:39], -v[42:43]
	v_add_f64 v[26:27], v[38:39], v[26:27]
	v_add_f64 v[44:45], v[38:39], -v[40:41]
	;; [unrolled: 2-line block ×3, first 2 shown]
	v_add_f64 v[24:25], v[24:25], -v[40:41]
	v_add_f64 v[36:37], v[38:39], -v[36:37]
	v_add_f64 v[24:25], v[24:25], v[42:43]
	v_add_f64 v[26:27], v[26:27], -v[36:37]
	s_mov_b32 s16, 0
	v_add_f64 v[24:25], v[24:25], v[26:27]
	s_mov_b32 s17, 0x7ff00000
	v_add_f64 v[24:25], v[38:39], v[24:25]
	v_cmp_neq_f64_e64 s[16:17], s[16:17], v[16:17]
	v_mov_b32_e32 v19, 0x7ff80000
	s_nop 0
	v_cndmask_b32_e64 v1, v1, v25, s[16:17]
	v_cndmask_b32_e64 v1, v19, v1, s[18:19]
	v_cmp_nge_f64_e64 s[18:19], -1.0, v[16:17]
	s_and_b64 s[16:17], s[18:19], s[16:17]
	v_cndmask_b32_e64 v24, 0, v24, s[16:17]
	v_mov_b32_e32 v19, 0xfff00000
	v_cmp_neq_f64_e64 s[16:17], -1.0, v[16:17]
	s_nop 1
	v_cndmask_b32_e64 v25, v19, v1, s[16:17]
	v_add_f64 v[36:37], v[14:15], v[24:25]
.LBB75_18:
	s_or_b64 exec, exec, s[24:25]
	v_max_f64 v[24:25], v[6:7], v[6:7]
	v_max_f64 v[14:15], v[36:37], v[36:37]
	v_min_f64 v[16:17], v[14:15], v[24:25]
	v_cmp_u_f64_e64 s[18:19], v[36:37], v[36:37]
	v_cmp_u_f64_e64 s[16:17], v[6:7], v[6:7]
	v_max_f64 v[14:15], v[14:15], v[24:25]
	v_cndmask_b32_e64 v1, v16, v36, s[18:19]
	v_cndmask_b32_e64 v16, v17, v37, s[18:19]
	;; [unrolled: 1-line block ×8, first 2 shown]
	v_cmp_neq_f64_e64 s[18:19], v[16:17], v[14:15]
	v_cmp_class_f64_e64 s[24:25], v[16:17], s30
	s_or_b64 s[18:19], s[18:19], s[24:25]
	s_and_saveexec_b64 s[26:27], s[18:19]
	s_cbranch_execz .LBB75_20
; %bb.19:
	s_mov_b32 s18, 0x652b82fe
	v_add_f64 v[16:17], v[16:17], -v[14:15]
	s_mov_b32 s19, 0x3ff71547
	v_mul_f64 v[26:27], v[16:17], s[18:19]
	v_rndne_f64_e32 v[26:27], v[26:27]
	s_mov_b32 s29, 0xbfe62e42
	s_mov_b32 s28, 0xfefa39ef
	v_fma_f64 v[36:37], s[28:29], v[26:27], v[16:17]
	s_mov_b32 s31, 0xbc7abc9e
	s_mov_b32 s30, 0x3b39803f
	s_mov_b32 s18, 0x6a5dcb37
	v_fmac_f64_e32 v[36:37], s[30:31], v[26:27]
	v_mov_b32_e32 v38, 0xfca7ab0c
	v_mov_b32_e32 v39, 0x3e928af3
	s_mov_b32 s19, 0x3e5ade15
	v_fmac_f64_e32 v[38:39], s[18:19], v[36:37]
	v_mov_b32_e32 v40, 0x623fde64
	v_mov_b32_e32 v41, 0x3ec71dee
	v_fmac_f64_e32 v[40:41], v[36:37], v[38:39]
	v_mov_b32_e32 v38, 0x7c89e6b0
	v_mov_b32_e32 v39, 0x3efa0199
	;; [unrolled: 3-line block ×8, first 2 shown]
	v_fmac_f64_e32 v[38:39], v[36:37], v[40:41]
	v_fma_f64 v[38:39], v[36:37], v[38:39], 1.0
	s_mov_b32 s18, 0
	s_mov_b32 s24, 0
	v_fma_f64 v[36:37], v[36:37], v[38:39], 1.0
	v_cvt_i32_f64_e32 v1, v[26:27]
	s_mov_b32 s19, 0x40900000
	s_mov_b32 s25, 0xc090cc00
	v_ldexp_f64 v[26:27], v[36:37], v1
	v_mov_b32_e32 v1, 0x7ff00000
	v_cmp_nlt_f64_e64 s[18:19], s[18:19], v[16:17]
	v_cmp_ngt_f64_e64 s[24:25], s[24:25], v[16:17]
	s_mov_b32 s29, 0x3fe62e42
	v_cndmask_b32_e64 v19, v1, v27, s[18:19]
	s_and_b64 s[18:19], s[24:25], s[18:19]
	v_cndmask_b32_e64 v17, 0, v19, s[24:25]
	v_cndmask_b32_e64 v16, 0, v26, s[18:19]
	v_add_f64 v[26:27], v[16:17], 1.0
	v_add_f64 v[36:37], v[26:27], -1.0
	v_add_f64 v[38:39], v[36:37], -v[26:27]
	v_add_f64 v[38:39], v[38:39], 1.0
	v_add_f64 v[36:37], v[16:17], -v[36:37]
	s_mov_b32 s18, 0x55555555
	v_add_f64 v[36:37], v[36:37], v[38:39]
	v_frexp_mant_f64_e32 v[38:39], v[26:27]
	s_mov_b32 s19, 0x3fe55555
	v_frexp_exp_i32_f64_e32 v19, v[26:27]
	v_cmp_gt_f64_e64 s[18:19], s[18:19], v[38:39]
	s_mov_b32 s31, 0x3c7abc9e
	v_cmp_ngt_f64_e64 s[24:25], -1.0, v[16:17]
	v_subbrev_co_u32_e64 v19, s[18:19], 0, v19, s[18:19]
	v_sub_u32_e32 v38, 0, v19
	v_ldexp_f64 v[26:27], v[26:27], v38
	v_ldexp_f64 v[36:37], v[36:37], v38
	v_add_f64 v[38:39], v[26:27], -1.0
	v_add_f64 v[44:45], v[26:27], 1.0
	v_add_f64 v[40:41], v[38:39], 1.0
	v_add_f64 v[46:47], v[44:45], -1.0
	v_add_f64 v[40:41], v[26:27], -v[40:41]
	v_add_f64 v[26:27], v[26:27], -v[46:47]
	v_add_f64 v[26:27], v[36:37], v[26:27]
	v_add_f64 v[40:41], v[36:37], v[40:41]
	v_add_f64 v[36:37], v[44:45], v[26:27]
	v_rcp_f64_e32 v[46:47], v[36:37]
	v_add_f64 v[42:43], v[38:39], v[40:41]
	v_add_f64 v[38:39], v[42:43], -v[38:39]
	v_add_f64 v[38:39], v[40:41], -v[38:39]
	v_add_f64 v[40:41], v[36:37], -v[44:45]
	v_add_f64 v[26:27], v[26:27], -v[40:41]
	v_fma_f64 v[40:41], -v[36:37], v[46:47], 1.0
	v_fmac_f64_e32 v[46:47], v[40:41], v[46:47]
	v_fma_f64 v[40:41], -v[36:37], v[46:47], 1.0
	v_fmac_f64_e32 v[46:47], v[40:41], v[46:47]
	v_mul_f64 v[40:41], v[42:43], v[46:47]
	v_mul_f64 v[44:45], v[36:37], v[40:41]
	v_fma_f64 v[48:49], v[40:41], v[36:37], -v[44:45]
	v_fmac_f64_e32 v[48:49], v[40:41], v[26:27]
	v_add_f64 v[50:51], v[44:45], v[48:49]
	v_add_f64 v[52:53], v[42:43], -v[50:51]
	v_add_f64 v[42:43], v[42:43], -v[52:53]
	;; [unrolled: 1-line block ×4, first 2 shown]
	v_add_f64 v[38:39], v[38:39], v[42:43]
	v_add_f64 v[42:43], v[44:45], -v[48:49]
	v_add_f64 v[38:39], v[42:43], v[38:39]
	v_add_f64 v[42:43], v[52:53], v[38:39]
	v_add_f64 v[44:45], v[52:53], -v[42:43]
	v_add_f64 v[38:39], v[38:39], v[44:45]
	v_mul_f64 v[44:45], v[46:47], v[42:43]
	v_mul_f64 v[48:49], v[36:37], v[44:45]
	v_fma_f64 v[36:37], v[44:45], v[36:37], -v[48:49]
	v_fmac_f64_e32 v[36:37], v[44:45], v[26:27]
	v_add_f64 v[26:27], v[48:49], v[36:37]
	v_add_f64 v[50:51], v[42:43], -v[26:27]
	v_add_f64 v[42:43], v[42:43], -v[50:51]
	;; [unrolled: 1-line block ×4, first 2 shown]
	v_add_f64 v[26:27], v[38:39], v[26:27]
	v_add_f64 v[36:37], v[48:49], -v[36:37]
	v_add_f64 v[26:27], v[36:37], v[26:27]
	v_add_f64 v[36:37], v[40:41], v[44:45]
	v_add_f64 v[26:27], v[50:51], v[26:27]
	v_add_f64 v[38:39], v[36:37], -v[40:41]
	v_mul_f64 v[26:27], v[46:47], v[26:27]
	v_add_f64 v[38:39], v[44:45], -v[38:39]
	v_add_f64 v[26:27], v[38:39], v[26:27]
	v_add_f64 v[38:39], v[36:37], v[26:27]
	v_add_f64 v[36:37], v[38:39], -v[36:37]
	s_mov_b32 s18, 0xbf559e2b
	v_add_f64 v[26:27], v[26:27], -v[36:37]
	v_mul_f64 v[36:37], v[38:39], v[38:39]
	v_mov_b32_e32 v40, 0x6b47b09a
	v_mov_b32_e32 v41, 0x3fc38538
	s_mov_b32 s19, 0x3fc3ab76
	v_fmac_f64_e32 v[40:41], s[18:19], v[36:37]
	v_mov_b32_e32 v42, 0xd7f4df2e
	v_mov_b32_e32 v43, 0x3fc7474d
	v_fmac_f64_e32 v[42:43], v[36:37], v[40:41]
	v_mov_b32_e32 v40, 0x16291751
	v_mov_b32_e32 v41, 0x3fcc71c0
	;; [unrolled: 3-line block ×5, first 2 shown]
	v_fmac_f64_e32 v[42:43], v[36:37], v[40:41]
	v_cvt_f64_i32_e32 v[40:41], v19
	v_mul_f64 v[44:45], v[40:41], s[28:29]
	v_fma_f64 v[46:47], v[40:41], s[28:29], -v[44:45]
	v_fmac_f64_e32 v[46:47], s[30:31], v[40:41]
	v_add_f64 v[40:41], v[44:45], v[46:47]
	v_add_f64 v[44:45], v[40:41], -v[44:45]
	v_mul_f64 v[36:37], v[38:39], v[36:37]
	v_add_f64 v[44:45], v[46:47], -v[44:45]
	v_ldexp_f64 v[46:47], v[38:39], 1
	v_mul_f64 v[36:37], v[36:37], v[42:43]
	v_add_f64 v[38:39], v[46:47], v[36:37]
	v_add_f64 v[42:43], v[38:39], -v[46:47]
	v_ldexp_f64 v[26:27], v[26:27], 1
	v_add_f64 v[36:37], v[36:37], -v[42:43]
	v_add_f64 v[26:27], v[26:27], v[36:37]
	v_add_f64 v[36:37], v[38:39], v[26:27]
	v_add_f64 v[38:39], v[36:37], -v[38:39]
	v_add_f64 v[26:27], v[26:27], -v[38:39]
	v_add_f64 v[38:39], v[40:41], v[36:37]
	v_add_f64 v[42:43], v[38:39], -v[40:41]
	v_add_f64 v[46:47], v[38:39], -v[42:43]
	;; [unrolled: 1-line block ×4, first 2 shown]
	v_add_f64 v[36:37], v[36:37], v[40:41]
	v_add_f64 v[40:41], v[44:45], v[26:27]
	v_add_f64 v[42:43], v[40:41], -v[44:45]
	v_add_f64 v[36:37], v[40:41], v[36:37]
	v_add_f64 v[46:47], v[40:41], -v[42:43]
	;; [unrolled: 2-line block ×3, first 2 shown]
	v_add_f64 v[26:27], v[26:27], -v[42:43]
	v_add_f64 v[38:39], v[40:41], -v[38:39]
	v_add_f64 v[26:27], v[26:27], v[44:45]
	v_add_f64 v[36:37], v[36:37], -v[38:39]
	s_mov_b32 s18, 0
	v_add_f64 v[26:27], v[26:27], v[36:37]
	s_mov_b32 s19, 0x7ff00000
	v_add_f64 v[26:27], v[40:41], v[26:27]
	v_cmp_neq_f64_e64 s[18:19], s[18:19], v[16:17]
	v_mov_b32_e32 v19, 0x7ff80000
	s_nop 0
	v_cndmask_b32_e64 v1, v1, v27, s[18:19]
	v_cndmask_b32_e64 v1, v19, v1, s[24:25]
	v_cmp_nge_f64_e64 s[24:25], -1.0, v[16:17]
	s_and_b64 s[18:19], s[24:25], s[18:19]
	v_cndmask_b32_e64 v26, 0, v26, s[18:19]
	v_mov_b32_e32 v19, 0xfff00000
	v_cmp_neq_f64_e64 s[18:19], -1.0, v[16:17]
	s_nop 1
	v_cndmask_b32_e64 v27, v19, v1, s[18:19]
	v_add_f64 v[36:37], v[14:15], v[26:27]
.LBB75_20:
	s_or_b64 exec, exec, s[26:27]
	v_max_f64 v[26:27], v[8:9], v[8:9]
	v_max_f64 v[14:15], v[36:37], v[36:37]
	v_min_f64 v[16:17], v[14:15], v[26:27]
	v_cmp_u_f64_e64 s[24:25], v[36:37], v[36:37]
	v_cmp_u_f64_e64 s[18:19], v[8:9], v[8:9]
	v_max_f64 v[14:15], v[14:15], v[26:27]
	v_cndmask_b32_e64 v1, v16, v36, s[24:25]
	v_cndmask_b32_e64 v16, v17, v37, s[24:25]
	;; [unrolled: 1-line block ×8, first 2 shown]
	s_movk_i32 s26, 0x1f8
	v_cmp_neq_f64_e64 s[24:25], v[16:17], v[14:15]
	v_cmp_class_f64_e64 s[26:27], v[16:17], s26
	s_or_b64 s[24:25], s[24:25], s[26:27]
	s_and_saveexec_b64 s[28:29], s[24:25]
	s_cbranch_execz .LBB75_22
; %bb.21:
	s_mov_b32 s24, 0x652b82fe
	v_add_f64 v[16:17], v[16:17], -v[14:15]
	s_mov_b32 s25, 0x3ff71547
	v_mul_f64 v[36:37], v[16:17], s[24:25]
	v_rndne_f64_e32 v[36:37], v[36:37]
	s_mov_b32 s31, 0xbfe62e42
	s_mov_b32 s30, 0xfefa39ef
	v_fma_f64 v[38:39], s[30:31], v[36:37], v[16:17]
	s_mov_b32 s35, 0xbc7abc9e
	s_mov_b32 s34, 0x3b39803f
	;; [unrolled: 1-line block ×3, first 2 shown]
	v_fmac_f64_e32 v[38:39], s[34:35], v[36:37]
	v_mov_b32_e32 v40, 0xfca7ab0c
	v_mov_b32_e32 v41, 0x3e928af3
	s_mov_b32 s25, 0x3e5ade15
	v_fmac_f64_e32 v[40:41], s[24:25], v[38:39]
	v_mov_b32_e32 v42, 0x623fde64
	v_mov_b32_e32 v43, 0x3ec71dee
	v_fmac_f64_e32 v[42:43], v[38:39], v[40:41]
	v_mov_b32_e32 v40, 0x7c89e6b0
	v_mov_b32_e32 v41, 0x3efa0199
	v_fmac_f64_e32 v[40:41], v[38:39], v[42:43]
	v_mov_b32_e32 v42, 0x14761f6e
	v_mov_b32_e32 v43, 0x3f2a01a0
	v_fmac_f64_e32 v[42:43], v[38:39], v[40:41]
	v_mov_b32_e32 v40, 0x1852b7b0
	v_mov_b32_e32 v41, 0x3f56c16c
	v_fmac_f64_e32 v[40:41], v[38:39], v[42:43]
	v_mov_b32_e32 v42, 0x11122322
	v_mov_b32_e32 v43, 0x3f811111
	v_fmac_f64_e32 v[42:43], v[38:39], v[40:41]
	v_mov_b32_e32 v40, 0x555502a1
	v_mov_b32_e32 v41, 0x3fa55555
	v_fmac_f64_e32 v[40:41], v[38:39], v[42:43]
	v_mov_b32_e32 v42, 0x55555511
	v_mov_b32_e32 v43, 0x3fc55555
	v_fmac_f64_e32 v[42:43], v[38:39], v[40:41]
	v_mov_b32_e32 v40, 11
	v_mov_b32_e32 v41, 0x3fe00000
	v_fmac_f64_e32 v[40:41], v[38:39], v[42:43]
	v_fma_f64 v[40:41], v[38:39], v[40:41], 1.0
	s_mov_b32 s24, 0
	s_mov_b32 s26, 0
	v_fma_f64 v[38:39], v[38:39], v[40:41], 1.0
	v_cvt_i32_f64_e32 v1, v[36:37]
	s_mov_b32 s25, 0x40900000
	s_mov_b32 s27, 0xc090cc00
	v_ldexp_f64 v[36:37], v[38:39], v1
	v_mov_b32_e32 v1, 0x7ff00000
	v_cmp_nlt_f64_e64 s[24:25], s[24:25], v[16:17]
	v_cmp_ngt_f64_e64 s[26:27], s[26:27], v[16:17]
	s_mov_b32 s31, 0x3fe62e42
	v_cndmask_b32_e64 v19, v1, v37, s[24:25]
	s_and_b64 s[24:25], s[26:27], s[24:25]
	v_cndmask_b32_e64 v17, 0, v19, s[26:27]
	v_cndmask_b32_e64 v16, 0, v36, s[24:25]
	v_add_f64 v[36:37], v[16:17], 1.0
	v_add_f64 v[38:39], v[36:37], -1.0
	v_add_f64 v[40:41], v[38:39], -v[36:37]
	v_add_f64 v[40:41], v[40:41], 1.0
	v_add_f64 v[38:39], v[16:17], -v[38:39]
	s_mov_b32 s24, 0x55555555
	v_add_f64 v[38:39], v[38:39], v[40:41]
	v_frexp_mant_f64_e32 v[40:41], v[36:37]
	s_mov_b32 s25, 0x3fe55555
	v_frexp_exp_i32_f64_e32 v19, v[36:37]
	v_cmp_gt_f64_e64 s[24:25], s[24:25], v[40:41]
	s_mov_b32 s35, 0x3c7abc9e
	v_cmp_ngt_f64_e64 s[26:27], -1.0, v[16:17]
	v_subbrev_co_u32_e64 v19, s[24:25], 0, v19, s[24:25]
	v_sub_u32_e32 v40, 0, v19
	v_ldexp_f64 v[36:37], v[36:37], v40
	v_ldexp_f64 v[38:39], v[38:39], v40
	v_add_f64 v[40:41], v[36:37], -1.0
	v_add_f64 v[46:47], v[36:37], 1.0
	v_add_f64 v[42:43], v[40:41], 1.0
	v_add_f64 v[48:49], v[46:47], -1.0
	v_add_f64 v[42:43], v[36:37], -v[42:43]
	v_add_f64 v[36:37], v[36:37], -v[48:49]
	v_add_f64 v[36:37], v[38:39], v[36:37]
	v_add_f64 v[42:43], v[38:39], v[42:43]
	v_add_f64 v[38:39], v[46:47], v[36:37]
	v_rcp_f64_e32 v[48:49], v[38:39]
	v_add_f64 v[44:45], v[40:41], v[42:43]
	v_add_f64 v[40:41], v[44:45], -v[40:41]
	v_add_f64 v[40:41], v[42:43], -v[40:41]
	;; [unrolled: 1-line block ×4, first 2 shown]
	v_fma_f64 v[42:43], -v[38:39], v[48:49], 1.0
	v_fmac_f64_e32 v[48:49], v[42:43], v[48:49]
	v_fma_f64 v[42:43], -v[38:39], v[48:49], 1.0
	v_fmac_f64_e32 v[48:49], v[42:43], v[48:49]
	v_mul_f64 v[42:43], v[44:45], v[48:49]
	v_mul_f64 v[46:47], v[38:39], v[42:43]
	v_fma_f64 v[50:51], v[42:43], v[38:39], -v[46:47]
	v_fmac_f64_e32 v[50:51], v[42:43], v[36:37]
	v_add_f64 v[52:53], v[46:47], v[50:51]
	v_add_f64 v[54:55], v[44:45], -v[52:53]
	v_add_f64 v[44:45], v[44:45], -v[54:55]
	;; [unrolled: 1-line block ×4, first 2 shown]
	v_add_f64 v[40:41], v[40:41], v[44:45]
	v_add_f64 v[44:45], v[46:47], -v[50:51]
	v_add_f64 v[40:41], v[44:45], v[40:41]
	v_add_f64 v[44:45], v[54:55], v[40:41]
	v_add_f64 v[46:47], v[54:55], -v[44:45]
	v_add_f64 v[40:41], v[40:41], v[46:47]
	v_mul_f64 v[46:47], v[48:49], v[44:45]
	v_mul_f64 v[50:51], v[38:39], v[46:47]
	v_fma_f64 v[38:39], v[46:47], v[38:39], -v[50:51]
	v_fmac_f64_e32 v[38:39], v[46:47], v[36:37]
	v_add_f64 v[36:37], v[50:51], v[38:39]
	v_add_f64 v[52:53], v[44:45], -v[36:37]
	v_add_f64 v[44:45], v[44:45], -v[52:53]
	;; [unrolled: 1-line block ×4, first 2 shown]
	v_add_f64 v[36:37], v[40:41], v[36:37]
	v_add_f64 v[38:39], v[50:51], -v[38:39]
	v_add_f64 v[36:37], v[38:39], v[36:37]
	v_add_f64 v[38:39], v[42:43], v[46:47]
	;; [unrolled: 1-line block ×3, first 2 shown]
	v_add_f64 v[40:41], v[38:39], -v[42:43]
	v_mul_f64 v[36:37], v[48:49], v[36:37]
	v_add_f64 v[40:41], v[46:47], -v[40:41]
	v_add_f64 v[36:37], v[40:41], v[36:37]
	v_add_f64 v[40:41], v[38:39], v[36:37]
	v_add_f64 v[38:39], v[40:41], -v[38:39]
	s_mov_b32 s24, 0xbf559e2b
	v_add_f64 v[36:37], v[36:37], -v[38:39]
	v_mul_f64 v[38:39], v[40:41], v[40:41]
	v_mov_b32_e32 v42, 0x6b47b09a
	v_mov_b32_e32 v43, 0x3fc38538
	s_mov_b32 s25, 0x3fc3ab76
	v_fmac_f64_e32 v[42:43], s[24:25], v[38:39]
	v_mov_b32_e32 v44, 0xd7f4df2e
	v_mov_b32_e32 v45, 0x3fc7474d
	v_fmac_f64_e32 v[44:45], v[38:39], v[42:43]
	v_mov_b32_e32 v42, 0x16291751
	v_mov_b32_e32 v43, 0x3fcc71c0
	;; [unrolled: 3-line block ×5, first 2 shown]
	v_fmac_f64_e32 v[44:45], v[38:39], v[42:43]
	v_cvt_f64_i32_e32 v[42:43], v19
	v_mul_f64 v[46:47], v[42:43], s[30:31]
	v_fma_f64 v[48:49], v[42:43], s[30:31], -v[46:47]
	v_fmac_f64_e32 v[48:49], s[34:35], v[42:43]
	v_add_f64 v[42:43], v[46:47], v[48:49]
	v_add_f64 v[46:47], v[42:43], -v[46:47]
	v_mul_f64 v[38:39], v[40:41], v[38:39]
	v_add_f64 v[46:47], v[48:49], -v[46:47]
	v_ldexp_f64 v[48:49], v[40:41], 1
	v_mul_f64 v[38:39], v[38:39], v[44:45]
	v_add_f64 v[40:41], v[48:49], v[38:39]
	v_add_f64 v[44:45], v[40:41], -v[48:49]
	v_ldexp_f64 v[36:37], v[36:37], 1
	v_add_f64 v[38:39], v[38:39], -v[44:45]
	v_add_f64 v[36:37], v[36:37], v[38:39]
	v_add_f64 v[38:39], v[40:41], v[36:37]
	v_add_f64 v[40:41], v[38:39], -v[40:41]
	v_add_f64 v[36:37], v[36:37], -v[40:41]
	v_add_f64 v[40:41], v[42:43], v[38:39]
	v_add_f64 v[44:45], v[40:41], -v[42:43]
	v_add_f64 v[48:49], v[40:41], -v[44:45]
	;; [unrolled: 1-line block ×4, first 2 shown]
	v_add_f64 v[38:39], v[38:39], v[42:43]
	v_add_f64 v[42:43], v[46:47], v[36:37]
	v_add_f64 v[44:45], v[42:43], -v[46:47]
	v_add_f64 v[38:39], v[42:43], v[38:39]
	v_add_f64 v[48:49], v[42:43], -v[44:45]
	;; [unrolled: 2-line block ×3, first 2 shown]
	v_add_f64 v[36:37], v[36:37], -v[44:45]
	v_add_f64 v[40:41], v[42:43], -v[40:41]
	v_add_f64 v[36:37], v[36:37], v[46:47]
	v_add_f64 v[38:39], v[38:39], -v[40:41]
	s_mov_b32 s24, 0
	v_add_f64 v[36:37], v[36:37], v[38:39]
	s_mov_b32 s25, 0x7ff00000
	v_add_f64 v[36:37], v[42:43], v[36:37]
	v_cmp_neq_f64_e64 s[24:25], s[24:25], v[16:17]
	v_mov_b32_e32 v19, 0x7ff80000
	s_nop 0
	v_cndmask_b32_e64 v1, v1, v37, s[24:25]
	v_cndmask_b32_e64 v1, v19, v1, s[26:27]
	v_cmp_nge_f64_e64 s[26:27], -1.0, v[16:17]
	s_and_b64 s[24:25], s[26:27], s[24:25]
	v_cndmask_b32_e64 v36, 0, v36, s[24:25]
	v_mov_b32_e32 v19, 0xfff00000
	v_cmp_neq_f64_e64 s[24:25], -1.0, v[16:17]
	s_nop 1
	v_cndmask_b32_e64 v37, v19, v1, s[24:25]
	v_add_f64 v[36:37], v[14:15], v[36:37]
.LBB75_22:
	s_or_b64 exec, exec, s[28:29]
	v_lshrrev_b32_e32 v1, 2, v0
	v_and_b32_e32 v1, 56, v1
	v_lshl_add_u32 v1, v0, 3, v1
	v_cmp_gt_u32_e64 s[24:25], 64, v0
	ds_write_b64 v1, v[36:37]
	s_waitcnt lgkmcnt(0)
	s_barrier
	s_and_saveexec_b64 s[30:31], s[24:25]
	s_cbranch_execz .LBB75_62
; %bb.23:
	v_and_b32_e32 v1, 0xf8, v0
	v_lshlrev_b32_e32 v14, 5, v0
	v_add_u32_e32 v1, v1, v14
	ds_read2_b64 v[14:17], v1 offset1:1
	s_movk_i32 s33, 0x1f8
	s_waitcnt lgkmcnt(0)
	v_max_f64 v[40:41], v[16:17], v[16:17]
	v_max_f64 v[38:39], v[14:15], v[14:15]
	v_min_f64 v[42:43], v[38:39], v[40:41]
	v_cmp_u_f64_e64 s[24:25], v[14:15], v[14:15]
	v_cmp_u_f64_e64 s[26:27], v[16:17], v[16:17]
	v_max_f64 v[40:41], v[38:39], v[40:41]
	v_cndmask_b32_e64 v19, v42, v14, s[24:25]
	v_cndmask_b32_e64 v42, v43, v15, s[24:25]
	;; [unrolled: 1-line block ×8, first 2 shown]
	v_cmp_neq_f64_e64 s[26:27], v[42:43], v[40:41]
	v_cmp_class_f64_e64 s[28:29], v[42:43], s33
	s_or_b64 s[26:27], s[26:27], s[28:29]
	v_mov_b64_e32 v[16:17], v[14:15]
	s_and_saveexec_b64 s[34:35], s[26:27]
	s_cbranch_execz .LBB75_25
; %bb.24:
	s_mov_b32 s26, 0x652b82fe
	v_add_f64 v[16:17], v[42:43], -v[40:41]
	s_mov_b32 s27, 0x3ff71547
	v_mul_f64 v[42:43], v[16:17], s[26:27]
	v_rndne_f64_e32 v[42:43], v[42:43]
	s_mov_b32 s37, 0xbfe62e42
	s_mov_b32 s36, 0xfefa39ef
	v_fma_f64 v[44:45], s[36:37], v[42:43], v[16:17]
	s_mov_b32 s39, 0xbc7abc9e
	s_mov_b32 s38, 0x3b39803f
	;; [unrolled: 1-line block ×3, first 2 shown]
	v_fmac_f64_e32 v[44:45], s[38:39], v[42:43]
	v_mov_b32_e32 v46, 0xfca7ab0c
	v_mov_b32_e32 v47, 0x3e928af3
	s_mov_b32 s27, 0x3e5ade15
	v_fmac_f64_e32 v[46:47], s[26:27], v[44:45]
	v_mov_b32_e32 v48, 0x623fde64
	v_mov_b32_e32 v49, 0x3ec71dee
	v_fmac_f64_e32 v[48:49], v[44:45], v[46:47]
	v_mov_b32_e32 v46, 0x7c89e6b0
	v_mov_b32_e32 v47, 0x3efa0199
	;; [unrolled: 3-line block ×8, first 2 shown]
	v_fmac_f64_e32 v[46:47], v[44:45], v[48:49]
	v_fma_f64 v[46:47], v[44:45], v[46:47], 1.0
	s_mov_b32 s26, 0
	s_mov_b32 s28, 0
	v_fma_f64 v[44:45], v[44:45], v[46:47], 1.0
	v_cvt_i32_f64_e32 v19, v[42:43]
	s_mov_b32 s27, 0x40900000
	s_mov_b32 s29, 0xc090cc00
	v_ldexp_f64 v[42:43], v[44:45], v19
	v_mov_b32_e32 v19, 0x7ff00000
	v_cmp_nlt_f64_e64 s[26:27], s[26:27], v[16:17]
	v_cmp_ngt_f64_e64 s[28:29], s[28:29], v[16:17]
	s_mov_b32 s37, 0x3fe62e42
	v_cndmask_b32_e64 v43, v19, v43, s[26:27]
	s_and_b64 s[26:27], s[28:29], s[26:27]
	v_cndmask_b32_e64 v17, 0, v43, s[28:29]
	v_cndmask_b32_e64 v16, 0, v42, s[26:27]
	v_add_f64 v[42:43], v[16:17], 1.0
	v_add_f64 v[44:45], v[42:43], -1.0
	v_add_f64 v[46:47], v[44:45], -v[42:43]
	v_add_f64 v[46:47], v[46:47], 1.0
	v_add_f64 v[44:45], v[16:17], -v[44:45]
	s_mov_b32 s26, 0x55555555
	v_add_f64 v[44:45], v[44:45], v[46:47]
	v_frexp_mant_f64_e32 v[46:47], v[42:43]
	s_mov_b32 s27, 0x3fe55555
	v_frexp_exp_i32_f64_e32 v48, v[42:43]
	v_cmp_gt_f64_e64 s[26:27], s[26:27], v[46:47]
	s_mov_b32 s39, 0x3c7abc9e
	v_cmp_ngt_f64_e64 s[28:29], -1.0, v[16:17]
	v_subbrev_co_u32_e64 v62, s[26:27], 0, v48, s[26:27]
	v_sub_u32_e32 v46, 0, v62
	v_ldexp_f64 v[42:43], v[42:43], v46
	v_ldexp_f64 v[44:45], v[44:45], v46
	v_add_f64 v[46:47], v[42:43], -1.0
	v_add_f64 v[52:53], v[42:43], 1.0
	v_add_f64 v[48:49], v[46:47], 1.0
	v_add_f64 v[54:55], v[52:53], -1.0
	v_add_f64 v[48:49], v[42:43], -v[48:49]
	v_add_f64 v[42:43], v[42:43], -v[54:55]
	v_add_f64 v[42:43], v[44:45], v[42:43]
	v_add_f64 v[48:49], v[44:45], v[48:49]
	;; [unrolled: 1-line block ×3, first 2 shown]
	v_rcp_f64_e32 v[54:55], v[44:45]
	v_add_f64 v[50:51], v[46:47], v[48:49]
	v_add_f64 v[46:47], v[50:51], -v[46:47]
	v_add_f64 v[46:47], v[48:49], -v[46:47]
	;; [unrolled: 1-line block ×4, first 2 shown]
	v_fma_f64 v[48:49], -v[44:45], v[54:55], 1.0
	v_fmac_f64_e32 v[54:55], v[48:49], v[54:55]
	v_fma_f64 v[48:49], -v[44:45], v[54:55], 1.0
	v_fmac_f64_e32 v[54:55], v[48:49], v[54:55]
	v_mul_f64 v[48:49], v[50:51], v[54:55]
	v_mul_f64 v[52:53], v[44:45], v[48:49]
	v_fma_f64 v[56:57], v[48:49], v[44:45], -v[52:53]
	v_fmac_f64_e32 v[56:57], v[48:49], v[42:43]
	v_add_f64 v[58:59], v[52:53], v[56:57]
	v_add_f64 v[60:61], v[50:51], -v[58:59]
	v_add_f64 v[50:51], v[50:51], -v[60:61]
	;; [unrolled: 1-line block ×4, first 2 shown]
	v_add_f64 v[46:47], v[46:47], v[50:51]
	v_add_f64 v[50:51], v[52:53], -v[56:57]
	v_add_f64 v[46:47], v[50:51], v[46:47]
	v_add_f64 v[50:51], v[60:61], v[46:47]
	v_add_f64 v[52:53], v[60:61], -v[50:51]
	v_add_f64 v[46:47], v[46:47], v[52:53]
	v_mul_f64 v[52:53], v[54:55], v[50:51]
	v_mul_f64 v[56:57], v[44:45], v[52:53]
	v_fma_f64 v[44:45], v[52:53], v[44:45], -v[56:57]
	v_fmac_f64_e32 v[44:45], v[52:53], v[42:43]
	v_add_f64 v[42:43], v[56:57], v[44:45]
	v_add_f64 v[58:59], v[50:51], -v[42:43]
	v_add_f64 v[50:51], v[50:51], -v[58:59]
	;; [unrolled: 1-line block ×4, first 2 shown]
	v_add_f64 v[42:43], v[46:47], v[42:43]
	v_add_f64 v[44:45], v[56:57], -v[44:45]
	v_add_f64 v[42:43], v[44:45], v[42:43]
	v_add_f64 v[44:45], v[48:49], v[52:53]
	v_add_f64 v[42:43], v[58:59], v[42:43]
	v_add_f64 v[46:47], v[44:45], -v[48:49]
	v_mul_f64 v[42:43], v[54:55], v[42:43]
	v_add_f64 v[46:47], v[52:53], -v[46:47]
	v_add_f64 v[42:43], v[46:47], v[42:43]
	v_add_f64 v[46:47], v[44:45], v[42:43]
	v_add_f64 v[44:45], v[46:47], -v[44:45]
	s_mov_b32 s26, 0xbf559e2b
	v_add_f64 v[42:43], v[42:43], -v[44:45]
	v_mul_f64 v[44:45], v[46:47], v[46:47]
	v_mov_b32_e32 v48, 0x6b47b09a
	v_mov_b32_e32 v49, 0x3fc38538
	s_mov_b32 s27, 0x3fc3ab76
	v_fmac_f64_e32 v[48:49], s[26:27], v[44:45]
	v_mov_b32_e32 v50, 0xd7f4df2e
	v_mov_b32_e32 v51, 0x3fc7474d
	v_fmac_f64_e32 v[50:51], v[44:45], v[48:49]
	v_mov_b32_e32 v48, 0x16291751
	v_mov_b32_e32 v49, 0x3fcc71c0
	;; [unrolled: 3-line block ×5, first 2 shown]
	v_fmac_f64_e32 v[50:51], v[44:45], v[48:49]
	v_cvt_f64_i32_e32 v[48:49], v62
	v_mul_f64 v[52:53], v[48:49], s[36:37]
	v_fma_f64 v[54:55], v[48:49], s[36:37], -v[52:53]
	v_fmac_f64_e32 v[54:55], s[38:39], v[48:49]
	v_add_f64 v[48:49], v[52:53], v[54:55]
	v_add_f64 v[52:53], v[48:49], -v[52:53]
	v_mul_f64 v[44:45], v[46:47], v[44:45]
	v_add_f64 v[52:53], v[54:55], -v[52:53]
	v_ldexp_f64 v[54:55], v[46:47], 1
	v_mul_f64 v[44:45], v[44:45], v[50:51]
	v_add_f64 v[46:47], v[54:55], v[44:45]
	v_add_f64 v[50:51], v[46:47], -v[54:55]
	v_ldexp_f64 v[42:43], v[42:43], 1
	v_add_f64 v[44:45], v[44:45], -v[50:51]
	v_add_f64 v[42:43], v[42:43], v[44:45]
	v_add_f64 v[44:45], v[46:47], v[42:43]
	v_add_f64 v[46:47], v[44:45], -v[46:47]
	v_add_f64 v[42:43], v[42:43], -v[46:47]
	v_add_f64 v[46:47], v[48:49], v[44:45]
	v_add_f64 v[50:51], v[46:47], -v[48:49]
	v_add_f64 v[54:55], v[46:47], -v[50:51]
	;; [unrolled: 1-line block ×4, first 2 shown]
	v_add_f64 v[44:45], v[44:45], v[48:49]
	v_add_f64 v[48:49], v[52:53], v[42:43]
	v_add_f64 v[50:51], v[48:49], -v[52:53]
	v_add_f64 v[44:45], v[48:49], v[44:45]
	v_add_f64 v[54:55], v[48:49], -v[50:51]
	;; [unrolled: 2-line block ×3, first 2 shown]
	v_add_f64 v[42:43], v[42:43], -v[50:51]
	v_add_f64 v[46:47], v[48:49], -v[46:47]
	v_add_f64 v[42:43], v[42:43], v[52:53]
	v_add_f64 v[44:45], v[44:45], -v[46:47]
	s_mov_b32 s26, 0
	v_add_f64 v[42:43], v[42:43], v[44:45]
	s_mov_b32 s27, 0x7ff00000
	v_add_f64 v[42:43], v[48:49], v[42:43]
	v_cmp_neq_f64_e64 s[26:27], s[26:27], v[16:17]
	s_nop 1
	v_cndmask_b32_e64 v19, v19, v43, s[26:27]
	v_mov_b32_e32 v43, 0x7ff80000
	v_cndmask_b32_e64 v19, v43, v19, s[28:29]
	v_cmp_nge_f64_e64 s[28:29], -1.0, v[16:17]
	s_and_b64 s[26:27], s[28:29], s[26:27]
	v_cndmask_b32_e64 v42, 0, v42, s[26:27]
	v_mov_b32_e32 v43, 0xfff00000
	v_cmp_neq_f64_e64 s[26:27], -1.0, v[16:17]
	s_nop 1
	v_cndmask_b32_e64 v43, v43, v19, s[26:27]
	v_add_f64 v[16:17], v[40:41], v[42:43]
.LBB75_25:
	s_or_b64 exec, exec, s[34:35]
	ds_read_b64 v[40:41], v1 offset:16
	v_max_f64 v[44:45], v[16:17], v[16:17]
	v_cmp_u_f64_e64 s[26:27], v[16:17], v[16:17]
	s_waitcnt lgkmcnt(0)
	v_max_f64 v[46:47], v[40:41], v[40:41]
	v_min_f64 v[42:43], v[44:45], v[46:47]
	v_cndmask_b32_e64 v19, v42, v16, s[26:27]
	v_cndmask_b32_e64 v42, v43, v17, s[26:27]
	v_cmp_u_f64_e64 s[28:29], v[40:41], v[40:41]
	v_max_f64 v[44:45], v[44:45], v[46:47]
	s_nop 0
	v_cndmask_b32_e64 v43, v42, v41, s[28:29]
	v_cndmask_b32_e64 v42, v19, v40, s[28:29]
	;; [unrolled: 1-line block ×6, first 2 shown]
	v_cmp_neq_f64_e64 s[26:27], v[42:43], v[40:41]
	v_cmp_class_f64_e64 s[28:29], v[42:43], s33
	s_or_b64 s[26:27], s[26:27], s[28:29]
	s_and_saveexec_b64 s[34:35], s[26:27]
	s_cbranch_execz .LBB75_27
; %bb.26:
	s_mov_b32 s26, 0x652b82fe
	v_add_f64 v[16:17], v[42:43], -v[40:41]
	s_mov_b32 s27, 0x3ff71547
	v_mul_f64 v[42:43], v[16:17], s[26:27]
	v_rndne_f64_e32 v[42:43], v[42:43]
	s_mov_b32 s37, 0xbfe62e42
	s_mov_b32 s36, 0xfefa39ef
	v_fma_f64 v[44:45], s[36:37], v[42:43], v[16:17]
	s_mov_b32 s39, 0xbc7abc9e
	s_mov_b32 s38, 0x3b39803f
	;; [unrolled: 1-line block ×3, first 2 shown]
	v_fmac_f64_e32 v[44:45], s[38:39], v[42:43]
	v_mov_b32_e32 v46, 0xfca7ab0c
	v_mov_b32_e32 v47, 0x3e928af3
	s_mov_b32 s27, 0x3e5ade15
	v_fmac_f64_e32 v[46:47], s[26:27], v[44:45]
	v_mov_b32_e32 v48, 0x623fde64
	v_mov_b32_e32 v49, 0x3ec71dee
	v_fmac_f64_e32 v[48:49], v[44:45], v[46:47]
	v_mov_b32_e32 v46, 0x7c89e6b0
	v_mov_b32_e32 v47, 0x3efa0199
	;; [unrolled: 3-line block ×8, first 2 shown]
	v_fmac_f64_e32 v[46:47], v[44:45], v[48:49]
	v_fma_f64 v[46:47], v[44:45], v[46:47], 1.0
	s_mov_b32 s26, 0
	s_mov_b32 s28, 0
	v_fma_f64 v[44:45], v[44:45], v[46:47], 1.0
	v_cvt_i32_f64_e32 v19, v[42:43]
	s_mov_b32 s27, 0x40900000
	s_mov_b32 s29, 0xc090cc00
	v_ldexp_f64 v[42:43], v[44:45], v19
	v_mov_b32_e32 v19, 0x7ff00000
	v_cmp_nlt_f64_e64 s[26:27], s[26:27], v[16:17]
	v_cmp_ngt_f64_e64 s[28:29], s[28:29], v[16:17]
	s_mov_b32 s37, 0x3fe62e42
	v_cndmask_b32_e64 v43, v19, v43, s[26:27]
	s_and_b64 s[26:27], s[28:29], s[26:27]
	v_cndmask_b32_e64 v17, 0, v43, s[28:29]
	v_cndmask_b32_e64 v16, 0, v42, s[26:27]
	v_add_f64 v[42:43], v[16:17], 1.0
	v_add_f64 v[44:45], v[42:43], -1.0
	v_add_f64 v[46:47], v[44:45], -v[42:43]
	v_add_f64 v[46:47], v[46:47], 1.0
	v_add_f64 v[44:45], v[16:17], -v[44:45]
	s_mov_b32 s26, 0x55555555
	v_add_f64 v[44:45], v[44:45], v[46:47]
	v_frexp_mant_f64_e32 v[46:47], v[42:43]
	s_mov_b32 s27, 0x3fe55555
	v_frexp_exp_i32_f64_e32 v48, v[42:43]
	v_cmp_gt_f64_e64 s[26:27], s[26:27], v[46:47]
	s_mov_b32 s39, 0x3c7abc9e
	v_cmp_ngt_f64_e64 s[28:29], -1.0, v[16:17]
	v_subbrev_co_u32_e64 v62, s[26:27], 0, v48, s[26:27]
	v_sub_u32_e32 v46, 0, v62
	v_ldexp_f64 v[42:43], v[42:43], v46
	v_ldexp_f64 v[44:45], v[44:45], v46
	v_add_f64 v[46:47], v[42:43], -1.0
	v_add_f64 v[52:53], v[42:43], 1.0
	v_add_f64 v[48:49], v[46:47], 1.0
	v_add_f64 v[54:55], v[52:53], -1.0
	v_add_f64 v[48:49], v[42:43], -v[48:49]
	v_add_f64 v[42:43], v[42:43], -v[54:55]
	v_add_f64 v[42:43], v[44:45], v[42:43]
	v_add_f64 v[48:49], v[44:45], v[48:49]
	;; [unrolled: 1-line block ×3, first 2 shown]
	v_rcp_f64_e32 v[54:55], v[44:45]
	v_add_f64 v[50:51], v[46:47], v[48:49]
	v_add_f64 v[46:47], v[50:51], -v[46:47]
	v_add_f64 v[46:47], v[48:49], -v[46:47]
	;; [unrolled: 1-line block ×4, first 2 shown]
	v_fma_f64 v[48:49], -v[44:45], v[54:55], 1.0
	v_fmac_f64_e32 v[54:55], v[48:49], v[54:55]
	v_fma_f64 v[48:49], -v[44:45], v[54:55], 1.0
	v_fmac_f64_e32 v[54:55], v[48:49], v[54:55]
	v_mul_f64 v[48:49], v[50:51], v[54:55]
	v_mul_f64 v[52:53], v[44:45], v[48:49]
	v_fma_f64 v[56:57], v[48:49], v[44:45], -v[52:53]
	v_fmac_f64_e32 v[56:57], v[48:49], v[42:43]
	v_add_f64 v[58:59], v[52:53], v[56:57]
	v_add_f64 v[60:61], v[50:51], -v[58:59]
	v_add_f64 v[50:51], v[50:51], -v[60:61]
	;; [unrolled: 1-line block ×4, first 2 shown]
	v_add_f64 v[46:47], v[46:47], v[50:51]
	v_add_f64 v[50:51], v[52:53], -v[56:57]
	v_add_f64 v[46:47], v[50:51], v[46:47]
	v_add_f64 v[50:51], v[60:61], v[46:47]
	v_add_f64 v[52:53], v[60:61], -v[50:51]
	v_add_f64 v[46:47], v[46:47], v[52:53]
	v_mul_f64 v[52:53], v[54:55], v[50:51]
	v_mul_f64 v[56:57], v[44:45], v[52:53]
	v_fma_f64 v[44:45], v[52:53], v[44:45], -v[56:57]
	v_fmac_f64_e32 v[44:45], v[52:53], v[42:43]
	v_add_f64 v[42:43], v[56:57], v[44:45]
	v_add_f64 v[58:59], v[50:51], -v[42:43]
	v_add_f64 v[50:51], v[50:51], -v[58:59]
	;; [unrolled: 1-line block ×4, first 2 shown]
	v_add_f64 v[42:43], v[46:47], v[42:43]
	v_add_f64 v[44:45], v[56:57], -v[44:45]
	v_add_f64 v[42:43], v[44:45], v[42:43]
	v_add_f64 v[44:45], v[48:49], v[52:53]
	;; [unrolled: 1-line block ×3, first 2 shown]
	v_add_f64 v[46:47], v[44:45], -v[48:49]
	v_mul_f64 v[42:43], v[54:55], v[42:43]
	v_add_f64 v[46:47], v[52:53], -v[46:47]
	v_add_f64 v[42:43], v[46:47], v[42:43]
	v_add_f64 v[46:47], v[44:45], v[42:43]
	v_add_f64 v[44:45], v[46:47], -v[44:45]
	s_mov_b32 s26, 0xbf559e2b
	v_add_f64 v[42:43], v[42:43], -v[44:45]
	v_mul_f64 v[44:45], v[46:47], v[46:47]
	v_mov_b32_e32 v48, 0x6b47b09a
	v_mov_b32_e32 v49, 0x3fc38538
	s_mov_b32 s27, 0x3fc3ab76
	v_fmac_f64_e32 v[48:49], s[26:27], v[44:45]
	v_mov_b32_e32 v50, 0xd7f4df2e
	v_mov_b32_e32 v51, 0x3fc7474d
	v_fmac_f64_e32 v[50:51], v[44:45], v[48:49]
	v_mov_b32_e32 v48, 0x16291751
	v_mov_b32_e32 v49, 0x3fcc71c0
	;; [unrolled: 3-line block ×5, first 2 shown]
	v_fmac_f64_e32 v[50:51], v[44:45], v[48:49]
	v_cvt_f64_i32_e32 v[48:49], v62
	v_mul_f64 v[52:53], v[48:49], s[36:37]
	v_fma_f64 v[54:55], v[48:49], s[36:37], -v[52:53]
	v_fmac_f64_e32 v[54:55], s[38:39], v[48:49]
	v_add_f64 v[48:49], v[52:53], v[54:55]
	v_add_f64 v[52:53], v[48:49], -v[52:53]
	v_mul_f64 v[44:45], v[46:47], v[44:45]
	v_add_f64 v[52:53], v[54:55], -v[52:53]
	v_ldexp_f64 v[54:55], v[46:47], 1
	v_mul_f64 v[44:45], v[44:45], v[50:51]
	v_add_f64 v[46:47], v[54:55], v[44:45]
	v_add_f64 v[50:51], v[46:47], -v[54:55]
	v_ldexp_f64 v[42:43], v[42:43], 1
	v_add_f64 v[44:45], v[44:45], -v[50:51]
	v_add_f64 v[42:43], v[42:43], v[44:45]
	v_add_f64 v[44:45], v[46:47], v[42:43]
	v_add_f64 v[46:47], v[44:45], -v[46:47]
	v_add_f64 v[42:43], v[42:43], -v[46:47]
	v_add_f64 v[46:47], v[48:49], v[44:45]
	v_add_f64 v[50:51], v[46:47], -v[48:49]
	v_add_f64 v[54:55], v[46:47], -v[50:51]
	;; [unrolled: 1-line block ×4, first 2 shown]
	v_add_f64 v[44:45], v[44:45], v[48:49]
	v_add_f64 v[48:49], v[52:53], v[42:43]
	v_add_f64 v[50:51], v[48:49], -v[52:53]
	v_add_f64 v[44:45], v[48:49], v[44:45]
	v_add_f64 v[54:55], v[48:49], -v[50:51]
	;; [unrolled: 2-line block ×3, first 2 shown]
	v_add_f64 v[42:43], v[42:43], -v[50:51]
	v_add_f64 v[46:47], v[48:49], -v[46:47]
	v_add_f64 v[42:43], v[42:43], v[52:53]
	v_add_f64 v[44:45], v[44:45], -v[46:47]
	s_mov_b32 s26, 0
	v_add_f64 v[42:43], v[42:43], v[44:45]
	s_mov_b32 s27, 0x7ff00000
	v_add_f64 v[42:43], v[48:49], v[42:43]
	v_cmp_neq_f64_e64 s[26:27], s[26:27], v[16:17]
	s_nop 1
	v_cndmask_b32_e64 v19, v19, v43, s[26:27]
	v_mov_b32_e32 v43, 0x7ff80000
	v_cndmask_b32_e64 v19, v43, v19, s[28:29]
	v_cmp_nge_f64_e64 s[28:29], -1.0, v[16:17]
	s_and_b64 s[26:27], s[28:29], s[26:27]
	v_cndmask_b32_e64 v42, 0, v42, s[26:27]
	v_mov_b32_e32 v43, 0xfff00000
	v_cmp_neq_f64_e64 s[26:27], -1.0, v[16:17]
	s_nop 1
	v_cndmask_b32_e64 v43, v43, v19, s[26:27]
	v_add_f64 v[16:17], v[40:41], v[42:43]
.LBB75_27:
	s_or_b64 exec, exec, s[34:35]
	ds_read_b64 v[40:41], v1 offset:24
	v_max_f64 v[44:45], v[16:17], v[16:17]
	v_cmp_u_f64_e64 s[26:27], v[16:17], v[16:17]
	s_waitcnt lgkmcnt(0)
	v_max_f64 v[46:47], v[40:41], v[40:41]
	v_min_f64 v[42:43], v[44:45], v[46:47]
	v_cndmask_b32_e64 v19, v42, v16, s[26:27]
	v_cndmask_b32_e64 v42, v43, v17, s[26:27]
	v_cmp_u_f64_e64 s[28:29], v[40:41], v[40:41]
	v_max_f64 v[44:45], v[44:45], v[46:47]
	s_nop 0
	v_cndmask_b32_e64 v43, v42, v41, s[28:29]
	v_cndmask_b32_e64 v42, v19, v40, s[28:29]
	;; [unrolled: 1-line block ×6, first 2 shown]
	s_movk_i32 s28, 0x1f8
	v_cmp_neq_f64_e64 s[26:27], v[42:43], v[40:41]
	v_cmp_class_f64_e64 s[28:29], v[42:43], s28
	s_or_b64 s[26:27], s[26:27], s[28:29]
	s_and_saveexec_b64 s[34:35], s[26:27]
	s_cbranch_execz .LBB75_29
; %bb.28:
	s_mov_b32 s26, 0x652b82fe
	v_add_f64 v[16:17], v[42:43], -v[40:41]
	s_mov_b32 s27, 0x3ff71547
	v_mul_f64 v[42:43], v[16:17], s[26:27]
	v_rndne_f64_e32 v[42:43], v[42:43]
	s_mov_b32 s37, 0xbfe62e42
	s_mov_b32 s36, 0xfefa39ef
	v_fma_f64 v[44:45], s[36:37], v[42:43], v[16:17]
	s_mov_b32 s39, 0xbc7abc9e
	s_mov_b32 s38, 0x3b39803f
	;; [unrolled: 1-line block ×3, first 2 shown]
	v_fmac_f64_e32 v[44:45], s[38:39], v[42:43]
	v_mov_b32_e32 v46, 0xfca7ab0c
	v_mov_b32_e32 v47, 0x3e928af3
	s_mov_b32 s27, 0x3e5ade15
	v_fmac_f64_e32 v[46:47], s[26:27], v[44:45]
	v_mov_b32_e32 v48, 0x623fde64
	v_mov_b32_e32 v49, 0x3ec71dee
	v_fmac_f64_e32 v[48:49], v[44:45], v[46:47]
	v_mov_b32_e32 v46, 0x7c89e6b0
	v_mov_b32_e32 v47, 0x3efa0199
	;; [unrolled: 3-line block ×8, first 2 shown]
	v_fmac_f64_e32 v[46:47], v[44:45], v[48:49]
	v_fma_f64 v[46:47], v[44:45], v[46:47], 1.0
	s_mov_b32 s26, 0
	s_mov_b32 s28, 0
	v_fma_f64 v[44:45], v[44:45], v[46:47], 1.0
	v_cvt_i32_f64_e32 v19, v[42:43]
	s_mov_b32 s27, 0x40900000
	s_mov_b32 s29, 0xc090cc00
	v_ldexp_f64 v[42:43], v[44:45], v19
	v_mov_b32_e32 v19, 0x7ff00000
	v_cmp_nlt_f64_e64 s[26:27], s[26:27], v[16:17]
	v_cmp_ngt_f64_e64 s[28:29], s[28:29], v[16:17]
	s_mov_b32 s37, 0x3fe62e42
	v_cndmask_b32_e64 v43, v19, v43, s[26:27]
	s_and_b64 s[26:27], s[28:29], s[26:27]
	v_cndmask_b32_e64 v17, 0, v43, s[28:29]
	v_cndmask_b32_e64 v16, 0, v42, s[26:27]
	v_add_f64 v[42:43], v[16:17], 1.0
	v_add_f64 v[44:45], v[42:43], -1.0
	v_add_f64 v[46:47], v[44:45], -v[42:43]
	v_add_f64 v[46:47], v[46:47], 1.0
	v_add_f64 v[44:45], v[16:17], -v[44:45]
	s_mov_b32 s26, 0x55555555
	v_add_f64 v[44:45], v[44:45], v[46:47]
	v_frexp_mant_f64_e32 v[46:47], v[42:43]
	s_mov_b32 s27, 0x3fe55555
	v_frexp_exp_i32_f64_e32 v48, v[42:43]
	v_cmp_gt_f64_e64 s[26:27], s[26:27], v[46:47]
	s_mov_b32 s39, 0x3c7abc9e
	v_cmp_ngt_f64_e64 s[28:29], -1.0, v[16:17]
	v_subbrev_co_u32_e64 v62, s[26:27], 0, v48, s[26:27]
	v_sub_u32_e32 v46, 0, v62
	v_ldexp_f64 v[42:43], v[42:43], v46
	v_ldexp_f64 v[44:45], v[44:45], v46
	v_add_f64 v[46:47], v[42:43], -1.0
	v_add_f64 v[52:53], v[42:43], 1.0
	v_add_f64 v[48:49], v[46:47], 1.0
	v_add_f64 v[54:55], v[52:53], -1.0
	v_add_f64 v[48:49], v[42:43], -v[48:49]
	v_add_f64 v[42:43], v[42:43], -v[54:55]
	v_add_f64 v[42:43], v[44:45], v[42:43]
	v_add_f64 v[48:49], v[44:45], v[48:49]
	;; [unrolled: 1-line block ×3, first 2 shown]
	v_rcp_f64_e32 v[54:55], v[44:45]
	v_add_f64 v[50:51], v[46:47], v[48:49]
	v_add_f64 v[46:47], v[50:51], -v[46:47]
	v_add_f64 v[46:47], v[48:49], -v[46:47]
	;; [unrolled: 1-line block ×4, first 2 shown]
	v_fma_f64 v[48:49], -v[44:45], v[54:55], 1.0
	v_fmac_f64_e32 v[54:55], v[48:49], v[54:55]
	v_fma_f64 v[48:49], -v[44:45], v[54:55], 1.0
	v_fmac_f64_e32 v[54:55], v[48:49], v[54:55]
	v_mul_f64 v[48:49], v[50:51], v[54:55]
	v_mul_f64 v[52:53], v[44:45], v[48:49]
	v_fma_f64 v[56:57], v[48:49], v[44:45], -v[52:53]
	v_fmac_f64_e32 v[56:57], v[48:49], v[42:43]
	v_add_f64 v[58:59], v[52:53], v[56:57]
	v_add_f64 v[60:61], v[50:51], -v[58:59]
	v_add_f64 v[50:51], v[50:51], -v[60:61]
	;; [unrolled: 1-line block ×4, first 2 shown]
	v_add_f64 v[46:47], v[46:47], v[50:51]
	v_add_f64 v[50:51], v[52:53], -v[56:57]
	v_add_f64 v[46:47], v[50:51], v[46:47]
	v_add_f64 v[50:51], v[60:61], v[46:47]
	v_add_f64 v[52:53], v[60:61], -v[50:51]
	v_add_f64 v[46:47], v[46:47], v[52:53]
	v_mul_f64 v[52:53], v[54:55], v[50:51]
	v_mul_f64 v[56:57], v[44:45], v[52:53]
	v_fma_f64 v[44:45], v[52:53], v[44:45], -v[56:57]
	v_fmac_f64_e32 v[44:45], v[52:53], v[42:43]
	v_add_f64 v[42:43], v[56:57], v[44:45]
	v_add_f64 v[58:59], v[50:51], -v[42:43]
	v_add_f64 v[50:51], v[50:51], -v[58:59]
	;; [unrolled: 1-line block ×4, first 2 shown]
	v_add_f64 v[42:43], v[46:47], v[42:43]
	v_add_f64 v[44:45], v[56:57], -v[44:45]
	v_add_f64 v[42:43], v[44:45], v[42:43]
	v_add_f64 v[44:45], v[48:49], v[52:53]
	;; [unrolled: 1-line block ×3, first 2 shown]
	v_add_f64 v[46:47], v[44:45], -v[48:49]
	v_mul_f64 v[42:43], v[54:55], v[42:43]
	v_add_f64 v[46:47], v[52:53], -v[46:47]
	v_add_f64 v[42:43], v[46:47], v[42:43]
	v_add_f64 v[46:47], v[44:45], v[42:43]
	v_add_f64 v[44:45], v[46:47], -v[44:45]
	s_mov_b32 s26, 0xbf559e2b
	v_add_f64 v[42:43], v[42:43], -v[44:45]
	v_mul_f64 v[44:45], v[46:47], v[46:47]
	v_mov_b32_e32 v48, 0x6b47b09a
	v_mov_b32_e32 v49, 0x3fc38538
	s_mov_b32 s27, 0x3fc3ab76
	v_fmac_f64_e32 v[48:49], s[26:27], v[44:45]
	v_mov_b32_e32 v50, 0xd7f4df2e
	v_mov_b32_e32 v51, 0x3fc7474d
	v_fmac_f64_e32 v[50:51], v[44:45], v[48:49]
	v_mov_b32_e32 v48, 0x16291751
	v_mov_b32_e32 v49, 0x3fcc71c0
	;; [unrolled: 3-line block ×5, first 2 shown]
	v_fmac_f64_e32 v[50:51], v[44:45], v[48:49]
	v_cvt_f64_i32_e32 v[48:49], v62
	v_mul_f64 v[52:53], v[48:49], s[36:37]
	v_fma_f64 v[54:55], v[48:49], s[36:37], -v[52:53]
	v_fmac_f64_e32 v[54:55], s[38:39], v[48:49]
	v_add_f64 v[48:49], v[52:53], v[54:55]
	v_add_f64 v[52:53], v[48:49], -v[52:53]
	v_mul_f64 v[44:45], v[46:47], v[44:45]
	v_add_f64 v[52:53], v[54:55], -v[52:53]
	v_ldexp_f64 v[54:55], v[46:47], 1
	v_mul_f64 v[44:45], v[44:45], v[50:51]
	v_add_f64 v[46:47], v[54:55], v[44:45]
	v_add_f64 v[50:51], v[46:47], -v[54:55]
	v_ldexp_f64 v[42:43], v[42:43], 1
	v_add_f64 v[44:45], v[44:45], -v[50:51]
	v_add_f64 v[42:43], v[42:43], v[44:45]
	v_add_f64 v[44:45], v[46:47], v[42:43]
	v_add_f64 v[46:47], v[44:45], -v[46:47]
	v_add_f64 v[42:43], v[42:43], -v[46:47]
	v_add_f64 v[46:47], v[48:49], v[44:45]
	v_add_f64 v[50:51], v[46:47], -v[48:49]
	v_add_f64 v[54:55], v[46:47], -v[50:51]
	;; [unrolled: 1-line block ×4, first 2 shown]
	v_add_f64 v[44:45], v[44:45], v[48:49]
	v_add_f64 v[48:49], v[52:53], v[42:43]
	v_add_f64 v[50:51], v[48:49], -v[52:53]
	v_add_f64 v[44:45], v[48:49], v[44:45]
	v_add_f64 v[54:55], v[48:49], -v[50:51]
	;; [unrolled: 2-line block ×3, first 2 shown]
	v_add_f64 v[42:43], v[42:43], -v[50:51]
	v_add_f64 v[46:47], v[48:49], -v[46:47]
	v_add_f64 v[42:43], v[42:43], v[52:53]
	v_add_f64 v[44:45], v[44:45], -v[46:47]
	s_mov_b32 s26, 0
	v_add_f64 v[42:43], v[42:43], v[44:45]
	s_mov_b32 s27, 0x7ff00000
	v_add_f64 v[42:43], v[48:49], v[42:43]
	v_cmp_neq_f64_e64 s[26:27], s[26:27], v[16:17]
	s_nop 1
	v_cndmask_b32_e64 v19, v19, v43, s[26:27]
	v_mov_b32_e32 v43, 0x7ff80000
	v_cndmask_b32_e64 v19, v43, v19, s[28:29]
	v_cmp_nge_f64_e64 s[28:29], -1.0, v[16:17]
	s_and_b64 s[26:27], s[28:29], s[26:27]
	v_cndmask_b32_e64 v42, 0, v42, s[26:27]
	v_mov_b32_e32 v43, 0xfff00000
	v_cmp_neq_f64_e64 s[26:27], -1.0, v[16:17]
	s_nop 1
	v_cndmask_b32_e64 v43, v43, v19, s[26:27]
	v_add_f64 v[16:17], v[40:41], v[42:43]
.LBB75_29:
	s_or_b64 exec, exec, s[34:35]
	v_mbcnt_lo_u32_b32 v19, -1, 0
	v_mbcnt_hi_u32_b32 v19, -1, v19
	v_and_b32_e32 v44, 15, v19
	v_mov_b32_dpp v40, v16 row_shr:1 row_mask:0xf bank_mask:0xf
	v_mov_b32_dpp v41, v17 row_shr:1 row_mask:0xf bank_mask:0xf
	v_cmp_ne_u32_e64 s[26:27], 0, v44
	v_mov_b32_e32 v42, v16
	v_mov_b32_e32 v43, v17
	s_and_saveexec_b64 s[28:29], s[26:27]
	s_xor_b64 s[34:35], exec, s[28:29]
	s_cbranch_execz .LBB75_33
; %bb.30:
	v_max_f64 v[46:47], v[40:41], v[40:41]
	v_max_f64 v[48:49], v[16:17], v[16:17]
	v_min_f64 v[42:43], v[46:47], v[48:49]
	v_cmp_u_f64_e64 s[26:27], v[40:41], v[40:41]
	v_max_f64 v[46:47], v[46:47], v[48:49]
	v_cmp_u_f64_e64 s[28:29], v[16:17], v[16:17]
	v_cndmask_b32_e64 v43, v43, v41, s[26:27]
	v_cndmask_b32_e64 v42, v42, v40, s[26:27]
	;; [unrolled: 1-line block ×8, first 2 shown]
	s_movk_i32 s28, 0x1f8
	v_cmp_neq_f64_e64 s[26:27], v[42:43], v[16:17]
	v_cmp_class_f64_e64 s[28:29], v[42:43], s28
	s_or_b64 s[26:27], s[26:27], s[28:29]
	s_and_saveexec_b64 s[36:37], s[26:27]
	s_cbranch_execz .LBB75_32
; %bb.31:
	s_mov_b32 s26, 0x652b82fe
	v_add_f64 v[40:41], v[42:43], -v[16:17]
	s_mov_b32 s27, 0x3ff71547
	v_mul_f64 v[42:43], v[40:41], s[26:27]
	v_rndne_f64_e32 v[42:43], v[42:43]
	s_mov_b32 s39, 0xbfe62e42
	s_mov_b32 s38, 0xfefa39ef
	v_fma_f64 v[46:47], s[38:39], v[42:43], v[40:41]
	s_mov_b32 s41, 0xbc7abc9e
	s_mov_b32 s40, 0x3b39803f
	;; [unrolled: 1-line block ×3, first 2 shown]
	v_fmac_f64_e32 v[46:47], s[40:41], v[42:43]
	v_mov_b32_e32 v48, 0xfca7ab0c
	v_mov_b32_e32 v49, 0x3e928af3
	s_mov_b32 s27, 0x3e5ade15
	v_fmac_f64_e32 v[48:49], s[26:27], v[46:47]
	v_mov_b32_e32 v50, 0x623fde64
	v_mov_b32_e32 v51, 0x3ec71dee
	v_fmac_f64_e32 v[50:51], v[46:47], v[48:49]
	v_mov_b32_e32 v48, 0x7c89e6b0
	v_mov_b32_e32 v49, 0x3efa0199
	;; [unrolled: 3-line block ×8, first 2 shown]
	v_fmac_f64_e32 v[48:49], v[46:47], v[50:51]
	v_fma_f64 v[48:49], v[46:47], v[48:49], 1.0
	s_mov_b32 s26, 0
	s_mov_b32 s28, 0
	v_fma_f64 v[46:47], v[46:47], v[48:49], 1.0
	v_cvt_i32_f64_e32 v42, v[42:43]
	s_mov_b32 s27, 0x40900000
	s_mov_b32 s29, 0xc090cc00
	v_ldexp_f64 v[42:43], v[46:47], v42
	v_mov_b32_e32 v45, 0x7ff00000
	v_cmp_nlt_f64_e64 s[26:27], s[26:27], v[40:41]
	v_cmp_ngt_f64_e64 s[28:29], s[28:29], v[40:41]
	s_mov_b32 s39, 0x3fe62e42
	v_cndmask_b32_e64 v43, v45, v43, s[26:27]
	s_and_b64 s[26:27], s[28:29], s[26:27]
	v_cndmask_b32_e64 v41, 0, v43, s[28:29]
	v_cndmask_b32_e64 v40, 0, v42, s[26:27]
	v_add_f64 v[42:43], v[40:41], 1.0
	v_add_f64 v[46:47], v[42:43], -1.0
	v_add_f64 v[48:49], v[46:47], -v[42:43]
	v_add_f64 v[48:49], v[48:49], 1.0
	v_add_f64 v[46:47], v[40:41], -v[46:47]
	s_mov_b32 s26, 0x55555555
	v_add_f64 v[46:47], v[46:47], v[48:49]
	v_frexp_mant_f64_e32 v[48:49], v[42:43]
	s_mov_b32 s27, 0x3fe55555
	v_frexp_exp_i32_f64_e32 v50, v[42:43]
	v_cmp_gt_f64_e64 s[26:27], s[26:27], v[48:49]
	s_mov_b32 s41, 0x3c7abc9e
	v_cmp_ngt_f64_e64 s[28:29], -1.0, v[40:41]
	v_subbrev_co_u32_e64 v64, s[26:27], 0, v50, s[26:27]
	v_sub_u32_e32 v48, 0, v64
	v_ldexp_f64 v[42:43], v[42:43], v48
	v_ldexp_f64 v[46:47], v[46:47], v48
	v_add_f64 v[48:49], v[42:43], -1.0
	v_add_f64 v[54:55], v[42:43], 1.0
	v_add_f64 v[50:51], v[48:49], 1.0
	v_add_f64 v[56:57], v[54:55], -1.0
	v_add_f64 v[50:51], v[42:43], -v[50:51]
	v_add_f64 v[42:43], v[42:43], -v[56:57]
	v_add_f64 v[42:43], v[46:47], v[42:43]
	v_add_f64 v[50:51], v[46:47], v[50:51]
	;; [unrolled: 1-line block ×3, first 2 shown]
	v_rcp_f64_e32 v[56:57], v[46:47]
	v_add_f64 v[52:53], v[48:49], v[50:51]
	v_add_f64 v[48:49], v[52:53], -v[48:49]
	v_add_f64 v[48:49], v[50:51], -v[48:49]
	;; [unrolled: 1-line block ×4, first 2 shown]
	v_fma_f64 v[50:51], -v[46:47], v[56:57], 1.0
	v_fmac_f64_e32 v[56:57], v[50:51], v[56:57]
	v_fma_f64 v[50:51], -v[46:47], v[56:57], 1.0
	v_fmac_f64_e32 v[56:57], v[50:51], v[56:57]
	v_mul_f64 v[50:51], v[52:53], v[56:57]
	v_mul_f64 v[54:55], v[46:47], v[50:51]
	v_fma_f64 v[58:59], v[50:51], v[46:47], -v[54:55]
	v_fmac_f64_e32 v[58:59], v[50:51], v[42:43]
	v_add_f64 v[60:61], v[54:55], v[58:59]
	v_add_f64 v[62:63], v[52:53], -v[60:61]
	v_add_f64 v[52:53], v[52:53], -v[62:63]
	;; [unrolled: 1-line block ×4, first 2 shown]
	v_add_f64 v[48:49], v[48:49], v[52:53]
	v_add_f64 v[52:53], v[54:55], -v[58:59]
	v_add_f64 v[48:49], v[52:53], v[48:49]
	v_add_f64 v[52:53], v[62:63], v[48:49]
	v_add_f64 v[54:55], v[62:63], -v[52:53]
	v_add_f64 v[48:49], v[48:49], v[54:55]
	v_mul_f64 v[54:55], v[56:57], v[52:53]
	v_mul_f64 v[58:59], v[46:47], v[54:55]
	v_fma_f64 v[46:47], v[54:55], v[46:47], -v[58:59]
	v_fmac_f64_e32 v[46:47], v[54:55], v[42:43]
	v_add_f64 v[42:43], v[58:59], v[46:47]
	v_add_f64 v[60:61], v[52:53], -v[42:43]
	v_add_f64 v[52:53], v[52:53], -v[60:61]
	;; [unrolled: 1-line block ×4, first 2 shown]
	v_add_f64 v[42:43], v[48:49], v[42:43]
	v_add_f64 v[46:47], v[58:59], -v[46:47]
	v_add_f64 v[42:43], v[46:47], v[42:43]
	v_add_f64 v[46:47], v[50:51], v[54:55]
	;; [unrolled: 1-line block ×3, first 2 shown]
	v_add_f64 v[48:49], v[46:47], -v[50:51]
	v_mul_f64 v[42:43], v[56:57], v[42:43]
	v_add_f64 v[48:49], v[54:55], -v[48:49]
	v_add_f64 v[42:43], v[48:49], v[42:43]
	v_add_f64 v[48:49], v[46:47], v[42:43]
	v_add_f64 v[46:47], v[48:49], -v[46:47]
	s_mov_b32 s26, 0xbf559e2b
	v_add_f64 v[42:43], v[42:43], -v[46:47]
	v_mul_f64 v[46:47], v[48:49], v[48:49]
	v_mov_b32_e32 v50, 0x6b47b09a
	v_mov_b32_e32 v51, 0x3fc38538
	s_mov_b32 s27, 0x3fc3ab76
	v_fmac_f64_e32 v[50:51], s[26:27], v[46:47]
	v_mov_b32_e32 v52, 0xd7f4df2e
	v_mov_b32_e32 v53, 0x3fc7474d
	v_fmac_f64_e32 v[52:53], v[46:47], v[50:51]
	v_mov_b32_e32 v50, 0x16291751
	v_mov_b32_e32 v51, 0x3fcc71c0
	;; [unrolled: 3-line block ×5, first 2 shown]
	v_fmac_f64_e32 v[52:53], v[46:47], v[50:51]
	v_cvt_f64_i32_e32 v[50:51], v64
	v_mul_f64 v[54:55], v[50:51], s[38:39]
	v_fma_f64 v[56:57], v[50:51], s[38:39], -v[54:55]
	v_fmac_f64_e32 v[56:57], s[40:41], v[50:51]
	v_add_f64 v[50:51], v[54:55], v[56:57]
	v_add_f64 v[54:55], v[50:51], -v[54:55]
	v_mul_f64 v[46:47], v[48:49], v[46:47]
	v_add_f64 v[54:55], v[56:57], -v[54:55]
	v_ldexp_f64 v[56:57], v[48:49], 1
	v_mul_f64 v[46:47], v[46:47], v[52:53]
	v_add_f64 v[48:49], v[56:57], v[46:47]
	v_add_f64 v[52:53], v[48:49], -v[56:57]
	v_ldexp_f64 v[42:43], v[42:43], 1
	v_add_f64 v[46:47], v[46:47], -v[52:53]
	v_add_f64 v[42:43], v[42:43], v[46:47]
	v_add_f64 v[46:47], v[48:49], v[42:43]
	v_add_f64 v[48:49], v[46:47], -v[48:49]
	v_add_f64 v[42:43], v[42:43], -v[48:49]
	v_add_f64 v[48:49], v[50:51], v[46:47]
	v_add_f64 v[52:53], v[48:49], -v[50:51]
	v_add_f64 v[56:57], v[48:49], -v[52:53]
	;; [unrolled: 1-line block ×4, first 2 shown]
	v_add_f64 v[46:47], v[46:47], v[50:51]
	v_add_f64 v[50:51], v[54:55], v[42:43]
	v_add_f64 v[52:53], v[50:51], -v[54:55]
	v_add_f64 v[46:47], v[50:51], v[46:47]
	v_add_f64 v[56:57], v[50:51], -v[52:53]
	;; [unrolled: 2-line block ×3, first 2 shown]
	v_add_f64 v[42:43], v[42:43], -v[52:53]
	v_add_f64 v[48:49], v[50:51], -v[48:49]
	v_add_f64 v[42:43], v[42:43], v[54:55]
	v_add_f64 v[46:47], v[46:47], -v[48:49]
	s_mov_b32 s26, 0
	v_add_f64 v[42:43], v[42:43], v[46:47]
	s_mov_b32 s27, 0x7ff00000
	v_add_f64 v[42:43], v[50:51], v[42:43]
	v_cmp_neq_f64_e64 s[26:27], s[26:27], v[40:41]
	s_nop 1
	v_cndmask_b32_e64 v43, v45, v43, s[26:27]
	v_mov_b32_e32 v45, 0x7ff80000
	v_cndmask_b32_e64 v43, v45, v43, s[28:29]
	v_cmp_nge_f64_e64 s[28:29], -1.0, v[40:41]
	s_and_b64 s[26:27], s[28:29], s[26:27]
	v_cndmask_b32_e64 v42, 0, v42, s[26:27]
	v_mov_b32_e32 v45, 0xfff00000
	v_cmp_neq_f64_e64 s[26:27], -1.0, v[40:41]
	s_nop 1
	v_cndmask_b32_e64 v43, v45, v43, s[26:27]
	v_add_f64 v[40:41], v[16:17], v[42:43]
.LBB75_32:
	s_or_b64 exec, exec, s[36:37]
	v_mov_b32_e32 v42, v40
	v_mov_b32_e32 v43, v41
	v_mov_b64_e32 v[16:17], v[40:41]
.LBB75_33:
	s_or_b64 exec, exec, s[34:35]
	v_mov_b32_dpp v40, v42 row_shr:2 row_mask:0xf bank_mask:0xf
	v_mov_b32_dpp v41, v43 row_shr:2 row_mask:0xf bank_mask:0xf
	v_cmp_lt_u32_e64 s[26:27], 1, v44
	s_and_saveexec_b64 s[34:35], s[26:27]
	s_cbranch_execz .LBB75_37
; %bb.34:
	v_max_f64 v[46:47], v[40:41], v[40:41]
	v_max_f64 v[48:49], v[16:17], v[16:17]
	v_min_f64 v[42:43], v[46:47], v[48:49]
	v_cmp_u_f64_e64 s[26:27], v[40:41], v[40:41]
	v_max_f64 v[46:47], v[46:47], v[48:49]
	v_cmp_u_f64_e64 s[28:29], v[16:17], v[16:17]
	v_cndmask_b32_e64 v43, v43, v41, s[26:27]
	v_cndmask_b32_e64 v42, v42, v40, s[26:27]
	;; [unrolled: 1-line block ×8, first 2 shown]
	s_movk_i32 s28, 0x1f8
	v_cmp_neq_f64_e64 s[26:27], v[42:43], v[16:17]
	v_cmp_class_f64_e64 s[28:29], v[42:43], s28
	s_or_b64 s[26:27], s[26:27], s[28:29]
	s_and_saveexec_b64 s[36:37], s[26:27]
	s_cbranch_execz .LBB75_36
; %bb.35:
	s_mov_b32 s26, 0x652b82fe
	v_add_f64 v[40:41], v[42:43], -v[16:17]
	s_mov_b32 s27, 0x3ff71547
	v_mul_f64 v[42:43], v[40:41], s[26:27]
	v_rndne_f64_e32 v[42:43], v[42:43]
	s_mov_b32 s39, 0xbfe62e42
	s_mov_b32 s38, 0xfefa39ef
	v_fma_f64 v[46:47], s[38:39], v[42:43], v[40:41]
	s_mov_b32 s41, 0xbc7abc9e
	s_mov_b32 s40, 0x3b39803f
	;; [unrolled: 1-line block ×3, first 2 shown]
	v_fmac_f64_e32 v[46:47], s[40:41], v[42:43]
	v_mov_b32_e32 v48, 0xfca7ab0c
	v_mov_b32_e32 v49, 0x3e928af3
	s_mov_b32 s27, 0x3e5ade15
	v_fmac_f64_e32 v[48:49], s[26:27], v[46:47]
	v_mov_b32_e32 v50, 0x623fde64
	v_mov_b32_e32 v51, 0x3ec71dee
	v_fmac_f64_e32 v[50:51], v[46:47], v[48:49]
	v_mov_b32_e32 v48, 0x7c89e6b0
	v_mov_b32_e32 v49, 0x3efa0199
	;; [unrolled: 3-line block ×8, first 2 shown]
	v_fmac_f64_e32 v[48:49], v[46:47], v[50:51]
	v_fma_f64 v[48:49], v[46:47], v[48:49], 1.0
	s_mov_b32 s26, 0
	s_mov_b32 s28, 0
	v_fma_f64 v[46:47], v[46:47], v[48:49], 1.0
	v_cvt_i32_f64_e32 v42, v[42:43]
	s_mov_b32 s27, 0x40900000
	s_mov_b32 s29, 0xc090cc00
	v_ldexp_f64 v[42:43], v[46:47], v42
	v_mov_b32_e32 v45, 0x7ff00000
	v_cmp_nlt_f64_e64 s[26:27], s[26:27], v[40:41]
	v_cmp_ngt_f64_e64 s[28:29], s[28:29], v[40:41]
	s_mov_b32 s39, 0x3fe62e42
	v_cndmask_b32_e64 v43, v45, v43, s[26:27]
	s_and_b64 s[26:27], s[28:29], s[26:27]
	v_cndmask_b32_e64 v41, 0, v43, s[28:29]
	v_cndmask_b32_e64 v40, 0, v42, s[26:27]
	v_add_f64 v[42:43], v[40:41], 1.0
	v_add_f64 v[46:47], v[42:43], -1.0
	v_add_f64 v[48:49], v[46:47], -v[42:43]
	v_add_f64 v[48:49], v[48:49], 1.0
	v_add_f64 v[46:47], v[40:41], -v[46:47]
	s_mov_b32 s26, 0x55555555
	v_add_f64 v[46:47], v[46:47], v[48:49]
	v_frexp_mant_f64_e32 v[48:49], v[42:43]
	s_mov_b32 s27, 0x3fe55555
	v_frexp_exp_i32_f64_e32 v50, v[42:43]
	v_cmp_gt_f64_e64 s[26:27], s[26:27], v[48:49]
	s_mov_b32 s41, 0x3c7abc9e
	v_cmp_ngt_f64_e64 s[28:29], -1.0, v[40:41]
	v_subbrev_co_u32_e64 v64, s[26:27], 0, v50, s[26:27]
	v_sub_u32_e32 v48, 0, v64
	v_ldexp_f64 v[42:43], v[42:43], v48
	v_ldexp_f64 v[46:47], v[46:47], v48
	v_add_f64 v[48:49], v[42:43], -1.0
	v_add_f64 v[54:55], v[42:43], 1.0
	v_add_f64 v[50:51], v[48:49], 1.0
	v_add_f64 v[56:57], v[54:55], -1.0
	v_add_f64 v[50:51], v[42:43], -v[50:51]
	v_add_f64 v[42:43], v[42:43], -v[56:57]
	v_add_f64 v[42:43], v[46:47], v[42:43]
	v_add_f64 v[50:51], v[46:47], v[50:51]
	;; [unrolled: 1-line block ×3, first 2 shown]
	v_rcp_f64_e32 v[56:57], v[46:47]
	v_add_f64 v[52:53], v[48:49], v[50:51]
	v_add_f64 v[48:49], v[52:53], -v[48:49]
	v_add_f64 v[48:49], v[50:51], -v[48:49]
	;; [unrolled: 1-line block ×4, first 2 shown]
	v_fma_f64 v[50:51], -v[46:47], v[56:57], 1.0
	v_fmac_f64_e32 v[56:57], v[50:51], v[56:57]
	v_fma_f64 v[50:51], -v[46:47], v[56:57], 1.0
	v_fmac_f64_e32 v[56:57], v[50:51], v[56:57]
	v_mul_f64 v[50:51], v[52:53], v[56:57]
	v_mul_f64 v[54:55], v[46:47], v[50:51]
	v_fma_f64 v[58:59], v[50:51], v[46:47], -v[54:55]
	v_fmac_f64_e32 v[58:59], v[50:51], v[42:43]
	v_add_f64 v[60:61], v[54:55], v[58:59]
	v_add_f64 v[62:63], v[52:53], -v[60:61]
	v_add_f64 v[52:53], v[52:53], -v[62:63]
	v_add_f64 v[54:55], v[60:61], -v[54:55]
	v_add_f64 v[52:53], v[52:53], -v[60:61]
	v_add_f64 v[48:49], v[48:49], v[52:53]
	v_add_f64 v[52:53], v[54:55], -v[58:59]
	v_add_f64 v[48:49], v[52:53], v[48:49]
	v_add_f64 v[52:53], v[62:63], v[48:49]
	v_add_f64 v[54:55], v[62:63], -v[52:53]
	v_add_f64 v[48:49], v[48:49], v[54:55]
	v_mul_f64 v[54:55], v[56:57], v[52:53]
	v_mul_f64 v[58:59], v[46:47], v[54:55]
	v_fma_f64 v[46:47], v[54:55], v[46:47], -v[58:59]
	v_fmac_f64_e32 v[46:47], v[54:55], v[42:43]
	v_add_f64 v[42:43], v[58:59], v[46:47]
	v_add_f64 v[60:61], v[52:53], -v[42:43]
	v_add_f64 v[52:53], v[52:53], -v[60:61]
	;; [unrolled: 1-line block ×4, first 2 shown]
	v_add_f64 v[42:43], v[48:49], v[42:43]
	v_add_f64 v[46:47], v[58:59], -v[46:47]
	v_add_f64 v[42:43], v[46:47], v[42:43]
	v_add_f64 v[46:47], v[50:51], v[54:55]
	;; [unrolled: 1-line block ×3, first 2 shown]
	v_add_f64 v[48:49], v[46:47], -v[50:51]
	v_mul_f64 v[42:43], v[56:57], v[42:43]
	v_add_f64 v[48:49], v[54:55], -v[48:49]
	v_add_f64 v[42:43], v[48:49], v[42:43]
	v_add_f64 v[48:49], v[46:47], v[42:43]
	v_add_f64 v[46:47], v[48:49], -v[46:47]
	s_mov_b32 s26, 0xbf559e2b
	v_add_f64 v[42:43], v[42:43], -v[46:47]
	v_mul_f64 v[46:47], v[48:49], v[48:49]
	v_mov_b32_e32 v50, 0x6b47b09a
	v_mov_b32_e32 v51, 0x3fc38538
	s_mov_b32 s27, 0x3fc3ab76
	v_fmac_f64_e32 v[50:51], s[26:27], v[46:47]
	v_mov_b32_e32 v52, 0xd7f4df2e
	v_mov_b32_e32 v53, 0x3fc7474d
	v_fmac_f64_e32 v[52:53], v[46:47], v[50:51]
	v_mov_b32_e32 v50, 0x16291751
	v_mov_b32_e32 v51, 0x3fcc71c0
	;; [unrolled: 3-line block ×5, first 2 shown]
	v_fmac_f64_e32 v[52:53], v[46:47], v[50:51]
	v_cvt_f64_i32_e32 v[50:51], v64
	v_mul_f64 v[54:55], v[50:51], s[38:39]
	v_fma_f64 v[56:57], v[50:51], s[38:39], -v[54:55]
	v_fmac_f64_e32 v[56:57], s[40:41], v[50:51]
	v_add_f64 v[50:51], v[54:55], v[56:57]
	v_add_f64 v[54:55], v[50:51], -v[54:55]
	v_mul_f64 v[46:47], v[48:49], v[46:47]
	v_add_f64 v[54:55], v[56:57], -v[54:55]
	v_ldexp_f64 v[56:57], v[48:49], 1
	v_mul_f64 v[46:47], v[46:47], v[52:53]
	v_add_f64 v[48:49], v[56:57], v[46:47]
	v_add_f64 v[52:53], v[48:49], -v[56:57]
	v_ldexp_f64 v[42:43], v[42:43], 1
	v_add_f64 v[46:47], v[46:47], -v[52:53]
	v_add_f64 v[42:43], v[42:43], v[46:47]
	v_add_f64 v[46:47], v[48:49], v[42:43]
	v_add_f64 v[48:49], v[46:47], -v[48:49]
	v_add_f64 v[42:43], v[42:43], -v[48:49]
	v_add_f64 v[48:49], v[50:51], v[46:47]
	v_add_f64 v[52:53], v[48:49], -v[50:51]
	v_add_f64 v[56:57], v[48:49], -v[52:53]
	;; [unrolled: 1-line block ×4, first 2 shown]
	v_add_f64 v[46:47], v[46:47], v[50:51]
	v_add_f64 v[50:51], v[54:55], v[42:43]
	v_add_f64 v[52:53], v[50:51], -v[54:55]
	v_add_f64 v[46:47], v[50:51], v[46:47]
	v_add_f64 v[56:57], v[50:51], -v[52:53]
	;; [unrolled: 2-line block ×3, first 2 shown]
	v_add_f64 v[42:43], v[42:43], -v[52:53]
	v_add_f64 v[48:49], v[50:51], -v[48:49]
	v_add_f64 v[42:43], v[42:43], v[54:55]
	v_add_f64 v[46:47], v[46:47], -v[48:49]
	s_mov_b32 s26, 0
	v_add_f64 v[42:43], v[42:43], v[46:47]
	s_mov_b32 s27, 0x7ff00000
	v_add_f64 v[42:43], v[50:51], v[42:43]
	v_cmp_neq_f64_e64 s[26:27], s[26:27], v[40:41]
	s_nop 1
	v_cndmask_b32_e64 v43, v45, v43, s[26:27]
	v_mov_b32_e32 v45, 0x7ff80000
	v_cndmask_b32_e64 v43, v45, v43, s[28:29]
	v_cmp_nge_f64_e64 s[28:29], -1.0, v[40:41]
	s_and_b64 s[26:27], s[28:29], s[26:27]
	v_cndmask_b32_e64 v42, 0, v42, s[26:27]
	v_mov_b32_e32 v45, 0xfff00000
	v_cmp_neq_f64_e64 s[26:27], -1.0, v[40:41]
	s_nop 1
	v_cndmask_b32_e64 v43, v45, v43, s[26:27]
	v_add_f64 v[40:41], v[16:17], v[42:43]
.LBB75_36:
	s_or_b64 exec, exec, s[36:37]
	v_mov_b64_e32 v[16:17], v[40:41]
	v_mov_b32_e32 v42, v40
	v_mov_b32_e32 v43, v41
.LBB75_37:
	s_or_b64 exec, exec, s[34:35]
	v_mov_b32_dpp v40, v42 row_shr:4 row_mask:0xf bank_mask:0xf
	v_mov_b32_dpp v41, v43 row_shr:4 row_mask:0xf bank_mask:0xf
	v_cmp_lt_u32_e64 s[26:27], 3, v44
	s_and_saveexec_b64 s[34:35], s[26:27]
	s_cbranch_execz .LBB75_41
; %bb.38:
	v_max_f64 v[46:47], v[40:41], v[40:41]
	v_max_f64 v[48:49], v[16:17], v[16:17]
	v_min_f64 v[42:43], v[46:47], v[48:49]
	v_cmp_u_f64_e64 s[26:27], v[40:41], v[40:41]
	v_max_f64 v[46:47], v[46:47], v[48:49]
	v_cmp_u_f64_e64 s[28:29], v[16:17], v[16:17]
	v_cndmask_b32_e64 v43, v43, v41, s[26:27]
	v_cndmask_b32_e64 v42, v42, v40, s[26:27]
	;; [unrolled: 1-line block ×8, first 2 shown]
	s_movk_i32 s28, 0x1f8
	v_cmp_neq_f64_e64 s[26:27], v[42:43], v[16:17]
	v_cmp_class_f64_e64 s[28:29], v[42:43], s28
	s_or_b64 s[26:27], s[26:27], s[28:29]
	s_and_saveexec_b64 s[36:37], s[26:27]
	s_cbranch_execz .LBB75_40
; %bb.39:
	s_mov_b32 s26, 0x652b82fe
	v_add_f64 v[40:41], v[42:43], -v[16:17]
	s_mov_b32 s27, 0x3ff71547
	v_mul_f64 v[42:43], v[40:41], s[26:27]
	v_rndne_f64_e32 v[42:43], v[42:43]
	s_mov_b32 s39, 0xbfe62e42
	s_mov_b32 s38, 0xfefa39ef
	v_fma_f64 v[46:47], s[38:39], v[42:43], v[40:41]
	s_mov_b32 s41, 0xbc7abc9e
	s_mov_b32 s40, 0x3b39803f
	;; [unrolled: 1-line block ×3, first 2 shown]
	v_fmac_f64_e32 v[46:47], s[40:41], v[42:43]
	v_mov_b32_e32 v48, 0xfca7ab0c
	v_mov_b32_e32 v49, 0x3e928af3
	s_mov_b32 s27, 0x3e5ade15
	v_fmac_f64_e32 v[48:49], s[26:27], v[46:47]
	v_mov_b32_e32 v50, 0x623fde64
	v_mov_b32_e32 v51, 0x3ec71dee
	v_fmac_f64_e32 v[50:51], v[46:47], v[48:49]
	v_mov_b32_e32 v48, 0x7c89e6b0
	v_mov_b32_e32 v49, 0x3efa0199
	;; [unrolled: 3-line block ×8, first 2 shown]
	v_fmac_f64_e32 v[48:49], v[46:47], v[50:51]
	v_fma_f64 v[48:49], v[46:47], v[48:49], 1.0
	s_mov_b32 s26, 0
	s_mov_b32 s28, 0
	v_fma_f64 v[46:47], v[46:47], v[48:49], 1.0
	v_cvt_i32_f64_e32 v42, v[42:43]
	s_mov_b32 s27, 0x40900000
	s_mov_b32 s29, 0xc090cc00
	v_ldexp_f64 v[42:43], v[46:47], v42
	v_mov_b32_e32 v45, 0x7ff00000
	v_cmp_nlt_f64_e64 s[26:27], s[26:27], v[40:41]
	v_cmp_ngt_f64_e64 s[28:29], s[28:29], v[40:41]
	s_mov_b32 s39, 0x3fe62e42
	v_cndmask_b32_e64 v43, v45, v43, s[26:27]
	s_and_b64 s[26:27], s[28:29], s[26:27]
	v_cndmask_b32_e64 v41, 0, v43, s[28:29]
	v_cndmask_b32_e64 v40, 0, v42, s[26:27]
	v_add_f64 v[42:43], v[40:41], 1.0
	v_add_f64 v[46:47], v[42:43], -1.0
	v_add_f64 v[48:49], v[46:47], -v[42:43]
	v_add_f64 v[48:49], v[48:49], 1.0
	v_add_f64 v[46:47], v[40:41], -v[46:47]
	s_mov_b32 s26, 0x55555555
	v_add_f64 v[46:47], v[46:47], v[48:49]
	v_frexp_mant_f64_e32 v[48:49], v[42:43]
	s_mov_b32 s27, 0x3fe55555
	v_frexp_exp_i32_f64_e32 v50, v[42:43]
	v_cmp_gt_f64_e64 s[26:27], s[26:27], v[48:49]
	s_mov_b32 s41, 0x3c7abc9e
	v_cmp_ngt_f64_e64 s[28:29], -1.0, v[40:41]
	v_subbrev_co_u32_e64 v64, s[26:27], 0, v50, s[26:27]
	v_sub_u32_e32 v48, 0, v64
	v_ldexp_f64 v[42:43], v[42:43], v48
	v_ldexp_f64 v[46:47], v[46:47], v48
	v_add_f64 v[48:49], v[42:43], -1.0
	v_add_f64 v[54:55], v[42:43], 1.0
	v_add_f64 v[50:51], v[48:49], 1.0
	v_add_f64 v[56:57], v[54:55], -1.0
	v_add_f64 v[50:51], v[42:43], -v[50:51]
	v_add_f64 v[42:43], v[42:43], -v[56:57]
	v_add_f64 v[42:43], v[46:47], v[42:43]
	v_add_f64 v[50:51], v[46:47], v[50:51]
	;; [unrolled: 1-line block ×3, first 2 shown]
	v_rcp_f64_e32 v[56:57], v[46:47]
	v_add_f64 v[52:53], v[48:49], v[50:51]
	v_add_f64 v[48:49], v[52:53], -v[48:49]
	v_add_f64 v[48:49], v[50:51], -v[48:49]
	;; [unrolled: 1-line block ×4, first 2 shown]
	v_fma_f64 v[50:51], -v[46:47], v[56:57], 1.0
	v_fmac_f64_e32 v[56:57], v[50:51], v[56:57]
	v_fma_f64 v[50:51], -v[46:47], v[56:57], 1.0
	v_fmac_f64_e32 v[56:57], v[50:51], v[56:57]
	v_mul_f64 v[50:51], v[52:53], v[56:57]
	v_mul_f64 v[54:55], v[46:47], v[50:51]
	v_fma_f64 v[58:59], v[50:51], v[46:47], -v[54:55]
	v_fmac_f64_e32 v[58:59], v[50:51], v[42:43]
	v_add_f64 v[60:61], v[54:55], v[58:59]
	v_add_f64 v[62:63], v[52:53], -v[60:61]
	v_add_f64 v[52:53], v[52:53], -v[62:63]
	;; [unrolled: 1-line block ×4, first 2 shown]
	v_add_f64 v[48:49], v[48:49], v[52:53]
	v_add_f64 v[52:53], v[54:55], -v[58:59]
	v_add_f64 v[48:49], v[52:53], v[48:49]
	v_add_f64 v[52:53], v[62:63], v[48:49]
	v_add_f64 v[54:55], v[62:63], -v[52:53]
	v_add_f64 v[48:49], v[48:49], v[54:55]
	v_mul_f64 v[54:55], v[56:57], v[52:53]
	v_mul_f64 v[58:59], v[46:47], v[54:55]
	v_fma_f64 v[46:47], v[54:55], v[46:47], -v[58:59]
	v_fmac_f64_e32 v[46:47], v[54:55], v[42:43]
	v_add_f64 v[42:43], v[58:59], v[46:47]
	v_add_f64 v[60:61], v[52:53], -v[42:43]
	v_add_f64 v[52:53], v[52:53], -v[60:61]
	;; [unrolled: 1-line block ×4, first 2 shown]
	v_add_f64 v[42:43], v[48:49], v[42:43]
	v_add_f64 v[46:47], v[58:59], -v[46:47]
	v_add_f64 v[42:43], v[46:47], v[42:43]
	v_add_f64 v[46:47], v[50:51], v[54:55]
	;; [unrolled: 1-line block ×3, first 2 shown]
	v_add_f64 v[48:49], v[46:47], -v[50:51]
	v_mul_f64 v[42:43], v[56:57], v[42:43]
	v_add_f64 v[48:49], v[54:55], -v[48:49]
	v_add_f64 v[42:43], v[48:49], v[42:43]
	v_add_f64 v[48:49], v[46:47], v[42:43]
	v_add_f64 v[46:47], v[48:49], -v[46:47]
	s_mov_b32 s26, 0xbf559e2b
	v_add_f64 v[42:43], v[42:43], -v[46:47]
	v_mul_f64 v[46:47], v[48:49], v[48:49]
	v_mov_b32_e32 v50, 0x6b47b09a
	v_mov_b32_e32 v51, 0x3fc38538
	s_mov_b32 s27, 0x3fc3ab76
	v_fmac_f64_e32 v[50:51], s[26:27], v[46:47]
	v_mov_b32_e32 v52, 0xd7f4df2e
	v_mov_b32_e32 v53, 0x3fc7474d
	v_fmac_f64_e32 v[52:53], v[46:47], v[50:51]
	v_mov_b32_e32 v50, 0x16291751
	v_mov_b32_e32 v51, 0x3fcc71c0
	;; [unrolled: 3-line block ×5, first 2 shown]
	v_fmac_f64_e32 v[52:53], v[46:47], v[50:51]
	v_cvt_f64_i32_e32 v[50:51], v64
	v_mul_f64 v[54:55], v[50:51], s[38:39]
	v_fma_f64 v[56:57], v[50:51], s[38:39], -v[54:55]
	v_fmac_f64_e32 v[56:57], s[40:41], v[50:51]
	v_add_f64 v[50:51], v[54:55], v[56:57]
	v_add_f64 v[54:55], v[50:51], -v[54:55]
	v_mul_f64 v[46:47], v[48:49], v[46:47]
	v_add_f64 v[54:55], v[56:57], -v[54:55]
	v_ldexp_f64 v[56:57], v[48:49], 1
	v_mul_f64 v[46:47], v[46:47], v[52:53]
	v_add_f64 v[48:49], v[56:57], v[46:47]
	v_add_f64 v[52:53], v[48:49], -v[56:57]
	v_ldexp_f64 v[42:43], v[42:43], 1
	v_add_f64 v[46:47], v[46:47], -v[52:53]
	v_add_f64 v[42:43], v[42:43], v[46:47]
	v_add_f64 v[46:47], v[48:49], v[42:43]
	v_add_f64 v[48:49], v[46:47], -v[48:49]
	v_add_f64 v[42:43], v[42:43], -v[48:49]
	v_add_f64 v[48:49], v[50:51], v[46:47]
	v_add_f64 v[52:53], v[48:49], -v[50:51]
	v_add_f64 v[56:57], v[48:49], -v[52:53]
	;; [unrolled: 1-line block ×4, first 2 shown]
	v_add_f64 v[46:47], v[46:47], v[50:51]
	v_add_f64 v[50:51], v[54:55], v[42:43]
	v_add_f64 v[52:53], v[50:51], -v[54:55]
	v_add_f64 v[46:47], v[50:51], v[46:47]
	v_add_f64 v[56:57], v[50:51], -v[52:53]
	;; [unrolled: 2-line block ×3, first 2 shown]
	v_add_f64 v[42:43], v[42:43], -v[52:53]
	v_add_f64 v[48:49], v[50:51], -v[48:49]
	v_add_f64 v[42:43], v[42:43], v[54:55]
	v_add_f64 v[46:47], v[46:47], -v[48:49]
	s_mov_b32 s26, 0
	v_add_f64 v[42:43], v[42:43], v[46:47]
	s_mov_b32 s27, 0x7ff00000
	v_add_f64 v[42:43], v[50:51], v[42:43]
	v_cmp_neq_f64_e64 s[26:27], s[26:27], v[40:41]
	s_nop 1
	v_cndmask_b32_e64 v43, v45, v43, s[26:27]
	v_mov_b32_e32 v45, 0x7ff80000
	v_cndmask_b32_e64 v43, v45, v43, s[28:29]
	v_cmp_nge_f64_e64 s[28:29], -1.0, v[40:41]
	s_and_b64 s[26:27], s[28:29], s[26:27]
	v_cndmask_b32_e64 v42, 0, v42, s[26:27]
	v_mov_b32_e32 v45, 0xfff00000
	v_cmp_neq_f64_e64 s[26:27], -1.0, v[40:41]
	s_nop 1
	v_cndmask_b32_e64 v43, v45, v43, s[26:27]
	v_add_f64 v[40:41], v[16:17], v[42:43]
.LBB75_40:
	s_or_b64 exec, exec, s[36:37]
	v_mov_b64_e32 v[16:17], v[40:41]
	v_mov_b32_e32 v42, v40
	v_mov_b32_e32 v43, v41
.LBB75_41:
	s_or_b64 exec, exec, s[34:35]
	v_mov_b32_dpp v40, v42 row_shr:8 row_mask:0xf bank_mask:0xf
	v_mov_b32_dpp v41, v43 row_shr:8 row_mask:0xf bank_mask:0xf
	v_cmp_lt_u32_e64 s[26:27], 7, v44
	s_and_saveexec_b64 s[34:35], s[26:27]
	s_cbranch_execz .LBB75_45
; %bb.42:
	v_max_f64 v[44:45], v[40:41], v[40:41]
	v_max_f64 v[46:47], v[16:17], v[16:17]
	v_min_f64 v[42:43], v[44:45], v[46:47]
	v_cmp_u_f64_e64 s[26:27], v[40:41], v[40:41]
	v_max_f64 v[44:45], v[44:45], v[46:47]
	v_cmp_u_f64_e64 s[28:29], v[16:17], v[16:17]
	v_cndmask_b32_e64 v43, v43, v41, s[26:27]
	v_cndmask_b32_e64 v42, v42, v40, s[26:27]
	v_cndmask_b32_e64 v45, v45, v41, s[26:27]
	v_cndmask_b32_e64 v44, v44, v40, s[26:27]
	v_cndmask_b32_e64 v43, v43, v17, s[28:29]
	v_cndmask_b32_e64 v42, v42, v16, s[28:29]
	v_cndmask_b32_e64 v17, v45, v17, s[28:29]
	v_cndmask_b32_e64 v16, v44, v16, s[28:29]
	s_movk_i32 s28, 0x1f8
	v_cmp_neq_f64_e64 s[26:27], v[42:43], v[16:17]
	v_cmp_class_f64_e64 s[28:29], v[42:43], s28
	s_or_b64 s[26:27], s[26:27], s[28:29]
	s_and_saveexec_b64 s[36:37], s[26:27]
	s_cbranch_execz .LBB75_44
; %bb.43:
	s_mov_b32 s26, 0x652b82fe
	v_add_f64 v[40:41], v[42:43], -v[16:17]
	s_mov_b32 s27, 0x3ff71547
	v_mul_f64 v[42:43], v[40:41], s[26:27]
	v_rndne_f64_e32 v[42:43], v[42:43]
	s_mov_b32 s39, 0xbfe62e42
	s_mov_b32 s38, 0xfefa39ef
	v_fma_f64 v[44:45], s[38:39], v[42:43], v[40:41]
	s_mov_b32 s41, 0xbc7abc9e
	s_mov_b32 s40, 0x3b39803f
	;; [unrolled: 1-line block ×3, first 2 shown]
	v_fmac_f64_e32 v[44:45], s[40:41], v[42:43]
	v_mov_b32_e32 v46, 0xfca7ab0c
	v_mov_b32_e32 v47, 0x3e928af3
	s_mov_b32 s27, 0x3e5ade15
	v_fmac_f64_e32 v[46:47], s[26:27], v[44:45]
	v_mov_b32_e32 v48, 0x623fde64
	v_mov_b32_e32 v49, 0x3ec71dee
	v_fmac_f64_e32 v[48:49], v[44:45], v[46:47]
	v_mov_b32_e32 v46, 0x7c89e6b0
	v_mov_b32_e32 v47, 0x3efa0199
	;; [unrolled: 3-line block ×8, first 2 shown]
	v_fmac_f64_e32 v[46:47], v[44:45], v[48:49]
	v_fma_f64 v[46:47], v[44:45], v[46:47], 1.0
	s_mov_b32 s26, 0
	s_mov_b32 s28, 0
	v_fma_f64 v[44:45], v[44:45], v[46:47], 1.0
	v_cvt_i32_f64_e32 v42, v[42:43]
	s_mov_b32 s27, 0x40900000
	s_mov_b32 s29, 0xc090cc00
	v_ldexp_f64 v[42:43], v[44:45], v42
	v_mov_b32_e32 v62, 0x7ff00000
	v_cmp_nlt_f64_e64 s[26:27], s[26:27], v[40:41]
	v_cmp_ngt_f64_e64 s[28:29], s[28:29], v[40:41]
	s_mov_b32 s39, 0x3fe62e42
	v_cndmask_b32_e64 v43, v62, v43, s[26:27]
	s_and_b64 s[26:27], s[28:29], s[26:27]
	v_cndmask_b32_e64 v41, 0, v43, s[28:29]
	v_cndmask_b32_e64 v40, 0, v42, s[26:27]
	v_add_f64 v[42:43], v[40:41], 1.0
	v_add_f64 v[44:45], v[42:43], -1.0
	v_add_f64 v[46:47], v[44:45], -v[42:43]
	v_add_f64 v[46:47], v[46:47], 1.0
	v_add_f64 v[44:45], v[40:41], -v[44:45]
	s_mov_b32 s26, 0x55555555
	v_add_f64 v[44:45], v[44:45], v[46:47]
	v_frexp_mant_f64_e32 v[46:47], v[42:43]
	s_mov_b32 s27, 0x3fe55555
	v_frexp_exp_i32_f64_e32 v48, v[42:43]
	v_cmp_gt_f64_e64 s[26:27], s[26:27], v[46:47]
	s_mov_b32 s41, 0x3c7abc9e
	v_cmp_ngt_f64_e64 s[28:29], -1.0, v[40:41]
	v_subbrev_co_u32_e64 v63, s[26:27], 0, v48, s[26:27]
	v_sub_u32_e32 v46, 0, v63
	v_ldexp_f64 v[42:43], v[42:43], v46
	v_ldexp_f64 v[44:45], v[44:45], v46
	v_add_f64 v[46:47], v[42:43], -1.0
	v_add_f64 v[52:53], v[42:43], 1.0
	v_add_f64 v[48:49], v[46:47], 1.0
	v_add_f64 v[54:55], v[52:53], -1.0
	v_add_f64 v[48:49], v[42:43], -v[48:49]
	v_add_f64 v[42:43], v[42:43], -v[54:55]
	v_add_f64 v[42:43], v[44:45], v[42:43]
	v_add_f64 v[48:49], v[44:45], v[48:49]
	;; [unrolled: 1-line block ×3, first 2 shown]
	v_rcp_f64_e32 v[54:55], v[44:45]
	v_add_f64 v[50:51], v[46:47], v[48:49]
	v_add_f64 v[46:47], v[50:51], -v[46:47]
	v_add_f64 v[46:47], v[48:49], -v[46:47]
	;; [unrolled: 1-line block ×4, first 2 shown]
	v_fma_f64 v[48:49], -v[44:45], v[54:55], 1.0
	v_fmac_f64_e32 v[54:55], v[48:49], v[54:55]
	v_fma_f64 v[48:49], -v[44:45], v[54:55], 1.0
	v_fmac_f64_e32 v[54:55], v[48:49], v[54:55]
	v_mul_f64 v[48:49], v[50:51], v[54:55]
	v_mul_f64 v[52:53], v[44:45], v[48:49]
	v_fma_f64 v[56:57], v[48:49], v[44:45], -v[52:53]
	v_fmac_f64_e32 v[56:57], v[48:49], v[42:43]
	v_add_f64 v[58:59], v[52:53], v[56:57]
	v_add_f64 v[60:61], v[50:51], -v[58:59]
	v_add_f64 v[50:51], v[50:51], -v[60:61]
	;; [unrolled: 1-line block ×4, first 2 shown]
	v_add_f64 v[46:47], v[46:47], v[50:51]
	v_add_f64 v[50:51], v[52:53], -v[56:57]
	v_add_f64 v[46:47], v[50:51], v[46:47]
	v_add_f64 v[50:51], v[60:61], v[46:47]
	v_add_f64 v[52:53], v[60:61], -v[50:51]
	v_add_f64 v[46:47], v[46:47], v[52:53]
	v_mul_f64 v[52:53], v[54:55], v[50:51]
	v_mul_f64 v[56:57], v[44:45], v[52:53]
	v_fma_f64 v[44:45], v[52:53], v[44:45], -v[56:57]
	v_fmac_f64_e32 v[44:45], v[52:53], v[42:43]
	v_add_f64 v[42:43], v[56:57], v[44:45]
	v_add_f64 v[58:59], v[50:51], -v[42:43]
	v_add_f64 v[50:51], v[50:51], -v[58:59]
	;; [unrolled: 1-line block ×4, first 2 shown]
	v_add_f64 v[42:43], v[46:47], v[42:43]
	v_add_f64 v[44:45], v[56:57], -v[44:45]
	v_add_f64 v[42:43], v[44:45], v[42:43]
	v_add_f64 v[44:45], v[48:49], v[52:53]
	;; [unrolled: 1-line block ×3, first 2 shown]
	v_add_f64 v[46:47], v[44:45], -v[48:49]
	v_mul_f64 v[42:43], v[54:55], v[42:43]
	v_add_f64 v[46:47], v[52:53], -v[46:47]
	v_add_f64 v[42:43], v[46:47], v[42:43]
	v_add_f64 v[46:47], v[44:45], v[42:43]
	v_add_f64 v[44:45], v[46:47], -v[44:45]
	s_mov_b32 s26, 0xbf559e2b
	v_add_f64 v[42:43], v[42:43], -v[44:45]
	v_mul_f64 v[44:45], v[46:47], v[46:47]
	v_mov_b32_e32 v48, 0x6b47b09a
	v_mov_b32_e32 v49, 0x3fc38538
	s_mov_b32 s27, 0x3fc3ab76
	v_fmac_f64_e32 v[48:49], s[26:27], v[44:45]
	v_mov_b32_e32 v50, 0xd7f4df2e
	v_mov_b32_e32 v51, 0x3fc7474d
	v_fmac_f64_e32 v[50:51], v[44:45], v[48:49]
	v_mov_b32_e32 v48, 0x16291751
	v_mov_b32_e32 v49, 0x3fcc71c0
	;; [unrolled: 3-line block ×5, first 2 shown]
	v_fmac_f64_e32 v[50:51], v[44:45], v[48:49]
	v_cvt_f64_i32_e32 v[48:49], v63
	v_mul_f64 v[52:53], v[48:49], s[38:39]
	v_fma_f64 v[54:55], v[48:49], s[38:39], -v[52:53]
	v_fmac_f64_e32 v[54:55], s[40:41], v[48:49]
	v_add_f64 v[48:49], v[52:53], v[54:55]
	v_add_f64 v[52:53], v[48:49], -v[52:53]
	v_mul_f64 v[44:45], v[46:47], v[44:45]
	v_add_f64 v[52:53], v[54:55], -v[52:53]
	v_ldexp_f64 v[54:55], v[46:47], 1
	v_mul_f64 v[44:45], v[44:45], v[50:51]
	v_add_f64 v[46:47], v[54:55], v[44:45]
	v_add_f64 v[50:51], v[46:47], -v[54:55]
	v_ldexp_f64 v[42:43], v[42:43], 1
	v_add_f64 v[44:45], v[44:45], -v[50:51]
	v_add_f64 v[42:43], v[42:43], v[44:45]
	v_add_f64 v[44:45], v[46:47], v[42:43]
	v_add_f64 v[46:47], v[44:45], -v[46:47]
	v_add_f64 v[42:43], v[42:43], -v[46:47]
	v_add_f64 v[46:47], v[48:49], v[44:45]
	v_add_f64 v[50:51], v[46:47], -v[48:49]
	v_add_f64 v[54:55], v[46:47], -v[50:51]
	;; [unrolled: 1-line block ×4, first 2 shown]
	v_add_f64 v[44:45], v[44:45], v[48:49]
	v_add_f64 v[48:49], v[52:53], v[42:43]
	v_add_f64 v[50:51], v[48:49], -v[52:53]
	v_add_f64 v[44:45], v[48:49], v[44:45]
	v_add_f64 v[54:55], v[48:49], -v[50:51]
	;; [unrolled: 2-line block ×3, first 2 shown]
	v_add_f64 v[42:43], v[42:43], -v[50:51]
	v_add_f64 v[46:47], v[48:49], -v[46:47]
	v_add_f64 v[42:43], v[42:43], v[52:53]
	v_add_f64 v[44:45], v[44:45], -v[46:47]
	s_mov_b32 s26, 0
	v_add_f64 v[42:43], v[42:43], v[44:45]
	s_mov_b32 s27, 0x7ff00000
	v_add_f64 v[42:43], v[48:49], v[42:43]
	v_cmp_neq_f64_e64 s[26:27], s[26:27], v[40:41]
	v_mov_b32_e32 v44, 0x7ff80000
	s_nop 0
	v_cndmask_b32_e64 v43, v62, v43, s[26:27]
	v_cndmask_b32_e64 v43, v44, v43, s[28:29]
	v_cmp_nge_f64_e64 s[28:29], -1.0, v[40:41]
	s_and_b64 s[26:27], s[28:29], s[26:27]
	v_cndmask_b32_e64 v42, 0, v42, s[26:27]
	v_mov_b32_e32 v44, 0xfff00000
	v_cmp_neq_f64_e64 s[26:27], -1.0, v[40:41]
	s_nop 1
	v_cndmask_b32_e64 v43, v44, v43, s[26:27]
	v_add_f64 v[40:41], v[16:17], v[42:43]
.LBB75_44:
	s_or_b64 exec, exec, s[36:37]
	v_mov_b64_e32 v[16:17], v[40:41]
	v_mov_b32_e32 v42, v40
	v_mov_b32_e32 v43, v41
.LBB75_45:
	s_or_b64 exec, exec, s[34:35]
	v_and_b32_e32 v44, 16, v19
	v_mov_b32_dpp v40, v42 row_bcast:15 row_mask:0xf bank_mask:0xf
	v_mov_b32_dpp v41, v43 row_bcast:15 row_mask:0xf bank_mask:0xf
	v_cmp_ne_u32_e64 s[26:27], 0, v44
	s_and_saveexec_b64 s[34:35], s[26:27]
	s_cbranch_execz .LBB75_49
; %bb.46:
	v_max_f64 v[44:45], v[40:41], v[40:41]
	v_max_f64 v[46:47], v[16:17], v[16:17]
	v_min_f64 v[42:43], v[44:45], v[46:47]
	v_cmp_u_f64_e64 s[26:27], v[40:41], v[40:41]
	v_max_f64 v[44:45], v[44:45], v[46:47]
	v_cmp_u_f64_e64 s[28:29], v[16:17], v[16:17]
	v_cndmask_b32_e64 v43, v43, v41, s[26:27]
	v_cndmask_b32_e64 v42, v42, v40, s[26:27]
	;; [unrolled: 1-line block ×8, first 2 shown]
	s_movk_i32 s28, 0x1f8
	v_cmp_neq_f64_e64 s[26:27], v[42:43], v[16:17]
	v_cmp_class_f64_e64 s[28:29], v[42:43], s28
	s_or_b64 s[26:27], s[26:27], s[28:29]
	s_and_saveexec_b64 s[36:37], s[26:27]
	s_cbranch_execz .LBB75_48
; %bb.47:
	s_mov_b32 s26, 0x652b82fe
	v_add_f64 v[40:41], v[42:43], -v[16:17]
	s_mov_b32 s27, 0x3ff71547
	v_mul_f64 v[42:43], v[40:41], s[26:27]
	v_rndne_f64_e32 v[42:43], v[42:43]
	s_mov_b32 s39, 0xbfe62e42
	s_mov_b32 s38, 0xfefa39ef
	v_fma_f64 v[44:45], s[38:39], v[42:43], v[40:41]
	s_mov_b32 s41, 0xbc7abc9e
	s_mov_b32 s40, 0x3b39803f
	;; [unrolled: 1-line block ×3, first 2 shown]
	v_fmac_f64_e32 v[44:45], s[40:41], v[42:43]
	v_mov_b32_e32 v46, 0xfca7ab0c
	v_mov_b32_e32 v47, 0x3e928af3
	s_mov_b32 s27, 0x3e5ade15
	v_fmac_f64_e32 v[46:47], s[26:27], v[44:45]
	v_mov_b32_e32 v48, 0x623fde64
	v_mov_b32_e32 v49, 0x3ec71dee
	v_fmac_f64_e32 v[48:49], v[44:45], v[46:47]
	v_mov_b32_e32 v46, 0x7c89e6b0
	v_mov_b32_e32 v47, 0x3efa0199
	;; [unrolled: 3-line block ×8, first 2 shown]
	v_fmac_f64_e32 v[46:47], v[44:45], v[48:49]
	v_fma_f64 v[46:47], v[44:45], v[46:47], 1.0
	s_mov_b32 s26, 0
	s_mov_b32 s28, 0
	v_fma_f64 v[44:45], v[44:45], v[46:47], 1.0
	v_cvt_i32_f64_e32 v42, v[42:43]
	s_mov_b32 s27, 0x40900000
	s_mov_b32 s29, 0xc090cc00
	v_ldexp_f64 v[42:43], v[44:45], v42
	v_mov_b32_e32 v62, 0x7ff00000
	v_cmp_nlt_f64_e64 s[26:27], s[26:27], v[40:41]
	v_cmp_ngt_f64_e64 s[28:29], s[28:29], v[40:41]
	s_mov_b32 s39, 0x3fe62e42
	v_cndmask_b32_e64 v43, v62, v43, s[26:27]
	s_and_b64 s[26:27], s[28:29], s[26:27]
	v_cndmask_b32_e64 v41, 0, v43, s[28:29]
	v_cndmask_b32_e64 v40, 0, v42, s[26:27]
	v_add_f64 v[42:43], v[40:41], 1.0
	v_add_f64 v[44:45], v[42:43], -1.0
	v_add_f64 v[46:47], v[44:45], -v[42:43]
	v_add_f64 v[46:47], v[46:47], 1.0
	v_add_f64 v[44:45], v[40:41], -v[44:45]
	s_mov_b32 s26, 0x55555555
	v_add_f64 v[44:45], v[44:45], v[46:47]
	v_frexp_mant_f64_e32 v[46:47], v[42:43]
	s_mov_b32 s27, 0x3fe55555
	v_frexp_exp_i32_f64_e32 v48, v[42:43]
	v_cmp_gt_f64_e64 s[26:27], s[26:27], v[46:47]
	s_mov_b32 s41, 0x3c7abc9e
	v_cmp_ngt_f64_e64 s[28:29], -1.0, v[40:41]
	v_subbrev_co_u32_e64 v63, s[26:27], 0, v48, s[26:27]
	v_sub_u32_e32 v46, 0, v63
	v_ldexp_f64 v[42:43], v[42:43], v46
	v_ldexp_f64 v[44:45], v[44:45], v46
	v_add_f64 v[46:47], v[42:43], -1.0
	v_add_f64 v[52:53], v[42:43], 1.0
	v_add_f64 v[48:49], v[46:47], 1.0
	v_add_f64 v[54:55], v[52:53], -1.0
	v_add_f64 v[48:49], v[42:43], -v[48:49]
	v_add_f64 v[42:43], v[42:43], -v[54:55]
	v_add_f64 v[42:43], v[44:45], v[42:43]
	v_add_f64 v[48:49], v[44:45], v[48:49]
	;; [unrolled: 1-line block ×3, first 2 shown]
	v_rcp_f64_e32 v[54:55], v[44:45]
	v_add_f64 v[50:51], v[46:47], v[48:49]
	v_add_f64 v[46:47], v[50:51], -v[46:47]
	v_add_f64 v[46:47], v[48:49], -v[46:47]
	;; [unrolled: 1-line block ×4, first 2 shown]
	v_fma_f64 v[48:49], -v[44:45], v[54:55], 1.0
	v_fmac_f64_e32 v[54:55], v[48:49], v[54:55]
	v_fma_f64 v[48:49], -v[44:45], v[54:55], 1.0
	v_fmac_f64_e32 v[54:55], v[48:49], v[54:55]
	v_mul_f64 v[48:49], v[50:51], v[54:55]
	v_mul_f64 v[52:53], v[44:45], v[48:49]
	v_fma_f64 v[56:57], v[48:49], v[44:45], -v[52:53]
	v_fmac_f64_e32 v[56:57], v[48:49], v[42:43]
	v_add_f64 v[58:59], v[52:53], v[56:57]
	v_add_f64 v[60:61], v[50:51], -v[58:59]
	v_add_f64 v[50:51], v[50:51], -v[60:61]
	;; [unrolled: 1-line block ×4, first 2 shown]
	v_add_f64 v[46:47], v[46:47], v[50:51]
	v_add_f64 v[50:51], v[52:53], -v[56:57]
	v_add_f64 v[46:47], v[50:51], v[46:47]
	v_add_f64 v[50:51], v[60:61], v[46:47]
	v_add_f64 v[52:53], v[60:61], -v[50:51]
	v_add_f64 v[46:47], v[46:47], v[52:53]
	v_mul_f64 v[52:53], v[54:55], v[50:51]
	v_mul_f64 v[56:57], v[44:45], v[52:53]
	v_fma_f64 v[44:45], v[52:53], v[44:45], -v[56:57]
	v_fmac_f64_e32 v[44:45], v[52:53], v[42:43]
	v_add_f64 v[42:43], v[56:57], v[44:45]
	v_add_f64 v[58:59], v[50:51], -v[42:43]
	v_add_f64 v[50:51], v[50:51], -v[58:59]
	;; [unrolled: 1-line block ×4, first 2 shown]
	v_add_f64 v[42:43], v[46:47], v[42:43]
	v_add_f64 v[44:45], v[56:57], -v[44:45]
	v_add_f64 v[42:43], v[44:45], v[42:43]
	v_add_f64 v[44:45], v[48:49], v[52:53]
	;; [unrolled: 1-line block ×3, first 2 shown]
	v_add_f64 v[46:47], v[44:45], -v[48:49]
	v_mul_f64 v[42:43], v[54:55], v[42:43]
	v_add_f64 v[46:47], v[52:53], -v[46:47]
	v_add_f64 v[42:43], v[46:47], v[42:43]
	v_add_f64 v[46:47], v[44:45], v[42:43]
	v_add_f64 v[44:45], v[46:47], -v[44:45]
	s_mov_b32 s26, 0xbf559e2b
	v_add_f64 v[42:43], v[42:43], -v[44:45]
	v_mul_f64 v[44:45], v[46:47], v[46:47]
	v_mov_b32_e32 v48, 0x6b47b09a
	v_mov_b32_e32 v49, 0x3fc38538
	s_mov_b32 s27, 0x3fc3ab76
	v_fmac_f64_e32 v[48:49], s[26:27], v[44:45]
	v_mov_b32_e32 v50, 0xd7f4df2e
	v_mov_b32_e32 v51, 0x3fc7474d
	v_fmac_f64_e32 v[50:51], v[44:45], v[48:49]
	v_mov_b32_e32 v48, 0x16291751
	v_mov_b32_e32 v49, 0x3fcc71c0
	;; [unrolled: 3-line block ×5, first 2 shown]
	v_fmac_f64_e32 v[50:51], v[44:45], v[48:49]
	v_cvt_f64_i32_e32 v[48:49], v63
	v_mul_f64 v[52:53], v[48:49], s[38:39]
	v_fma_f64 v[54:55], v[48:49], s[38:39], -v[52:53]
	v_fmac_f64_e32 v[54:55], s[40:41], v[48:49]
	v_add_f64 v[48:49], v[52:53], v[54:55]
	v_add_f64 v[52:53], v[48:49], -v[52:53]
	v_mul_f64 v[44:45], v[46:47], v[44:45]
	v_add_f64 v[52:53], v[54:55], -v[52:53]
	v_ldexp_f64 v[54:55], v[46:47], 1
	v_mul_f64 v[44:45], v[44:45], v[50:51]
	v_add_f64 v[46:47], v[54:55], v[44:45]
	v_add_f64 v[50:51], v[46:47], -v[54:55]
	v_ldexp_f64 v[42:43], v[42:43], 1
	v_add_f64 v[44:45], v[44:45], -v[50:51]
	v_add_f64 v[42:43], v[42:43], v[44:45]
	v_add_f64 v[44:45], v[46:47], v[42:43]
	v_add_f64 v[46:47], v[44:45], -v[46:47]
	v_add_f64 v[42:43], v[42:43], -v[46:47]
	v_add_f64 v[46:47], v[48:49], v[44:45]
	v_add_f64 v[50:51], v[46:47], -v[48:49]
	v_add_f64 v[54:55], v[46:47], -v[50:51]
	;; [unrolled: 1-line block ×4, first 2 shown]
	v_add_f64 v[44:45], v[44:45], v[48:49]
	v_add_f64 v[48:49], v[52:53], v[42:43]
	v_add_f64 v[50:51], v[48:49], -v[52:53]
	v_add_f64 v[44:45], v[48:49], v[44:45]
	v_add_f64 v[54:55], v[48:49], -v[50:51]
	v_add_f64 v[48:49], v[46:47], v[44:45]
	v_add_f64 v[52:53], v[52:53], -v[54:55]
	v_add_f64 v[42:43], v[42:43], -v[50:51]
	v_add_f64 v[46:47], v[48:49], -v[46:47]
	v_add_f64 v[42:43], v[42:43], v[52:53]
	v_add_f64 v[44:45], v[44:45], -v[46:47]
	s_mov_b32 s26, 0
	v_add_f64 v[42:43], v[42:43], v[44:45]
	s_mov_b32 s27, 0x7ff00000
	v_add_f64 v[42:43], v[48:49], v[42:43]
	v_cmp_neq_f64_e64 s[26:27], s[26:27], v[40:41]
	v_mov_b32_e32 v44, 0x7ff80000
	s_nop 0
	v_cndmask_b32_e64 v43, v62, v43, s[26:27]
	v_cndmask_b32_e64 v43, v44, v43, s[28:29]
	v_cmp_nge_f64_e64 s[28:29], -1.0, v[40:41]
	s_and_b64 s[26:27], s[28:29], s[26:27]
	v_cndmask_b32_e64 v42, 0, v42, s[26:27]
	v_mov_b32_e32 v44, 0xfff00000
	v_cmp_neq_f64_e64 s[26:27], -1.0, v[40:41]
	s_nop 1
	v_cndmask_b32_e64 v43, v44, v43, s[26:27]
	v_add_f64 v[40:41], v[16:17], v[42:43]
.LBB75_48:
	s_or_b64 exec, exec, s[36:37]
	v_mov_b32_e32 v42, v40
	v_mov_b32_e32 v43, v41
	v_mov_b64_e32 v[16:17], v[40:41]
.LBB75_49:
	s_or_b64 exec, exec, s[34:35]
	v_mov_b32_dpp v40, v42 row_bcast:31 row_mask:0xf bank_mask:0xf
	v_mov_b32_dpp v41, v43 row_bcast:31 row_mask:0xf bank_mask:0xf
	v_cmp_lt_u32_e64 s[26:27], 31, v19
	s_and_saveexec_b64 s[34:35], s[26:27]
	s_cbranch_execz .LBB75_53
; %bb.50:
	v_max_f64 v[44:45], v[40:41], v[40:41]
	v_max_f64 v[46:47], v[16:17], v[16:17]
	v_min_f64 v[42:43], v[44:45], v[46:47]
	v_cmp_u_f64_e64 s[26:27], v[40:41], v[40:41]
	v_max_f64 v[44:45], v[44:45], v[46:47]
	v_cmp_u_f64_e64 s[28:29], v[16:17], v[16:17]
	v_cndmask_b32_e64 v43, v43, v41, s[26:27]
	v_cndmask_b32_e64 v42, v42, v40, s[26:27]
	;; [unrolled: 1-line block ×8, first 2 shown]
	s_movk_i32 s28, 0x1f8
	v_cmp_neq_f64_e64 s[26:27], v[42:43], v[16:17]
	v_cmp_class_f64_e64 s[28:29], v[42:43], s28
	s_or_b64 s[26:27], s[26:27], s[28:29]
	s_and_saveexec_b64 s[36:37], s[26:27]
	s_cbranch_execz .LBB75_52
; %bb.51:
	s_mov_b32 s26, 0x652b82fe
	v_add_f64 v[40:41], v[42:43], -v[16:17]
	s_mov_b32 s27, 0x3ff71547
	v_mul_f64 v[42:43], v[40:41], s[26:27]
	v_rndne_f64_e32 v[42:43], v[42:43]
	s_mov_b32 s39, 0xbfe62e42
	s_mov_b32 s38, 0xfefa39ef
	v_fma_f64 v[44:45], s[38:39], v[42:43], v[40:41]
	s_mov_b32 s41, 0xbc7abc9e
	s_mov_b32 s40, 0x3b39803f
	;; [unrolled: 1-line block ×3, first 2 shown]
	v_fmac_f64_e32 v[44:45], s[40:41], v[42:43]
	v_mov_b32_e32 v46, 0xfca7ab0c
	v_mov_b32_e32 v47, 0x3e928af3
	s_mov_b32 s27, 0x3e5ade15
	v_fmac_f64_e32 v[46:47], s[26:27], v[44:45]
	v_mov_b32_e32 v48, 0x623fde64
	v_mov_b32_e32 v49, 0x3ec71dee
	v_fmac_f64_e32 v[48:49], v[44:45], v[46:47]
	v_mov_b32_e32 v46, 0x7c89e6b0
	v_mov_b32_e32 v47, 0x3efa0199
	;; [unrolled: 3-line block ×8, first 2 shown]
	v_fmac_f64_e32 v[46:47], v[44:45], v[48:49]
	v_fma_f64 v[46:47], v[44:45], v[46:47], 1.0
	s_mov_b32 s26, 0
	s_mov_b32 s28, 0
	v_fma_f64 v[44:45], v[44:45], v[46:47], 1.0
	v_cvt_i32_f64_e32 v42, v[42:43]
	s_mov_b32 s27, 0x40900000
	s_mov_b32 s29, 0xc090cc00
	v_ldexp_f64 v[42:43], v[44:45], v42
	v_mov_b32_e32 v62, 0x7ff00000
	v_cmp_nlt_f64_e64 s[26:27], s[26:27], v[40:41]
	v_cmp_ngt_f64_e64 s[28:29], s[28:29], v[40:41]
	s_mov_b32 s39, 0x3fe62e42
	v_cndmask_b32_e64 v43, v62, v43, s[26:27]
	s_and_b64 s[26:27], s[28:29], s[26:27]
	v_cndmask_b32_e64 v41, 0, v43, s[28:29]
	v_cndmask_b32_e64 v40, 0, v42, s[26:27]
	v_add_f64 v[42:43], v[40:41], 1.0
	v_add_f64 v[44:45], v[42:43], -1.0
	v_add_f64 v[46:47], v[44:45], -v[42:43]
	v_add_f64 v[46:47], v[46:47], 1.0
	v_add_f64 v[44:45], v[40:41], -v[44:45]
	s_mov_b32 s26, 0x55555555
	v_add_f64 v[44:45], v[44:45], v[46:47]
	v_frexp_mant_f64_e32 v[46:47], v[42:43]
	s_mov_b32 s27, 0x3fe55555
	v_frexp_exp_i32_f64_e32 v48, v[42:43]
	v_cmp_gt_f64_e64 s[26:27], s[26:27], v[46:47]
	s_mov_b32 s41, 0x3c7abc9e
	v_cmp_ngt_f64_e64 s[28:29], -1.0, v[40:41]
	v_subbrev_co_u32_e64 v63, s[26:27], 0, v48, s[26:27]
	v_sub_u32_e32 v46, 0, v63
	v_ldexp_f64 v[42:43], v[42:43], v46
	v_ldexp_f64 v[44:45], v[44:45], v46
	v_add_f64 v[46:47], v[42:43], -1.0
	v_add_f64 v[52:53], v[42:43], 1.0
	v_add_f64 v[48:49], v[46:47], 1.0
	v_add_f64 v[54:55], v[52:53], -1.0
	v_add_f64 v[48:49], v[42:43], -v[48:49]
	v_add_f64 v[42:43], v[42:43], -v[54:55]
	v_add_f64 v[42:43], v[44:45], v[42:43]
	v_add_f64 v[48:49], v[44:45], v[48:49]
	;; [unrolled: 1-line block ×3, first 2 shown]
	v_rcp_f64_e32 v[54:55], v[44:45]
	v_add_f64 v[50:51], v[46:47], v[48:49]
	v_add_f64 v[46:47], v[50:51], -v[46:47]
	v_add_f64 v[46:47], v[48:49], -v[46:47]
	v_add_f64 v[48:49], v[44:45], -v[52:53]
	v_add_f64 v[42:43], v[42:43], -v[48:49]
	v_fma_f64 v[48:49], -v[44:45], v[54:55], 1.0
	v_fmac_f64_e32 v[54:55], v[48:49], v[54:55]
	v_fma_f64 v[48:49], -v[44:45], v[54:55], 1.0
	v_fmac_f64_e32 v[54:55], v[48:49], v[54:55]
	v_mul_f64 v[48:49], v[50:51], v[54:55]
	v_mul_f64 v[52:53], v[44:45], v[48:49]
	v_fma_f64 v[56:57], v[48:49], v[44:45], -v[52:53]
	v_fmac_f64_e32 v[56:57], v[48:49], v[42:43]
	v_add_f64 v[58:59], v[52:53], v[56:57]
	v_add_f64 v[60:61], v[50:51], -v[58:59]
	v_add_f64 v[50:51], v[50:51], -v[60:61]
	;; [unrolled: 1-line block ×4, first 2 shown]
	v_add_f64 v[46:47], v[46:47], v[50:51]
	v_add_f64 v[50:51], v[52:53], -v[56:57]
	v_add_f64 v[46:47], v[50:51], v[46:47]
	v_add_f64 v[50:51], v[60:61], v[46:47]
	v_add_f64 v[52:53], v[60:61], -v[50:51]
	v_add_f64 v[46:47], v[46:47], v[52:53]
	v_mul_f64 v[52:53], v[54:55], v[50:51]
	v_mul_f64 v[56:57], v[44:45], v[52:53]
	v_fma_f64 v[44:45], v[52:53], v[44:45], -v[56:57]
	v_fmac_f64_e32 v[44:45], v[52:53], v[42:43]
	v_add_f64 v[42:43], v[56:57], v[44:45]
	v_add_f64 v[58:59], v[50:51], -v[42:43]
	v_add_f64 v[50:51], v[50:51], -v[58:59]
	;; [unrolled: 1-line block ×4, first 2 shown]
	v_add_f64 v[42:43], v[46:47], v[42:43]
	v_add_f64 v[44:45], v[56:57], -v[44:45]
	v_add_f64 v[42:43], v[44:45], v[42:43]
	v_add_f64 v[44:45], v[48:49], v[52:53]
	;; [unrolled: 1-line block ×3, first 2 shown]
	v_add_f64 v[46:47], v[44:45], -v[48:49]
	v_mul_f64 v[42:43], v[54:55], v[42:43]
	v_add_f64 v[46:47], v[52:53], -v[46:47]
	v_add_f64 v[42:43], v[46:47], v[42:43]
	v_add_f64 v[46:47], v[44:45], v[42:43]
	v_add_f64 v[44:45], v[46:47], -v[44:45]
	s_mov_b32 s26, 0xbf559e2b
	v_add_f64 v[42:43], v[42:43], -v[44:45]
	v_mul_f64 v[44:45], v[46:47], v[46:47]
	v_mov_b32_e32 v48, 0x6b47b09a
	v_mov_b32_e32 v49, 0x3fc38538
	s_mov_b32 s27, 0x3fc3ab76
	v_fmac_f64_e32 v[48:49], s[26:27], v[44:45]
	v_mov_b32_e32 v50, 0xd7f4df2e
	v_mov_b32_e32 v51, 0x3fc7474d
	v_fmac_f64_e32 v[50:51], v[44:45], v[48:49]
	v_mov_b32_e32 v48, 0x16291751
	v_mov_b32_e32 v49, 0x3fcc71c0
	v_fmac_f64_e32 v[48:49], v[44:45], v[50:51]
	v_mov_b32_e32 v50, 0x9b27acf1
	v_mov_b32_e32 v51, 0x3fd24924
	v_fmac_f64_e32 v[50:51], v[44:45], v[48:49]
	v_mov_b32_e32 v48, 0x998ef7b6
	v_mov_b32_e32 v49, 0x3fd99999
	v_fmac_f64_e32 v[48:49], v[44:45], v[50:51]
	v_mov_b32_e32 v50, 0x55555780
	v_mov_b32_e32 v51, 0x3fe55555
	v_fmac_f64_e32 v[50:51], v[44:45], v[48:49]
	v_cvt_f64_i32_e32 v[48:49], v63
	v_mul_f64 v[52:53], v[48:49], s[38:39]
	v_fma_f64 v[54:55], v[48:49], s[38:39], -v[52:53]
	v_fmac_f64_e32 v[54:55], s[40:41], v[48:49]
	v_add_f64 v[48:49], v[52:53], v[54:55]
	v_add_f64 v[52:53], v[48:49], -v[52:53]
	v_mul_f64 v[44:45], v[46:47], v[44:45]
	v_add_f64 v[52:53], v[54:55], -v[52:53]
	v_ldexp_f64 v[54:55], v[46:47], 1
	v_mul_f64 v[44:45], v[44:45], v[50:51]
	v_add_f64 v[46:47], v[54:55], v[44:45]
	v_add_f64 v[50:51], v[46:47], -v[54:55]
	v_ldexp_f64 v[42:43], v[42:43], 1
	v_add_f64 v[44:45], v[44:45], -v[50:51]
	v_add_f64 v[42:43], v[42:43], v[44:45]
	v_add_f64 v[44:45], v[46:47], v[42:43]
	v_add_f64 v[46:47], v[44:45], -v[46:47]
	v_add_f64 v[42:43], v[42:43], -v[46:47]
	v_add_f64 v[46:47], v[48:49], v[44:45]
	v_add_f64 v[50:51], v[46:47], -v[48:49]
	v_add_f64 v[54:55], v[46:47], -v[50:51]
	;; [unrolled: 1-line block ×4, first 2 shown]
	v_add_f64 v[44:45], v[44:45], v[48:49]
	v_add_f64 v[48:49], v[52:53], v[42:43]
	v_add_f64 v[50:51], v[48:49], -v[52:53]
	v_add_f64 v[44:45], v[48:49], v[44:45]
	v_add_f64 v[54:55], v[48:49], -v[50:51]
	;; [unrolled: 2-line block ×3, first 2 shown]
	v_add_f64 v[42:43], v[42:43], -v[50:51]
	v_add_f64 v[46:47], v[48:49], -v[46:47]
	v_add_f64 v[42:43], v[42:43], v[52:53]
	v_add_f64 v[44:45], v[44:45], -v[46:47]
	s_mov_b32 s26, 0
	v_add_f64 v[42:43], v[42:43], v[44:45]
	s_mov_b32 s27, 0x7ff00000
	v_add_f64 v[42:43], v[48:49], v[42:43]
	v_cmp_neq_f64_e64 s[26:27], s[26:27], v[40:41]
	v_mov_b32_e32 v44, 0x7ff80000
	s_nop 0
	v_cndmask_b32_e64 v43, v62, v43, s[26:27]
	v_cndmask_b32_e64 v43, v44, v43, s[28:29]
	v_cmp_nge_f64_e64 s[28:29], -1.0, v[40:41]
	s_and_b64 s[26:27], s[28:29], s[26:27]
	v_cndmask_b32_e64 v42, 0, v42, s[26:27]
	v_mov_b32_e32 v44, 0xfff00000
	v_cmp_neq_f64_e64 s[26:27], -1.0, v[40:41]
	s_nop 1
	v_cndmask_b32_e64 v43, v44, v43, s[26:27]
	v_add_f64 v[40:41], v[16:17], v[42:43]
.LBB75_52:
	s_or_b64 exec, exec, s[36:37]
	v_mov_b64_e32 v[16:17], v[40:41]
.LBB75_53:
	s_or_b64 exec, exec, s[34:35]
	v_add_u32_e32 v40, -1, v19
	v_and_b32_e32 v41, 64, v19
	v_cmp_lt_i32_e64 s[26:27], v40, v41
	s_nop 1
	v_cndmask_b32_e64 v19, v40, v19, s[26:27]
	v_lshlrev_b32_e32 v19, 2, v19
	ds_bpermute_b32 v16, v19, v16
	ds_bpermute_b32 v17, v19, v17
	s_waitcnt lgkmcnt(0)
	v_max_f64 v[42:43], v[16:17], v[16:17]
	v_min_f64 v[40:41], v[42:43], v[38:39]
	v_cmp_u_f64_e64 s[26:27], v[16:17], v[16:17]
	v_max_f64 v[38:39], v[42:43], v[38:39]
	s_nop 0
	v_cndmask_b32_e64 v19, v40, v16, s[26:27]
	v_cndmask_b32_e64 v40, v41, v17, s[26:27]
	;; [unrolled: 1-line block ×8, first 2 shown]
	v_cmp_neq_f64_e64 s[24:25], v[40:41], v[14:15]
	v_cmp_class_f64_e64 s[26:27], v[40:41], s33
	s_or_b64 s[24:25], s[24:25], s[26:27]
	s_and_saveexec_b64 s[28:29], s[24:25]
	s_cbranch_execz .LBB75_55
; %bb.54:
	s_mov_b32 s24, 0x652b82fe
	v_add_f64 v[16:17], v[40:41], -v[14:15]
	s_mov_b32 s25, 0x3ff71547
	v_mul_f64 v[38:39], v[16:17], s[24:25]
	v_rndne_f64_e32 v[38:39], v[38:39]
	s_mov_b32 s35, 0xbfe62e42
	s_mov_b32 s34, 0xfefa39ef
	v_fma_f64 v[40:41], s[34:35], v[38:39], v[16:17]
	s_mov_b32 s37, 0xbc7abc9e
	s_mov_b32 s36, 0x3b39803f
	;; [unrolled: 1-line block ×3, first 2 shown]
	v_fmac_f64_e32 v[40:41], s[36:37], v[38:39]
	v_mov_b32_e32 v42, 0xfca7ab0c
	v_mov_b32_e32 v43, 0x3e928af3
	s_mov_b32 s25, 0x3e5ade15
	v_fmac_f64_e32 v[42:43], s[24:25], v[40:41]
	v_mov_b32_e32 v44, 0x623fde64
	v_mov_b32_e32 v45, 0x3ec71dee
	v_fmac_f64_e32 v[44:45], v[40:41], v[42:43]
	v_mov_b32_e32 v42, 0x7c89e6b0
	v_mov_b32_e32 v43, 0x3efa0199
	;; [unrolled: 3-line block ×8, first 2 shown]
	v_fmac_f64_e32 v[42:43], v[40:41], v[44:45]
	v_fma_f64 v[42:43], v[40:41], v[42:43], 1.0
	s_mov_b32 s24, 0
	s_mov_b32 s26, 0
	v_fma_f64 v[40:41], v[40:41], v[42:43], 1.0
	v_cvt_i32_f64_e32 v19, v[38:39]
	s_mov_b32 s25, 0x40900000
	s_mov_b32 s27, 0xc090cc00
	v_ldexp_f64 v[38:39], v[40:41], v19
	v_mov_b32_e32 v19, 0x7ff00000
	v_cmp_nlt_f64_e64 s[24:25], s[24:25], v[16:17]
	v_cmp_ngt_f64_e64 s[26:27], s[26:27], v[16:17]
	s_mov_b32 s35, 0x3fe62e42
	v_cndmask_b32_e64 v39, v19, v39, s[24:25]
	s_and_b64 s[24:25], s[26:27], s[24:25]
	v_cndmask_b32_e64 v17, 0, v39, s[26:27]
	v_cndmask_b32_e64 v16, 0, v38, s[24:25]
	v_add_f64 v[38:39], v[16:17], 1.0
	v_add_f64 v[40:41], v[38:39], -1.0
	v_add_f64 v[42:43], v[40:41], -v[38:39]
	v_add_f64 v[42:43], v[42:43], 1.0
	v_add_f64 v[40:41], v[16:17], -v[40:41]
	s_mov_b32 s24, 0x55555555
	v_add_f64 v[40:41], v[40:41], v[42:43]
	v_frexp_mant_f64_e32 v[42:43], v[38:39]
	s_mov_b32 s25, 0x3fe55555
	v_frexp_exp_i32_f64_e32 v44, v[38:39]
	v_cmp_gt_f64_e64 s[24:25], s[24:25], v[42:43]
	s_mov_b32 s37, 0x3c7abc9e
	v_cmp_ngt_f64_e64 s[26:27], -1.0, v[16:17]
	v_subbrev_co_u32_e64 v58, s[24:25], 0, v44, s[24:25]
	v_sub_u32_e32 v42, 0, v58
	v_ldexp_f64 v[38:39], v[38:39], v42
	v_ldexp_f64 v[40:41], v[40:41], v42
	v_add_f64 v[42:43], v[38:39], -1.0
	v_add_f64 v[48:49], v[38:39], 1.0
	v_add_f64 v[44:45], v[42:43], 1.0
	v_add_f64 v[50:51], v[48:49], -1.0
	v_add_f64 v[44:45], v[38:39], -v[44:45]
	v_add_f64 v[38:39], v[38:39], -v[50:51]
	v_add_f64 v[38:39], v[40:41], v[38:39]
	v_add_f64 v[44:45], v[40:41], v[44:45]
	;; [unrolled: 1-line block ×3, first 2 shown]
	v_rcp_f64_e32 v[50:51], v[40:41]
	v_add_f64 v[46:47], v[42:43], v[44:45]
	v_add_f64 v[42:43], v[46:47], -v[42:43]
	v_add_f64 v[42:43], v[44:45], -v[42:43]
	;; [unrolled: 1-line block ×4, first 2 shown]
	v_fma_f64 v[44:45], -v[40:41], v[50:51], 1.0
	v_fmac_f64_e32 v[50:51], v[44:45], v[50:51]
	v_fma_f64 v[44:45], -v[40:41], v[50:51], 1.0
	v_fmac_f64_e32 v[50:51], v[44:45], v[50:51]
	v_mul_f64 v[44:45], v[46:47], v[50:51]
	v_mul_f64 v[48:49], v[40:41], v[44:45]
	v_fma_f64 v[52:53], v[44:45], v[40:41], -v[48:49]
	v_fmac_f64_e32 v[52:53], v[44:45], v[38:39]
	v_add_f64 v[54:55], v[48:49], v[52:53]
	v_add_f64 v[56:57], v[46:47], -v[54:55]
	v_add_f64 v[46:47], v[46:47], -v[56:57]
	;; [unrolled: 1-line block ×4, first 2 shown]
	v_add_f64 v[42:43], v[42:43], v[46:47]
	v_add_f64 v[46:47], v[48:49], -v[52:53]
	v_add_f64 v[42:43], v[46:47], v[42:43]
	v_add_f64 v[46:47], v[56:57], v[42:43]
	v_add_f64 v[48:49], v[56:57], -v[46:47]
	v_add_f64 v[42:43], v[42:43], v[48:49]
	v_mul_f64 v[48:49], v[50:51], v[46:47]
	v_mul_f64 v[52:53], v[40:41], v[48:49]
	v_fma_f64 v[40:41], v[48:49], v[40:41], -v[52:53]
	v_fmac_f64_e32 v[40:41], v[48:49], v[38:39]
	v_add_f64 v[38:39], v[52:53], v[40:41]
	v_add_f64 v[54:55], v[46:47], -v[38:39]
	v_add_f64 v[46:47], v[46:47], -v[54:55]
	;; [unrolled: 1-line block ×4, first 2 shown]
	v_add_f64 v[38:39], v[42:43], v[38:39]
	v_add_f64 v[40:41], v[52:53], -v[40:41]
	v_add_f64 v[38:39], v[40:41], v[38:39]
	v_add_f64 v[40:41], v[44:45], v[48:49]
	;; [unrolled: 1-line block ×3, first 2 shown]
	v_add_f64 v[42:43], v[40:41], -v[44:45]
	v_mul_f64 v[38:39], v[50:51], v[38:39]
	v_add_f64 v[42:43], v[48:49], -v[42:43]
	v_add_f64 v[38:39], v[42:43], v[38:39]
	v_add_f64 v[42:43], v[40:41], v[38:39]
	v_add_f64 v[40:41], v[42:43], -v[40:41]
	s_mov_b32 s24, 0xbf559e2b
	v_add_f64 v[38:39], v[38:39], -v[40:41]
	v_mul_f64 v[40:41], v[42:43], v[42:43]
	v_mov_b32_e32 v44, 0x6b47b09a
	v_mov_b32_e32 v45, 0x3fc38538
	s_mov_b32 s25, 0x3fc3ab76
	v_fmac_f64_e32 v[44:45], s[24:25], v[40:41]
	v_mov_b32_e32 v46, 0xd7f4df2e
	v_mov_b32_e32 v47, 0x3fc7474d
	v_fmac_f64_e32 v[46:47], v[40:41], v[44:45]
	v_mov_b32_e32 v44, 0x16291751
	v_mov_b32_e32 v45, 0x3fcc71c0
	;; [unrolled: 3-line block ×5, first 2 shown]
	v_fmac_f64_e32 v[46:47], v[40:41], v[44:45]
	v_cvt_f64_i32_e32 v[44:45], v58
	v_mul_f64 v[48:49], v[44:45], s[34:35]
	v_fma_f64 v[50:51], v[44:45], s[34:35], -v[48:49]
	v_fmac_f64_e32 v[50:51], s[36:37], v[44:45]
	v_add_f64 v[44:45], v[48:49], v[50:51]
	v_add_f64 v[48:49], v[44:45], -v[48:49]
	v_mul_f64 v[40:41], v[42:43], v[40:41]
	v_add_f64 v[48:49], v[50:51], -v[48:49]
	v_ldexp_f64 v[50:51], v[42:43], 1
	v_mul_f64 v[40:41], v[40:41], v[46:47]
	v_add_f64 v[42:43], v[50:51], v[40:41]
	v_add_f64 v[46:47], v[42:43], -v[50:51]
	v_ldexp_f64 v[38:39], v[38:39], 1
	v_add_f64 v[40:41], v[40:41], -v[46:47]
	v_add_f64 v[38:39], v[38:39], v[40:41]
	v_add_f64 v[40:41], v[42:43], v[38:39]
	v_add_f64 v[42:43], v[40:41], -v[42:43]
	v_add_f64 v[38:39], v[38:39], -v[42:43]
	v_add_f64 v[42:43], v[44:45], v[40:41]
	v_add_f64 v[46:47], v[42:43], -v[44:45]
	v_add_f64 v[50:51], v[42:43], -v[46:47]
	;; [unrolled: 1-line block ×4, first 2 shown]
	v_add_f64 v[40:41], v[40:41], v[44:45]
	v_add_f64 v[44:45], v[48:49], v[38:39]
	v_add_f64 v[46:47], v[44:45], -v[48:49]
	v_add_f64 v[40:41], v[44:45], v[40:41]
	v_add_f64 v[50:51], v[44:45], -v[46:47]
	;; [unrolled: 2-line block ×3, first 2 shown]
	v_add_f64 v[38:39], v[38:39], -v[46:47]
	v_add_f64 v[42:43], v[44:45], -v[42:43]
	v_add_f64 v[38:39], v[38:39], v[48:49]
	v_add_f64 v[40:41], v[40:41], -v[42:43]
	s_mov_b32 s24, 0
	v_add_f64 v[38:39], v[38:39], v[40:41]
	s_mov_b32 s25, 0x7ff00000
	v_add_f64 v[38:39], v[44:45], v[38:39]
	v_cmp_neq_f64_e64 s[24:25], s[24:25], v[16:17]
	s_nop 1
	v_cndmask_b32_e64 v19, v19, v39, s[24:25]
	v_mov_b32_e32 v39, 0x7ff80000
	v_cndmask_b32_e64 v19, v39, v19, s[26:27]
	v_cmp_nge_f64_e64 s[26:27], -1.0, v[16:17]
	s_and_b64 s[24:25], s[26:27], s[24:25]
	v_cndmask_b32_e64 v38, 0, v38, s[24:25]
	v_mov_b32_e32 v39, 0xfff00000
	v_cmp_neq_f64_e64 s[24:25], -1.0, v[16:17]
	s_nop 1
	v_cndmask_b32_e64 v39, v39, v19, s[24:25]
	v_add_f64 v[16:17], v[14:15], v[38:39]
.LBB75_55:
	s_or_b64 exec, exec, s[28:29]
	v_cmp_eq_u32_e64 s[24:25], 0, v0
	; wave barrier
	s_nop 1
	v_cndmask_b32_e64 v17, v17, v37, s[24:25]
	v_cndmask_b32_e64 v16, v16, v36, s[24:25]
	ds_write_b64 v1, v[16:17]
	; wave barrier
	ds_read_b64 v[14:15], v1 offset:8
	v_max_f64 v[38:39], v[16:17], v[16:17]
	v_cmp_u_f64_e64 s[24:25], v[16:17], v[16:17]
	s_waitcnt lgkmcnt(0)
	v_max_f64 v[40:41], v[14:15], v[14:15]
	v_min_f64 v[36:37], v[38:39], v[40:41]
	v_cndmask_b32_e64 v19, v36, v16, s[24:25]
	v_cndmask_b32_e64 v36, v37, v17, s[24:25]
	v_cmp_u_f64_e64 s[26:27], v[14:15], v[14:15]
	v_max_f64 v[38:39], v[38:39], v[40:41]
	s_nop 0
	v_cndmask_b32_e64 v37, v36, v15, s[26:27]
	v_cndmask_b32_e64 v36, v19, v14, s[26:27]
	;; [unrolled: 1-line block ×6, first 2 shown]
	v_cmp_neq_f64_e64 s[24:25], v[36:37], v[14:15]
	v_cmp_class_f64_e64 s[26:27], v[36:37], s33
	s_or_b64 s[24:25], s[24:25], s[26:27]
	s_and_saveexec_b64 s[28:29], s[24:25]
	s_cbranch_execz .LBB75_57
; %bb.56:
	s_mov_b32 s24, 0x652b82fe
	v_add_f64 v[16:17], v[36:37], -v[14:15]
	s_mov_b32 s25, 0x3ff71547
	v_mul_f64 v[36:37], v[16:17], s[24:25]
	v_rndne_f64_e32 v[36:37], v[36:37]
	s_mov_b32 s35, 0xbfe62e42
	s_mov_b32 s34, 0xfefa39ef
	v_fma_f64 v[38:39], s[34:35], v[36:37], v[16:17]
	s_mov_b32 s37, 0xbc7abc9e
	s_mov_b32 s36, 0x3b39803f
	;; [unrolled: 1-line block ×3, first 2 shown]
	v_fmac_f64_e32 v[38:39], s[36:37], v[36:37]
	v_mov_b32_e32 v40, 0xfca7ab0c
	v_mov_b32_e32 v41, 0x3e928af3
	s_mov_b32 s25, 0x3e5ade15
	v_fmac_f64_e32 v[40:41], s[24:25], v[38:39]
	v_mov_b32_e32 v42, 0x623fde64
	v_mov_b32_e32 v43, 0x3ec71dee
	v_fmac_f64_e32 v[42:43], v[38:39], v[40:41]
	v_mov_b32_e32 v40, 0x7c89e6b0
	v_mov_b32_e32 v41, 0x3efa0199
	;; [unrolled: 3-line block ×8, first 2 shown]
	v_fmac_f64_e32 v[40:41], v[38:39], v[42:43]
	v_fma_f64 v[40:41], v[38:39], v[40:41], 1.0
	s_mov_b32 s24, 0
	s_mov_b32 s26, 0
	v_fma_f64 v[38:39], v[38:39], v[40:41], 1.0
	v_cvt_i32_f64_e32 v19, v[36:37]
	s_mov_b32 s25, 0x40900000
	s_mov_b32 s27, 0xc090cc00
	v_ldexp_f64 v[36:37], v[38:39], v19
	v_mov_b32_e32 v19, 0x7ff00000
	v_cmp_nlt_f64_e64 s[24:25], s[24:25], v[16:17]
	v_cmp_ngt_f64_e64 s[26:27], s[26:27], v[16:17]
	s_mov_b32 s35, 0x3fe62e42
	v_cndmask_b32_e64 v37, v19, v37, s[24:25]
	s_and_b64 s[24:25], s[26:27], s[24:25]
	v_cndmask_b32_e64 v17, 0, v37, s[26:27]
	v_cndmask_b32_e64 v16, 0, v36, s[24:25]
	v_add_f64 v[36:37], v[16:17], 1.0
	v_add_f64 v[38:39], v[36:37], -1.0
	v_add_f64 v[40:41], v[38:39], -v[36:37]
	v_add_f64 v[40:41], v[40:41], 1.0
	v_add_f64 v[38:39], v[16:17], -v[38:39]
	s_mov_b32 s24, 0x55555555
	v_add_f64 v[38:39], v[38:39], v[40:41]
	v_frexp_mant_f64_e32 v[40:41], v[36:37]
	s_mov_b32 s25, 0x3fe55555
	v_frexp_exp_i32_f64_e32 v42, v[36:37]
	v_cmp_gt_f64_e64 s[24:25], s[24:25], v[40:41]
	s_mov_b32 s37, 0x3c7abc9e
	v_cmp_ngt_f64_e64 s[26:27], -1.0, v[16:17]
	v_subbrev_co_u32_e64 v56, s[24:25], 0, v42, s[24:25]
	v_sub_u32_e32 v40, 0, v56
	v_ldexp_f64 v[36:37], v[36:37], v40
	v_ldexp_f64 v[38:39], v[38:39], v40
	v_add_f64 v[40:41], v[36:37], -1.0
	v_add_f64 v[46:47], v[36:37], 1.0
	v_add_f64 v[42:43], v[40:41], 1.0
	v_add_f64 v[48:49], v[46:47], -1.0
	v_add_f64 v[42:43], v[36:37], -v[42:43]
	v_add_f64 v[36:37], v[36:37], -v[48:49]
	v_add_f64 v[36:37], v[38:39], v[36:37]
	v_add_f64 v[42:43], v[38:39], v[42:43]
	;; [unrolled: 1-line block ×3, first 2 shown]
	v_rcp_f64_e32 v[48:49], v[38:39]
	v_add_f64 v[44:45], v[40:41], v[42:43]
	v_add_f64 v[40:41], v[44:45], -v[40:41]
	v_add_f64 v[40:41], v[42:43], -v[40:41]
	;; [unrolled: 1-line block ×4, first 2 shown]
	v_fma_f64 v[42:43], -v[38:39], v[48:49], 1.0
	v_fmac_f64_e32 v[48:49], v[42:43], v[48:49]
	v_fma_f64 v[42:43], -v[38:39], v[48:49], 1.0
	v_fmac_f64_e32 v[48:49], v[42:43], v[48:49]
	v_mul_f64 v[42:43], v[44:45], v[48:49]
	v_mul_f64 v[46:47], v[38:39], v[42:43]
	v_fma_f64 v[50:51], v[42:43], v[38:39], -v[46:47]
	v_fmac_f64_e32 v[50:51], v[42:43], v[36:37]
	v_add_f64 v[52:53], v[46:47], v[50:51]
	v_add_f64 v[54:55], v[44:45], -v[52:53]
	v_add_f64 v[44:45], v[44:45], -v[54:55]
	;; [unrolled: 1-line block ×4, first 2 shown]
	v_add_f64 v[40:41], v[40:41], v[44:45]
	v_add_f64 v[44:45], v[46:47], -v[50:51]
	v_add_f64 v[40:41], v[44:45], v[40:41]
	v_add_f64 v[44:45], v[54:55], v[40:41]
	v_add_f64 v[46:47], v[54:55], -v[44:45]
	v_add_f64 v[40:41], v[40:41], v[46:47]
	v_mul_f64 v[46:47], v[48:49], v[44:45]
	v_mul_f64 v[50:51], v[38:39], v[46:47]
	v_fma_f64 v[38:39], v[46:47], v[38:39], -v[50:51]
	v_fmac_f64_e32 v[38:39], v[46:47], v[36:37]
	v_add_f64 v[36:37], v[50:51], v[38:39]
	v_add_f64 v[52:53], v[44:45], -v[36:37]
	v_add_f64 v[44:45], v[44:45], -v[52:53]
	;; [unrolled: 1-line block ×4, first 2 shown]
	v_add_f64 v[36:37], v[40:41], v[36:37]
	v_add_f64 v[38:39], v[50:51], -v[38:39]
	v_add_f64 v[36:37], v[38:39], v[36:37]
	v_add_f64 v[38:39], v[42:43], v[46:47]
	;; [unrolled: 1-line block ×3, first 2 shown]
	v_add_f64 v[40:41], v[38:39], -v[42:43]
	v_mul_f64 v[36:37], v[48:49], v[36:37]
	v_add_f64 v[40:41], v[46:47], -v[40:41]
	v_add_f64 v[36:37], v[40:41], v[36:37]
	v_add_f64 v[40:41], v[38:39], v[36:37]
	v_add_f64 v[38:39], v[40:41], -v[38:39]
	s_mov_b32 s24, 0xbf559e2b
	v_add_f64 v[36:37], v[36:37], -v[38:39]
	v_mul_f64 v[38:39], v[40:41], v[40:41]
	v_mov_b32_e32 v42, 0x6b47b09a
	v_mov_b32_e32 v43, 0x3fc38538
	s_mov_b32 s25, 0x3fc3ab76
	v_fmac_f64_e32 v[42:43], s[24:25], v[38:39]
	v_mov_b32_e32 v44, 0xd7f4df2e
	v_mov_b32_e32 v45, 0x3fc7474d
	v_fmac_f64_e32 v[44:45], v[38:39], v[42:43]
	v_mov_b32_e32 v42, 0x16291751
	v_mov_b32_e32 v43, 0x3fcc71c0
	;; [unrolled: 3-line block ×5, first 2 shown]
	v_fmac_f64_e32 v[44:45], v[38:39], v[42:43]
	v_cvt_f64_i32_e32 v[42:43], v56
	v_mul_f64 v[46:47], v[42:43], s[34:35]
	v_fma_f64 v[48:49], v[42:43], s[34:35], -v[46:47]
	v_fmac_f64_e32 v[48:49], s[36:37], v[42:43]
	v_add_f64 v[42:43], v[46:47], v[48:49]
	v_add_f64 v[46:47], v[42:43], -v[46:47]
	v_mul_f64 v[38:39], v[40:41], v[38:39]
	v_add_f64 v[46:47], v[48:49], -v[46:47]
	v_ldexp_f64 v[48:49], v[40:41], 1
	v_mul_f64 v[38:39], v[38:39], v[44:45]
	v_add_f64 v[40:41], v[48:49], v[38:39]
	v_add_f64 v[44:45], v[40:41], -v[48:49]
	v_ldexp_f64 v[36:37], v[36:37], 1
	v_add_f64 v[38:39], v[38:39], -v[44:45]
	v_add_f64 v[36:37], v[36:37], v[38:39]
	v_add_f64 v[38:39], v[40:41], v[36:37]
	v_add_f64 v[40:41], v[38:39], -v[40:41]
	v_add_f64 v[36:37], v[36:37], -v[40:41]
	v_add_f64 v[40:41], v[42:43], v[38:39]
	v_add_f64 v[44:45], v[40:41], -v[42:43]
	v_add_f64 v[48:49], v[40:41], -v[44:45]
	;; [unrolled: 1-line block ×4, first 2 shown]
	v_add_f64 v[38:39], v[38:39], v[42:43]
	v_add_f64 v[42:43], v[46:47], v[36:37]
	v_add_f64 v[44:45], v[42:43], -v[46:47]
	v_add_f64 v[38:39], v[42:43], v[38:39]
	v_add_f64 v[48:49], v[42:43], -v[44:45]
	;; [unrolled: 2-line block ×3, first 2 shown]
	v_add_f64 v[36:37], v[36:37], -v[44:45]
	v_add_f64 v[40:41], v[42:43], -v[40:41]
	v_add_f64 v[36:37], v[36:37], v[46:47]
	v_add_f64 v[38:39], v[38:39], -v[40:41]
	s_mov_b32 s24, 0
	v_add_f64 v[36:37], v[36:37], v[38:39]
	s_mov_b32 s25, 0x7ff00000
	v_add_f64 v[36:37], v[42:43], v[36:37]
	v_cmp_neq_f64_e64 s[24:25], s[24:25], v[16:17]
	s_nop 1
	v_cndmask_b32_e64 v19, v19, v37, s[24:25]
	v_mov_b32_e32 v37, 0x7ff80000
	v_cndmask_b32_e64 v19, v37, v19, s[26:27]
	v_cmp_nge_f64_e64 s[26:27], -1.0, v[16:17]
	s_and_b64 s[24:25], s[26:27], s[24:25]
	v_cndmask_b32_e64 v36, 0, v36, s[24:25]
	v_mov_b32_e32 v37, 0xfff00000
	v_cmp_neq_f64_e64 s[24:25], -1.0, v[16:17]
	s_nop 1
	v_cndmask_b32_e64 v37, v37, v19, s[24:25]
	v_add_f64 v[16:17], v[14:15], v[36:37]
.LBB75_57:
	s_or_b64 exec, exec, s[28:29]
	ds_read_b64 v[14:15], v1 offset:16
	v_max_f64 v[38:39], v[16:17], v[16:17]
	v_cmp_u_f64_e64 s[24:25], v[16:17], v[16:17]
	ds_write_b64 v1, v[16:17] offset:8
	s_waitcnt lgkmcnt(1)
	v_max_f64 v[40:41], v[14:15], v[14:15]
	v_min_f64 v[36:37], v[38:39], v[40:41]
	v_cndmask_b32_e64 v19, v36, v16, s[24:25]
	v_cndmask_b32_e64 v36, v37, v17, s[24:25]
	v_cmp_u_f64_e64 s[26:27], v[14:15], v[14:15]
	v_max_f64 v[38:39], v[38:39], v[40:41]
	s_nop 0
	v_cndmask_b32_e64 v37, v36, v15, s[26:27]
	v_cndmask_b32_e64 v36, v19, v14, s[26:27]
	v_cndmask_b32_e64 v19, v38, v16, s[24:25]
	v_cndmask_b32_e64 v38, v39, v17, s[24:25]
	v_cndmask_b32_e64 v15, v38, v15, s[26:27]
	v_cndmask_b32_e64 v14, v19, v14, s[26:27]
	v_cmp_neq_f64_e64 s[24:25], v[36:37], v[14:15]
	v_cmp_class_f64_e64 s[26:27], v[36:37], s33
	s_or_b64 s[24:25], s[24:25], s[26:27]
	s_and_saveexec_b64 s[28:29], s[24:25]
	s_cbranch_execz .LBB75_59
; %bb.58:
	s_mov_b32 s24, 0x652b82fe
	v_add_f64 v[16:17], v[36:37], -v[14:15]
	s_mov_b32 s25, 0x3ff71547
	v_mul_f64 v[36:37], v[16:17], s[24:25]
	v_rndne_f64_e32 v[36:37], v[36:37]
	s_mov_b32 s35, 0xbfe62e42
	s_mov_b32 s34, 0xfefa39ef
	v_fma_f64 v[38:39], s[34:35], v[36:37], v[16:17]
	s_mov_b32 s37, 0xbc7abc9e
	s_mov_b32 s36, 0x3b39803f
	;; [unrolled: 1-line block ×3, first 2 shown]
	v_fmac_f64_e32 v[38:39], s[36:37], v[36:37]
	v_mov_b32_e32 v40, 0xfca7ab0c
	v_mov_b32_e32 v41, 0x3e928af3
	s_mov_b32 s25, 0x3e5ade15
	v_fmac_f64_e32 v[40:41], s[24:25], v[38:39]
	v_mov_b32_e32 v42, 0x623fde64
	v_mov_b32_e32 v43, 0x3ec71dee
	v_fmac_f64_e32 v[42:43], v[38:39], v[40:41]
	v_mov_b32_e32 v40, 0x7c89e6b0
	v_mov_b32_e32 v41, 0x3efa0199
	;; [unrolled: 3-line block ×8, first 2 shown]
	v_fmac_f64_e32 v[40:41], v[38:39], v[42:43]
	v_fma_f64 v[40:41], v[38:39], v[40:41], 1.0
	s_mov_b32 s24, 0
	s_mov_b32 s26, 0
	v_fma_f64 v[38:39], v[38:39], v[40:41], 1.0
	v_cvt_i32_f64_e32 v19, v[36:37]
	s_mov_b32 s25, 0x40900000
	s_mov_b32 s27, 0xc090cc00
	v_ldexp_f64 v[36:37], v[38:39], v19
	v_mov_b32_e32 v19, 0x7ff00000
	v_cmp_nlt_f64_e64 s[24:25], s[24:25], v[16:17]
	v_cmp_ngt_f64_e64 s[26:27], s[26:27], v[16:17]
	s_mov_b32 s35, 0x3fe62e42
	v_cndmask_b32_e64 v37, v19, v37, s[24:25]
	s_and_b64 s[24:25], s[26:27], s[24:25]
	v_cndmask_b32_e64 v17, 0, v37, s[26:27]
	v_cndmask_b32_e64 v16, 0, v36, s[24:25]
	v_add_f64 v[36:37], v[16:17], 1.0
	v_add_f64 v[38:39], v[36:37], -1.0
	v_add_f64 v[40:41], v[38:39], -v[36:37]
	v_add_f64 v[40:41], v[40:41], 1.0
	v_add_f64 v[38:39], v[16:17], -v[38:39]
	s_mov_b32 s24, 0x55555555
	v_add_f64 v[38:39], v[38:39], v[40:41]
	v_frexp_mant_f64_e32 v[40:41], v[36:37]
	s_mov_b32 s25, 0x3fe55555
	v_frexp_exp_i32_f64_e32 v42, v[36:37]
	v_cmp_gt_f64_e64 s[24:25], s[24:25], v[40:41]
	s_mov_b32 s37, 0x3c7abc9e
	v_cmp_ngt_f64_e64 s[26:27], -1.0, v[16:17]
	v_subbrev_co_u32_e64 v56, s[24:25], 0, v42, s[24:25]
	v_sub_u32_e32 v40, 0, v56
	v_ldexp_f64 v[36:37], v[36:37], v40
	v_ldexp_f64 v[38:39], v[38:39], v40
	v_add_f64 v[40:41], v[36:37], -1.0
	v_add_f64 v[46:47], v[36:37], 1.0
	v_add_f64 v[42:43], v[40:41], 1.0
	v_add_f64 v[48:49], v[46:47], -1.0
	v_add_f64 v[42:43], v[36:37], -v[42:43]
	v_add_f64 v[36:37], v[36:37], -v[48:49]
	v_add_f64 v[36:37], v[38:39], v[36:37]
	v_add_f64 v[42:43], v[38:39], v[42:43]
	;; [unrolled: 1-line block ×3, first 2 shown]
	v_rcp_f64_e32 v[48:49], v[38:39]
	v_add_f64 v[44:45], v[40:41], v[42:43]
	v_add_f64 v[40:41], v[44:45], -v[40:41]
	v_add_f64 v[40:41], v[42:43], -v[40:41]
	;; [unrolled: 1-line block ×4, first 2 shown]
	v_fma_f64 v[42:43], -v[38:39], v[48:49], 1.0
	v_fmac_f64_e32 v[48:49], v[42:43], v[48:49]
	v_fma_f64 v[42:43], -v[38:39], v[48:49], 1.0
	v_fmac_f64_e32 v[48:49], v[42:43], v[48:49]
	v_mul_f64 v[42:43], v[44:45], v[48:49]
	v_mul_f64 v[46:47], v[38:39], v[42:43]
	v_fma_f64 v[50:51], v[42:43], v[38:39], -v[46:47]
	v_fmac_f64_e32 v[50:51], v[42:43], v[36:37]
	v_add_f64 v[52:53], v[46:47], v[50:51]
	v_add_f64 v[54:55], v[44:45], -v[52:53]
	v_add_f64 v[44:45], v[44:45], -v[54:55]
	;; [unrolled: 1-line block ×4, first 2 shown]
	v_add_f64 v[40:41], v[40:41], v[44:45]
	v_add_f64 v[44:45], v[46:47], -v[50:51]
	v_add_f64 v[40:41], v[44:45], v[40:41]
	v_add_f64 v[44:45], v[54:55], v[40:41]
	v_add_f64 v[46:47], v[54:55], -v[44:45]
	v_add_f64 v[40:41], v[40:41], v[46:47]
	v_mul_f64 v[46:47], v[48:49], v[44:45]
	v_mul_f64 v[50:51], v[38:39], v[46:47]
	v_fma_f64 v[38:39], v[46:47], v[38:39], -v[50:51]
	v_fmac_f64_e32 v[38:39], v[46:47], v[36:37]
	v_add_f64 v[36:37], v[50:51], v[38:39]
	v_add_f64 v[52:53], v[44:45], -v[36:37]
	v_add_f64 v[44:45], v[44:45], -v[52:53]
	;; [unrolled: 1-line block ×4, first 2 shown]
	v_add_f64 v[36:37], v[40:41], v[36:37]
	v_add_f64 v[38:39], v[50:51], -v[38:39]
	v_add_f64 v[36:37], v[38:39], v[36:37]
	v_add_f64 v[38:39], v[42:43], v[46:47]
	v_add_f64 v[36:37], v[52:53], v[36:37]
	v_add_f64 v[40:41], v[38:39], -v[42:43]
	v_mul_f64 v[36:37], v[48:49], v[36:37]
	v_add_f64 v[40:41], v[46:47], -v[40:41]
	v_add_f64 v[36:37], v[40:41], v[36:37]
	v_add_f64 v[40:41], v[38:39], v[36:37]
	v_add_f64 v[38:39], v[40:41], -v[38:39]
	s_mov_b32 s24, 0xbf559e2b
	v_add_f64 v[36:37], v[36:37], -v[38:39]
	v_mul_f64 v[38:39], v[40:41], v[40:41]
	v_mov_b32_e32 v42, 0x6b47b09a
	v_mov_b32_e32 v43, 0x3fc38538
	s_mov_b32 s25, 0x3fc3ab76
	v_fmac_f64_e32 v[42:43], s[24:25], v[38:39]
	v_mov_b32_e32 v44, 0xd7f4df2e
	v_mov_b32_e32 v45, 0x3fc7474d
	v_fmac_f64_e32 v[44:45], v[38:39], v[42:43]
	v_mov_b32_e32 v42, 0x16291751
	v_mov_b32_e32 v43, 0x3fcc71c0
	;; [unrolled: 3-line block ×5, first 2 shown]
	v_fmac_f64_e32 v[44:45], v[38:39], v[42:43]
	v_cvt_f64_i32_e32 v[42:43], v56
	v_mul_f64 v[46:47], v[42:43], s[34:35]
	v_fma_f64 v[48:49], v[42:43], s[34:35], -v[46:47]
	v_fmac_f64_e32 v[48:49], s[36:37], v[42:43]
	v_add_f64 v[42:43], v[46:47], v[48:49]
	v_add_f64 v[46:47], v[42:43], -v[46:47]
	v_mul_f64 v[38:39], v[40:41], v[38:39]
	v_add_f64 v[46:47], v[48:49], -v[46:47]
	v_ldexp_f64 v[48:49], v[40:41], 1
	v_mul_f64 v[38:39], v[38:39], v[44:45]
	v_add_f64 v[40:41], v[48:49], v[38:39]
	v_add_f64 v[44:45], v[40:41], -v[48:49]
	v_ldexp_f64 v[36:37], v[36:37], 1
	v_add_f64 v[38:39], v[38:39], -v[44:45]
	v_add_f64 v[36:37], v[36:37], v[38:39]
	v_add_f64 v[38:39], v[40:41], v[36:37]
	v_add_f64 v[40:41], v[38:39], -v[40:41]
	v_add_f64 v[36:37], v[36:37], -v[40:41]
	v_add_f64 v[40:41], v[42:43], v[38:39]
	v_add_f64 v[44:45], v[40:41], -v[42:43]
	v_add_f64 v[48:49], v[40:41], -v[44:45]
	;; [unrolled: 1-line block ×4, first 2 shown]
	v_add_f64 v[38:39], v[38:39], v[42:43]
	v_add_f64 v[42:43], v[46:47], v[36:37]
	v_add_f64 v[44:45], v[42:43], -v[46:47]
	v_add_f64 v[38:39], v[42:43], v[38:39]
	v_add_f64 v[48:49], v[42:43], -v[44:45]
	;; [unrolled: 2-line block ×3, first 2 shown]
	v_add_f64 v[36:37], v[36:37], -v[44:45]
	v_add_f64 v[40:41], v[42:43], -v[40:41]
	v_add_f64 v[36:37], v[36:37], v[46:47]
	v_add_f64 v[38:39], v[38:39], -v[40:41]
	s_mov_b32 s24, 0
	v_add_f64 v[36:37], v[36:37], v[38:39]
	s_mov_b32 s25, 0x7ff00000
	v_add_f64 v[36:37], v[42:43], v[36:37]
	v_cmp_neq_f64_e64 s[24:25], s[24:25], v[16:17]
	s_nop 1
	v_cndmask_b32_e64 v19, v19, v37, s[24:25]
	v_mov_b32_e32 v37, 0x7ff80000
	v_cndmask_b32_e64 v19, v37, v19, s[26:27]
	v_cmp_nge_f64_e64 s[26:27], -1.0, v[16:17]
	s_and_b64 s[24:25], s[26:27], s[24:25]
	v_cndmask_b32_e64 v36, 0, v36, s[24:25]
	v_mov_b32_e32 v37, 0xfff00000
	v_cmp_neq_f64_e64 s[24:25], -1.0, v[16:17]
	s_nop 1
	v_cndmask_b32_e64 v37, v37, v19, s[24:25]
	v_add_f64 v[16:17], v[14:15], v[36:37]
.LBB75_59:
	s_or_b64 exec, exec, s[28:29]
	ds_read_b64 v[14:15], v1 offset:24
	v_max_f64 v[38:39], v[16:17], v[16:17]
	v_cmp_u_f64_e64 s[24:25], v[16:17], v[16:17]
	ds_write_b64 v1, v[16:17] offset:16
	s_waitcnt lgkmcnt(1)
	v_max_f64 v[40:41], v[14:15], v[14:15]
	v_min_f64 v[36:37], v[38:39], v[40:41]
	v_cndmask_b32_e64 v19, v36, v16, s[24:25]
	v_cndmask_b32_e64 v36, v37, v17, s[24:25]
	v_cmp_u_f64_e64 s[26:27], v[14:15], v[14:15]
	v_max_f64 v[38:39], v[38:39], v[40:41]
	s_nop 0
	v_cndmask_b32_e64 v37, v36, v15, s[26:27]
	v_cndmask_b32_e64 v36, v19, v14, s[26:27]
	v_cndmask_b32_e64 v19, v38, v16, s[24:25]
	v_cndmask_b32_e64 v38, v39, v17, s[24:25]
	v_cndmask_b32_e64 v15, v38, v15, s[26:27]
	v_cndmask_b32_e64 v14, v19, v14, s[26:27]
	v_cmp_neq_f64_e64 s[24:25], v[36:37], v[14:15]
	v_cmp_class_f64_e64 s[26:27], v[36:37], s33
	s_or_b64 s[24:25], s[24:25], s[26:27]
	s_and_saveexec_b64 s[28:29], s[24:25]
	s_cbranch_execz .LBB75_61
; %bb.60:
	s_mov_b32 s24, 0x652b82fe
	v_add_f64 v[16:17], v[36:37], -v[14:15]
	s_mov_b32 s25, 0x3ff71547
	v_mul_f64 v[36:37], v[16:17], s[24:25]
	v_rndne_f64_e32 v[36:37], v[36:37]
	s_mov_b32 s35, 0xbfe62e42
	s_mov_b32 s34, 0xfefa39ef
	v_fma_f64 v[38:39], s[34:35], v[36:37], v[16:17]
	s_mov_b32 s37, 0xbc7abc9e
	s_mov_b32 s36, 0x3b39803f
	;; [unrolled: 1-line block ×3, first 2 shown]
	v_fmac_f64_e32 v[38:39], s[36:37], v[36:37]
	v_mov_b32_e32 v40, 0xfca7ab0c
	v_mov_b32_e32 v41, 0x3e928af3
	s_mov_b32 s25, 0x3e5ade15
	v_fmac_f64_e32 v[40:41], s[24:25], v[38:39]
	v_mov_b32_e32 v42, 0x623fde64
	v_mov_b32_e32 v43, 0x3ec71dee
	v_fmac_f64_e32 v[42:43], v[38:39], v[40:41]
	v_mov_b32_e32 v40, 0x7c89e6b0
	v_mov_b32_e32 v41, 0x3efa0199
	;; [unrolled: 3-line block ×8, first 2 shown]
	v_fmac_f64_e32 v[40:41], v[38:39], v[42:43]
	v_fma_f64 v[40:41], v[38:39], v[40:41], 1.0
	s_mov_b32 s24, 0
	s_mov_b32 s26, 0
	v_fma_f64 v[38:39], v[38:39], v[40:41], 1.0
	v_cvt_i32_f64_e32 v19, v[36:37]
	s_mov_b32 s25, 0x40900000
	s_mov_b32 s27, 0xc090cc00
	v_ldexp_f64 v[36:37], v[38:39], v19
	v_mov_b32_e32 v19, 0x7ff00000
	v_cmp_nlt_f64_e64 s[24:25], s[24:25], v[16:17]
	v_cmp_ngt_f64_e64 s[26:27], s[26:27], v[16:17]
	s_mov_b32 s35, 0x3fe62e42
	v_cndmask_b32_e64 v37, v19, v37, s[24:25]
	s_and_b64 s[24:25], s[26:27], s[24:25]
	v_cndmask_b32_e64 v17, 0, v37, s[26:27]
	v_cndmask_b32_e64 v16, 0, v36, s[24:25]
	v_add_f64 v[36:37], v[16:17], 1.0
	v_add_f64 v[38:39], v[36:37], -1.0
	v_add_f64 v[40:41], v[38:39], -v[36:37]
	v_add_f64 v[40:41], v[40:41], 1.0
	v_add_f64 v[38:39], v[16:17], -v[38:39]
	s_mov_b32 s24, 0x55555555
	v_add_f64 v[38:39], v[38:39], v[40:41]
	v_frexp_mant_f64_e32 v[40:41], v[36:37]
	s_mov_b32 s25, 0x3fe55555
	v_frexp_exp_i32_f64_e32 v42, v[36:37]
	v_cmp_gt_f64_e64 s[24:25], s[24:25], v[40:41]
	s_mov_b32 s37, 0x3c7abc9e
	v_cmp_ngt_f64_e64 s[26:27], -1.0, v[16:17]
	v_subbrev_co_u32_e64 v56, s[24:25], 0, v42, s[24:25]
	v_sub_u32_e32 v40, 0, v56
	v_ldexp_f64 v[36:37], v[36:37], v40
	v_ldexp_f64 v[38:39], v[38:39], v40
	v_add_f64 v[40:41], v[36:37], -1.0
	v_add_f64 v[46:47], v[36:37], 1.0
	v_add_f64 v[42:43], v[40:41], 1.0
	v_add_f64 v[48:49], v[46:47], -1.0
	v_add_f64 v[42:43], v[36:37], -v[42:43]
	v_add_f64 v[36:37], v[36:37], -v[48:49]
	v_add_f64 v[36:37], v[38:39], v[36:37]
	v_add_f64 v[42:43], v[38:39], v[42:43]
	;; [unrolled: 1-line block ×3, first 2 shown]
	v_rcp_f64_e32 v[48:49], v[38:39]
	v_add_f64 v[44:45], v[40:41], v[42:43]
	v_add_f64 v[40:41], v[44:45], -v[40:41]
	v_add_f64 v[40:41], v[42:43], -v[40:41]
	;; [unrolled: 1-line block ×4, first 2 shown]
	v_fma_f64 v[42:43], -v[38:39], v[48:49], 1.0
	v_fmac_f64_e32 v[48:49], v[42:43], v[48:49]
	v_fma_f64 v[42:43], -v[38:39], v[48:49], 1.0
	v_fmac_f64_e32 v[48:49], v[42:43], v[48:49]
	v_mul_f64 v[42:43], v[44:45], v[48:49]
	v_mul_f64 v[46:47], v[38:39], v[42:43]
	v_fma_f64 v[50:51], v[42:43], v[38:39], -v[46:47]
	v_fmac_f64_e32 v[50:51], v[42:43], v[36:37]
	v_add_f64 v[52:53], v[46:47], v[50:51]
	v_add_f64 v[54:55], v[44:45], -v[52:53]
	v_add_f64 v[44:45], v[44:45], -v[54:55]
	;; [unrolled: 1-line block ×4, first 2 shown]
	v_add_f64 v[40:41], v[40:41], v[44:45]
	v_add_f64 v[44:45], v[46:47], -v[50:51]
	v_add_f64 v[40:41], v[44:45], v[40:41]
	v_add_f64 v[44:45], v[54:55], v[40:41]
	v_add_f64 v[46:47], v[54:55], -v[44:45]
	v_add_f64 v[40:41], v[40:41], v[46:47]
	v_mul_f64 v[46:47], v[48:49], v[44:45]
	v_mul_f64 v[50:51], v[38:39], v[46:47]
	v_fma_f64 v[38:39], v[46:47], v[38:39], -v[50:51]
	v_fmac_f64_e32 v[38:39], v[46:47], v[36:37]
	v_add_f64 v[36:37], v[50:51], v[38:39]
	v_add_f64 v[52:53], v[44:45], -v[36:37]
	v_add_f64 v[44:45], v[44:45], -v[52:53]
	;; [unrolled: 1-line block ×4, first 2 shown]
	v_add_f64 v[36:37], v[40:41], v[36:37]
	v_add_f64 v[38:39], v[50:51], -v[38:39]
	v_add_f64 v[36:37], v[38:39], v[36:37]
	v_add_f64 v[38:39], v[42:43], v[46:47]
	;; [unrolled: 1-line block ×3, first 2 shown]
	v_add_f64 v[40:41], v[38:39], -v[42:43]
	v_mul_f64 v[36:37], v[48:49], v[36:37]
	v_add_f64 v[40:41], v[46:47], -v[40:41]
	v_add_f64 v[36:37], v[40:41], v[36:37]
	v_add_f64 v[40:41], v[38:39], v[36:37]
	v_add_f64 v[38:39], v[40:41], -v[38:39]
	s_mov_b32 s24, 0xbf559e2b
	v_add_f64 v[36:37], v[36:37], -v[38:39]
	v_mul_f64 v[38:39], v[40:41], v[40:41]
	v_mov_b32_e32 v42, 0x6b47b09a
	v_mov_b32_e32 v43, 0x3fc38538
	s_mov_b32 s25, 0x3fc3ab76
	v_fmac_f64_e32 v[42:43], s[24:25], v[38:39]
	v_mov_b32_e32 v44, 0xd7f4df2e
	v_mov_b32_e32 v45, 0x3fc7474d
	v_fmac_f64_e32 v[44:45], v[38:39], v[42:43]
	v_mov_b32_e32 v42, 0x16291751
	v_mov_b32_e32 v43, 0x3fcc71c0
	v_fmac_f64_e32 v[42:43], v[38:39], v[44:45]
	v_mov_b32_e32 v44, 0x9b27acf1
	v_mov_b32_e32 v45, 0x3fd24924
	v_fmac_f64_e32 v[44:45], v[38:39], v[42:43]
	v_mov_b32_e32 v42, 0x998ef7b6
	v_mov_b32_e32 v43, 0x3fd99999
	v_fmac_f64_e32 v[42:43], v[38:39], v[44:45]
	v_mov_b32_e32 v44, 0x55555780
	v_mov_b32_e32 v45, 0x3fe55555
	v_fmac_f64_e32 v[44:45], v[38:39], v[42:43]
	v_cvt_f64_i32_e32 v[42:43], v56
	v_mul_f64 v[46:47], v[42:43], s[34:35]
	v_fma_f64 v[48:49], v[42:43], s[34:35], -v[46:47]
	v_fmac_f64_e32 v[48:49], s[36:37], v[42:43]
	v_add_f64 v[42:43], v[46:47], v[48:49]
	v_add_f64 v[46:47], v[42:43], -v[46:47]
	v_mul_f64 v[38:39], v[40:41], v[38:39]
	v_add_f64 v[46:47], v[48:49], -v[46:47]
	v_ldexp_f64 v[48:49], v[40:41], 1
	v_mul_f64 v[38:39], v[38:39], v[44:45]
	v_add_f64 v[40:41], v[48:49], v[38:39]
	v_add_f64 v[44:45], v[40:41], -v[48:49]
	v_ldexp_f64 v[36:37], v[36:37], 1
	v_add_f64 v[38:39], v[38:39], -v[44:45]
	v_add_f64 v[36:37], v[36:37], v[38:39]
	v_add_f64 v[38:39], v[40:41], v[36:37]
	v_add_f64 v[40:41], v[38:39], -v[40:41]
	v_add_f64 v[36:37], v[36:37], -v[40:41]
	v_add_f64 v[40:41], v[42:43], v[38:39]
	v_add_f64 v[44:45], v[40:41], -v[42:43]
	v_add_f64 v[48:49], v[40:41], -v[44:45]
	;; [unrolled: 1-line block ×4, first 2 shown]
	v_add_f64 v[38:39], v[38:39], v[42:43]
	v_add_f64 v[42:43], v[46:47], v[36:37]
	v_add_f64 v[44:45], v[42:43], -v[46:47]
	v_add_f64 v[38:39], v[42:43], v[38:39]
	v_add_f64 v[48:49], v[42:43], -v[44:45]
	;; [unrolled: 2-line block ×3, first 2 shown]
	v_add_f64 v[36:37], v[36:37], -v[44:45]
	v_add_f64 v[40:41], v[42:43], -v[40:41]
	v_add_f64 v[36:37], v[36:37], v[46:47]
	v_add_f64 v[38:39], v[38:39], -v[40:41]
	s_mov_b32 s24, 0
	v_add_f64 v[36:37], v[36:37], v[38:39]
	s_mov_b32 s25, 0x7ff00000
	v_add_f64 v[36:37], v[42:43], v[36:37]
	v_cmp_neq_f64_e64 s[24:25], s[24:25], v[16:17]
	s_nop 1
	v_cndmask_b32_e64 v19, v19, v37, s[24:25]
	v_mov_b32_e32 v37, 0x7ff80000
	v_cndmask_b32_e64 v19, v37, v19, s[26:27]
	v_cmp_nge_f64_e64 s[26:27], -1.0, v[16:17]
	s_and_b64 s[24:25], s[26:27], s[24:25]
	v_cndmask_b32_e64 v36, 0, v36, s[24:25]
	v_mov_b32_e32 v37, 0xfff00000
	v_cmp_neq_f64_e64 s[24:25], -1.0, v[16:17]
	s_nop 1
	v_cndmask_b32_e64 v37, v37, v19, s[24:25]
	v_add_f64 v[16:17], v[14:15], v[36:37]
.LBB75_61:
	s_or_b64 exec, exec, s[28:29]
	ds_write_b64 v1, v[16:17] offset:24
.LBB75_62:
	s_or_b64 exec, exec, s[30:31]
	s_load_dwordx2 s[24:25], s[0:1], 0x20
	v_mul_u32_u24_e32 v19, 40, v0
	v_cmp_ne_u32_e64 s[0:1], 0, v0
	s_waitcnt lgkmcnt(0)
	s_barrier
	s_and_saveexec_b64 s[26:27], s[0:1]
	s_cbranch_execz .LBB75_66
; %bb.63:
	v_add_u32_e32 v0, -1, v0
	v_lshrrev_b32_e32 v1, 2, v0
	v_and_b32_e32 v1, 0x3ffffff8, v1
	v_lshl_add_u32 v0, v0, 3, v1
	ds_read_b64 v[14:15], v0
	s_waitcnt lgkmcnt(0)
	v_max_f64 v[0:1], v[14:15], v[14:15]
	v_min_f64 v[16:17], v[0:1], v[30:31]
	v_max_f64 v[0:1], v[0:1], v[30:31]
	v_cmp_u_f64_e64 s[0:1], v[14:15], v[14:15]
	s_nop 1
	v_cndmask_b32_e64 v16, v16, v14, s[0:1]
	v_cndmask_b32_e64 v17, v17, v15, s[0:1]
	;; [unrolled: 1-line block ×8, first 2 shown]
	s_movk_i32 s22, 0x1f8
	v_cmp_neq_f64_e64 s[0:1], v[16:17], v[0:1]
	v_cmp_class_f64_e64 s[22:23], v[16:17], s22
	s_or_b64 s[0:1], s[0:1], s[22:23]
	s_and_saveexec_b64 s[28:29], s[0:1]
	s_cbranch_execz .LBB75_65
; %bb.64:
	s_mov_b32 s0, 0x652b82fe
	v_add_f64 v[2:3], v[16:17], -v[0:1]
	s_mov_b32 s1, 0x3ff71547
	v_mul_f64 v[14:15], v[2:3], s[0:1]
	v_rndne_f64_e32 v[14:15], v[14:15]
	s_mov_b32 s31, 0xbfe62e42
	s_mov_b32 s30, 0xfefa39ef
	v_fma_f64 v[16:17], s[30:31], v[14:15], v[2:3]
	s_mov_b32 s35, 0xbc7abc9e
	s_mov_b32 s34, 0x3b39803f
	;; [unrolled: 1-line block ×3, first 2 shown]
	v_fmac_f64_e32 v[16:17], s[34:35], v[14:15]
	v_mov_b32_e32 v30, 0xfca7ab0c
	v_mov_b32_e32 v31, 0x3e928af3
	s_mov_b32 s1, 0x3e5ade15
	v_fmac_f64_e32 v[30:31], s[0:1], v[16:17]
	v_mov_b32_e32 v32, 0x623fde64
	v_mov_b32_e32 v33, 0x3ec71dee
	v_fmac_f64_e32 v[32:33], v[16:17], v[30:31]
	v_mov_b32_e32 v30, 0x7c89e6b0
	v_mov_b32_e32 v31, 0x3efa0199
	;; [unrolled: 3-line block ×8, first 2 shown]
	v_fmac_f64_e32 v[30:31], v[16:17], v[32:33]
	v_fma_f64 v[30:31], v[16:17], v[30:31], 1.0
	s_mov_b32 s0, 0
	s_mov_b32 s22, 0
	v_fma_f64 v[16:17], v[16:17], v[30:31], 1.0
	v_cvt_i32_f64_e32 v14, v[14:15]
	s_mov_b32 s1, 0x40900000
	s_mov_b32 s23, 0xc090cc00
	v_ldexp_f64 v[14:15], v[16:17], v14
	v_mov_b32_e32 v46, 0x7ff00000
	v_cmp_nlt_f64_e64 s[0:1], s[0:1], v[2:3]
	v_cmp_ngt_f64_e64 s[22:23], s[22:23], v[2:3]
	s_mov_b32 s31, 0x3fe62e42
	v_cndmask_b32_e64 v15, v46, v15, s[0:1]
	s_and_b64 s[0:1], s[22:23], s[0:1]
	v_cndmask_b32_e64 v3, 0, v15, s[22:23]
	v_cndmask_b32_e64 v2, 0, v14, s[0:1]
	v_add_f64 v[14:15], v[2:3], 1.0
	v_add_f64 v[16:17], v[14:15], -1.0
	v_add_f64 v[30:31], v[16:17], -v[14:15]
	v_add_f64 v[30:31], v[30:31], 1.0
	v_add_f64 v[16:17], v[2:3], -v[16:17]
	s_mov_b32 s0, 0x55555555
	v_add_f64 v[16:17], v[16:17], v[30:31]
	v_frexp_mant_f64_e32 v[30:31], v[14:15]
	s_mov_b32 s1, 0x3fe55555
	v_frexp_exp_i32_f64_e32 v32, v[14:15]
	v_cmp_gt_f64_e64 s[0:1], s[0:1], v[30:31]
	s_mov_b32 s35, 0x3c7abc9e
	v_cmp_ngt_f64_e64 s[22:23], -1.0, v[2:3]
	v_subbrev_co_u32_e64 v47, s[0:1], 0, v32, s[0:1]
	v_sub_u32_e32 v30, 0, v47
	v_ldexp_f64 v[14:15], v[14:15], v30
	v_ldexp_f64 v[16:17], v[16:17], v30
	v_add_f64 v[30:31], v[14:15], -1.0
	v_add_f64 v[36:37], v[14:15], 1.0
	v_add_f64 v[32:33], v[30:31], 1.0
	v_add_f64 v[38:39], v[36:37], -1.0
	v_add_f64 v[32:33], v[14:15], -v[32:33]
	v_add_f64 v[14:15], v[14:15], -v[38:39]
	v_add_f64 v[14:15], v[16:17], v[14:15]
	v_add_f64 v[32:33], v[16:17], v[32:33]
	;; [unrolled: 1-line block ×3, first 2 shown]
	v_rcp_f64_e32 v[38:39], v[16:17]
	v_add_f64 v[34:35], v[30:31], v[32:33]
	v_add_f64 v[30:31], v[34:35], -v[30:31]
	v_add_f64 v[30:31], v[32:33], -v[30:31]
	;; [unrolled: 1-line block ×4, first 2 shown]
	v_fma_f64 v[32:33], -v[16:17], v[38:39], 1.0
	v_fmac_f64_e32 v[38:39], v[32:33], v[38:39]
	v_fma_f64 v[32:33], -v[16:17], v[38:39], 1.0
	v_fmac_f64_e32 v[38:39], v[32:33], v[38:39]
	v_mul_f64 v[32:33], v[34:35], v[38:39]
	v_mul_f64 v[36:37], v[16:17], v[32:33]
	v_fma_f64 v[40:41], v[32:33], v[16:17], -v[36:37]
	v_fmac_f64_e32 v[40:41], v[32:33], v[14:15]
	v_add_f64 v[42:43], v[36:37], v[40:41]
	v_add_f64 v[44:45], v[34:35], -v[42:43]
	v_add_f64 v[34:35], v[34:35], -v[44:45]
	;; [unrolled: 1-line block ×4, first 2 shown]
	v_add_f64 v[30:31], v[30:31], v[34:35]
	v_add_f64 v[34:35], v[36:37], -v[40:41]
	v_add_f64 v[30:31], v[34:35], v[30:31]
	v_add_f64 v[34:35], v[44:45], v[30:31]
	v_add_f64 v[36:37], v[44:45], -v[34:35]
	v_add_f64 v[30:31], v[30:31], v[36:37]
	v_mul_f64 v[36:37], v[38:39], v[34:35]
	v_mul_f64 v[40:41], v[16:17], v[36:37]
	v_fma_f64 v[16:17], v[36:37], v[16:17], -v[40:41]
	v_fmac_f64_e32 v[16:17], v[36:37], v[14:15]
	v_add_f64 v[14:15], v[40:41], v[16:17]
	v_add_f64 v[42:43], v[34:35], -v[14:15]
	v_add_f64 v[34:35], v[34:35], -v[42:43]
	;; [unrolled: 1-line block ×4, first 2 shown]
	v_add_f64 v[14:15], v[30:31], v[14:15]
	v_add_f64 v[16:17], v[40:41], -v[16:17]
	v_add_f64 v[14:15], v[16:17], v[14:15]
	v_add_f64 v[16:17], v[32:33], v[36:37]
	;; [unrolled: 1-line block ×3, first 2 shown]
	v_add_f64 v[30:31], v[16:17], -v[32:33]
	v_mul_f64 v[14:15], v[38:39], v[14:15]
	v_add_f64 v[30:31], v[36:37], -v[30:31]
	v_add_f64 v[14:15], v[30:31], v[14:15]
	v_add_f64 v[30:31], v[16:17], v[14:15]
	v_add_f64 v[16:17], v[30:31], -v[16:17]
	s_mov_b32 s0, 0xbf559e2b
	v_add_f64 v[14:15], v[14:15], -v[16:17]
	v_mul_f64 v[16:17], v[30:31], v[30:31]
	v_mov_b32_e32 v32, 0x6b47b09a
	v_mov_b32_e32 v33, 0x3fc38538
	s_mov_b32 s1, 0x3fc3ab76
	v_fmac_f64_e32 v[32:33], s[0:1], v[16:17]
	v_mov_b32_e32 v34, 0xd7f4df2e
	v_mov_b32_e32 v35, 0x3fc7474d
	v_fmac_f64_e32 v[34:35], v[16:17], v[32:33]
	v_mov_b32_e32 v32, 0x16291751
	v_mov_b32_e32 v33, 0x3fcc71c0
	;; [unrolled: 3-line block ×5, first 2 shown]
	v_fmac_f64_e32 v[34:35], v[16:17], v[32:33]
	v_cvt_f64_i32_e32 v[32:33], v47
	v_mul_f64 v[36:37], v[32:33], s[30:31]
	v_fma_f64 v[38:39], v[32:33], s[30:31], -v[36:37]
	v_fmac_f64_e32 v[38:39], s[34:35], v[32:33]
	v_add_f64 v[32:33], v[36:37], v[38:39]
	v_add_f64 v[36:37], v[32:33], -v[36:37]
	v_mul_f64 v[16:17], v[30:31], v[16:17]
	v_add_f64 v[36:37], v[38:39], -v[36:37]
	v_ldexp_f64 v[38:39], v[30:31], 1
	v_mul_f64 v[16:17], v[16:17], v[34:35]
	v_add_f64 v[30:31], v[38:39], v[16:17]
	v_add_f64 v[34:35], v[30:31], -v[38:39]
	v_ldexp_f64 v[14:15], v[14:15], 1
	v_add_f64 v[16:17], v[16:17], -v[34:35]
	v_add_f64 v[14:15], v[14:15], v[16:17]
	v_add_f64 v[16:17], v[30:31], v[14:15]
	v_add_f64 v[30:31], v[16:17], -v[30:31]
	v_add_f64 v[14:15], v[14:15], -v[30:31]
	v_add_f64 v[30:31], v[32:33], v[16:17]
	v_add_f64 v[34:35], v[30:31], -v[32:33]
	v_add_f64 v[38:39], v[30:31], -v[34:35]
	;; [unrolled: 1-line block ×4, first 2 shown]
	v_add_f64 v[16:17], v[16:17], v[32:33]
	v_add_f64 v[32:33], v[36:37], v[14:15]
	v_add_f64 v[34:35], v[32:33], -v[36:37]
	v_add_f64 v[16:17], v[32:33], v[16:17]
	v_add_f64 v[38:39], v[32:33], -v[34:35]
	;; [unrolled: 2-line block ×3, first 2 shown]
	v_add_f64 v[14:15], v[14:15], -v[34:35]
	v_add_f64 v[30:31], v[32:33], -v[30:31]
	v_add_f64 v[14:15], v[14:15], v[36:37]
	v_add_f64 v[16:17], v[16:17], -v[30:31]
	s_mov_b32 s0, 0
	v_add_f64 v[14:15], v[14:15], v[16:17]
	s_mov_b32 s1, 0x7ff00000
	v_add_f64 v[14:15], v[32:33], v[14:15]
	v_cmp_neq_f64_e64 s[0:1], s[0:1], v[2:3]
	v_mov_b32_e32 v16, 0x7ff80000
	s_nop 0
	v_cndmask_b32_e64 v15, v46, v15, s[0:1]
	v_cndmask_b32_e64 v15, v16, v15, s[22:23]
	v_cmp_nge_f64_e64 s[22:23], -1.0, v[2:3]
	s_and_b64 s[0:1], s[22:23], s[0:1]
	v_cndmask_b32_e64 v14, 0, v14, s[0:1]
	v_mov_b32_e32 v16, 0xfff00000
	v_cmp_neq_f64_e64 s[0:1], -1.0, v[2:3]
	s_nop 1
	v_cndmask_b32_e64 v15, v16, v15, s[0:1]
	v_add_f64 v[14:15], v[0:1], v[14:15]
.LBB75_65:
	s_or_b64 exec, exec, s[28:29]
	v_max_f64 v[0:1], v[14:15], v[14:15]
	v_min_f64 v[32:33], v[0:1], v[28:29]
	v_max_f64 v[34:35], v[0:1], v[28:29]
	v_mov_b64_e32 v[2:3], v[14:15]
	;;#ASMSTART
	;;#ASMEND
.LBB75_66:
	s_or_b64 exec, exec, s[26:27]
	v_cmp_u_f64_e64 s[0:1], v[2:3], v[2:3]
	s_movk_i32 s30, 0x1f8
	s_nop 0
	v_cndmask_b32_e64 v0, v32, v2, s[0:1]
	v_cndmask_b32_e64 v1, v33, v3, s[0:1]
	;; [unrolled: 1-line block ×8, first 2 shown]
	v_cmp_neq_f64_e64 s[0:1], v[14:15], v[0:1]
	v_cmp_class_f64_e64 s[10:11], v[14:15], s30
	s_or_b64 s[0:1], s[0:1], s[10:11]
	v_mov_b64_e32 v[4:5], v[2:3]
	s_and_saveexec_b64 s[22:23], s[0:1]
	s_cbranch_execz .LBB75_68
; %bb.67:
	s_mov_b32 s0, 0x652b82fe
	v_add_f64 v[4:5], v[14:15], -v[0:1]
	s_mov_b32 s1, 0x3ff71547
	v_mul_f64 v[14:15], v[4:5], s[0:1]
	v_rndne_f64_e32 v[14:15], v[14:15]
	s_mov_b32 s27, 0xbfe62e42
	s_mov_b32 s26, 0xfefa39ef
	v_fma_f64 v[16:17], s[26:27], v[14:15], v[4:5]
	s_mov_b32 s29, 0xbc7abc9e
	s_mov_b32 s28, 0x3b39803f
	;; [unrolled: 1-line block ×3, first 2 shown]
	v_fmac_f64_e32 v[16:17], s[28:29], v[14:15]
	v_mov_b32_e32 v28, 0xfca7ab0c
	v_mov_b32_e32 v29, 0x3e928af3
	s_mov_b32 s1, 0x3e5ade15
	v_fmac_f64_e32 v[28:29], s[0:1], v[16:17]
	v_mov_b32_e32 v30, 0x623fde64
	v_mov_b32_e32 v31, 0x3ec71dee
	v_fmac_f64_e32 v[30:31], v[16:17], v[28:29]
	v_mov_b32_e32 v28, 0x7c89e6b0
	v_mov_b32_e32 v29, 0x3efa0199
	;; [unrolled: 3-line block ×8, first 2 shown]
	v_fmac_f64_e32 v[28:29], v[16:17], v[30:31]
	v_fma_f64 v[28:29], v[16:17], v[28:29], 1.0
	s_mov_b32 s0, 0
	s_mov_b32 s10, 0
	v_fma_f64 v[16:17], v[16:17], v[28:29], 1.0
	v_cvt_i32_f64_e32 v14, v[14:15]
	s_mov_b32 s1, 0x40900000
	s_mov_b32 s11, 0xc090cc00
	v_ldexp_f64 v[14:15], v[16:17], v14
	v_mov_b32_e32 v44, 0x7ff00000
	v_cmp_nlt_f64_e64 s[0:1], s[0:1], v[4:5]
	v_cmp_ngt_f64_e64 s[10:11], s[10:11], v[4:5]
	s_mov_b32 s27, 0x3fe62e42
	v_cndmask_b32_e64 v15, v44, v15, s[0:1]
	s_and_b64 s[0:1], s[10:11], s[0:1]
	v_cndmask_b32_e64 v5, 0, v15, s[10:11]
	v_cndmask_b32_e64 v4, 0, v14, s[0:1]
	v_add_f64 v[14:15], v[4:5], 1.0
	v_add_f64 v[16:17], v[14:15], -1.0
	v_add_f64 v[28:29], v[16:17], -v[14:15]
	v_add_f64 v[28:29], v[28:29], 1.0
	v_add_f64 v[16:17], v[4:5], -v[16:17]
	s_mov_b32 s0, 0x55555555
	v_add_f64 v[16:17], v[16:17], v[28:29]
	v_frexp_mant_f64_e32 v[28:29], v[14:15]
	s_mov_b32 s1, 0x3fe55555
	v_frexp_exp_i32_f64_e32 v30, v[14:15]
	v_cmp_gt_f64_e64 s[0:1], s[0:1], v[28:29]
	s_mov_b32 s29, 0x3c7abc9e
	v_cmp_ngt_f64_e64 s[10:11], -1.0, v[4:5]
	v_subbrev_co_u32_e64 v45, s[0:1], 0, v30, s[0:1]
	v_sub_u32_e32 v28, 0, v45
	v_ldexp_f64 v[14:15], v[14:15], v28
	v_ldexp_f64 v[16:17], v[16:17], v28
	v_add_f64 v[28:29], v[14:15], -1.0
	v_add_f64 v[34:35], v[14:15], 1.0
	v_add_f64 v[30:31], v[28:29], 1.0
	v_add_f64 v[36:37], v[34:35], -1.0
	v_add_f64 v[30:31], v[14:15], -v[30:31]
	v_add_f64 v[14:15], v[14:15], -v[36:37]
	v_add_f64 v[14:15], v[16:17], v[14:15]
	v_add_f64 v[30:31], v[16:17], v[30:31]
	;; [unrolled: 1-line block ×3, first 2 shown]
	v_rcp_f64_e32 v[36:37], v[16:17]
	v_add_f64 v[32:33], v[28:29], v[30:31]
	v_add_f64 v[28:29], v[32:33], -v[28:29]
	v_add_f64 v[28:29], v[30:31], -v[28:29]
	v_add_f64 v[30:31], v[16:17], -v[34:35]
	v_add_f64 v[14:15], v[14:15], -v[30:31]
	v_fma_f64 v[30:31], -v[16:17], v[36:37], 1.0
	v_fmac_f64_e32 v[36:37], v[30:31], v[36:37]
	v_fma_f64 v[30:31], -v[16:17], v[36:37], 1.0
	v_fmac_f64_e32 v[36:37], v[30:31], v[36:37]
	v_mul_f64 v[30:31], v[32:33], v[36:37]
	v_mul_f64 v[34:35], v[16:17], v[30:31]
	v_fma_f64 v[38:39], v[30:31], v[16:17], -v[34:35]
	v_fmac_f64_e32 v[38:39], v[30:31], v[14:15]
	v_add_f64 v[40:41], v[34:35], v[38:39]
	v_add_f64 v[42:43], v[32:33], -v[40:41]
	v_add_f64 v[32:33], v[32:33], -v[42:43]
	;; [unrolled: 1-line block ×4, first 2 shown]
	v_add_f64 v[28:29], v[28:29], v[32:33]
	v_add_f64 v[32:33], v[34:35], -v[38:39]
	v_add_f64 v[28:29], v[32:33], v[28:29]
	v_add_f64 v[32:33], v[42:43], v[28:29]
	v_add_f64 v[34:35], v[42:43], -v[32:33]
	v_add_f64 v[28:29], v[28:29], v[34:35]
	v_mul_f64 v[34:35], v[36:37], v[32:33]
	v_mul_f64 v[38:39], v[16:17], v[34:35]
	v_fma_f64 v[16:17], v[34:35], v[16:17], -v[38:39]
	v_fmac_f64_e32 v[16:17], v[34:35], v[14:15]
	v_add_f64 v[14:15], v[38:39], v[16:17]
	v_add_f64 v[40:41], v[32:33], -v[14:15]
	v_add_f64 v[32:33], v[32:33], -v[40:41]
	;; [unrolled: 1-line block ×4, first 2 shown]
	v_add_f64 v[14:15], v[28:29], v[14:15]
	v_add_f64 v[16:17], v[38:39], -v[16:17]
	v_add_f64 v[14:15], v[16:17], v[14:15]
	v_add_f64 v[16:17], v[30:31], v[34:35]
	;; [unrolled: 1-line block ×3, first 2 shown]
	v_add_f64 v[28:29], v[16:17], -v[30:31]
	v_mul_f64 v[14:15], v[36:37], v[14:15]
	v_add_f64 v[28:29], v[34:35], -v[28:29]
	v_add_f64 v[14:15], v[28:29], v[14:15]
	v_add_f64 v[28:29], v[16:17], v[14:15]
	v_add_f64 v[16:17], v[28:29], -v[16:17]
	s_mov_b32 s0, 0xbf559e2b
	v_add_f64 v[14:15], v[14:15], -v[16:17]
	v_mul_f64 v[16:17], v[28:29], v[28:29]
	v_mov_b32_e32 v30, 0x6b47b09a
	v_mov_b32_e32 v31, 0x3fc38538
	s_mov_b32 s1, 0x3fc3ab76
	v_fmac_f64_e32 v[30:31], s[0:1], v[16:17]
	v_mov_b32_e32 v32, 0xd7f4df2e
	v_mov_b32_e32 v33, 0x3fc7474d
	v_fmac_f64_e32 v[32:33], v[16:17], v[30:31]
	v_mov_b32_e32 v30, 0x16291751
	v_mov_b32_e32 v31, 0x3fcc71c0
	;; [unrolled: 3-line block ×5, first 2 shown]
	v_fmac_f64_e32 v[32:33], v[16:17], v[30:31]
	v_cvt_f64_i32_e32 v[30:31], v45
	v_mul_f64 v[34:35], v[30:31], s[26:27]
	v_fma_f64 v[36:37], v[30:31], s[26:27], -v[34:35]
	v_fmac_f64_e32 v[36:37], s[28:29], v[30:31]
	v_add_f64 v[30:31], v[34:35], v[36:37]
	v_add_f64 v[34:35], v[30:31], -v[34:35]
	v_mul_f64 v[16:17], v[28:29], v[16:17]
	v_add_f64 v[34:35], v[36:37], -v[34:35]
	v_ldexp_f64 v[36:37], v[28:29], 1
	v_mul_f64 v[16:17], v[16:17], v[32:33]
	v_add_f64 v[28:29], v[36:37], v[16:17]
	v_add_f64 v[32:33], v[28:29], -v[36:37]
	v_ldexp_f64 v[14:15], v[14:15], 1
	v_add_f64 v[16:17], v[16:17], -v[32:33]
	v_add_f64 v[14:15], v[14:15], v[16:17]
	v_add_f64 v[16:17], v[28:29], v[14:15]
	v_add_f64 v[28:29], v[16:17], -v[28:29]
	v_add_f64 v[14:15], v[14:15], -v[28:29]
	v_add_f64 v[28:29], v[30:31], v[16:17]
	v_add_f64 v[32:33], v[28:29], -v[30:31]
	v_add_f64 v[36:37], v[28:29], -v[32:33]
	;; [unrolled: 1-line block ×4, first 2 shown]
	v_add_f64 v[16:17], v[16:17], v[30:31]
	v_add_f64 v[30:31], v[34:35], v[14:15]
	v_add_f64 v[32:33], v[30:31], -v[34:35]
	v_add_f64 v[16:17], v[30:31], v[16:17]
	v_add_f64 v[36:37], v[30:31], -v[32:33]
	;; [unrolled: 2-line block ×3, first 2 shown]
	v_add_f64 v[14:15], v[14:15], -v[32:33]
	v_add_f64 v[28:29], v[30:31], -v[28:29]
	v_add_f64 v[14:15], v[14:15], v[34:35]
	v_add_f64 v[16:17], v[16:17], -v[28:29]
	s_mov_b32 s0, 0
	v_add_f64 v[14:15], v[14:15], v[16:17]
	s_mov_b32 s1, 0x7ff00000
	v_add_f64 v[14:15], v[30:31], v[14:15]
	v_cmp_neq_f64_e64 s[0:1], s[0:1], v[4:5]
	v_mov_b32_e32 v16, 0x7ff80000
	s_nop 0
	v_cndmask_b32_e64 v15, v44, v15, s[0:1]
	v_cndmask_b32_e64 v15, v16, v15, s[10:11]
	v_cmp_nge_f64_e64 s[10:11], -1.0, v[4:5]
	s_and_b64 s[0:1], s[10:11], s[0:1]
	v_cndmask_b32_e64 v14, 0, v14, s[0:1]
	v_mov_b32_e32 v16, 0xfff00000
	v_cmp_neq_f64_e64 s[0:1], -1.0, v[4:5]
	s_nop 1
	v_cndmask_b32_e64 v15, v16, v15, s[0:1]
	v_add_f64 v[4:5], v[0:1], v[14:15]
.LBB75_68:
	s_or_b64 exec, exec, s[22:23]
	v_max_f64 v[0:1], v[4:5], v[4:5]
	v_min_f64 v[14:15], v[0:1], v[20:21]
	v_cmp_u_f64_e64 s[0:1], v[4:5], v[4:5]
	v_max_f64 v[0:1], v[0:1], v[20:21]
	s_nop 0
	v_cndmask_b32_e64 v14, v14, v4, s[0:1]
	v_cndmask_b32_e64 v15, v15, v5, s[0:1]
	;; [unrolled: 1-line block ×8, first 2 shown]
	v_cmp_neq_f64_e64 s[0:1], v[14:15], v[0:1]
	v_cmp_class_f64_e64 s[10:11], v[14:15], s30
	s_or_b64 s[0:1], s[0:1], s[10:11]
	v_mov_b64_e32 v[10:11], v[4:5]
	s_and_saveexec_b64 s[12:13], s[0:1]
	s_cbranch_execz .LBB75_70
; %bb.69:
	s_mov_b32 s0, 0x652b82fe
	v_add_f64 v[10:11], v[14:15], -v[0:1]
	s_mov_b32 s1, 0x3ff71547
	v_mul_f64 v[14:15], v[10:11], s[0:1]
	v_rndne_f64_e32 v[14:15], v[14:15]
	s_mov_b32 s23, 0xbfe62e42
	s_mov_b32 s22, 0xfefa39ef
	v_fma_f64 v[16:17], s[22:23], v[14:15], v[10:11]
	s_mov_b32 s27, 0xbc7abc9e
	s_mov_b32 s26, 0x3b39803f
	;; [unrolled: 1-line block ×3, first 2 shown]
	v_fmac_f64_e32 v[16:17], s[26:27], v[14:15]
	v_mov_b32_e32 v20, 0xfca7ab0c
	v_mov_b32_e32 v21, 0x3e928af3
	s_mov_b32 s1, 0x3e5ade15
	v_fmac_f64_e32 v[20:21], s[0:1], v[16:17]
	v_mov_b32_e32 v28, 0x623fde64
	v_mov_b32_e32 v29, 0x3ec71dee
	v_fmac_f64_e32 v[28:29], v[16:17], v[20:21]
	v_mov_b32_e32 v20, 0x7c89e6b0
	v_mov_b32_e32 v21, 0x3efa0199
	;; [unrolled: 3-line block ×8, first 2 shown]
	v_fmac_f64_e32 v[20:21], v[16:17], v[28:29]
	v_fma_f64 v[20:21], v[16:17], v[20:21], 1.0
	s_mov_b32 s0, 0
	s_mov_b32 s10, 0
	v_fma_f64 v[16:17], v[16:17], v[20:21], 1.0
	v_cvt_i32_f64_e32 v14, v[14:15]
	s_mov_b32 s1, 0x40900000
	s_mov_b32 s11, 0xc090cc00
	v_ldexp_f64 v[14:15], v[16:17], v14
	v_mov_b32_e32 v42, 0x7ff00000
	v_cmp_nlt_f64_e64 s[0:1], s[0:1], v[10:11]
	v_cmp_ngt_f64_e64 s[10:11], s[10:11], v[10:11]
	s_mov_b32 s23, 0x3fe62e42
	v_cndmask_b32_e64 v15, v42, v15, s[0:1]
	s_and_b64 s[0:1], s[10:11], s[0:1]
	v_cndmask_b32_e64 v11, 0, v15, s[10:11]
	v_cndmask_b32_e64 v10, 0, v14, s[0:1]
	v_add_f64 v[14:15], v[10:11], 1.0
	v_add_f64 v[16:17], v[14:15], -1.0
	v_add_f64 v[20:21], v[16:17], -v[14:15]
	v_add_f64 v[20:21], v[20:21], 1.0
	v_add_f64 v[16:17], v[10:11], -v[16:17]
	s_mov_b32 s0, 0x55555555
	v_add_f64 v[16:17], v[16:17], v[20:21]
	v_frexp_mant_f64_e32 v[20:21], v[14:15]
	s_mov_b32 s1, 0x3fe55555
	v_frexp_exp_i32_f64_e32 v28, v[14:15]
	v_cmp_gt_f64_e64 s[0:1], s[0:1], v[20:21]
	s_mov_b32 s27, 0x3c7abc9e
	v_cmp_ngt_f64_e64 s[10:11], -1.0, v[10:11]
	v_subbrev_co_u32_e64 v43, s[0:1], 0, v28, s[0:1]
	v_sub_u32_e32 v20, 0, v43
	v_ldexp_f64 v[14:15], v[14:15], v20
	v_ldexp_f64 v[16:17], v[16:17], v20
	v_add_f64 v[20:21], v[14:15], -1.0
	v_add_f64 v[32:33], v[14:15], 1.0
	v_add_f64 v[28:29], v[20:21], 1.0
	v_add_f64 v[34:35], v[32:33], -1.0
	v_add_f64 v[28:29], v[14:15], -v[28:29]
	v_add_f64 v[14:15], v[14:15], -v[34:35]
	v_add_f64 v[14:15], v[16:17], v[14:15]
	v_add_f64 v[28:29], v[16:17], v[28:29]
	;; [unrolled: 1-line block ×3, first 2 shown]
	v_rcp_f64_e32 v[34:35], v[16:17]
	v_add_f64 v[30:31], v[20:21], v[28:29]
	v_add_f64 v[20:21], v[30:31], -v[20:21]
	v_add_f64 v[20:21], v[28:29], -v[20:21]
	;; [unrolled: 1-line block ×4, first 2 shown]
	v_fma_f64 v[28:29], -v[16:17], v[34:35], 1.0
	v_fmac_f64_e32 v[34:35], v[28:29], v[34:35]
	v_fma_f64 v[28:29], -v[16:17], v[34:35], 1.0
	v_fmac_f64_e32 v[34:35], v[28:29], v[34:35]
	v_mul_f64 v[28:29], v[30:31], v[34:35]
	v_mul_f64 v[32:33], v[16:17], v[28:29]
	v_fma_f64 v[36:37], v[28:29], v[16:17], -v[32:33]
	v_fmac_f64_e32 v[36:37], v[28:29], v[14:15]
	v_add_f64 v[38:39], v[32:33], v[36:37]
	v_add_f64 v[40:41], v[30:31], -v[38:39]
	v_add_f64 v[30:31], v[30:31], -v[40:41]
	;; [unrolled: 1-line block ×4, first 2 shown]
	v_add_f64 v[20:21], v[20:21], v[30:31]
	v_add_f64 v[30:31], v[32:33], -v[36:37]
	v_add_f64 v[20:21], v[30:31], v[20:21]
	v_add_f64 v[30:31], v[40:41], v[20:21]
	v_add_f64 v[32:33], v[40:41], -v[30:31]
	v_add_f64 v[20:21], v[20:21], v[32:33]
	v_mul_f64 v[32:33], v[34:35], v[30:31]
	v_mul_f64 v[36:37], v[16:17], v[32:33]
	v_fma_f64 v[16:17], v[32:33], v[16:17], -v[36:37]
	v_fmac_f64_e32 v[16:17], v[32:33], v[14:15]
	v_add_f64 v[14:15], v[36:37], v[16:17]
	v_add_f64 v[38:39], v[30:31], -v[14:15]
	v_add_f64 v[30:31], v[30:31], -v[38:39]
	;; [unrolled: 1-line block ×4, first 2 shown]
	v_add_f64 v[14:15], v[20:21], v[14:15]
	v_add_f64 v[16:17], v[36:37], -v[16:17]
	v_add_f64 v[14:15], v[16:17], v[14:15]
	v_add_f64 v[16:17], v[28:29], v[32:33]
	;; [unrolled: 1-line block ×3, first 2 shown]
	v_add_f64 v[20:21], v[16:17], -v[28:29]
	v_mul_f64 v[14:15], v[34:35], v[14:15]
	v_add_f64 v[20:21], v[32:33], -v[20:21]
	v_add_f64 v[14:15], v[20:21], v[14:15]
	v_add_f64 v[20:21], v[16:17], v[14:15]
	v_add_f64 v[16:17], v[20:21], -v[16:17]
	s_mov_b32 s0, 0xbf559e2b
	v_add_f64 v[14:15], v[14:15], -v[16:17]
	v_mul_f64 v[16:17], v[20:21], v[20:21]
	v_mov_b32_e32 v28, 0x6b47b09a
	v_mov_b32_e32 v29, 0x3fc38538
	s_mov_b32 s1, 0x3fc3ab76
	v_fmac_f64_e32 v[28:29], s[0:1], v[16:17]
	v_mov_b32_e32 v30, 0xd7f4df2e
	v_mov_b32_e32 v31, 0x3fc7474d
	v_fmac_f64_e32 v[30:31], v[16:17], v[28:29]
	v_mov_b32_e32 v28, 0x16291751
	v_mov_b32_e32 v29, 0x3fcc71c0
	;; [unrolled: 3-line block ×5, first 2 shown]
	v_fmac_f64_e32 v[30:31], v[16:17], v[28:29]
	v_cvt_f64_i32_e32 v[28:29], v43
	v_mul_f64 v[32:33], v[28:29], s[22:23]
	v_fma_f64 v[34:35], v[28:29], s[22:23], -v[32:33]
	v_fmac_f64_e32 v[34:35], s[26:27], v[28:29]
	v_add_f64 v[28:29], v[32:33], v[34:35]
	v_add_f64 v[32:33], v[28:29], -v[32:33]
	v_mul_f64 v[16:17], v[20:21], v[16:17]
	v_add_f64 v[32:33], v[34:35], -v[32:33]
	v_ldexp_f64 v[34:35], v[20:21], 1
	v_mul_f64 v[16:17], v[16:17], v[30:31]
	v_add_f64 v[20:21], v[34:35], v[16:17]
	v_add_f64 v[30:31], v[20:21], -v[34:35]
	v_ldexp_f64 v[14:15], v[14:15], 1
	v_add_f64 v[16:17], v[16:17], -v[30:31]
	v_add_f64 v[14:15], v[14:15], v[16:17]
	v_add_f64 v[16:17], v[20:21], v[14:15]
	v_add_f64 v[20:21], v[16:17], -v[20:21]
	v_add_f64 v[14:15], v[14:15], -v[20:21]
	v_add_f64 v[20:21], v[28:29], v[16:17]
	v_add_f64 v[30:31], v[20:21], -v[28:29]
	v_add_f64 v[34:35], v[20:21], -v[30:31]
	;; [unrolled: 1-line block ×4, first 2 shown]
	v_add_f64 v[16:17], v[16:17], v[28:29]
	v_add_f64 v[28:29], v[32:33], v[14:15]
	v_add_f64 v[30:31], v[28:29], -v[32:33]
	v_add_f64 v[16:17], v[28:29], v[16:17]
	v_add_f64 v[34:35], v[28:29], -v[30:31]
	;; [unrolled: 2-line block ×3, first 2 shown]
	v_add_f64 v[14:15], v[14:15], -v[30:31]
	v_add_f64 v[20:21], v[28:29], -v[20:21]
	v_add_f64 v[14:15], v[14:15], v[32:33]
	v_add_f64 v[16:17], v[16:17], -v[20:21]
	s_mov_b32 s0, 0
	v_add_f64 v[14:15], v[14:15], v[16:17]
	s_mov_b32 s1, 0x7ff00000
	v_add_f64 v[14:15], v[28:29], v[14:15]
	v_cmp_neq_f64_e64 s[0:1], s[0:1], v[10:11]
	v_mov_b32_e32 v16, 0x7ff80000
	s_nop 0
	v_cndmask_b32_e64 v15, v42, v15, s[0:1]
	v_cndmask_b32_e64 v15, v16, v15, s[10:11]
	v_cmp_nge_f64_e64 s[10:11], -1.0, v[10:11]
	s_and_b64 s[0:1], s[10:11], s[0:1]
	v_cndmask_b32_e64 v14, 0, v14, s[0:1]
	v_mov_b32_e32 v16, 0xfff00000
	v_cmp_neq_f64_e64 s[0:1], -1.0, v[10:11]
	s_nop 1
	v_cndmask_b32_e64 v15, v16, v15, s[0:1]
	v_add_f64 v[10:11], v[0:1], v[14:15]
.LBB75_70:
	s_or_b64 exec, exec, s[12:13]
	v_max_f64 v[0:1], v[10:11], v[10:11]
	v_min_f64 v[14:15], v[0:1], v[22:23]
	v_cmp_u_f64_e64 s[0:1], v[10:11], v[10:11]
	v_max_f64 v[0:1], v[0:1], v[22:23]
	s_movk_i32 s26, 0x1f8
	v_cndmask_b32_e64 v14, v14, v10, s[0:1]
	v_cndmask_b32_e64 v15, v15, v11, s[0:1]
	;; [unrolled: 1-line block ×8, first 2 shown]
	v_cmp_neq_f64_e64 s[0:1], v[14:15], v[0:1]
	v_cmp_class_f64_e64 s[10:11], v[14:15], s26
	s_or_b64 s[0:1], s[0:1], s[10:11]
	v_mov_b64_e32 v[12:13], v[10:11]
	s_and_saveexec_b64 s[12:13], s[0:1]
	s_cbranch_execz .LBB75_72
; %bb.71:
	s_mov_b32 s0, 0x652b82fe
	v_add_f64 v[12:13], v[14:15], -v[0:1]
	s_mov_b32 s1, 0x3ff71547
	v_mul_f64 v[14:15], v[12:13], s[0:1]
	v_rndne_f64_e32 v[14:15], v[14:15]
	s_mov_b32 s15, 0xbfe62e42
	s_mov_b32 s14, 0xfefa39ef
	v_fma_f64 v[16:17], s[14:15], v[14:15], v[12:13]
	s_mov_b32 s23, 0xbc7abc9e
	s_mov_b32 s22, 0x3b39803f
	;; [unrolled: 1-line block ×3, first 2 shown]
	v_fmac_f64_e32 v[16:17], s[22:23], v[14:15]
	v_mov_b32_e32 v20, 0xfca7ab0c
	v_mov_b32_e32 v21, 0x3e928af3
	s_mov_b32 s1, 0x3e5ade15
	v_fmac_f64_e32 v[20:21], s[0:1], v[16:17]
	v_mov_b32_e32 v22, 0x623fde64
	v_mov_b32_e32 v23, 0x3ec71dee
	v_fmac_f64_e32 v[22:23], v[16:17], v[20:21]
	v_mov_b32_e32 v20, 0x7c89e6b0
	v_mov_b32_e32 v21, 0x3efa0199
	;; [unrolled: 3-line block ×8, first 2 shown]
	v_fmac_f64_e32 v[20:21], v[16:17], v[22:23]
	v_fma_f64 v[20:21], v[16:17], v[20:21], 1.0
	s_mov_b32 s0, 0
	s_mov_b32 s10, 0
	v_fma_f64 v[16:17], v[16:17], v[20:21], 1.0
	v_cvt_i32_f64_e32 v14, v[14:15]
	s_mov_b32 s1, 0x40900000
	s_mov_b32 s11, 0xc090cc00
	v_ldexp_f64 v[14:15], v[16:17], v14
	v_mov_b32_e32 v40, 0x7ff00000
	v_cmp_nlt_f64_e64 s[0:1], s[0:1], v[12:13]
	v_cmp_ngt_f64_e64 s[10:11], s[10:11], v[12:13]
	s_mov_b32 s15, 0x3fe62e42
	v_cndmask_b32_e64 v15, v40, v15, s[0:1]
	s_and_b64 s[0:1], s[10:11], s[0:1]
	v_cndmask_b32_e64 v13, 0, v15, s[10:11]
	v_cndmask_b32_e64 v12, 0, v14, s[0:1]
	v_add_f64 v[14:15], v[12:13], 1.0
	v_add_f64 v[16:17], v[14:15], -1.0
	v_add_f64 v[20:21], v[16:17], -v[14:15]
	v_add_f64 v[20:21], v[20:21], 1.0
	v_add_f64 v[16:17], v[12:13], -v[16:17]
	s_mov_b32 s0, 0x55555555
	v_add_f64 v[16:17], v[16:17], v[20:21]
	v_frexp_mant_f64_e32 v[20:21], v[14:15]
	s_mov_b32 s1, 0x3fe55555
	v_frexp_exp_i32_f64_e32 v22, v[14:15]
	v_cmp_gt_f64_e64 s[0:1], s[0:1], v[20:21]
	s_mov_b32 s23, 0x3c7abc9e
	v_cmp_ngt_f64_e64 s[10:11], -1.0, v[12:13]
	v_subbrev_co_u32_e64 v41, s[0:1], 0, v22, s[0:1]
	v_sub_u32_e32 v20, 0, v41
	v_ldexp_f64 v[14:15], v[14:15], v20
	v_ldexp_f64 v[16:17], v[16:17], v20
	v_add_f64 v[20:21], v[14:15], -1.0
	v_add_f64 v[30:31], v[14:15], 1.0
	v_add_f64 v[22:23], v[20:21], 1.0
	v_add_f64 v[32:33], v[30:31], -1.0
	v_add_f64 v[22:23], v[14:15], -v[22:23]
	v_add_f64 v[14:15], v[14:15], -v[32:33]
	v_add_f64 v[14:15], v[16:17], v[14:15]
	v_add_f64 v[22:23], v[16:17], v[22:23]
	;; [unrolled: 1-line block ×3, first 2 shown]
	v_rcp_f64_e32 v[32:33], v[16:17]
	v_add_f64 v[28:29], v[20:21], v[22:23]
	v_add_f64 v[20:21], v[28:29], -v[20:21]
	v_add_f64 v[20:21], v[22:23], -v[20:21]
	;; [unrolled: 1-line block ×4, first 2 shown]
	v_fma_f64 v[22:23], -v[16:17], v[32:33], 1.0
	v_fmac_f64_e32 v[32:33], v[22:23], v[32:33]
	v_fma_f64 v[22:23], -v[16:17], v[32:33], 1.0
	v_fmac_f64_e32 v[32:33], v[22:23], v[32:33]
	v_mul_f64 v[22:23], v[28:29], v[32:33]
	v_mul_f64 v[30:31], v[16:17], v[22:23]
	v_fma_f64 v[34:35], v[22:23], v[16:17], -v[30:31]
	v_fmac_f64_e32 v[34:35], v[22:23], v[14:15]
	v_add_f64 v[36:37], v[30:31], v[34:35]
	v_add_f64 v[38:39], v[28:29], -v[36:37]
	v_add_f64 v[28:29], v[28:29], -v[38:39]
	;; [unrolled: 1-line block ×4, first 2 shown]
	v_add_f64 v[20:21], v[20:21], v[28:29]
	v_add_f64 v[28:29], v[30:31], -v[34:35]
	v_add_f64 v[20:21], v[28:29], v[20:21]
	v_add_f64 v[28:29], v[38:39], v[20:21]
	v_add_f64 v[30:31], v[38:39], -v[28:29]
	v_add_f64 v[20:21], v[20:21], v[30:31]
	v_mul_f64 v[30:31], v[32:33], v[28:29]
	v_mul_f64 v[34:35], v[16:17], v[30:31]
	v_fma_f64 v[16:17], v[30:31], v[16:17], -v[34:35]
	v_fmac_f64_e32 v[16:17], v[30:31], v[14:15]
	v_add_f64 v[14:15], v[34:35], v[16:17]
	v_add_f64 v[36:37], v[28:29], -v[14:15]
	v_add_f64 v[28:29], v[28:29], -v[36:37]
	;; [unrolled: 1-line block ×4, first 2 shown]
	v_add_f64 v[14:15], v[20:21], v[14:15]
	v_add_f64 v[16:17], v[34:35], -v[16:17]
	v_add_f64 v[14:15], v[16:17], v[14:15]
	v_add_f64 v[16:17], v[22:23], v[30:31]
	;; [unrolled: 1-line block ×3, first 2 shown]
	v_add_f64 v[20:21], v[16:17], -v[22:23]
	v_mul_f64 v[14:15], v[32:33], v[14:15]
	v_add_f64 v[20:21], v[30:31], -v[20:21]
	v_add_f64 v[14:15], v[20:21], v[14:15]
	v_add_f64 v[20:21], v[16:17], v[14:15]
	v_add_f64 v[16:17], v[20:21], -v[16:17]
	s_mov_b32 s0, 0xbf559e2b
	v_add_f64 v[14:15], v[14:15], -v[16:17]
	v_mul_f64 v[16:17], v[20:21], v[20:21]
	v_mov_b32_e32 v22, 0x6b47b09a
	v_mov_b32_e32 v23, 0x3fc38538
	s_mov_b32 s1, 0x3fc3ab76
	v_fmac_f64_e32 v[22:23], s[0:1], v[16:17]
	v_mov_b32_e32 v28, 0xd7f4df2e
	v_mov_b32_e32 v29, 0x3fc7474d
	v_fmac_f64_e32 v[28:29], v[16:17], v[22:23]
	v_mov_b32_e32 v22, 0x16291751
	v_mov_b32_e32 v23, 0x3fcc71c0
	;; [unrolled: 3-line block ×5, first 2 shown]
	v_fmac_f64_e32 v[28:29], v[16:17], v[22:23]
	v_cvt_f64_i32_e32 v[22:23], v41
	v_mul_f64 v[30:31], v[22:23], s[14:15]
	v_fma_f64 v[32:33], v[22:23], s[14:15], -v[30:31]
	v_fmac_f64_e32 v[32:33], s[22:23], v[22:23]
	v_add_f64 v[22:23], v[30:31], v[32:33]
	v_add_f64 v[30:31], v[22:23], -v[30:31]
	v_mul_f64 v[16:17], v[20:21], v[16:17]
	v_add_f64 v[30:31], v[32:33], -v[30:31]
	v_ldexp_f64 v[32:33], v[20:21], 1
	v_mul_f64 v[16:17], v[16:17], v[28:29]
	v_add_f64 v[20:21], v[32:33], v[16:17]
	v_add_f64 v[28:29], v[20:21], -v[32:33]
	v_ldexp_f64 v[14:15], v[14:15], 1
	v_add_f64 v[16:17], v[16:17], -v[28:29]
	v_add_f64 v[14:15], v[14:15], v[16:17]
	v_add_f64 v[16:17], v[20:21], v[14:15]
	v_add_f64 v[20:21], v[16:17], -v[20:21]
	v_add_f64 v[14:15], v[14:15], -v[20:21]
	v_add_f64 v[20:21], v[22:23], v[16:17]
	v_add_f64 v[28:29], v[20:21], -v[22:23]
	v_add_f64 v[32:33], v[20:21], -v[28:29]
	;; [unrolled: 1-line block ×4, first 2 shown]
	v_add_f64 v[16:17], v[16:17], v[22:23]
	v_add_f64 v[22:23], v[30:31], v[14:15]
	v_add_f64 v[28:29], v[22:23], -v[30:31]
	v_add_f64 v[16:17], v[22:23], v[16:17]
	v_add_f64 v[32:33], v[22:23], -v[28:29]
	;; [unrolled: 2-line block ×3, first 2 shown]
	v_add_f64 v[14:15], v[14:15], -v[28:29]
	v_add_f64 v[20:21], v[22:23], -v[20:21]
	v_add_f64 v[14:15], v[14:15], v[30:31]
	v_add_f64 v[16:17], v[16:17], -v[20:21]
	s_mov_b32 s0, 0
	v_add_f64 v[14:15], v[14:15], v[16:17]
	s_mov_b32 s1, 0x7ff00000
	v_add_f64 v[14:15], v[22:23], v[14:15]
	v_cmp_neq_f64_e64 s[0:1], s[0:1], v[12:13]
	v_mov_b32_e32 v16, 0x7ff80000
	s_nop 0
	v_cndmask_b32_e64 v15, v40, v15, s[0:1]
	v_cndmask_b32_e64 v15, v16, v15, s[10:11]
	v_cmp_nge_f64_e64 s[10:11], -1.0, v[12:13]
	s_and_b64 s[0:1], s[10:11], s[0:1]
	v_cndmask_b32_e64 v14, 0, v14, s[0:1]
	v_mov_b32_e32 v16, 0xfff00000
	v_cmp_neq_f64_e64 s[0:1], -1.0, v[12:13]
	s_nop 1
	v_cndmask_b32_e64 v15, v16, v15, s[0:1]
	v_add_f64 v[12:13], v[0:1], v[14:15]
.LBB75_72:
	s_or_b64 exec, exec, s[12:13]
	v_max_f64 v[0:1], v[12:13], v[12:13]
	v_min_f64 v[14:15], v[0:1], v[24:25]
	v_cmp_u_f64_e64 s[0:1], v[12:13], v[12:13]
	v_max_f64 v[0:1], v[0:1], v[24:25]
	s_nop 0
	v_cndmask_b32_e64 v14, v14, v12, s[0:1]
	v_cndmask_b32_e64 v15, v15, v13, s[0:1]
	;; [unrolled: 1-line block ×8, first 2 shown]
	v_cmp_neq_f64_e64 s[0:1], v[14:15], v[0:1]
	v_cmp_class_f64_e64 s[10:11], v[14:15], s26
	s_or_b64 s[0:1], s[0:1], s[10:11]
	v_mov_b64_e32 v[6:7], v[12:13]
	s_and_saveexec_b64 s[12:13], s[0:1]
	s_cbranch_execz .LBB75_74
; %bb.73:
	s_mov_b32 s0, 0x652b82fe
	v_add_f64 v[6:7], v[14:15], -v[0:1]
	s_mov_b32 s1, 0x3ff71547
	v_mul_f64 v[14:15], v[6:7], s[0:1]
	v_rndne_f64_e32 v[14:15], v[14:15]
	s_mov_b32 s15, 0xbfe62e42
	s_mov_b32 s14, 0xfefa39ef
	v_fma_f64 v[16:17], s[14:15], v[14:15], v[6:7]
	s_mov_b32 s17, 0xbc7abc9e
	s_mov_b32 s16, 0x3b39803f
	;; [unrolled: 1-line block ×3, first 2 shown]
	v_fmac_f64_e32 v[16:17], s[16:17], v[14:15]
	v_mov_b32_e32 v20, 0xfca7ab0c
	v_mov_b32_e32 v21, 0x3e928af3
	s_mov_b32 s1, 0x3e5ade15
	v_fmac_f64_e32 v[20:21], s[0:1], v[16:17]
	v_mov_b32_e32 v22, 0x623fde64
	v_mov_b32_e32 v23, 0x3ec71dee
	v_fmac_f64_e32 v[22:23], v[16:17], v[20:21]
	v_mov_b32_e32 v20, 0x7c89e6b0
	v_mov_b32_e32 v21, 0x3efa0199
	;; [unrolled: 3-line block ×8, first 2 shown]
	v_fmac_f64_e32 v[20:21], v[16:17], v[22:23]
	v_fma_f64 v[20:21], v[16:17], v[20:21], 1.0
	s_mov_b32 s0, 0
	s_mov_b32 s10, 0
	v_fma_f64 v[16:17], v[16:17], v[20:21], 1.0
	v_cvt_i32_f64_e32 v14, v[14:15]
	s_mov_b32 s1, 0x40900000
	s_mov_b32 s11, 0xc090cc00
	v_ldexp_f64 v[14:15], v[16:17], v14
	v_mov_b32_e32 v38, 0x7ff00000
	v_cmp_nlt_f64_e64 s[0:1], s[0:1], v[6:7]
	v_cmp_ngt_f64_e64 s[10:11], s[10:11], v[6:7]
	s_mov_b32 s15, 0x3fe62e42
	v_cndmask_b32_e64 v15, v38, v15, s[0:1]
	s_and_b64 s[0:1], s[10:11], s[0:1]
	v_cndmask_b32_e64 v7, 0, v15, s[10:11]
	v_cndmask_b32_e64 v6, 0, v14, s[0:1]
	v_add_f64 v[14:15], v[6:7], 1.0
	v_add_f64 v[16:17], v[14:15], -1.0
	v_add_f64 v[20:21], v[16:17], -v[14:15]
	v_add_f64 v[20:21], v[20:21], 1.0
	v_add_f64 v[16:17], v[6:7], -v[16:17]
	s_mov_b32 s0, 0x55555555
	v_add_f64 v[16:17], v[16:17], v[20:21]
	v_frexp_mant_f64_e32 v[20:21], v[14:15]
	s_mov_b32 s1, 0x3fe55555
	v_frexp_exp_i32_f64_e32 v22, v[14:15]
	v_cmp_gt_f64_e64 s[0:1], s[0:1], v[20:21]
	s_mov_b32 s17, 0x3c7abc9e
	v_cmp_ngt_f64_e64 s[10:11], -1.0, v[6:7]
	v_subbrev_co_u32_e64 v39, s[0:1], 0, v22, s[0:1]
	v_sub_u32_e32 v20, 0, v39
	v_ldexp_f64 v[14:15], v[14:15], v20
	v_ldexp_f64 v[16:17], v[16:17], v20
	v_add_f64 v[20:21], v[14:15], -1.0
	v_add_f64 v[28:29], v[14:15], 1.0
	v_add_f64 v[22:23], v[20:21], 1.0
	v_add_f64 v[30:31], v[28:29], -1.0
	v_add_f64 v[22:23], v[14:15], -v[22:23]
	v_add_f64 v[14:15], v[14:15], -v[30:31]
	v_add_f64 v[14:15], v[16:17], v[14:15]
	v_add_f64 v[22:23], v[16:17], v[22:23]
	;; [unrolled: 1-line block ×3, first 2 shown]
	v_rcp_f64_e32 v[30:31], v[16:17]
	v_add_f64 v[24:25], v[20:21], v[22:23]
	v_add_f64 v[20:21], v[24:25], -v[20:21]
	v_add_f64 v[20:21], v[22:23], -v[20:21]
	;; [unrolled: 1-line block ×4, first 2 shown]
	v_fma_f64 v[22:23], -v[16:17], v[30:31], 1.0
	v_fmac_f64_e32 v[30:31], v[22:23], v[30:31]
	v_fma_f64 v[22:23], -v[16:17], v[30:31], 1.0
	v_fmac_f64_e32 v[30:31], v[22:23], v[30:31]
	v_mul_f64 v[22:23], v[24:25], v[30:31]
	v_mul_f64 v[28:29], v[16:17], v[22:23]
	v_fma_f64 v[32:33], v[22:23], v[16:17], -v[28:29]
	v_fmac_f64_e32 v[32:33], v[22:23], v[14:15]
	v_add_f64 v[34:35], v[28:29], v[32:33]
	v_add_f64 v[36:37], v[24:25], -v[34:35]
	v_add_f64 v[24:25], v[24:25], -v[36:37]
	;; [unrolled: 1-line block ×4, first 2 shown]
	v_add_f64 v[20:21], v[20:21], v[24:25]
	v_add_f64 v[24:25], v[28:29], -v[32:33]
	v_add_f64 v[20:21], v[24:25], v[20:21]
	v_add_f64 v[24:25], v[36:37], v[20:21]
	v_add_f64 v[28:29], v[36:37], -v[24:25]
	v_add_f64 v[20:21], v[20:21], v[28:29]
	v_mul_f64 v[28:29], v[30:31], v[24:25]
	v_mul_f64 v[32:33], v[16:17], v[28:29]
	v_fma_f64 v[16:17], v[28:29], v[16:17], -v[32:33]
	v_fmac_f64_e32 v[16:17], v[28:29], v[14:15]
	v_add_f64 v[14:15], v[32:33], v[16:17]
	v_add_f64 v[34:35], v[24:25], -v[14:15]
	v_add_f64 v[24:25], v[24:25], -v[34:35]
	;; [unrolled: 1-line block ×4, first 2 shown]
	v_add_f64 v[14:15], v[20:21], v[14:15]
	v_add_f64 v[16:17], v[32:33], -v[16:17]
	v_add_f64 v[14:15], v[16:17], v[14:15]
	v_add_f64 v[16:17], v[22:23], v[28:29]
	;; [unrolled: 1-line block ×3, first 2 shown]
	v_add_f64 v[20:21], v[16:17], -v[22:23]
	v_mul_f64 v[14:15], v[30:31], v[14:15]
	v_add_f64 v[20:21], v[28:29], -v[20:21]
	v_add_f64 v[14:15], v[20:21], v[14:15]
	v_add_f64 v[20:21], v[16:17], v[14:15]
	v_add_f64 v[16:17], v[20:21], -v[16:17]
	s_mov_b32 s0, 0xbf559e2b
	v_add_f64 v[14:15], v[14:15], -v[16:17]
	v_mul_f64 v[16:17], v[20:21], v[20:21]
	v_mov_b32_e32 v22, 0x6b47b09a
	v_mov_b32_e32 v23, 0x3fc38538
	s_mov_b32 s1, 0x3fc3ab76
	v_fmac_f64_e32 v[22:23], s[0:1], v[16:17]
	v_mov_b32_e32 v24, 0xd7f4df2e
	v_mov_b32_e32 v25, 0x3fc7474d
	v_fmac_f64_e32 v[24:25], v[16:17], v[22:23]
	v_mov_b32_e32 v22, 0x16291751
	v_mov_b32_e32 v23, 0x3fcc71c0
	;; [unrolled: 3-line block ×5, first 2 shown]
	v_fmac_f64_e32 v[24:25], v[16:17], v[22:23]
	v_cvt_f64_i32_e32 v[22:23], v39
	v_mul_f64 v[28:29], v[22:23], s[14:15]
	v_fma_f64 v[30:31], v[22:23], s[14:15], -v[28:29]
	v_fmac_f64_e32 v[30:31], s[16:17], v[22:23]
	v_add_f64 v[22:23], v[28:29], v[30:31]
	v_add_f64 v[28:29], v[22:23], -v[28:29]
	v_mul_f64 v[16:17], v[20:21], v[16:17]
	v_add_f64 v[28:29], v[30:31], -v[28:29]
	v_ldexp_f64 v[30:31], v[20:21], 1
	v_mul_f64 v[16:17], v[16:17], v[24:25]
	v_add_f64 v[20:21], v[30:31], v[16:17]
	v_add_f64 v[24:25], v[20:21], -v[30:31]
	v_ldexp_f64 v[14:15], v[14:15], 1
	v_add_f64 v[16:17], v[16:17], -v[24:25]
	v_add_f64 v[14:15], v[14:15], v[16:17]
	v_add_f64 v[16:17], v[20:21], v[14:15]
	v_add_f64 v[20:21], v[16:17], -v[20:21]
	v_add_f64 v[14:15], v[14:15], -v[20:21]
	v_add_f64 v[20:21], v[22:23], v[16:17]
	v_add_f64 v[24:25], v[20:21], -v[22:23]
	v_add_f64 v[30:31], v[20:21], -v[24:25]
	;; [unrolled: 1-line block ×4, first 2 shown]
	v_add_f64 v[16:17], v[16:17], v[22:23]
	v_add_f64 v[22:23], v[28:29], v[14:15]
	v_add_f64 v[24:25], v[22:23], -v[28:29]
	v_add_f64 v[16:17], v[22:23], v[16:17]
	v_add_f64 v[30:31], v[22:23], -v[24:25]
	;; [unrolled: 2-line block ×3, first 2 shown]
	v_add_f64 v[14:15], v[14:15], -v[24:25]
	v_add_f64 v[20:21], v[22:23], -v[20:21]
	v_add_f64 v[14:15], v[14:15], v[28:29]
	v_add_f64 v[16:17], v[16:17], -v[20:21]
	s_mov_b32 s0, 0
	v_add_f64 v[14:15], v[14:15], v[16:17]
	s_mov_b32 s1, 0x7ff00000
	v_add_f64 v[14:15], v[22:23], v[14:15]
	v_cmp_neq_f64_e64 s[0:1], s[0:1], v[6:7]
	v_mov_b32_e32 v16, 0x7ff80000
	s_nop 0
	v_cndmask_b32_e64 v15, v38, v15, s[0:1]
	v_cndmask_b32_e64 v15, v16, v15, s[10:11]
	v_cmp_nge_f64_e64 s[10:11], -1.0, v[6:7]
	s_and_b64 s[0:1], s[10:11], s[0:1]
	v_cndmask_b32_e64 v14, 0, v14, s[0:1]
	v_mov_b32_e32 v16, 0xfff00000
	v_cmp_neq_f64_e64 s[0:1], -1.0, v[6:7]
	s_nop 1
	v_cndmask_b32_e64 v15, v16, v15, s[0:1]
	v_add_f64 v[6:7], v[0:1], v[14:15]
.LBB75_74:
	s_or_b64 exec, exec, s[12:13]
	v_max_f64 v[0:1], v[6:7], v[6:7]
	v_min_f64 v[14:15], v[0:1], v[26:27]
	v_cmp_u_f64_e64 s[0:1], v[6:7], v[6:7]
	v_max_f64 v[0:1], v[0:1], v[26:27]
	s_movk_i32 s10, 0x1f8
	v_cndmask_b32_e64 v14, v14, v6, s[0:1]
	v_cndmask_b32_e64 v15, v15, v7, s[0:1]
	;; [unrolled: 1-line block ×8, first 2 shown]
	v_cmp_neq_f64_e64 s[0:1], v[14:15], v[0:1]
	v_cmp_class_f64_e64 s[10:11], v[14:15], s10
	s_or_b64 s[0:1], s[0:1], s[10:11]
	v_mov_b64_e32 v[8:9], v[6:7]
	s_and_saveexec_b64 s[12:13], s[0:1]
	s_cbranch_execz .LBB75_76
; %bb.75:
	s_mov_b32 s0, 0x652b82fe
	v_add_f64 v[8:9], v[14:15], -v[0:1]
	s_mov_b32 s1, 0x3ff71547
	v_mul_f64 v[14:15], v[8:9], s[0:1]
	v_rndne_f64_e32 v[14:15], v[14:15]
	s_mov_b32 s15, 0xbfe62e42
	s_mov_b32 s14, 0xfefa39ef
	v_fma_f64 v[16:17], s[14:15], v[14:15], v[8:9]
	s_mov_b32 s17, 0xbc7abc9e
	s_mov_b32 s16, 0x3b39803f
	s_mov_b32 s0, 0x6a5dcb37
	v_fmac_f64_e32 v[16:17], s[16:17], v[14:15]
	v_mov_b32_e32 v20, 0xfca7ab0c
	v_mov_b32_e32 v21, 0x3e928af3
	s_mov_b32 s1, 0x3e5ade15
	v_fmac_f64_e32 v[20:21], s[0:1], v[16:17]
	v_mov_b32_e32 v22, 0x623fde64
	v_mov_b32_e32 v23, 0x3ec71dee
	v_fmac_f64_e32 v[22:23], v[16:17], v[20:21]
	v_mov_b32_e32 v20, 0x7c89e6b0
	v_mov_b32_e32 v21, 0x3efa0199
	;; [unrolled: 3-line block ×8, first 2 shown]
	v_fmac_f64_e32 v[20:21], v[16:17], v[22:23]
	v_fma_f64 v[20:21], v[16:17], v[20:21], 1.0
	s_mov_b32 s0, 0
	s_mov_b32 s10, 0
	v_fma_f64 v[16:17], v[16:17], v[20:21], 1.0
	v_cvt_i32_f64_e32 v14, v[14:15]
	s_mov_b32 s1, 0x40900000
	s_mov_b32 s11, 0xc090cc00
	v_ldexp_f64 v[14:15], v[16:17], v14
	v_mov_b32_e32 v36, 0x7ff00000
	v_cmp_nlt_f64_e64 s[0:1], s[0:1], v[8:9]
	v_cmp_ngt_f64_e64 s[10:11], s[10:11], v[8:9]
	s_mov_b32 s15, 0x3fe62e42
	v_cndmask_b32_e64 v15, v36, v15, s[0:1]
	s_and_b64 s[0:1], s[10:11], s[0:1]
	v_cndmask_b32_e64 v9, 0, v15, s[10:11]
	v_cndmask_b32_e64 v8, 0, v14, s[0:1]
	v_add_f64 v[14:15], v[8:9], 1.0
	v_add_f64 v[16:17], v[14:15], -1.0
	v_add_f64 v[20:21], v[16:17], -v[14:15]
	v_add_f64 v[20:21], v[20:21], 1.0
	v_add_f64 v[16:17], v[8:9], -v[16:17]
	s_mov_b32 s0, 0x55555555
	v_add_f64 v[16:17], v[16:17], v[20:21]
	v_frexp_mant_f64_e32 v[20:21], v[14:15]
	s_mov_b32 s1, 0x3fe55555
	v_frexp_exp_i32_f64_e32 v22, v[14:15]
	v_cmp_gt_f64_e64 s[0:1], s[0:1], v[20:21]
	s_mov_b32 s17, 0x3c7abc9e
	v_cmp_ngt_f64_e64 s[10:11], -1.0, v[8:9]
	v_subbrev_co_u32_e64 v37, s[0:1], 0, v22, s[0:1]
	v_sub_u32_e32 v20, 0, v37
	v_ldexp_f64 v[14:15], v[14:15], v20
	v_ldexp_f64 v[16:17], v[16:17], v20
	v_add_f64 v[20:21], v[14:15], -1.0
	v_add_f64 v[26:27], v[14:15], 1.0
	v_add_f64 v[22:23], v[20:21], 1.0
	v_add_f64 v[28:29], v[26:27], -1.0
	v_add_f64 v[22:23], v[14:15], -v[22:23]
	v_add_f64 v[14:15], v[14:15], -v[28:29]
	v_add_f64 v[14:15], v[16:17], v[14:15]
	v_add_f64 v[22:23], v[16:17], v[22:23]
	;; [unrolled: 1-line block ×3, first 2 shown]
	v_rcp_f64_e32 v[28:29], v[16:17]
	v_add_f64 v[24:25], v[20:21], v[22:23]
	v_add_f64 v[20:21], v[24:25], -v[20:21]
	v_add_f64 v[20:21], v[22:23], -v[20:21]
	;; [unrolled: 1-line block ×4, first 2 shown]
	v_fma_f64 v[22:23], -v[16:17], v[28:29], 1.0
	v_fmac_f64_e32 v[28:29], v[22:23], v[28:29]
	v_fma_f64 v[22:23], -v[16:17], v[28:29], 1.0
	v_fmac_f64_e32 v[28:29], v[22:23], v[28:29]
	v_mul_f64 v[22:23], v[24:25], v[28:29]
	v_mul_f64 v[26:27], v[16:17], v[22:23]
	v_fma_f64 v[30:31], v[22:23], v[16:17], -v[26:27]
	v_fmac_f64_e32 v[30:31], v[22:23], v[14:15]
	v_add_f64 v[32:33], v[26:27], v[30:31]
	v_add_f64 v[34:35], v[24:25], -v[32:33]
	v_add_f64 v[24:25], v[24:25], -v[34:35]
	v_add_f64 v[26:27], v[32:33], -v[26:27]
	v_add_f64 v[24:25], v[24:25], -v[32:33]
	v_add_f64 v[20:21], v[20:21], v[24:25]
	v_add_f64 v[24:25], v[26:27], -v[30:31]
	v_add_f64 v[20:21], v[24:25], v[20:21]
	v_add_f64 v[24:25], v[34:35], v[20:21]
	v_add_f64 v[26:27], v[34:35], -v[24:25]
	v_add_f64 v[20:21], v[20:21], v[26:27]
	v_mul_f64 v[26:27], v[28:29], v[24:25]
	v_mul_f64 v[30:31], v[16:17], v[26:27]
	v_fma_f64 v[16:17], v[26:27], v[16:17], -v[30:31]
	v_fmac_f64_e32 v[16:17], v[26:27], v[14:15]
	v_add_f64 v[14:15], v[30:31], v[16:17]
	v_add_f64 v[32:33], v[24:25], -v[14:15]
	v_add_f64 v[24:25], v[24:25], -v[32:33]
	;; [unrolled: 1-line block ×4, first 2 shown]
	v_add_f64 v[14:15], v[20:21], v[14:15]
	v_add_f64 v[16:17], v[30:31], -v[16:17]
	v_add_f64 v[14:15], v[16:17], v[14:15]
	v_add_f64 v[16:17], v[22:23], v[26:27]
	;; [unrolled: 1-line block ×3, first 2 shown]
	v_add_f64 v[20:21], v[16:17], -v[22:23]
	v_mul_f64 v[14:15], v[28:29], v[14:15]
	v_add_f64 v[20:21], v[26:27], -v[20:21]
	v_add_f64 v[14:15], v[20:21], v[14:15]
	v_add_f64 v[20:21], v[16:17], v[14:15]
	v_add_f64 v[16:17], v[20:21], -v[16:17]
	s_mov_b32 s0, 0xbf559e2b
	v_add_f64 v[14:15], v[14:15], -v[16:17]
	v_mul_f64 v[16:17], v[20:21], v[20:21]
	v_mov_b32_e32 v22, 0x6b47b09a
	v_mov_b32_e32 v23, 0x3fc38538
	s_mov_b32 s1, 0x3fc3ab76
	v_fmac_f64_e32 v[22:23], s[0:1], v[16:17]
	v_mov_b32_e32 v24, 0xd7f4df2e
	v_mov_b32_e32 v25, 0x3fc7474d
	v_fmac_f64_e32 v[24:25], v[16:17], v[22:23]
	v_mov_b32_e32 v22, 0x16291751
	v_mov_b32_e32 v23, 0x3fcc71c0
	;; [unrolled: 3-line block ×5, first 2 shown]
	v_fmac_f64_e32 v[24:25], v[16:17], v[22:23]
	v_cvt_f64_i32_e32 v[22:23], v37
	v_mul_f64 v[26:27], v[22:23], s[14:15]
	v_fma_f64 v[28:29], v[22:23], s[14:15], -v[26:27]
	v_fmac_f64_e32 v[28:29], s[16:17], v[22:23]
	v_add_f64 v[22:23], v[26:27], v[28:29]
	v_add_f64 v[26:27], v[22:23], -v[26:27]
	v_mul_f64 v[16:17], v[20:21], v[16:17]
	v_add_f64 v[26:27], v[28:29], -v[26:27]
	v_ldexp_f64 v[28:29], v[20:21], 1
	v_mul_f64 v[16:17], v[16:17], v[24:25]
	v_add_f64 v[20:21], v[28:29], v[16:17]
	v_add_f64 v[24:25], v[20:21], -v[28:29]
	v_ldexp_f64 v[14:15], v[14:15], 1
	v_add_f64 v[16:17], v[16:17], -v[24:25]
	v_add_f64 v[14:15], v[14:15], v[16:17]
	v_add_f64 v[16:17], v[20:21], v[14:15]
	v_add_f64 v[20:21], v[16:17], -v[20:21]
	v_add_f64 v[14:15], v[14:15], -v[20:21]
	v_add_f64 v[20:21], v[22:23], v[16:17]
	v_add_f64 v[24:25], v[20:21], -v[22:23]
	v_add_f64 v[28:29], v[20:21], -v[24:25]
	;; [unrolled: 1-line block ×4, first 2 shown]
	v_add_f64 v[16:17], v[16:17], v[22:23]
	v_add_f64 v[22:23], v[26:27], v[14:15]
	v_add_f64 v[24:25], v[22:23], -v[26:27]
	v_add_f64 v[16:17], v[22:23], v[16:17]
	v_add_f64 v[28:29], v[22:23], -v[24:25]
	;; [unrolled: 2-line block ×3, first 2 shown]
	v_add_f64 v[14:15], v[14:15], -v[24:25]
	v_add_f64 v[20:21], v[22:23], -v[20:21]
	v_add_f64 v[14:15], v[14:15], v[26:27]
	v_add_f64 v[16:17], v[16:17], -v[20:21]
	s_mov_b32 s0, 0
	v_add_f64 v[14:15], v[14:15], v[16:17]
	s_mov_b32 s1, 0x7ff00000
	v_add_f64 v[14:15], v[22:23], v[14:15]
	v_cmp_neq_f64_e64 s[0:1], s[0:1], v[8:9]
	v_mov_b32_e32 v16, 0x7ff80000
	s_nop 0
	v_cndmask_b32_e64 v15, v36, v15, s[0:1]
	v_cndmask_b32_e64 v15, v16, v15, s[10:11]
	v_cmp_nge_f64_e64 s[10:11], -1.0, v[8:9]
	s_and_b64 s[0:1], s[10:11], s[0:1]
	v_cndmask_b32_e64 v14, 0, v14, s[0:1]
	v_mov_b32_e32 v16, 0xfff00000
	v_cmp_neq_f64_e64 s[0:1], -1.0, v[8:9]
	s_nop 1
	v_cndmask_b32_e64 v15, v16, v15, s[0:1]
	v_add_f64 v[8:9], v[0:1], v[14:15]
.LBB75_76:
	s_or_b64 exec, exec, s[12:13]
	v_add_u32_e32 v0, v18, v19
	s_barrier
	ds_write_b128 v0, v[2:5]
	ds_write_b128 v0, v[10:13] offset:16
	ds_write_b128 v0, v[6:9] offset:32
	s_waitcnt lgkmcnt(0)
	s_barrier
	ds_read2st64_b64 v[4:7], v18 offset0:4 offset1:8
	ds_read2st64_b64 v[0:3], v18 offset0:12 offset1:16
	ds_read_b64 v[8:9], v18 offset:10240
	v_mov_b32_e32 v19, 0
	v_lshl_add_u64 v[10:11], s[24:25], 0, v[18:19]
	s_and_saveexec_b64 s[0:1], vcc
	s_cbranch_execnz .LBB75_83
; %bb.77:
	s_or_b64 exec, exec, s[0:1]
	s_and_saveexec_b64 s[0:1], s[20:21]
	s_cbranch_execnz .LBB75_84
.LBB75_78:
	s_or_b64 exec, exec, s[0:1]
	s_and_saveexec_b64 s[0:1], s[2:3]
	s_cbranch_execnz .LBB75_85
.LBB75_79:
	s_or_b64 exec, exec, s[0:1]
	s_and_saveexec_b64 s[0:1], s[4:5]
	s_cbranch_execnz .LBB75_86
.LBB75_80:
	s_or_b64 exec, exec, s[0:1]
	s_and_saveexec_b64 s[0:1], s[6:7]
	s_cbranch_execnz .LBB75_87
.LBB75_81:
	s_or_b64 exec, exec, s[0:1]
	s_and_saveexec_b64 s[0:1], s[8:9]
	s_cbranch_execnz .LBB75_88
.LBB75_82:
	s_endpgm
.LBB75_83:
	ds_read_b64 v[12:13], v18
	s_waitcnt lgkmcnt(0)
	global_store_dwordx2 v[10:11], v[12:13], off
	s_or_b64 exec, exec, s[0:1]
	s_and_saveexec_b64 s[0:1], s[20:21]
	s_cbranch_execz .LBB75_78
.LBB75_84:
	s_waitcnt lgkmcnt(2)
	global_store_dwordx2 v[10:11], v[4:5], off offset:2048
	s_or_b64 exec, exec, s[0:1]
	s_and_saveexec_b64 s[0:1], s[2:3]
	s_cbranch_execz .LBB75_79
.LBB75_85:
	s_waitcnt lgkmcnt(2)
	v_add_co_u32_e32 v4, vcc, 0x1000, v10
	s_nop 1
	v_addc_co_u32_e32 v5, vcc, 0, v11, vcc
	global_store_dwordx2 v[4:5], v[6:7], off
	s_or_b64 exec, exec, s[0:1]
	s_and_saveexec_b64 s[0:1], s[4:5]
	s_cbranch_execz .LBB75_80
.LBB75_86:
	s_waitcnt lgkmcnt(2)
	v_add_co_u32_e32 v4, vcc, 0x1000, v10
	s_nop 1
	v_addc_co_u32_e32 v5, vcc, 0, v11, vcc
	s_waitcnt lgkmcnt(1)
	global_store_dwordx2 v[4:5], v[0:1], off offset:2048
	s_or_b64 exec, exec, s[0:1]
	s_and_saveexec_b64 s[0:1], s[6:7]
	s_cbranch_execz .LBB75_81
.LBB75_87:
	s_waitcnt lgkmcnt(1)
	v_add_co_u32_e32 v0, vcc, 0x2000, v10
	s_nop 1
	v_addc_co_u32_e32 v1, vcc, 0, v11, vcc
	global_store_dwordx2 v[0:1], v[2:3], off
	s_or_b64 exec, exec, s[0:1]
	s_and_saveexec_b64 s[0:1], s[8:9]
	s_cbranch_execz .LBB75_82
.LBB75_88:
	s_waitcnt lgkmcnt(1)
	v_add_co_u32_e32 v0, vcc, 0x2000, v10
	s_nop 1
	v_addc_co_u32_e32 v1, vcc, 0, v11, vcc
	s_waitcnt lgkmcnt(0)
	global_store_dwordx2 v[0:1], v[8:9], off offset:2048
	s_endpgm
	.section	.rodata,"a",@progbits
	.p2align	6, 0x0
	.amdhsa_kernel _ZN7rocprim17ROCPRIM_400000_NS6detail17trampoline_kernelINS0_14default_configENS1_20scan_config_selectorIdEEZZNS1_9scan_implILNS1_25lookback_scan_determinismE0ELb0ELb0ES3_PKdPddZZZN2at6native31launch_logcumsumexp_cuda_kernelERKNSB_10TensorBaseESF_lENKUlvE_clEvENKUlvE_clEvEUlddE_dEEDaPvRmT3_T4_T5_mT6_P12ihipStream_tbENKUlT_T0_E_clISt17integral_constantIbLb0EESV_IbLb1EEEEDaSR_SS_EUlSR_E0_NS1_11comp_targetILNS1_3genE0ELNS1_11target_archE4294967295ELNS1_3gpuE0ELNS1_3repE0EEENS1_30default_config_static_selectorELNS0_4arch9wavefront6targetE1EEEvT1_
		.amdhsa_group_segment_fixed_size 12288
		.amdhsa_private_segment_fixed_size 0
		.amdhsa_kernarg_size 40
		.amdhsa_user_sgpr_count 2
		.amdhsa_user_sgpr_dispatch_ptr 0
		.amdhsa_user_sgpr_queue_ptr 0
		.amdhsa_user_sgpr_kernarg_segment_ptr 1
		.amdhsa_user_sgpr_dispatch_id 0
		.amdhsa_user_sgpr_kernarg_preload_length 0
		.amdhsa_user_sgpr_kernarg_preload_offset 0
		.amdhsa_user_sgpr_private_segment_size 0
		.amdhsa_uses_dynamic_stack 0
		.amdhsa_enable_private_segment 0
		.amdhsa_system_sgpr_workgroup_id_x 1
		.amdhsa_system_sgpr_workgroup_id_y 0
		.amdhsa_system_sgpr_workgroup_id_z 0
		.amdhsa_system_sgpr_workgroup_info 0
		.amdhsa_system_vgpr_workitem_id 0
		.amdhsa_next_free_vgpr 65
		.amdhsa_next_free_sgpr 42
		.amdhsa_accum_offset 68
		.amdhsa_reserve_vcc 1
		.amdhsa_float_round_mode_32 0
		.amdhsa_float_round_mode_16_64 0
		.amdhsa_float_denorm_mode_32 3
		.amdhsa_float_denorm_mode_16_64 3
		.amdhsa_dx10_clamp 1
		.amdhsa_ieee_mode 1
		.amdhsa_fp16_overflow 0
		.amdhsa_tg_split 0
		.amdhsa_exception_fp_ieee_invalid_op 0
		.amdhsa_exception_fp_denorm_src 0
		.amdhsa_exception_fp_ieee_div_zero 0
		.amdhsa_exception_fp_ieee_overflow 0
		.amdhsa_exception_fp_ieee_underflow 0
		.amdhsa_exception_fp_ieee_inexact 0
		.amdhsa_exception_int_div_zero 0
	.end_amdhsa_kernel
	.section	.text._ZN7rocprim17ROCPRIM_400000_NS6detail17trampoline_kernelINS0_14default_configENS1_20scan_config_selectorIdEEZZNS1_9scan_implILNS1_25lookback_scan_determinismE0ELb0ELb0ES3_PKdPddZZZN2at6native31launch_logcumsumexp_cuda_kernelERKNSB_10TensorBaseESF_lENKUlvE_clEvENKUlvE_clEvEUlddE_dEEDaPvRmT3_T4_T5_mT6_P12ihipStream_tbENKUlT_T0_E_clISt17integral_constantIbLb0EESV_IbLb1EEEEDaSR_SS_EUlSR_E0_NS1_11comp_targetILNS1_3genE0ELNS1_11target_archE4294967295ELNS1_3gpuE0ELNS1_3repE0EEENS1_30default_config_static_selectorELNS0_4arch9wavefront6targetE1EEEvT1_,"axG",@progbits,_ZN7rocprim17ROCPRIM_400000_NS6detail17trampoline_kernelINS0_14default_configENS1_20scan_config_selectorIdEEZZNS1_9scan_implILNS1_25lookback_scan_determinismE0ELb0ELb0ES3_PKdPddZZZN2at6native31launch_logcumsumexp_cuda_kernelERKNSB_10TensorBaseESF_lENKUlvE_clEvENKUlvE_clEvEUlddE_dEEDaPvRmT3_T4_T5_mT6_P12ihipStream_tbENKUlT_T0_E_clISt17integral_constantIbLb0EESV_IbLb1EEEEDaSR_SS_EUlSR_E0_NS1_11comp_targetILNS1_3genE0ELNS1_11target_archE4294967295ELNS1_3gpuE0ELNS1_3repE0EEENS1_30default_config_static_selectorELNS0_4arch9wavefront6targetE1EEEvT1_,comdat
.Lfunc_end75:
	.size	_ZN7rocprim17ROCPRIM_400000_NS6detail17trampoline_kernelINS0_14default_configENS1_20scan_config_selectorIdEEZZNS1_9scan_implILNS1_25lookback_scan_determinismE0ELb0ELb0ES3_PKdPddZZZN2at6native31launch_logcumsumexp_cuda_kernelERKNSB_10TensorBaseESF_lENKUlvE_clEvENKUlvE_clEvEUlddE_dEEDaPvRmT3_T4_T5_mT6_P12ihipStream_tbENKUlT_T0_E_clISt17integral_constantIbLb0EESV_IbLb1EEEEDaSR_SS_EUlSR_E0_NS1_11comp_targetILNS1_3genE0ELNS1_11target_archE4294967295ELNS1_3gpuE0ELNS1_3repE0EEENS1_30default_config_static_selectorELNS0_4arch9wavefront6targetE1EEEvT1_, .Lfunc_end75-_ZN7rocprim17ROCPRIM_400000_NS6detail17trampoline_kernelINS0_14default_configENS1_20scan_config_selectorIdEEZZNS1_9scan_implILNS1_25lookback_scan_determinismE0ELb0ELb0ES3_PKdPddZZZN2at6native31launch_logcumsumexp_cuda_kernelERKNSB_10TensorBaseESF_lENKUlvE_clEvENKUlvE_clEvEUlddE_dEEDaPvRmT3_T4_T5_mT6_P12ihipStream_tbENKUlT_T0_E_clISt17integral_constantIbLb0EESV_IbLb1EEEEDaSR_SS_EUlSR_E0_NS1_11comp_targetILNS1_3genE0ELNS1_11target_archE4294967295ELNS1_3gpuE0ELNS1_3repE0EEENS1_30default_config_static_selectorELNS0_4arch9wavefront6targetE1EEEvT1_
                                        ; -- End function
	.set _ZN7rocprim17ROCPRIM_400000_NS6detail17trampoline_kernelINS0_14default_configENS1_20scan_config_selectorIdEEZZNS1_9scan_implILNS1_25lookback_scan_determinismE0ELb0ELb0ES3_PKdPddZZZN2at6native31launch_logcumsumexp_cuda_kernelERKNSB_10TensorBaseESF_lENKUlvE_clEvENKUlvE_clEvEUlddE_dEEDaPvRmT3_T4_T5_mT6_P12ihipStream_tbENKUlT_T0_E_clISt17integral_constantIbLb0EESV_IbLb1EEEEDaSR_SS_EUlSR_E0_NS1_11comp_targetILNS1_3genE0ELNS1_11target_archE4294967295ELNS1_3gpuE0ELNS1_3repE0EEENS1_30default_config_static_selectorELNS0_4arch9wavefront6targetE1EEEvT1_.num_vgpr, 65
	.set _ZN7rocprim17ROCPRIM_400000_NS6detail17trampoline_kernelINS0_14default_configENS1_20scan_config_selectorIdEEZZNS1_9scan_implILNS1_25lookback_scan_determinismE0ELb0ELb0ES3_PKdPddZZZN2at6native31launch_logcumsumexp_cuda_kernelERKNSB_10TensorBaseESF_lENKUlvE_clEvENKUlvE_clEvEUlddE_dEEDaPvRmT3_T4_T5_mT6_P12ihipStream_tbENKUlT_T0_E_clISt17integral_constantIbLb0EESV_IbLb1EEEEDaSR_SS_EUlSR_E0_NS1_11comp_targetILNS1_3genE0ELNS1_11target_archE4294967295ELNS1_3gpuE0ELNS1_3repE0EEENS1_30default_config_static_selectorELNS0_4arch9wavefront6targetE1EEEvT1_.num_agpr, 0
	.set _ZN7rocprim17ROCPRIM_400000_NS6detail17trampoline_kernelINS0_14default_configENS1_20scan_config_selectorIdEEZZNS1_9scan_implILNS1_25lookback_scan_determinismE0ELb0ELb0ES3_PKdPddZZZN2at6native31launch_logcumsumexp_cuda_kernelERKNSB_10TensorBaseESF_lENKUlvE_clEvENKUlvE_clEvEUlddE_dEEDaPvRmT3_T4_T5_mT6_P12ihipStream_tbENKUlT_T0_E_clISt17integral_constantIbLb0EESV_IbLb1EEEEDaSR_SS_EUlSR_E0_NS1_11comp_targetILNS1_3genE0ELNS1_11target_archE4294967295ELNS1_3gpuE0ELNS1_3repE0EEENS1_30default_config_static_selectorELNS0_4arch9wavefront6targetE1EEEvT1_.numbered_sgpr, 42
	.set _ZN7rocprim17ROCPRIM_400000_NS6detail17trampoline_kernelINS0_14default_configENS1_20scan_config_selectorIdEEZZNS1_9scan_implILNS1_25lookback_scan_determinismE0ELb0ELb0ES3_PKdPddZZZN2at6native31launch_logcumsumexp_cuda_kernelERKNSB_10TensorBaseESF_lENKUlvE_clEvENKUlvE_clEvEUlddE_dEEDaPvRmT3_T4_T5_mT6_P12ihipStream_tbENKUlT_T0_E_clISt17integral_constantIbLb0EESV_IbLb1EEEEDaSR_SS_EUlSR_E0_NS1_11comp_targetILNS1_3genE0ELNS1_11target_archE4294967295ELNS1_3gpuE0ELNS1_3repE0EEENS1_30default_config_static_selectorELNS0_4arch9wavefront6targetE1EEEvT1_.num_named_barrier, 0
	.set _ZN7rocprim17ROCPRIM_400000_NS6detail17trampoline_kernelINS0_14default_configENS1_20scan_config_selectorIdEEZZNS1_9scan_implILNS1_25lookback_scan_determinismE0ELb0ELb0ES3_PKdPddZZZN2at6native31launch_logcumsumexp_cuda_kernelERKNSB_10TensorBaseESF_lENKUlvE_clEvENKUlvE_clEvEUlddE_dEEDaPvRmT3_T4_T5_mT6_P12ihipStream_tbENKUlT_T0_E_clISt17integral_constantIbLb0EESV_IbLb1EEEEDaSR_SS_EUlSR_E0_NS1_11comp_targetILNS1_3genE0ELNS1_11target_archE4294967295ELNS1_3gpuE0ELNS1_3repE0EEENS1_30default_config_static_selectorELNS0_4arch9wavefront6targetE1EEEvT1_.private_seg_size, 0
	.set _ZN7rocprim17ROCPRIM_400000_NS6detail17trampoline_kernelINS0_14default_configENS1_20scan_config_selectorIdEEZZNS1_9scan_implILNS1_25lookback_scan_determinismE0ELb0ELb0ES3_PKdPddZZZN2at6native31launch_logcumsumexp_cuda_kernelERKNSB_10TensorBaseESF_lENKUlvE_clEvENKUlvE_clEvEUlddE_dEEDaPvRmT3_T4_T5_mT6_P12ihipStream_tbENKUlT_T0_E_clISt17integral_constantIbLb0EESV_IbLb1EEEEDaSR_SS_EUlSR_E0_NS1_11comp_targetILNS1_3genE0ELNS1_11target_archE4294967295ELNS1_3gpuE0ELNS1_3repE0EEENS1_30default_config_static_selectorELNS0_4arch9wavefront6targetE1EEEvT1_.uses_vcc, 1
	.set _ZN7rocprim17ROCPRIM_400000_NS6detail17trampoline_kernelINS0_14default_configENS1_20scan_config_selectorIdEEZZNS1_9scan_implILNS1_25lookback_scan_determinismE0ELb0ELb0ES3_PKdPddZZZN2at6native31launch_logcumsumexp_cuda_kernelERKNSB_10TensorBaseESF_lENKUlvE_clEvENKUlvE_clEvEUlddE_dEEDaPvRmT3_T4_T5_mT6_P12ihipStream_tbENKUlT_T0_E_clISt17integral_constantIbLb0EESV_IbLb1EEEEDaSR_SS_EUlSR_E0_NS1_11comp_targetILNS1_3genE0ELNS1_11target_archE4294967295ELNS1_3gpuE0ELNS1_3repE0EEENS1_30default_config_static_selectorELNS0_4arch9wavefront6targetE1EEEvT1_.uses_flat_scratch, 0
	.set _ZN7rocprim17ROCPRIM_400000_NS6detail17trampoline_kernelINS0_14default_configENS1_20scan_config_selectorIdEEZZNS1_9scan_implILNS1_25lookback_scan_determinismE0ELb0ELb0ES3_PKdPddZZZN2at6native31launch_logcumsumexp_cuda_kernelERKNSB_10TensorBaseESF_lENKUlvE_clEvENKUlvE_clEvEUlddE_dEEDaPvRmT3_T4_T5_mT6_P12ihipStream_tbENKUlT_T0_E_clISt17integral_constantIbLb0EESV_IbLb1EEEEDaSR_SS_EUlSR_E0_NS1_11comp_targetILNS1_3genE0ELNS1_11target_archE4294967295ELNS1_3gpuE0ELNS1_3repE0EEENS1_30default_config_static_selectorELNS0_4arch9wavefront6targetE1EEEvT1_.has_dyn_sized_stack, 0
	.set _ZN7rocprim17ROCPRIM_400000_NS6detail17trampoline_kernelINS0_14default_configENS1_20scan_config_selectorIdEEZZNS1_9scan_implILNS1_25lookback_scan_determinismE0ELb0ELb0ES3_PKdPddZZZN2at6native31launch_logcumsumexp_cuda_kernelERKNSB_10TensorBaseESF_lENKUlvE_clEvENKUlvE_clEvEUlddE_dEEDaPvRmT3_T4_T5_mT6_P12ihipStream_tbENKUlT_T0_E_clISt17integral_constantIbLb0EESV_IbLb1EEEEDaSR_SS_EUlSR_E0_NS1_11comp_targetILNS1_3genE0ELNS1_11target_archE4294967295ELNS1_3gpuE0ELNS1_3repE0EEENS1_30default_config_static_selectorELNS0_4arch9wavefront6targetE1EEEvT1_.has_recursion, 0
	.set _ZN7rocprim17ROCPRIM_400000_NS6detail17trampoline_kernelINS0_14default_configENS1_20scan_config_selectorIdEEZZNS1_9scan_implILNS1_25lookback_scan_determinismE0ELb0ELb0ES3_PKdPddZZZN2at6native31launch_logcumsumexp_cuda_kernelERKNSB_10TensorBaseESF_lENKUlvE_clEvENKUlvE_clEvEUlddE_dEEDaPvRmT3_T4_T5_mT6_P12ihipStream_tbENKUlT_T0_E_clISt17integral_constantIbLb0EESV_IbLb1EEEEDaSR_SS_EUlSR_E0_NS1_11comp_targetILNS1_3genE0ELNS1_11target_archE4294967295ELNS1_3gpuE0ELNS1_3repE0EEENS1_30default_config_static_selectorELNS0_4arch9wavefront6targetE1EEEvT1_.has_indirect_call, 0
	.section	.AMDGPU.csdata,"",@progbits
; Kernel info:
; codeLenInByte = 39776
; TotalNumSgprs: 48
; NumVgprs: 65
; NumAgprs: 0
; TotalNumVgprs: 65
; ScratchSize: 0
; MemoryBound: 0
; FloatMode: 240
; IeeeMode: 1
; LDSByteSize: 12288 bytes/workgroup (compile time only)
; SGPRBlocks: 5
; VGPRBlocks: 8
; NumSGPRsForWavesPerEU: 48
; NumVGPRsForWavesPerEU: 65
; AccumOffset: 68
; Occupancy: 7
; WaveLimiterHint : 0
; COMPUTE_PGM_RSRC2:SCRATCH_EN: 0
; COMPUTE_PGM_RSRC2:USER_SGPR: 2
; COMPUTE_PGM_RSRC2:TRAP_HANDLER: 0
; COMPUTE_PGM_RSRC2:TGID_X_EN: 1
; COMPUTE_PGM_RSRC2:TGID_Y_EN: 0
; COMPUTE_PGM_RSRC2:TGID_Z_EN: 0
; COMPUTE_PGM_RSRC2:TIDIG_COMP_CNT: 0
; COMPUTE_PGM_RSRC3_GFX90A:ACCUM_OFFSET: 16
; COMPUTE_PGM_RSRC3_GFX90A:TG_SPLIT: 0
	.section	.text._ZN7rocprim17ROCPRIM_400000_NS6detail17trampoline_kernelINS0_14default_configENS1_20scan_config_selectorIdEEZZNS1_9scan_implILNS1_25lookback_scan_determinismE0ELb0ELb0ES3_PKdPddZZZN2at6native31launch_logcumsumexp_cuda_kernelERKNSB_10TensorBaseESF_lENKUlvE_clEvENKUlvE_clEvEUlddE_dEEDaPvRmT3_T4_T5_mT6_P12ihipStream_tbENKUlT_T0_E_clISt17integral_constantIbLb0EESV_IbLb1EEEEDaSR_SS_EUlSR_E0_NS1_11comp_targetILNS1_3genE5ELNS1_11target_archE942ELNS1_3gpuE9ELNS1_3repE0EEENS1_30default_config_static_selectorELNS0_4arch9wavefront6targetE1EEEvT1_,"axG",@progbits,_ZN7rocprim17ROCPRIM_400000_NS6detail17trampoline_kernelINS0_14default_configENS1_20scan_config_selectorIdEEZZNS1_9scan_implILNS1_25lookback_scan_determinismE0ELb0ELb0ES3_PKdPddZZZN2at6native31launch_logcumsumexp_cuda_kernelERKNSB_10TensorBaseESF_lENKUlvE_clEvENKUlvE_clEvEUlddE_dEEDaPvRmT3_T4_T5_mT6_P12ihipStream_tbENKUlT_T0_E_clISt17integral_constantIbLb0EESV_IbLb1EEEEDaSR_SS_EUlSR_E0_NS1_11comp_targetILNS1_3genE5ELNS1_11target_archE942ELNS1_3gpuE9ELNS1_3repE0EEENS1_30default_config_static_selectorELNS0_4arch9wavefront6targetE1EEEvT1_,comdat
	.globl	_ZN7rocprim17ROCPRIM_400000_NS6detail17trampoline_kernelINS0_14default_configENS1_20scan_config_selectorIdEEZZNS1_9scan_implILNS1_25lookback_scan_determinismE0ELb0ELb0ES3_PKdPddZZZN2at6native31launch_logcumsumexp_cuda_kernelERKNSB_10TensorBaseESF_lENKUlvE_clEvENKUlvE_clEvEUlddE_dEEDaPvRmT3_T4_T5_mT6_P12ihipStream_tbENKUlT_T0_E_clISt17integral_constantIbLb0EESV_IbLb1EEEEDaSR_SS_EUlSR_E0_NS1_11comp_targetILNS1_3genE5ELNS1_11target_archE942ELNS1_3gpuE9ELNS1_3repE0EEENS1_30default_config_static_selectorELNS0_4arch9wavefront6targetE1EEEvT1_ ; -- Begin function _ZN7rocprim17ROCPRIM_400000_NS6detail17trampoline_kernelINS0_14default_configENS1_20scan_config_selectorIdEEZZNS1_9scan_implILNS1_25lookback_scan_determinismE0ELb0ELb0ES3_PKdPddZZZN2at6native31launch_logcumsumexp_cuda_kernelERKNSB_10TensorBaseESF_lENKUlvE_clEvENKUlvE_clEvEUlddE_dEEDaPvRmT3_T4_T5_mT6_P12ihipStream_tbENKUlT_T0_E_clISt17integral_constantIbLb0EESV_IbLb1EEEEDaSR_SS_EUlSR_E0_NS1_11comp_targetILNS1_3genE5ELNS1_11target_archE942ELNS1_3gpuE9ELNS1_3repE0EEENS1_30default_config_static_selectorELNS0_4arch9wavefront6targetE1EEEvT1_
	.p2align	8
	.type	_ZN7rocprim17ROCPRIM_400000_NS6detail17trampoline_kernelINS0_14default_configENS1_20scan_config_selectorIdEEZZNS1_9scan_implILNS1_25lookback_scan_determinismE0ELb0ELb0ES3_PKdPddZZZN2at6native31launch_logcumsumexp_cuda_kernelERKNSB_10TensorBaseESF_lENKUlvE_clEvENKUlvE_clEvEUlddE_dEEDaPvRmT3_T4_T5_mT6_P12ihipStream_tbENKUlT_T0_E_clISt17integral_constantIbLb0EESV_IbLb1EEEEDaSR_SS_EUlSR_E0_NS1_11comp_targetILNS1_3genE5ELNS1_11target_archE942ELNS1_3gpuE9ELNS1_3repE0EEENS1_30default_config_static_selectorELNS0_4arch9wavefront6targetE1EEEvT1_,@function
_ZN7rocprim17ROCPRIM_400000_NS6detail17trampoline_kernelINS0_14default_configENS1_20scan_config_selectorIdEEZZNS1_9scan_implILNS1_25lookback_scan_determinismE0ELb0ELb0ES3_PKdPddZZZN2at6native31launch_logcumsumexp_cuda_kernelERKNSB_10TensorBaseESF_lENKUlvE_clEvENKUlvE_clEvEUlddE_dEEDaPvRmT3_T4_T5_mT6_P12ihipStream_tbENKUlT_T0_E_clISt17integral_constantIbLb0EESV_IbLb1EEEEDaSR_SS_EUlSR_E0_NS1_11comp_targetILNS1_3genE5ELNS1_11target_archE942ELNS1_3gpuE9ELNS1_3repE0EEENS1_30default_config_static_selectorELNS0_4arch9wavefront6targetE1EEEvT1_: ; @_ZN7rocprim17ROCPRIM_400000_NS6detail17trampoline_kernelINS0_14default_configENS1_20scan_config_selectorIdEEZZNS1_9scan_implILNS1_25lookback_scan_determinismE0ELb0ELb0ES3_PKdPddZZZN2at6native31launch_logcumsumexp_cuda_kernelERKNSB_10TensorBaseESF_lENKUlvE_clEvENKUlvE_clEvEUlddE_dEEDaPvRmT3_T4_T5_mT6_P12ihipStream_tbENKUlT_T0_E_clISt17integral_constantIbLb0EESV_IbLb1EEEEDaSR_SS_EUlSR_E0_NS1_11comp_targetILNS1_3genE5ELNS1_11target_archE942ELNS1_3gpuE9ELNS1_3repE0EEENS1_30default_config_static_selectorELNS0_4arch9wavefront6targetE1EEEvT1_
; %bb.0:
	.section	.rodata,"a",@progbits
	.p2align	6, 0x0
	.amdhsa_kernel _ZN7rocprim17ROCPRIM_400000_NS6detail17trampoline_kernelINS0_14default_configENS1_20scan_config_selectorIdEEZZNS1_9scan_implILNS1_25lookback_scan_determinismE0ELb0ELb0ES3_PKdPddZZZN2at6native31launch_logcumsumexp_cuda_kernelERKNSB_10TensorBaseESF_lENKUlvE_clEvENKUlvE_clEvEUlddE_dEEDaPvRmT3_T4_T5_mT6_P12ihipStream_tbENKUlT_T0_E_clISt17integral_constantIbLb0EESV_IbLb1EEEEDaSR_SS_EUlSR_E0_NS1_11comp_targetILNS1_3genE5ELNS1_11target_archE942ELNS1_3gpuE9ELNS1_3repE0EEENS1_30default_config_static_selectorELNS0_4arch9wavefront6targetE1EEEvT1_
		.amdhsa_group_segment_fixed_size 0
		.amdhsa_private_segment_fixed_size 0
		.amdhsa_kernarg_size 40
		.amdhsa_user_sgpr_count 2
		.amdhsa_user_sgpr_dispatch_ptr 0
		.amdhsa_user_sgpr_queue_ptr 0
		.amdhsa_user_sgpr_kernarg_segment_ptr 1
		.amdhsa_user_sgpr_dispatch_id 0
		.amdhsa_user_sgpr_kernarg_preload_length 0
		.amdhsa_user_sgpr_kernarg_preload_offset 0
		.amdhsa_user_sgpr_private_segment_size 0
		.amdhsa_uses_dynamic_stack 0
		.amdhsa_enable_private_segment 0
		.amdhsa_system_sgpr_workgroup_id_x 1
		.amdhsa_system_sgpr_workgroup_id_y 0
		.amdhsa_system_sgpr_workgroup_id_z 0
		.amdhsa_system_sgpr_workgroup_info 0
		.amdhsa_system_vgpr_workitem_id 0
		.amdhsa_next_free_vgpr 1
		.amdhsa_next_free_sgpr 0
		.amdhsa_accum_offset 4
		.amdhsa_reserve_vcc 0
		.amdhsa_float_round_mode_32 0
		.amdhsa_float_round_mode_16_64 0
		.amdhsa_float_denorm_mode_32 3
		.amdhsa_float_denorm_mode_16_64 3
		.amdhsa_dx10_clamp 1
		.amdhsa_ieee_mode 1
		.amdhsa_fp16_overflow 0
		.amdhsa_tg_split 0
		.amdhsa_exception_fp_ieee_invalid_op 0
		.amdhsa_exception_fp_denorm_src 0
		.amdhsa_exception_fp_ieee_div_zero 0
		.amdhsa_exception_fp_ieee_overflow 0
		.amdhsa_exception_fp_ieee_underflow 0
		.amdhsa_exception_fp_ieee_inexact 0
		.amdhsa_exception_int_div_zero 0
	.end_amdhsa_kernel
	.section	.text._ZN7rocprim17ROCPRIM_400000_NS6detail17trampoline_kernelINS0_14default_configENS1_20scan_config_selectorIdEEZZNS1_9scan_implILNS1_25lookback_scan_determinismE0ELb0ELb0ES3_PKdPddZZZN2at6native31launch_logcumsumexp_cuda_kernelERKNSB_10TensorBaseESF_lENKUlvE_clEvENKUlvE_clEvEUlddE_dEEDaPvRmT3_T4_T5_mT6_P12ihipStream_tbENKUlT_T0_E_clISt17integral_constantIbLb0EESV_IbLb1EEEEDaSR_SS_EUlSR_E0_NS1_11comp_targetILNS1_3genE5ELNS1_11target_archE942ELNS1_3gpuE9ELNS1_3repE0EEENS1_30default_config_static_selectorELNS0_4arch9wavefront6targetE1EEEvT1_,"axG",@progbits,_ZN7rocprim17ROCPRIM_400000_NS6detail17trampoline_kernelINS0_14default_configENS1_20scan_config_selectorIdEEZZNS1_9scan_implILNS1_25lookback_scan_determinismE0ELb0ELb0ES3_PKdPddZZZN2at6native31launch_logcumsumexp_cuda_kernelERKNSB_10TensorBaseESF_lENKUlvE_clEvENKUlvE_clEvEUlddE_dEEDaPvRmT3_T4_T5_mT6_P12ihipStream_tbENKUlT_T0_E_clISt17integral_constantIbLb0EESV_IbLb1EEEEDaSR_SS_EUlSR_E0_NS1_11comp_targetILNS1_3genE5ELNS1_11target_archE942ELNS1_3gpuE9ELNS1_3repE0EEENS1_30default_config_static_selectorELNS0_4arch9wavefront6targetE1EEEvT1_,comdat
.Lfunc_end76:
	.size	_ZN7rocprim17ROCPRIM_400000_NS6detail17trampoline_kernelINS0_14default_configENS1_20scan_config_selectorIdEEZZNS1_9scan_implILNS1_25lookback_scan_determinismE0ELb0ELb0ES3_PKdPddZZZN2at6native31launch_logcumsumexp_cuda_kernelERKNSB_10TensorBaseESF_lENKUlvE_clEvENKUlvE_clEvEUlddE_dEEDaPvRmT3_T4_T5_mT6_P12ihipStream_tbENKUlT_T0_E_clISt17integral_constantIbLb0EESV_IbLb1EEEEDaSR_SS_EUlSR_E0_NS1_11comp_targetILNS1_3genE5ELNS1_11target_archE942ELNS1_3gpuE9ELNS1_3repE0EEENS1_30default_config_static_selectorELNS0_4arch9wavefront6targetE1EEEvT1_, .Lfunc_end76-_ZN7rocprim17ROCPRIM_400000_NS6detail17trampoline_kernelINS0_14default_configENS1_20scan_config_selectorIdEEZZNS1_9scan_implILNS1_25lookback_scan_determinismE0ELb0ELb0ES3_PKdPddZZZN2at6native31launch_logcumsumexp_cuda_kernelERKNSB_10TensorBaseESF_lENKUlvE_clEvENKUlvE_clEvEUlddE_dEEDaPvRmT3_T4_T5_mT6_P12ihipStream_tbENKUlT_T0_E_clISt17integral_constantIbLb0EESV_IbLb1EEEEDaSR_SS_EUlSR_E0_NS1_11comp_targetILNS1_3genE5ELNS1_11target_archE942ELNS1_3gpuE9ELNS1_3repE0EEENS1_30default_config_static_selectorELNS0_4arch9wavefront6targetE1EEEvT1_
                                        ; -- End function
	.set _ZN7rocprim17ROCPRIM_400000_NS6detail17trampoline_kernelINS0_14default_configENS1_20scan_config_selectorIdEEZZNS1_9scan_implILNS1_25lookback_scan_determinismE0ELb0ELb0ES3_PKdPddZZZN2at6native31launch_logcumsumexp_cuda_kernelERKNSB_10TensorBaseESF_lENKUlvE_clEvENKUlvE_clEvEUlddE_dEEDaPvRmT3_T4_T5_mT6_P12ihipStream_tbENKUlT_T0_E_clISt17integral_constantIbLb0EESV_IbLb1EEEEDaSR_SS_EUlSR_E0_NS1_11comp_targetILNS1_3genE5ELNS1_11target_archE942ELNS1_3gpuE9ELNS1_3repE0EEENS1_30default_config_static_selectorELNS0_4arch9wavefront6targetE1EEEvT1_.num_vgpr, 0
	.set _ZN7rocprim17ROCPRIM_400000_NS6detail17trampoline_kernelINS0_14default_configENS1_20scan_config_selectorIdEEZZNS1_9scan_implILNS1_25lookback_scan_determinismE0ELb0ELb0ES3_PKdPddZZZN2at6native31launch_logcumsumexp_cuda_kernelERKNSB_10TensorBaseESF_lENKUlvE_clEvENKUlvE_clEvEUlddE_dEEDaPvRmT3_T4_T5_mT6_P12ihipStream_tbENKUlT_T0_E_clISt17integral_constantIbLb0EESV_IbLb1EEEEDaSR_SS_EUlSR_E0_NS1_11comp_targetILNS1_3genE5ELNS1_11target_archE942ELNS1_3gpuE9ELNS1_3repE0EEENS1_30default_config_static_selectorELNS0_4arch9wavefront6targetE1EEEvT1_.num_agpr, 0
	.set _ZN7rocprim17ROCPRIM_400000_NS6detail17trampoline_kernelINS0_14default_configENS1_20scan_config_selectorIdEEZZNS1_9scan_implILNS1_25lookback_scan_determinismE0ELb0ELb0ES3_PKdPddZZZN2at6native31launch_logcumsumexp_cuda_kernelERKNSB_10TensorBaseESF_lENKUlvE_clEvENKUlvE_clEvEUlddE_dEEDaPvRmT3_T4_T5_mT6_P12ihipStream_tbENKUlT_T0_E_clISt17integral_constantIbLb0EESV_IbLb1EEEEDaSR_SS_EUlSR_E0_NS1_11comp_targetILNS1_3genE5ELNS1_11target_archE942ELNS1_3gpuE9ELNS1_3repE0EEENS1_30default_config_static_selectorELNS0_4arch9wavefront6targetE1EEEvT1_.numbered_sgpr, 0
	.set _ZN7rocprim17ROCPRIM_400000_NS6detail17trampoline_kernelINS0_14default_configENS1_20scan_config_selectorIdEEZZNS1_9scan_implILNS1_25lookback_scan_determinismE0ELb0ELb0ES3_PKdPddZZZN2at6native31launch_logcumsumexp_cuda_kernelERKNSB_10TensorBaseESF_lENKUlvE_clEvENKUlvE_clEvEUlddE_dEEDaPvRmT3_T4_T5_mT6_P12ihipStream_tbENKUlT_T0_E_clISt17integral_constantIbLb0EESV_IbLb1EEEEDaSR_SS_EUlSR_E0_NS1_11comp_targetILNS1_3genE5ELNS1_11target_archE942ELNS1_3gpuE9ELNS1_3repE0EEENS1_30default_config_static_selectorELNS0_4arch9wavefront6targetE1EEEvT1_.num_named_barrier, 0
	.set _ZN7rocprim17ROCPRIM_400000_NS6detail17trampoline_kernelINS0_14default_configENS1_20scan_config_selectorIdEEZZNS1_9scan_implILNS1_25lookback_scan_determinismE0ELb0ELb0ES3_PKdPddZZZN2at6native31launch_logcumsumexp_cuda_kernelERKNSB_10TensorBaseESF_lENKUlvE_clEvENKUlvE_clEvEUlddE_dEEDaPvRmT3_T4_T5_mT6_P12ihipStream_tbENKUlT_T0_E_clISt17integral_constantIbLb0EESV_IbLb1EEEEDaSR_SS_EUlSR_E0_NS1_11comp_targetILNS1_3genE5ELNS1_11target_archE942ELNS1_3gpuE9ELNS1_3repE0EEENS1_30default_config_static_selectorELNS0_4arch9wavefront6targetE1EEEvT1_.private_seg_size, 0
	.set _ZN7rocprim17ROCPRIM_400000_NS6detail17trampoline_kernelINS0_14default_configENS1_20scan_config_selectorIdEEZZNS1_9scan_implILNS1_25lookback_scan_determinismE0ELb0ELb0ES3_PKdPddZZZN2at6native31launch_logcumsumexp_cuda_kernelERKNSB_10TensorBaseESF_lENKUlvE_clEvENKUlvE_clEvEUlddE_dEEDaPvRmT3_T4_T5_mT6_P12ihipStream_tbENKUlT_T0_E_clISt17integral_constantIbLb0EESV_IbLb1EEEEDaSR_SS_EUlSR_E0_NS1_11comp_targetILNS1_3genE5ELNS1_11target_archE942ELNS1_3gpuE9ELNS1_3repE0EEENS1_30default_config_static_selectorELNS0_4arch9wavefront6targetE1EEEvT1_.uses_vcc, 0
	.set _ZN7rocprim17ROCPRIM_400000_NS6detail17trampoline_kernelINS0_14default_configENS1_20scan_config_selectorIdEEZZNS1_9scan_implILNS1_25lookback_scan_determinismE0ELb0ELb0ES3_PKdPddZZZN2at6native31launch_logcumsumexp_cuda_kernelERKNSB_10TensorBaseESF_lENKUlvE_clEvENKUlvE_clEvEUlddE_dEEDaPvRmT3_T4_T5_mT6_P12ihipStream_tbENKUlT_T0_E_clISt17integral_constantIbLb0EESV_IbLb1EEEEDaSR_SS_EUlSR_E0_NS1_11comp_targetILNS1_3genE5ELNS1_11target_archE942ELNS1_3gpuE9ELNS1_3repE0EEENS1_30default_config_static_selectorELNS0_4arch9wavefront6targetE1EEEvT1_.uses_flat_scratch, 0
	.set _ZN7rocprim17ROCPRIM_400000_NS6detail17trampoline_kernelINS0_14default_configENS1_20scan_config_selectorIdEEZZNS1_9scan_implILNS1_25lookback_scan_determinismE0ELb0ELb0ES3_PKdPddZZZN2at6native31launch_logcumsumexp_cuda_kernelERKNSB_10TensorBaseESF_lENKUlvE_clEvENKUlvE_clEvEUlddE_dEEDaPvRmT3_T4_T5_mT6_P12ihipStream_tbENKUlT_T0_E_clISt17integral_constantIbLb0EESV_IbLb1EEEEDaSR_SS_EUlSR_E0_NS1_11comp_targetILNS1_3genE5ELNS1_11target_archE942ELNS1_3gpuE9ELNS1_3repE0EEENS1_30default_config_static_selectorELNS0_4arch9wavefront6targetE1EEEvT1_.has_dyn_sized_stack, 0
	.set _ZN7rocprim17ROCPRIM_400000_NS6detail17trampoline_kernelINS0_14default_configENS1_20scan_config_selectorIdEEZZNS1_9scan_implILNS1_25lookback_scan_determinismE0ELb0ELb0ES3_PKdPddZZZN2at6native31launch_logcumsumexp_cuda_kernelERKNSB_10TensorBaseESF_lENKUlvE_clEvENKUlvE_clEvEUlddE_dEEDaPvRmT3_T4_T5_mT6_P12ihipStream_tbENKUlT_T0_E_clISt17integral_constantIbLb0EESV_IbLb1EEEEDaSR_SS_EUlSR_E0_NS1_11comp_targetILNS1_3genE5ELNS1_11target_archE942ELNS1_3gpuE9ELNS1_3repE0EEENS1_30default_config_static_selectorELNS0_4arch9wavefront6targetE1EEEvT1_.has_recursion, 0
	.set _ZN7rocprim17ROCPRIM_400000_NS6detail17trampoline_kernelINS0_14default_configENS1_20scan_config_selectorIdEEZZNS1_9scan_implILNS1_25lookback_scan_determinismE0ELb0ELb0ES3_PKdPddZZZN2at6native31launch_logcumsumexp_cuda_kernelERKNSB_10TensorBaseESF_lENKUlvE_clEvENKUlvE_clEvEUlddE_dEEDaPvRmT3_T4_T5_mT6_P12ihipStream_tbENKUlT_T0_E_clISt17integral_constantIbLb0EESV_IbLb1EEEEDaSR_SS_EUlSR_E0_NS1_11comp_targetILNS1_3genE5ELNS1_11target_archE942ELNS1_3gpuE9ELNS1_3repE0EEENS1_30default_config_static_selectorELNS0_4arch9wavefront6targetE1EEEvT1_.has_indirect_call, 0
	.section	.AMDGPU.csdata,"",@progbits
; Kernel info:
; codeLenInByte = 0
; TotalNumSgprs: 6
; NumVgprs: 0
; NumAgprs: 0
; TotalNumVgprs: 0
; ScratchSize: 0
; MemoryBound: 0
; FloatMode: 240
; IeeeMode: 1
; LDSByteSize: 0 bytes/workgroup (compile time only)
; SGPRBlocks: 0
; VGPRBlocks: 0
; NumSGPRsForWavesPerEU: 6
; NumVGPRsForWavesPerEU: 1
; AccumOffset: 4
; Occupancy: 8
; WaveLimiterHint : 0
; COMPUTE_PGM_RSRC2:SCRATCH_EN: 0
; COMPUTE_PGM_RSRC2:USER_SGPR: 2
; COMPUTE_PGM_RSRC2:TRAP_HANDLER: 0
; COMPUTE_PGM_RSRC2:TGID_X_EN: 1
; COMPUTE_PGM_RSRC2:TGID_Y_EN: 0
; COMPUTE_PGM_RSRC2:TGID_Z_EN: 0
; COMPUTE_PGM_RSRC2:TIDIG_COMP_CNT: 0
; COMPUTE_PGM_RSRC3_GFX90A:ACCUM_OFFSET: 0
; COMPUTE_PGM_RSRC3_GFX90A:TG_SPLIT: 0
	.section	.text._ZN7rocprim17ROCPRIM_400000_NS6detail17trampoline_kernelINS0_14default_configENS1_20scan_config_selectorIdEEZZNS1_9scan_implILNS1_25lookback_scan_determinismE0ELb0ELb0ES3_PKdPddZZZN2at6native31launch_logcumsumexp_cuda_kernelERKNSB_10TensorBaseESF_lENKUlvE_clEvENKUlvE_clEvEUlddE_dEEDaPvRmT3_T4_T5_mT6_P12ihipStream_tbENKUlT_T0_E_clISt17integral_constantIbLb0EESV_IbLb1EEEEDaSR_SS_EUlSR_E0_NS1_11comp_targetILNS1_3genE4ELNS1_11target_archE910ELNS1_3gpuE8ELNS1_3repE0EEENS1_30default_config_static_selectorELNS0_4arch9wavefront6targetE1EEEvT1_,"axG",@progbits,_ZN7rocprim17ROCPRIM_400000_NS6detail17trampoline_kernelINS0_14default_configENS1_20scan_config_selectorIdEEZZNS1_9scan_implILNS1_25lookback_scan_determinismE0ELb0ELb0ES3_PKdPddZZZN2at6native31launch_logcumsumexp_cuda_kernelERKNSB_10TensorBaseESF_lENKUlvE_clEvENKUlvE_clEvEUlddE_dEEDaPvRmT3_T4_T5_mT6_P12ihipStream_tbENKUlT_T0_E_clISt17integral_constantIbLb0EESV_IbLb1EEEEDaSR_SS_EUlSR_E0_NS1_11comp_targetILNS1_3genE4ELNS1_11target_archE910ELNS1_3gpuE8ELNS1_3repE0EEENS1_30default_config_static_selectorELNS0_4arch9wavefront6targetE1EEEvT1_,comdat
	.globl	_ZN7rocprim17ROCPRIM_400000_NS6detail17trampoline_kernelINS0_14default_configENS1_20scan_config_selectorIdEEZZNS1_9scan_implILNS1_25lookback_scan_determinismE0ELb0ELb0ES3_PKdPddZZZN2at6native31launch_logcumsumexp_cuda_kernelERKNSB_10TensorBaseESF_lENKUlvE_clEvENKUlvE_clEvEUlddE_dEEDaPvRmT3_T4_T5_mT6_P12ihipStream_tbENKUlT_T0_E_clISt17integral_constantIbLb0EESV_IbLb1EEEEDaSR_SS_EUlSR_E0_NS1_11comp_targetILNS1_3genE4ELNS1_11target_archE910ELNS1_3gpuE8ELNS1_3repE0EEENS1_30default_config_static_selectorELNS0_4arch9wavefront6targetE1EEEvT1_ ; -- Begin function _ZN7rocprim17ROCPRIM_400000_NS6detail17trampoline_kernelINS0_14default_configENS1_20scan_config_selectorIdEEZZNS1_9scan_implILNS1_25lookback_scan_determinismE0ELb0ELb0ES3_PKdPddZZZN2at6native31launch_logcumsumexp_cuda_kernelERKNSB_10TensorBaseESF_lENKUlvE_clEvENKUlvE_clEvEUlddE_dEEDaPvRmT3_T4_T5_mT6_P12ihipStream_tbENKUlT_T0_E_clISt17integral_constantIbLb0EESV_IbLb1EEEEDaSR_SS_EUlSR_E0_NS1_11comp_targetILNS1_3genE4ELNS1_11target_archE910ELNS1_3gpuE8ELNS1_3repE0EEENS1_30default_config_static_selectorELNS0_4arch9wavefront6targetE1EEEvT1_
	.p2align	8
	.type	_ZN7rocprim17ROCPRIM_400000_NS6detail17trampoline_kernelINS0_14default_configENS1_20scan_config_selectorIdEEZZNS1_9scan_implILNS1_25lookback_scan_determinismE0ELb0ELb0ES3_PKdPddZZZN2at6native31launch_logcumsumexp_cuda_kernelERKNSB_10TensorBaseESF_lENKUlvE_clEvENKUlvE_clEvEUlddE_dEEDaPvRmT3_T4_T5_mT6_P12ihipStream_tbENKUlT_T0_E_clISt17integral_constantIbLb0EESV_IbLb1EEEEDaSR_SS_EUlSR_E0_NS1_11comp_targetILNS1_3genE4ELNS1_11target_archE910ELNS1_3gpuE8ELNS1_3repE0EEENS1_30default_config_static_selectorELNS0_4arch9wavefront6targetE1EEEvT1_,@function
_ZN7rocprim17ROCPRIM_400000_NS6detail17trampoline_kernelINS0_14default_configENS1_20scan_config_selectorIdEEZZNS1_9scan_implILNS1_25lookback_scan_determinismE0ELb0ELb0ES3_PKdPddZZZN2at6native31launch_logcumsumexp_cuda_kernelERKNSB_10TensorBaseESF_lENKUlvE_clEvENKUlvE_clEvEUlddE_dEEDaPvRmT3_T4_T5_mT6_P12ihipStream_tbENKUlT_T0_E_clISt17integral_constantIbLb0EESV_IbLb1EEEEDaSR_SS_EUlSR_E0_NS1_11comp_targetILNS1_3genE4ELNS1_11target_archE910ELNS1_3gpuE8ELNS1_3repE0EEENS1_30default_config_static_selectorELNS0_4arch9wavefront6targetE1EEEvT1_: ; @_ZN7rocprim17ROCPRIM_400000_NS6detail17trampoline_kernelINS0_14default_configENS1_20scan_config_selectorIdEEZZNS1_9scan_implILNS1_25lookback_scan_determinismE0ELb0ELb0ES3_PKdPddZZZN2at6native31launch_logcumsumexp_cuda_kernelERKNSB_10TensorBaseESF_lENKUlvE_clEvENKUlvE_clEvEUlddE_dEEDaPvRmT3_T4_T5_mT6_P12ihipStream_tbENKUlT_T0_E_clISt17integral_constantIbLb0EESV_IbLb1EEEEDaSR_SS_EUlSR_E0_NS1_11comp_targetILNS1_3genE4ELNS1_11target_archE910ELNS1_3gpuE8ELNS1_3repE0EEENS1_30default_config_static_selectorELNS0_4arch9wavefront6targetE1EEEvT1_
; %bb.0:
	.section	.rodata,"a",@progbits
	.p2align	6, 0x0
	.amdhsa_kernel _ZN7rocprim17ROCPRIM_400000_NS6detail17trampoline_kernelINS0_14default_configENS1_20scan_config_selectorIdEEZZNS1_9scan_implILNS1_25lookback_scan_determinismE0ELb0ELb0ES3_PKdPddZZZN2at6native31launch_logcumsumexp_cuda_kernelERKNSB_10TensorBaseESF_lENKUlvE_clEvENKUlvE_clEvEUlddE_dEEDaPvRmT3_T4_T5_mT6_P12ihipStream_tbENKUlT_T0_E_clISt17integral_constantIbLb0EESV_IbLb1EEEEDaSR_SS_EUlSR_E0_NS1_11comp_targetILNS1_3genE4ELNS1_11target_archE910ELNS1_3gpuE8ELNS1_3repE0EEENS1_30default_config_static_selectorELNS0_4arch9wavefront6targetE1EEEvT1_
		.amdhsa_group_segment_fixed_size 0
		.amdhsa_private_segment_fixed_size 0
		.amdhsa_kernarg_size 40
		.amdhsa_user_sgpr_count 2
		.amdhsa_user_sgpr_dispatch_ptr 0
		.amdhsa_user_sgpr_queue_ptr 0
		.amdhsa_user_sgpr_kernarg_segment_ptr 1
		.amdhsa_user_sgpr_dispatch_id 0
		.amdhsa_user_sgpr_kernarg_preload_length 0
		.amdhsa_user_sgpr_kernarg_preload_offset 0
		.amdhsa_user_sgpr_private_segment_size 0
		.amdhsa_uses_dynamic_stack 0
		.amdhsa_enable_private_segment 0
		.amdhsa_system_sgpr_workgroup_id_x 1
		.amdhsa_system_sgpr_workgroup_id_y 0
		.amdhsa_system_sgpr_workgroup_id_z 0
		.amdhsa_system_sgpr_workgroup_info 0
		.amdhsa_system_vgpr_workitem_id 0
		.amdhsa_next_free_vgpr 1
		.amdhsa_next_free_sgpr 0
		.amdhsa_accum_offset 4
		.amdhsa_reserve_vcc 0
		.amdhsa_float_round_mode_32 0
		.amdhsa_float_round_mode_16_64 0
		.amdhsa_float_denorm_mode_32 3
		.amdhsa_float_denorm_mode_16_64 3
		.amdhsa_dx10_clamp 1
		.amdhsa_ieee_mode 1
		.amdhsa_fp16_overflow 0
		.amdhsa_tg_split 0
		.amdhsa_exception_fp_ieee_invalid_op 0
		.amdhsa_exception_fp_denorm_src 0
		.amdhsa_exception_fp_ieee_div_zero 0
		.amdhsa_exception_fp_ieee_overflow 0
		.amdhsa_exception_fp_ieee_underflow 0
		.amdhsa_exception_fp_ieee_inexact 0
		.amdhsa_exception_int_div_zero 0
	.end_amdhsa_kernel
	.section	.text._ZN7rocprim17ROCPRIM_400000_NS6detail17trampoline_kernelINS0_14default_configENS1_20scan_config_selectorIdEEZZNS1_9scan_implILNS1_25lookback_scan_determinismE0ELb0ELb0ES3_PKdPddZZZN2at6native31launch_logcumsumexp_cuda_kernelERKNSB_10TensorBaseESF_lENKUlvE_clEvENKUlvE_clEvEUlddE_dEEDaPvRmT3_T4_T5_mT6_P12ihipStream_tbENKUlT_T0_E_clISt17integral_constantIbLb0EESV_IbLb1EEEEDaSR_SS_EUlSR_E0_NS1_11comp_targetILNS1_3genE4ELNS1_11target_archE910ELNS1_3gpuE8ELNS1_3repE0EEENS1_30default_config_static_selectorELNS0_4arch9wavefront6targetE1EEEvT1_,"axG",@progbits,_ZN7rocprim17ROCPRIM_400000_NS6detail17trampoline_kernelINS0_14default_configENS1_20scan_config_selectorIdEEZZNS1_9scan_implILNS1_25lookback_scan_determinismE0ELb0ELb0ES3_PKdPddZZZN2at6native31launch_logcumsumexp_cuda_kernelERKNSB_10TensorBaseESF_lENKUlvE_clEvENKUlvE_clEvEUlddE_dEEDaPvRmT3_T4_T5_mT6_P12ihipStream_tbENKUlT_T0_E_clISt17integral_constantIbLb0EESV_IbLb1EEEEDaSR_SS_EUlSR_E0_NS1_11comp_targetILNS1_3genE4ELNS1_11target_archE910ELNS1_3gpuE8ELNS1_3repE0EEENS1_30default_config_static_selectorELNS0_4arch9wavefront6targetE1EEEvT1_,comdat
.Lfunc_end77:
	.size	_ZN7rocprim17ROCPRIM_400000_NS6detail17trampoline_kernelINS0_14default_configENS1_20scan_config_selectorIdEEZZNS1_9scan_implILNS1_25lookback_scan_determinismE0ELb0ELb0ES3_PKdPddZZZN2at6native31launch_logcumsumexp_cuda_kernelERKNSB_10TensorBaseESF_lENKUlvE_clEvENKUlvE_clEvEUlddE_dEEDaPvRmT3_T4_T5_mT6_P12ihipStream_tbENKUlT_T0_E_clISt17integral_constantIbLb0EESV_IbLb1EEEEDaSR_SS_EUlSR_E0_NS1_11comp_targetILNS1_3genE4ELNS1_11target_archE910ELNS1_3gpuE8ELNS1_3repE0EEENS1_30default_config_static_selectorELNS0_4arch9wavefront6targetE1EEEvT1_, .Lfunc_end77-_ZN7rocprim17ROCPRIM_400000_NS6detail17trampoline_kernelINS0_14default_configENS1_20scan_config_selectorIdEEZZNS1_9scan_implILNS1_25lookback_scan_determinismE0ELb0ELb0ES3_PKdPddZZZN2at6native31launch_logcumsumexp_cuda_kernelERKNSB_10TensorBaseESF_lENKUlvE_clEvENKUlvE_clEvEUlddE_dEEDaPvRmT3_T4_T5_mT6_P12ihipStream_tbENKUlT_T0_E_clISt17integral_constantIbLb0EESV_IbLb1EEEEDaSR_SS_EUlSR_E0_NS1_11comp_targetILNS1_3genE4ELNS1_11target_archE910ELNS1_3gpuE8ELNS1_3repE0EEENS1_30default_config_static_selectorELNS0_4arch9wavefront6targetE1EEEvT1_
                                        ; -- End function
	.set _ZN7rocprim17ROCPRIM_400000_NS6detail17trampoline_kernelINS0_14default_configENS1_20scan_config_selectorIdEEZZNS1_9scan_implILNS1_25lookback_scan_determinismE0ELb0ELb0ES3_PKdPddZZZN2at6native31launch_logcumsumexp_cuda_kernelERKNSB_10TensorBaseESF_lENKUlvE_clEvENKUlvE_clEvEUlddE_dEEDaPvRmT3_T4_T5_mT6_P12ihipStream_tbENKUlT_T0_E_clISt17integral_constantIbLb0EESV_IbLb1EEEEDaSR_SS_EUlSR_E0_NS1_11comp_targetILNS1_3genE4ELNS1_11target_archE910ELNS1_3gpuE8ELNS1_3repE0EEENS1_30default_config_static_selectorELNS0_4arch9wavefront6targetE1EEEvT1_.num_vgpr, 0
	.set _ZN7rocprim17ROCPRIM_400000_NS6detail17trampoline_kernelINS0_14default_configENS1_20scan_config_selectorIdEEZZNS1_9scan_implILNS1_25lookback_scan_determinismE0ELb0ELb0ES3_PKdPddZZZN2at6native31launch_logcumsumexp_cuda_kernelERKNSB_10TensorBaseESF_lENKUlvE_clEvENKUlvE_clEvEUlddE_dEEDaPvRmT3_T4_T5_mT6_P12ihipStream_tbENKUlT_T0_E_clISt17integral_constantIbLb0EESV_IbLb1EEEEDaSR_SS_EUlSR_E0_NS1_11comp_targetILNS1_3genE4ELNS1_11target_archE910ELNS1_3gpuE8ELNS1_3repE0EEENS1_30default_config_static_selectorELNS0_4arch9wavefront6targetE1EEEvT1_.num_agpr, 0
	.set _ZN7rocprim17ROCPRIM_400000_NS6detail17trampoline_kernelINS0_14default_configENS1_20scan_config_selectorIdEEZZNS1_9scan_implILNS1_25lookback_scan_determinismE0ELb0ELb0ES3_PKdPddZZZN2at6native31launch_logcumsumexp_cuda_kernelERKNSB_10TensorBaseESF_lENKUlvE_clEvENKUlvE_clEvEUlddE_dEEDaPvRmT3_T4_T5_mT6_P12ihipStream_tbENKUlT_T0_E_clISt17integral_constantIbLb0EESV_IbLb1EEEEDaSR_SS_EUlSR_E0_NS1_11comp_targetILNS1_3genE4ELNS1_11target_archE910ELNS1_3gpuE8ELNS1_3repE0EEENS1_30default_config_static_selectorELNS0_4arch9wavefront6targetE1EEEvT1_.numbered_sgpr, 0
	.set _ZN7rocprim17ROCPRIM_400000_NS6detail17trampoline_kernelINS0_14default_configENS1_20scan_config_selectorIdEEZZNS1_9scan_implILNS1_25lookback_scan_determinismE0ELb0ELb0ES3_PKdPddZZZN2at6native31launch_logcumsumexp_cuda_kernelERKNSB_10TensorBaseESF_lENKUlvE_clEvENKUlvE_clEvEUlddE_dEEDaPvRmT3_T4_T5_mT6_P12ihipStream_tbENKUlT_T0_E_clISt17integral_constantIbLb0EESV_IbLb1EEEEDaSR_SS_EUlSR_E0_NS1_11comp_targetILNS1_3genE4ELNS1_11target_archE910ELNS1_3gpuE8ELNS1_3repE0EEENS1_30default_config_static_selectorELNS0_4arch9wavefront6targetE1EEEvT1_.num_named_barrier, 0
	.set _ZN7rocprim17ROCPRIM_400000_NS6detail17trampoline_kernelINS0_14default_configENS1_20scan_config_selectorIdEEZZNS1_9scan_implILNS1_25lookback_scan_determinismE0ELb0ELb0ES3_PKdPddZZZN2at6native31launch_logcumsumexp_cuda_kernelERKNSB_10TensorBaseESF_lENKUlvE_clEvENKUlvE_clEvEUlddE_dEEDaPvRmT3_T4_T5_mT6_P12ihipStream_tbENKUlT_T0_E_clISt17integral_constantIbLb0EESV_IbLb1EEEEDaSR_SS_EUlSR_E0_NS1_11comp_targetILNS1_3genE4ELNS1_11target_archE910ELNS1_3gpuE8ELNS1_3repE0EEENS1_30default_config_static_selectorELNS0_4arch9wavefront6targetE1EEEvT1_.private_seg_size, 0
	.set _ZN7rocprim17ROCPRIM_400000_NS6detail17trampoline_kernelINS0_14default_configENS1_20scan_config_selectorIdEEZZNS1_9scan_implILNS1_25lookback_scan_determinismE0ELb0ELb0ES3_PKdPddZZZN2at6native31launch_logcumsumexp_cuda_kernelERKNSB_10TensorBaseESF_lENKUlvE_clEvENKUlvE_clEvEUlddE_dEEDaPvRmT3_T4_T5_mT6_P12ihipStream_tbENKUlT_T0_E_clISt17integral_constantIbLb0EESV_IbLb1EEEEDaSR_SS_EUlSR_E0_NS1_11comp_targetILNS1_3genE4ELNS1_11target_archE910ELNS1_3gpuE8ELNS1_3repE0EEENS1_30default_config_static_selectorELNS0_4arch9wavefront6targetE1EEEvT1_.uses_vcc, 0
	.set _ZN7rocprim17ROCPRIM_400000_NS6detail17trampoline_kernelINS0_14default_configENS1_20scan_config_selectorIdEEZZNS1_9scan_implILNS1_25lookback_scan_determinismE0ELb0ELb0ES3_PKdPddZZZN2at6native31launch_logcumsumexp_cuda_kernelERKNSB_10TensorBaseESF_lENKUlvE_clEvENKUlvE_clEvEUlddE_dEEDaPvRmT3_T4_T5_mT6_P12ihipStream_tbENKUlT_T0_E_clISt17integral_constantIbLb0EESV_IbLb1EEEEDaSR_SS_EUlSR_E0_NS1_11comp_targetILNS1_3genE4ELNS1_11target_archE910ELNS1_3gpuE8ELNS1_3repE0EEENS1_30default_config_static_selectorELNS0_4arch9wavefront6targetE1EEEvT1_.uses_flat_scratch, 0
	.set _ZN7rocprim17ROCPRIM_400000_NS6detail17trampoline_kernelINS0_14default_configENS1_20scan_config_selectorIdEEZZNS1_9scan_implILNS1_25lookback_scan_determinismE0ELb0ELb0ES3_PKdPddZZZN2at6native31launch_logcumsumexp_cuda_kernelERKNSB_10TensorBaseESF_lENKUlvE_clEvENKUlvE_clEvEUlddE_dEEDaPvRmT3_T4_T5_mT6_P12ihipStream_tbENKUlT_T0_E_clISt17integral_constantIbLb0EESV_IbLb1EEEEDaSR_SS_EUlSR_E0_NS1_11comp_targetILNS1_3genE4ELNS1_11target_archE910ELNS1_3gpuE8ELNS1_3repE0EEENS1_30default_config_static_selectorELNS0_4arch9wavefront6targetE1EEEvT1_.has_dyn_sized_stack, 0
	.set _ZN7rocprim17ROCPRIM_400000_NS6detail17trampoline_kernelINS0_14default_configENS1_20scan_config_selectorIdEEZZNS1_9scan_implILNS1_25lookback_scan_determinismE0ELb0ELb0ES3_PKdPddZZZN2at6native31launch_logcumsumexp_cuda_kernelERKNSB_10TensorBaseESF_lENKUlvE_clEvENKUlvE_clEvEUlddE_dEEDaPvRmT3_T4_T5_mT6_P12ihipStream_tbENKUlT_T0_E_clISt17integral_constantIbLb0EESV_IbLb1EEEEDaSR_SS_EUlSR_E0_NS1_11comp_targetILNS1_3genE4ELNS1_11target_archE910ELNS1_3gpuE8ELNS1_3repE0EEENS1_30default_config_static_selectorELNS0_4arch9wavefront6targetE1EEEvT1_.has_recursion, 0
	.set _ZN7rocprim17ROCPRIM_400000_NS6detail17trampoline_kernelINS0_14default_configENS1_20scan_config_selectorIdEEZZNS1_9scan_implILNS1_25lookback_scan_determinismE0ELb0ELb0ES3_PKdPddZZZN2at6native31launch_logcumsumexp_cuda_kernelERKNSB_10TensorBaseESF_lENKUlvE_clEvENKUlvE_clEvEUlddE_dEEDaPvRmT3_T4_T5_mT6_P12ihipStream_tbENKUlT_T0_E_clISt17integral_constantIbLb0EESV_IbLb1EEEEDaSR_SS_EUlSR_E0_NS1_11comp_targetILNS1_3genE4ELNS1_11target_archE910ELNS1_3gpuE8ELNS1_3repE0EEENS1_30default_config_static_selectorELNS0_4arch9wavefront6targetE1EEEvT1_.has_indirect_call, 0
	.section	.AMDGPU.csdata,"",@progbits
; Kernel info:
; codeLenInByte = 0
; TotalNumSgprs: 6
; NumVgprs: 0
; NumAgprs: 0
; TotalNumVgprs: 0
; ScratchSize: 0
; MemoryBound: 0
; FloatMode: 240
; IeeeMode: 1
; LDSByteSize: 0 bytes/workgroup (compile time only)
; SGPRBlocks: 0
; VGPRBlocks: 0
; NumSGPRsForWavesPerEU: 6
; NumVGPRsForWavesPerEU: 1
; AccumOffset: 4
; Occupancy: 8
; WaveLimiterHint : 0
; COMPUTE_PGM_RSRC2:SCRATCH_EN: 0
; COMPUTE_PGM_RSRC2:USER_SGPR: 2
; COMPUTE_PGM_RSRC2:TRAP_HANDLER: 0
; COMPUTE_PGM_RSRC2:TGID_X_EN: 1
; COMPUTE_PGM_RSRC2:TGID_Y_EN: 0
; COMPUTE_PGM_RSRC2:TGID_Z_EN: 0
; COMPUTE_PGM_RSRC2:TIDIG_COMP_CNT: 0
; COMPUTE_PGM_RSRC3_GFX90A:ACCUM_OFFSET: 0
; COMPUTE_PGM_RSRC3_GFX90A:TG_SPLIT: 0
	.section	.text._ZN7rocprim17ROCPRIM_400000_NS6detail17trampoline_kernelINS0_14default_configENS1_20scan_config_selectorIdEEZZNS1_9scan_implILNS1_25lookback_scan_determinismE0ELb0ELb0ES3_PKdPddZZZN2at6native31launch_logcumsumexp_cuda_kernelERKNSB_10TensorBaseESF_lENKUlvE_clEvENKUlvE_clEvEUlddE_dEEDaPvRmT3_T4_T5_mT6_P12ihipStream_tbENKUlT_T0_E_clISt17integral_constantIbLb0EESV_IbLb1EEEEDaSR_SS_EUlSR_E0_NS1_11comp_targetILNS1_3genE3ELNS1_11target_archE908ELNS1_3gpuE7ELNS1_3repE0EEENS1_30default_config_static_selectorELNS0_4arch9wavefront6targetE1EEEvT1_,"axG",@progbits,_ZN7rocprim17ROCPRIM_400000_NS6detail17trampoline_kernelINS0_14default_configENS1_20scan_config_selectorIdEEZZNS1_9scan_implILNS1_25lookback_scan_determinismE0ELb0ELb0ES3_PKdPddZZZN2at6native31launch_logcumsumexp_cuda_kernelERKNSB_10TensorBaseESF_lENKUlvE_clEvENKUlvE_clEvEUlddE_dEEDaPvRmT3_T4_T5_mT6_P12ihipStream_tbENKUlT_T0_E_clISt17integral_constantIbLb0EESV_IbLb1EEEEDaSR_SS_EUlSR_E0_NS1_11comp_targetILNS1_3genE3ELNS1_11target_archE908ELNS1_3gpuE7ELNS1_3repE0EEENS1_30default_config_static_selectorELNS0_4arch9wavefront6targetE1EEEvT1_,comdat
	.globl	_ZN7rocprim17ROCPRIM_400000_NS6detail17trampoline_kernelINS0_14default_configENS1_20scan_config_selectorIdEEZZNS1_9scan_implILNS1_25lookback_scan_determinismE0ELb0ELb0ES3_PKdPddZZZN2at6native31launch_logcumsumexp_cuda_kernelERKNSB_10TensorBaseESF_lENKUlvE_clEvENKUlvE_clEvEUlddE_dEEDaPvRmT3_T4_T5_mT6_P12ihipStream_tbENKUlT_T0_E_clISt17integral_constantIbLb0EESV_IbLb1EEEEDaSR_SS_EUlSR_E0_NS1_11comp_targetILNS1_3genE3ELNS1_11target_archE908ELNS1_3gpuE7ELNS1_3repE0EEENS1_30default_config_static_selectorELNS0_4arch9wavefront6targetE1EEEvT1_ ; -- Begin function _ZN7rocprim17ROCPRIM_400000_NS6detail17trampoline_kernelINS0_14default_configENS1_20scan_config_selectorIdEEZZNS1_9scan_implILNS1_25lookback_scan_determinismE0ELb0ELb0ES3_PKdPddZZZN2at6native31launch_logcumsumexp_cuda_kernelERKNSB_10TensorBaseESF_lENKUlvE_clEvENKUlvE_clEvEUlddE_dEEDaPvRmT3_T4_T5_mT6_P12ihipStream_tbENKUlT_T0_E_clISt17integral_constantIbLb0EESV_IbLb1EEEEDaSR_SS_EUlSR_E0_NS1_11comp_targetILNS1_3genE3ELNS1_11target_archE908ELNS1_3gpuE7ELNS1_3repE0EEENS1_30default_config_static_selectorELNS0_4arch9wavefront6targetE1EEEvT1_
	.p2align	8
	.type	_ZN7rocprim17ROCPRIM_400000_NS6detail17trampoline_kernelINS0_14default_configENS1_20scan_config_selectorIdEEZZNS1_9scan_implILNS1_25lookback_scan_determinismE0ELb0ELb0ES3_PKdPddZZZN2at6native31launch_logcumsumexp_cuda_kernelERKNSB_10TensorBaseESF_lENKUlvE_clEvENKUlvE_clEvEUlddE_dEEDaPvRmT3_T4_T5_mT6_P12ihipStream_tbENKUlT_T0_E_clISt17integral_constantIbLb0EESV_IbLb1EEEEDaSR_SS_EUlSR_E0_NS1_11comp_targetILNS1_3genE3ELNS1_11target_archE908ELNS1_3gpuE7ELNS1_3repE0EEENS1_30default_config_static_selectorELNS0_4arch9wavefront6targetE1EEEvT1_,@function
_ZN7rocprim17ROCPRIM_400000_NS6detail17trampoline_kernelINS0_14default_configENS1_20scan_config_selectorIdEEZZNS1_9scan_implILNS1_25lookback_scan_determinismE0ELb0ELb0ES3_PKdPddZZZN2at6native31launch_logcumsumexp_cuda_kernelERKNSB_10TensorBaseESF_lENKUlvE_clEvENKUlvE_clEvEUlddE_dEEDaPvRmT3_T4_T5_mT6_P12ihipStream_tbENKUlT_T0_E_clISt17integral_constantIbLb0EESV_IbLb1EEEEDaSR_SS_EUlSR_E0_NS1_11comp_targetILNS1_3genE3ELNS1_11target_archE908ELNS1_3gpuE7ELNS1_3repE0EEENS1_30default_config_static_selectorELNS0_4arch9wavefront6targetE1EEEvT1_: ; @_ZN7rocprim17ROCPRIM_400000_NS6detail17trampoline_kernelINS0_14default_configENS1_20scan_config_selectorIdEEZZNS1_9scan_implILNS1_25lookback_scan_determinismE0ELb0ELb0ES3_PKdPddZZZN2at6native31launch_logcumsumexp_cuda_kernelERKNSB_10TensorBaseESF_lENKUlvE_clEvENKUlvE_clEvEUlddE_dEEDaPvRmT3_T4_T5_mT6_P12ihipStream_tbENKUlT_T0_E_clISt17integral_constantIbLb0EESV_IbLb1EEEEDaSR_SS_EUlSR_E0_NS1_11comp_targetILNS1_3genE3ELNS1_11target_archE908ELNS1_3gpuE7ELNS1_3repE0EEENS1_30default_config_static_selectorELNS0_4arch9wavefront6targetE1EEEvT1_
; %bb.0:
	.section	.rodata,"a",@progbits
	.p2align	6, 0x0
	.amdhsa_kernel _ZN7rocprim17ROCPRIM_400000_NS6detail17trampoline_kernelINS0_14default_configENS1_20scan_config_selectorIdEEZZNS1_9scan_implILNS1_25lookback_scan_determinismE0ELb0ELb0ES3_PKdPddZZZN2at6native31launch_logcumsumexp_cuda_kernelERKNSB_10TensorBaseESF_lENKUlvE_clEvENKUlvE_clEvEUlddE_dEEDaPvRmT3_T4_T5_mT6_P12ihipStream_tbENKUlT_T0_E_clISt17integral_constantIbLb0EESV_IbLb1EEEEDaSR_SS_EUlSR_E0_NS1_11comp_targetILNS1_3genE3ELNS1_11target_archE908ELNS1_3gpuE7ELNS1_3repE0EEENS1_30default_config_static_selectorELNS0_4arch9wavefront6targetE1EEEvT1_
		.amdhsa_group_segment_fixed_size 0
		.amdhsa_private_segment_fixed_size 0
		.amdhsa_kernarg_size 40
		.amdhsa_user_sgpr_count 2
		.amdhsa_user_sgpr_dispatch_ptr 0
		.amdhsa_user_sgpr_queue_ptr 0
		.amdhsa_user_sgpr_kernarg_segment_ptr 1
		.amdhsa_user_sgpr_dispatch_id 0
		.amdhsa_user_sgpr_kernarg_preload_length 0
		.amdhsa_user_sgpr_kernarg_preload_offset 0
		.amdhsa_user_sgpr_private_segment_size 0
		.amdhsa_uses_dynamic_stack 0
		.amdhsa_enable_private_segment 0
		.amdhsa_system_sgpr_workgroup_id_x 1
		.amdhsa_system_sgpr_workgroup_id_y 0
		.amdhsa_system_sgpr_workgroup_id_z 0
		.amdhsa_system_sgpr_workgroup_info 0
		.amdhsa_system_vgpr_workitem_id 0
		.amdhsa_next_free_vgpr 1
		.amdhsa_next_free_sgpr 0
		.amdhsa_accum_offset 4
		.amdhsa_reserve_vcc 0
		.amdhsa_float_round_mode_32 0
		.amdhsa_float_round_mode_16_64 0
		.amdhsa_float_denorm_mode_32 3
		.amdhsa_float_denorm_mode_16_64 3
		.amdhsa_dx10_clamp 1
		.amdhsa_ieee_mode 1
		.amdhsa_fp16_overflow 0
		.amdhsa_tg_split 0
		.amdhsa_exception_fp_ieee_invalid_op 0
		.amdhsa_exception_fp_denorm_src 0
		.amdhsa_exception_fp_ieee_div_zero 0
		.amdhsa_exception_fp_ieee_overflow 0
		.amdhsa_exception_fp_ieee_underflow 0
		.amdhsa_exception_fp_ieee_inexact 0
		.amdhsa_exception_int_div_zero 0
	.end_amdhsa_kernel
	.section	.text._ZN7rocprim17ROCPRIM_400000_NS6detail17trampoline_kernelINS0_14default_configENS1_20scan_config_selectorIdEEZZNS1_9scan_implILNS1_25lookback_scan_determinismE0ELb0ELb0ES3_PKdPddZZZN2at6native31launch_logcumsumexp_cuda_kernelERKNSB_10TensorBaseESF_lENKUlvE_clEvENKUlvE_clEvEUlddE_dEEDaPvRmT3_T4_T5_mT6_P12ihipStream_tbENKUlT_T0_E_clISt17integral_constantIbLb0EESV_IbLb1EEEEDaSR_SS_EUlSR_E0_NS1_11comp_targetILNS1_3genE3ELNS1_11target_archE908ELNS1_3gpuE7ELNS1_3repE0EEENS1_30default_config_static_selectorELNS0_4arch9wavefront6targetE1EEEvT1_,"axG",@progbits,_ZN7rocprim17ROCPRIM_400000_NS6detail17trampoline_kernelINS0_14default_configENS1_20scan_config_selectorIdEEZZNS1_9scan_implILNS1_25lookback_scan_determinismE0ELb0ELb0ES3_PKdPddZZZN2at6native31launch_logcumsumexp_cuda_kernelERKNSB_10TensorBaseESF_lENKUlvE_clEvENKUlvE_clEvEUlddE_dEEDaPvRmT3_T4_T5_mT6_P12ihipStream_tbENKUlT_T0_E_clISt17integral_constantIbLb0EESV_IbLb1EEEEDaSR_SS_EUlSR_E0_NS1_11comp_targetILNS1_3genE3ELNS1_11target_archE908ELNS1_3gpuE7ELNS1_3repE0EEENS1_30default_config_static_selectorELNS0_4arch9wavefront6targetE1EEEvT1_,comdat
.Lfunc_end78:
	.size	_ZN7rocprim17ROCPRIM_400000_NS6detail17trampoline_kernelINS0_14default_configENS1_20scan_config_selectorIdEEZZNS1_9scan_implILNS1_25lookback_scan_determinismE0ELb0ELb0ES3_PKdPddZZZN2at6native31launch_logcumsumexp_cuda_kernelERKNSB_10TensorBaseESF_lENKUlvE_clEvENKUlvE_clEvEUlddE_dEEDaPvRmT3_T4_T5_mT6_P12ihipStream_tbENKUlT_T0_E_clISt17integral_constantIbLb0EESV_IbLb1EEEEDaSR_SS_EUlSR_E0_NS1_11comp_targetILNS1_3genE3ELNS1_11target_archE908ELNS1_3gpuE7ELNS1_3repE0EEENS1_30default_config_static_selectorELNS0_4arch9wavefront6targetE1EEEvT1_, .Lfunc_end78-_ZN7rocprim17ROCPRIM_400000_NS6detail17trampoline_kernelINS0_14default_configENS1_20scan_config_selectorIdEEZZNS1_9scan_implILNS1_25lookback_scan_determinismE0ELb0ELb0ES3_PKdPddZZZN2at6native31launch_logcumsumexp_cuda_kernelERKNSB_10TensorBaseESF_lENKUlvE_clEvENKUlvE_clEvEUlddE_dEEDaPvRmT3_T4_T5_mT6_P12ihipStream_tbENKUlT_T0_E_clISt17integral_constantIbLb0EESV_IbLb1EEEEDaSR_SS_EUlSR_E0_NS1_11comp_targetILNS1_3genE3ELNS1_11target_archE908ELNS1_3gpuE7ELNS1_3repE0EEENS1_30default_config_static_selectorELNS0_4arch9wavefront6targetE1EEEvT1_
                                        ; -- End function
	.set _ZN7rocprim17ROCPRIM_400000_NS6detail17trampoline_kernelINS0_14default_configENS1_20scan_config_selectorIdEEZZNS1_9scan_implILNS1_25lookback_scan_determinismE0ELb0ELb0ES3_PKdPddZZZN2at6native31launch_logcumsumexp_cuda_kernelERKNSB_10TensorBaseESF_lENKUlvE_clEvENKUlvE_clEvEUlddE_dEEDaPvRmT3_T4_T5_mT6_P12ihipStream_tbENKUlT_T0_E_clISt17integral_constantIbLb0EESV_IbLb1EEEEDaSR_SS_EUlSR_E0_NS1_11comp_targetILNS1_3genE3ELNS1_11target_archE908ELNS1_3gpuE7ELNS1_3repE0EEENS1_30default_config_static_selectorELNS0_4arch9wavefront6targetE1EEEvT1_.num_vgpr, 0
	.set _ZN7rocprim17ROCPRIM_400000_NS6detail17trampoline_kernelINS0_14default_configENS1_20scan_config_selectorIdEEZZNS1_9scan_implILNS1_25lookback_scan_determinismE0ELb0ELb0ES3_PKdPddZZZN2at6native31launch_logcumsumexp_cuda_kernelERKNSB_10TensorBaseESF_lENKUlvE_clEvENKUlvE_clEvEUlddE_dEEDaPvRmT3_T4_T5_mT6_P12ihipStream_tbENKUlT_T0_E_clISt17integral_constantIbLb0EESV_IbLb1EEEEDaSR_SS_EUlSR_E0_NS1_11comp_targetILNS1_3genE3ELNS1_11target_archE908ELNS1_3gpuE7ELNS1_3repE0EEENS1_30default_config_static_selectorELNS0_4arch9wavefront6targetE1EEEvT1_.num_agpr, 0
	.set _ZN7rocprim17ROCPRIM_400000_NS6detail17trampoline_kernelINS0_14default_configENS1_20scan_config_selectorIdEEZZNS1_9scan_implILNS1_25lookback_scan_determinismE0ELb0ELb0ES3_PKdPddZZZN2at6native31launch_logcumsumexp_cuda_kernelERKNSB_10TensorBaseESF_lENKUlvE_clEvENKUlvE_clEvEUlddE_dEEDaPvRmT3_T4_T5_mT6_P12ihipStream_tbENKUlT_T0_E_clISt17integral_constantIbLb0EESV_IbLb1EEEEDaSR_SS_EUlSR_E0_NS1_11comp_targetILNS1_3genE3ELNS1_11target_archE908ELNS1_3gpuE7ELNS1_3repE0EEENS1_30default_config_static_selectorELNS0_4arch9wavefront6targetE1EEEvT1_.numbered_sgpr, 0
	.set _ZN7rocprim17ROCPRIM_400000_NS6detail17trampoline_kernelINS0_14default_configENS1_20scan_config_selectorIdEEZZNS1_9scan_implILNS1_25lookback_scan_determinismE0ELb0ELb0ES3_PKdPddZZZN2at6native31launch_logcumsumexp_cuda_kernelERKNSB_10TensorBaseESF_lENKUlvE_clEvENKUlvE_clEvEUlddE_dEEDaPvRmT3_T4_T5_mT6_P12ihipStream_tbENKUlT_T0_E_clISt17integral_constantIbLb0EESV_IbLb1EEEEDaSR_SS_EUlSR_E0_NS1_11comp_targetILNS1_3genE3ELNS1_11target_archE908ELNS1_3gpuE7ELNS1_3repE0EEENS1_30default_config_static_selectorELNS0_4arch9wavefront6targetE1EEEvT1_.num_named_barrier, 0
	.set _ZN7rocprim17ROCPRIM_400000_NS6detail17trampoline_kernelINS0_14default_configENS1_20scan_config_selectorIdEEZZNS1_9scan_implILNS1_25lookback_scan_determinismE0ELb0ELb0ES3_PKdPddZZZN2at6native31launch_logcumsumexp_cuda_kernelERKNSB_10TensorBaseESF_lENKUlvE_clEvENKUlvE_clEvEUlddE_dEEDaPvRmT3_T4_T5_mT6_P12ihipStream_tbENKUlT_T0_E_clISt17integral_constantIbLb0EESV_IbLb1EEEEDaSR_SS_EUlSR_E0_NS1_11comp_targetILNS1_3genE3ELNS1_11target_archE908ELNS1_3gpuE7ELNS1_3repE0EEENS1_30default_config_static_selectorELNS0_4arch9wavefront6targetE1EEEvT1_.private_seg_size, 0
	.set _ZN7rocprim17ROCPRIM_400000_NS6detail17trampoline_kernelINS0_14default_configENS1_20scan_config_selectorIdEEZZNS1_9scan_implILNS1_25lookback_scan_determinismE0ELb0ELb0ES3_PKdPddZZZN2at6native31launch_logcumsumexp_cuda_kernelERKNSB_10TensorBaseESF_lENKUlvE_clEvENKUlvE_clEvEUlddE_dEEDaPvRmT3_T4_T5_mT6_P12ihipStream_tbENKUlT_T0_E_clISt17integral_constantIbLb0EESV_IbLb1EEEEDaSR_SS_EUlSR_E0_NS1_11comp_targetILNS1_3genE3ELNS1_11target_archE908ELNS1_3gpuE7ELNS1_3repE0EEENS1_30default_config_static_selectorELNS0_4arch9wavefront6targetE1EEEvT1_.uses_vcc, 0
	.set _ZN7rocprim17ROCPRIM_400000_NS6detail17trampoline_kernelINS0_14default_configENS1_20scan_config_selectorIdEEZZNS1_9scan_implILNS1_25lookback_scan_determinismE0ELb0ELb0ES3_PKdPddZZZN2at6native31launch_logcumsumexp_cuda_kernelERKNSB_10TensorBaseESF_lENKUlvE_clEvENKUlvE_clEvEUlddE_dEEDaPvRmT3_T4_T5_mT6_P12ihipStream_tbENKUlT_T0_E_clISt17integral_constantIbLb0EESV_IbLb1EEEEDaSR_SS_EUlSR_E0_NS1_11comp_targetILNS1_3genE3ELNS1_11target_archE908ELNS1_3gpuE7ELNS1_3repE0EEENS1_30default_config_static_selectorELNS0_4arch9wavefront6targetE1EEEvT1_.uses_flat_scratch, 0
	.set _ZN7rocprim17ROCPRIM_400000_NS6detail17trampoline_kernelINS0_14default_configENS1_20scan_config_selectorIdEEZZNS1_9scan_implILNS1_25lookback_scan_determinismE0ELb0ELb0ES3_PKdPddZZZN2at6native31launch_logcumsumexp_cuda_kernelERKNSB_10TensorBaseESF_lENKUlvE_clEvENKUlvE_clEvEUlddE_dEEDaPvRmT3_T4_T5_mT6_P12ihipStream_tbENKUlT_T0_E_clISt17integral_constantIbLb0EESV_IbLb1EEEEDaSR_SS_EUlSR_E0_NS1_11comp_targetILNS1_3genE3ELNS1_11target_archE908ELNS1_3gpuE7ELNS1_3repE0EEENS1_30default_config_static_selectorELNS0_4arch9wavefront6targetE1EEEvT1_.has_dyn_sized_stack, 0
	.set _ZN7rocprim17ROCPRIM_400000_NS6detail17trampoline_kernelINS0_14default_configENS1_20scan_config_selectorIdEEZZNS1_9scan_implILNS1_25lookback_scan_determinismE0ELb0ELb0ES3_PKdPddZZZN2at6native31launch_logcumsumexp_cuda_kernelERKNSB_10TensorBaseESF_lENKUlvE_clEvENKUlvE_clEvEUlddE_dEEDaPvRmT3_T4_T5_mT6_P12ihipStream_tbENKUlT_T0_E_clISt17integral_constantIbLb0EESV_IbLb1EEEEDaSR_SS_EUlSR_E0_NS1_11comp_targetILNS1_3genE3ELNS1_11target_archE908ELNS1_3gpuE7ELNS1_3repE0EEENS1_30default_config_static_selectorELNS0_4arch9wavefront6targetE1EEEvT1_.has_recursion, 0
	.set _ZN7rocprim17ROCPRIM_400000_NS6detail17trampoline_kernelINS0_14default_configENS1_20scan_config_selectorIdEEZZNS1_9scan_implILNS1_25lookback_scan_determinismE0ELb0ELb0ES3_PKdPddZZZN2at6native31launch_logcumsumexp_cuda_kernelERKNSB_10TensorBaseESF_lENKUlvE_clEvENKUlvE_clEvEUlddE_dEEDaPvRmT3_T4_T5_mT6_P12ihipStream_tbENKUlT_T0_E_clISt17integral_constantIbLb0EESV_IbLb1EEEEDaSR_SS_EUlSR_E0_NS1_11comp_targetILNS1_3genE3ELNS1_11target_archE908ELNS1_3gpuE7ELNS1_3repE0EEENS1_30default_config_static_selectorELNS0_4arch9wavefront6targetE1EEEvT1_.has_indirect_call, 0
	.section	.AMDGPU.csdata,"",@progbits
; Kernel info:
; codeLenInByte = 0
; TotalNumSgprs: 6
; NumVgprs: 0
; NumAgprs: 0
; TotalNumVgprs: 0
; ScratchSize: 0
; MemoryBound: 0
; FloatMode: 240
; IeeeMode: 1
; LDSByteSize: 0 bytes/workgroup (compile time only)
; SGPRBlocks: 0
; VGPRBlocks: 0
; NumSGPRsForWavesPerEU: 6
; NumVGPRsForWavesPerEU: 1
; AccumOffset: 4
; Occupancy: 8
; WaveLimiterHint : 0
; COMPUTE_PGM_RSRC2:SCRATCH_EN: 0
; COMPUTE_PGM_RSRC2:USER_SGPR: 2
; COMPUTE_PGM_RSRC2:TRAP_HANDLER: 0
; COMPUTE_PGM_RSRC2:TGID_X_EN: 1
; COMPUTE_PGM_RSRC2:TGID_Y_EN: 0
; COMPUTE_PGM_RSRC2:TGID_Z_EN: 0
; COMPUTE_PGM_RSRC2:TIDIG_COMP_CNT: 0
; COMPUTE_PGM_RSRC3_GFX90A:ACCUM_OFFSET: 0
; COMPUTE_PGM_RSRC3_GFX90A:TG_SPLIT: 0
	.section	.text._ZN7rocprim17ROCPRIM_400000_NS6detail17trampoline_kernelINS0_14default_configENS1_20scan_config_selectorIdEEZZNS1_9scan_implILNS1_25lookback_scan_determinismE0ELb0ELb0ES3_PKdPddZZZN2at6native31launch_logcumsumexp_cuda_kernelERKNSB_10TensorBaseESF_lENKUlvE_clEvENKUlvE_clEvEUlddE_dEEDaPvRmT3_T4_T5_mT6_P12ihipStream_tbENKUlT_T0_E_clISt17integral_constantIbLb0EESV_IbLb1EEEEDaSR_SS_EUlSR_E0_NS1_11comp_targetILNS1_3genE2ELNS1_11target_archE906ELNS1_3gpuE6ELNS1_3repE0EEENS1_30default_config_static_selectorELNS0_4arch9wavefront6targetE1EEEvT1_,"axG",@progbits,_ZN7rocprim17ROCPRIM_400000_NS6detail17trampoline_kernelINS0_14default_configENS1_20scan_config_selectorIdEEZZNS1_9scan_implILNS1_25lookback_scan_determinismE0ELb0ELb0ES3_PKdPddZZZN2at6native31launch_logcumsumexp_cuda_kernelERKNSB_10TensorBaseESF_lENKUlvE_clEvENKUlvE_clEvEUlddE_dEEDaPvRmT3_T4_T5_mT6_P12ihipStream_tbENKUlT_T0_E_clISt17integral_constantIbLb0EESV_IbLb1EEEEDaSR_SS_EUlSR_E0_NS1_11comp_targetILNS1_3genE2ELNS1_11target_archE906ELNS1_3gpuE6ELNS1_3repE0EEENS1_30default_config_static_selectorELNS0_4arch9wavefront6targetE1EEEvT1_,comdat
	.globl	_ZN7rocprim17ROCPRIM_400000_NS6detail17trampoline_kernelINS0_14default_configENS1_20scan_config_selectorIdEEZZNS1_9scan_implILNS1_25lookback_scan_determinismE0ELb0ELb0ES3_PKdPddZZZN2at6native31launch_logcumsumexp_cuda_kernelERKNSB_10TensorBaseESF_lENKUlvE_clEvENKUlvE_clEvEUlddE_dEEDaPvRmT3_T4_T5_mT6_P12ihipStream_tbENKUlT_T0_E_clISt17integral_constantIbLb0EESV_IbLb1EEEEDaSR_SS_EUlSR_E0_NS1_11comp_targetILNS1_3genE2ELNS1_11target_archE906ELNS1_3gpuE6ELNS1_3repE0EEENS1_30default_config_static_selectorELNS0_4arch9wavefront6targetE1EEEvT1_ ; -- Begin function _ZN7rocprim17ROCPRIM_400000_NS6detail17trampoline_kernelINS0_14default_configENS1_20scan_config_selectorIdEEZZNS1_9scan_implILNS1_25lookback_scan_determinismE0ELb0ELb0ES3_PKdPddZZZN2at6native31launch_logcumsumexp_cuda_kernelERKNSB_10TensorBaseESF_lENKUlvE_clEvENKUlvE_clEvEUlddE_dEEDaPvRmT3_T4_T5_mT6_P12ihipStream_tbENKUlT_T0_E_clISt17integral_constantIbLb0EESV_IbLb1EEEEDaSR_SS_EUlSR_E0_NS1_11comp_targetILNS1_3genE2ELNS1_11target_archE906ELNS1_3gpuE6ELNS1_3repE0EEENS1_30default_config_static_selectorELNS0_4arch9wavefront6targetE1EEEvT1_
	.p2align	8
	.type	_ZN7rocprim17ROCPRIM_400000_NS6detail17trampoline_kernelINS0_14default_configENS1_20scan_config_selectorIdEEZZNS1_9scan_implILNS1_25lookback_scan_determinismE0ELb0ELb0ES3_PKdPddZZZN2at6native31launch_logcumsumexp_cuda_kernelERKNSB_10TensorBaseESF_lENKUlvE_clEvENKUlvE_clEvEUlddE_dEEDaPvRmT3_T4_T5_mT6_P12ihipStream_tbENKUlT_T0_E_clISt17integral_constantIbLb0EESV_IbLb1EEEEDaSR_SS_EUlSR_E0_NS1_11comp_targetILNS1_3genE2ELNS1_11target_archE906ELNS1_3gpuE6ELNS1_3repE0EEENS1_30default_config_static_selectorELNS0_4arch9wavefront6targetE1EEEvT1_,@function
_ZN7rocprim17ROCPRIM_400000_NS6detail17trampoline_kernelINS0_14default_configENS1_20scan_config_selectorIdEEZZNS1_9scan_implILNS1_25lookback_scan_determinismE0ELb0ELb0ES3_PKdPddZZZN2at6native31launch_logcumsumexp_cuda_kernelERKNSB_10TensorBaseESF_lENKUlvE_clEvENKUlvE_clEvEUlddE_dEEDaPvRmT3_T4_T5_mT6_P12ihipStream_tbENKUlT_T0_E_clISt17integral_constantIbLb0EESV_IbLb1EEEEDaSR_SS_EUlSR_E0_NS1_11comp_targetILNS1_3genE2ELNS1_11target_archE906ELNS1_3gpuE6ELNS1_3repE0EEENS1_30default_config_static_selectorELNS0_4arch9wavefront6targetE1EEEvT1_: ; @_ZN7rocprim17ROCPRIM_400000_NS6detail17trampoline_kernelINS0_14default_configENS1_20scan_config_selectorIdEEZZNS1_9scan_implILNS1_25lookback_scan_determinismE0ELb0ELb0ES3_PKdPddZZZN2at6native31launch_logcumsumexp_cuda_kernelERKNSB_10TensorBaseESF_lENKUlvE_clEvENKUlvE_clEvEUlddE_dEEDaPvRmT3_T4_T5_mT6_P12ihipStream_tbENKUlT_T0_E_clISt17integral_constantIbLb0EESV_IbLb1EEEEDaSR_SS_EUlSR_E0_NS1_11comp_targetILNS1_3genE2ELNS1_11target_archE906ELNS1_3gpuE6ELNS1_3repE0EEENS1_30default_config_static_selectorELNS0_4arch9wavefront6targetE1EEEvT1_
; %bb.0:
	.section	.rodata,"a",@progbits
	.p2align	6, 0x0
	.amdhsa_kernel _ZN7rocprim17ROCPRIM_400000_NS6detail17trampoline_kernelINS0_14default_configENS1_20scan_config_selectorIdEEZZNS1_9scan_implILNS1_25lookback_scan_determinismE0ELb0ELb0ES3_PKdPddZZZN2at6native31launch_logcumsumexp_cuda_kernelERKNSB_10TensorBaseESF_lENKUlvE_clEvENKUlvE_clEvEUlddE_dEEDaPvRmT3_T4_T5_mT6_P12ihipStream_tbENKUlT_T0_E_clISt17integral_constantIbLb0EESV_IbLb1EEEEDaSR_SS_EUlSR_E0_NS1_11comp_targetILNS1_3genE2ELNS1_11target_archE906ELNS1_3gpuE6ELNS1_3repE0EEENS1_30default_config_static_selectorELNS0_4arch9wavefront6targetE1EEEvT1_
		.amdhsa_group_segment_fixed_size 0
		.amdhsa_private_segment_fixed_size 0
		.amdhsa_kernarg_size 40
		.amdhsa_user_sgpr_count 2
		.amdhsa_user_sgpr_dispatch_ptr 0
		.amdhsa_user_sgpr_queue_ptr 0
		.amdhsa_user_sgpr_kernarg_segment_ptr 1
		.amdhsa_user_sgpr_dispatch_id 0
		.amdhsa_user_sgpr_kernarg_preload_length 0
		.amdhsa_user_sgpr_kernarg_preload_offset 0
		.amdhsa_user_sgpr_private_segment_size 0
		.amdhsa_uses_dynamic_stack 0
		.amdhsa_enable_private_segment 0
		.amdhsa_system_sgpr_workgroup_id_x 1
		.amdhsa_system_sgpr_workgroup_id_y 0
		.amdhsa_system_sgpr_workgroup_id_z 0
		.amdhsa_system_sgpr_workgroup_info 0
		.amdhsa_system_vgpr_workitem_id 0
		.amdhsa_next_free_vgpr 1
		.amdhsa_next_free_sgpr 0
		.amdhsa_accum_offset 4
		.amdhsa_reserve_vcc 0
		.amdhsa_float_round_mode_32 0
		.amdhsa_float_round_mode_16_64 0
		.amdhsa_float_denorm_mode_32 3
		.amdhsa_float_denorm_mode_16_64 3
		.amdhsa_dx10_clamp 1
		.amdhsa_ieee_mode 1
		.amdhsa_fp16_overflow 0
		.amdhsa_tg_split 0
		.amdhsa_exception_fp_ieee_invalid_op 0
		.amdhsa_exception_fp_denorm_src 0
		.amdhsa_exception_fp_ieee_div_zero 0
		.amdhsa_exception_fp_ieee_overflow 0
		.amdhsa_exception_fp_ieee_underflow 0
		.amdhsa_exception_fp_ieee_inexact 0
		.amdhsa_exception_int_div_zero 0
	.end_amdhsa_kernel
	.section	.text._ZN7rocprim17ROCPRIM_400000_NS6detail17trampoline_kernelINS0_14default_configENS1_20scan_config_selectorIdEEZZNS1_9scan_implILNS1_25lookback_scan_determinismE0ELb0ELb0ES3_PKdPddZZZN2at6native31launch_logcumsumexp_cuda_kernelERKNSB_10TensorBaseESF_lENKUlvE_clEvENKUlvE_clEvEUlddE_dEEDaPvRmT3_T4_T5_mT6_P12ihipStream_tbENKUlT_T0_E_clISt17integral_constantIbLb0EESV_IbLb1EEEEDaSR_SS_EUlSR_E0_NS1_11comp_targetILNS1_3genE2ELNS1_11target_archE906ELNS1_3gpuE6ELNS1_3repE0EEENS1_30default_config_static_selectorELNS0_4arch9wavefront6targetE1EEEvT1_,"axG",@progbits,_ZN7rocprim17ROCPRIM_400000_NS6detail17trampoline_kernelINS0_14default_configENS1_20scan_config_selectorIdEEZZNS1_9scan_implILNS1_25lookback_scan_determinismE0ELb0ELb0ES3_PKdPddZZZN2at6native31launch_logcumsumexp_cuda_kernelERKNSB_10TensorBaseESF_lENKUlvE_clEvENKUlvE_clEvEUlddE_dEEDaPvRmT3_T4_T5_mT6_P12ihipStream_tbENKUlT_T0_E_clISt17integral_constantIbLb0EESV_IbLb1EEEEDaSR_SS_EUlSR_E0_NS1_11comp_targetILNS1_3genE2ELNS1_11target_archE906ELNS1_3gpuE6ELNS1_3repE0EEENS1_30default_config_static_selectorELNS0_4arch9wavefront6targetE1EEEvT1_,comdat
.Lfunc_end79:
	.size	_ZN7rocprim17ROCPRIM_400000_NS6detail17trampoline_kernelINS0_14default_configENS1_20scan_config_selectorIdEEZZNS1_9scan_implILNS1_25lookback_scan_determinismE0ELb0ELb0ES3_PKdPddZZZN2at6native31launch_logcumsumexp_cuda_kernelERKNSB_10TensorBaseESF_lENKUlvE_clEvENKUlvE_clEvEUlddE_dEEDaPvRmT3_T4_T5_mT6_P12ihipStream_tbENKUlT_T0_E_clISt17integral_constantIbLb0EESV_IbLb1EEEEDaSR_SS_EUlSR_E0_NS1_11comp_targetILNS1_3genE2ELNS1_11target_archE906ELNS1_3gpuE6ELNS1_3repE0EEENS1_30default_config_static_selectorELNS0_4arch9wavefront6targetE1EEEvT1_, .Lfunc_end79-_ZN7rocprim17ROCPRIM_400000_NS6detail17trampoline_kernelINS0_14default_configENS1_20scan_config_selectorIdEEZZNS1_9scan_implILNS1_25lookback_scan_determinismE0ELb0ELb0ES3_PKdPddZZZN2at6native31launch_logcumsumexp_cuda_kernelERKNSB_10TensorBaseESF_lENKUlvE_clEvENKUlvE_clEvEUlddE_dEEDaPvRmT3_T4_T5_mT6_P12ihipStream_tbENKUlT_T0_E_clISt17integral_constantIbLb0EESV_IbLb1EEEEDaSR_SS_EUlSR_E0_NS1_11comp_targetILNS1_3genE2ELNS1_11target_archE906ELNS1_3gpuE6ELNS1_3repE0EEENS1_30default_config_static_selectorELNS0_4arch9wavefront6targetE1EEEvT1_
                                        ; -- End function
	.set _ZN7rocprim17ROCPRIM_400000_NS6detail17trampoline_kernelINS0_14default_configENS1_20scan_config_selectorIdEEZZNS1_9scan_implILNS1_25lookback_scan_determinismE0ELb0ELb0ES3_PKdPddZZZN2at6native31launch_logcumsumexp_cuda_kernelERKNSB_10TensorBaseESF_lENKUlvE_clEvENKUlvE_clEvEUlddE_dEEDaPvRmT3_T4_T5_mT6_P12ihipStream_tbENKUlT_T0_E_clISt17integral_constantIbLb0EESV_IbLb1EEEEDaSR_SS_EUlSR_E0_NS1_11comp_targetILNS1_3genE2ELNS1_11target_archE906ELNS1_3gpuE6ELNS1_3repE0EEENS1_30default_config_static_selectorELNS0_4arch9wavefront6targetE1EEEvT1_.num_vgpr, 0
	.set _ZN7rocprim17ROCPRIM_400000_NS6detail17trampoline_kernelINS0_14default_configENS1_20scan_config_selectorIdEEZZNS1_9scan_implILNS1_25lookback_scan_determinismE0ELb0ELb0ES3_PKdPddZZZN2at6native31launch_logcumsumexp_cuda_kernelERKNSB_10TensorBaseESF_lENKUlvE_clEvENKUlvE_clEvEUlddE_dEEDaPvRmT3_T4_T5_mT6_P12ihipStream_tbENKUlT_T0_E_clISt17integral_constantIbLb0EESV_IbLb1EEEEDaSR_SS_EUlSR_E0_NS1_11comp_targetILNS1_3genE2ELNS1_11target_archE906ELNS1_3gpuE6ELNS1_3repE0EEENS1_30default_config_static_selectorELNS0_4arch9wavefront6targetE1EEEvT1_.num_agpr, 0
	.set _ZN7rocprim17ROCPRIM_400000_NS6detail17trampoline_kernelINS0_14default_configENS1_20scan_config_selectorIdEEZZNS1_9scan_implILNS1_25lookback_scan_determinismE0ELb0ELb0ES3_PKdPddZZZN2at6native31launch_logcumsumexp_cuda_kernelERKNSB_10TensorBaseESF_lENKUlvE_clEvENKUlvE_clEvEUlddE_dEEDaPvRmT3_T4_T5_mT6_P12ihipStream_tbENKUlT_T0_E_clISt17integral_constantIbLb0EESV_IbLb1EEEEDaSR_SS_EUlSR_E0_NS1_11comp_targetILNS1_3genE2ELNS1_11target_archE906ELNS1_3gpuE6ELNS1_3repE0EEENS1_30default_config_static_selectorELNS0_4arch9wavefront6targetE1EEEvT1_.numbered_sgpr, 0
	.set _ZN7rocprim17ROCPRIM_400000_NS6detail17trampoline_kernelINS0_14default_configENS1_20scan_config_selectorIdEEZZNS1_9scan_implILNS1_25lookback_scan_determinismE0ELb0ELb0ES3_PKdPddZZZN2at6native31launch_logcumsumexp_cuda_kernelERKNSB_10TensorBaseESF_lENKUlvE_clEvENKUlvE_clEvEUlddE_dEEDaPvRmT3_T4_T5_mT6_P12ihipStream_tbENKUlT_T0_E_clISt17integral_constantIbLb0EESV_IbLb1EEEEDaSR_SS_EUlSR_E0_NS1_11comp_targetILNS1_3genE2ELNS1_11target_archE906ELNS1_3gpuE6ELNS1_3repE0EEENS1_30default_config_static_selectorELNS0_4arch9wavefront6targetE1EEEvT1_.num_named_barrier, 0
	.set _ZN7rocprim17ROCPRIM_400000_NS6detail17trampoline_kernelINS0_14default_configENS1_20scan_config_selectorIdEEZZNS1_9scan_implILNS1_25lookback_scan_determinismE0ELb0ELb0ES3_PKdPddZZZN2at6native31launch_logcumsumexp_cuda_kernelERKNSB_10TensorBaseESF_lENKUlvE_clEvENKUlvE_clEvEUlddE_dEEDaPvRmT3_T4_T5_mT6_P12ihipStream_tbENKUlT_T0_E_clISt17integral_constantIbLb0EESV_IbLb1EEEEDaSR_SS_EUlSR_E0_NS1_11comp_targetILNS1_3genE2ELNS1_11target_archE906ELNS1_3gpuE6ELNS1_3repE0EEENS1_30default_config_static_selectorELNS0_4arch9wavefront6targetE1EEEvT1_.private_seg_size, 0
	.set _ZN7rocprim17ROCPRIM_400000_NS6detail17trampoline_kernelINS0_14default_configENS1_20scan_config_selectorIdEEZZNS1_9scan_implILNS1_25lookback_scan_determinismE0ELb0ELb0ES3_PKdPddZZZN2at6native31launch_logcumsumexp_cuda_kernelERKNSB_10TensorBaseESF_lENKUlvE_clEvENKUlvE_clEvEUlddE_dEEDaPvRmT3_T4_T5_mT6_P12ihipStream_tbENKUlT_T0_E_clISt17integral_constantIbLb0EESV_IbLb1EEEEDaSR_SS_EUlSR_E0_NS1_11comp_targetILNS1_3genE2ELNS1_11target_archE906ELNS1_3gpuE6ELNS1_3repE0EEENS1_30default_config_static_selectorELNS0_4arch9wavefront6targetE1EEEvT1_.uses_vcc, 0
	.set _ZN7rocprim17ROCPRIM_400000_NS6detail17trampoline_kernelINS0_14default_configENS1_20scan_config_selectorIdEEZZNS1_9scan_implILNS1_25lookback_scan_determinismE0ELb0ELb0ES3_PKdPddZZZN2at6native31launch_logcumsumexp_cuda_kernelERKNSB_10TensorBaseESF_lENKUlvE_clEvENKUlvE_clEvEUlddE_dEEDaPvRmT3_T4_T5_mT6_P12ihipStream_tbENKUlT_T0_E_clISt17integral_constantIbLb0EESV_IbLb1EEEEDaSR_SS_EUlSR_E0_NS1_11comp_targetILNS1_3genE2ELNS1_11target_archE906ELNS1_3gpuE6ELNS1_3repE0EEENS1_30default_config_static_selectorELNS0_4arch9wavefront6targetE1EEEvT1_.uses_flat_scratch, 0
	.set _ZN7rocprim17ROCPRIM_400000_NS6detail17trampoline_kernelINS0_14default_configENS1_20scan_config_selectorIdEEZZNS1_9scan_implILNS1_25lookback_scan_determinismE0ELb0ELb0ES3_PKdPddZZZN2at6native31launch_logcumsumexp_cuda_kernelERKNSB_10TensorBaseESF_lENKUlvE_clEvENKUlvE_clEvEUlddE_dEEDaPvRmT3_T4_T5_mT6_P12ihipStream_tbENKUlT_T0_E_clISt17integral_constantIbLb0EESV_IbLb1EEEEDaSR_SS_EUlSR_E0_NS1_11comp_targetILNS1_3genE2ELNS1_11target_archE906ELNS1_3gpuE6ELNS1_3repE0EEENS1_30default_config_static_selectorELNS0_4arch9wavefront6targetE1EEEvT1_.has_dyn_sized_stack, 0
	.set _ZN7rocprim17ROCPRIM_400000_NS6detail17trampoline_kernelINS0_14default_configENS1_20scan_config_selectorIdEEZZNS1_9scan_implILNS1_25lookback_scan_determinismE0ELb0ELb0ES3_PKdPddZZZN2at6native31launch_logcumsumexp_cuda_kernelERKNSB_10TensorBaseESF_lENKUlvE_clEvENKUlvE_clEvEUlddE_dEEDaPvRmT3_T4_T5_mT6_P12ihipStream_tbENKUlT_T0_E_clISt17integral_constantIbLb0EESV_IbLb1EEEEDaSR_SS_EUlSR_E0_NS1_11comp_targetILNS1_3genE2ELNS1_11target_archE906ELNS1_3gpuE6ELNS1_3repE0EEENS1_30default_config_static_selectorELNS0_4arch9wavefront6targetE1EEEvT1_.has_recursion, 0
	.set _ZN7rocprim17ROCPRIM_400000_NS6detail17trampoline_kernelINS0_14default_configENS1_20scan_config_selectorIdEEZZNS1_9scan_implILNS1_25lookback_scan_determinismE0ELb0ELb0ES3_PKdPddZZZN2at6native31launch_logcumsumexp_cuda_kernelERKNSB_10TensorBaseESF_lENKUlvE_clEvENKUlvE_clEvEUlddE_dEEDaPvRmT3_T4_T5_mT6_P12ihipStream_tbENKUlT_T0_E_clISt17integral_constantIbLb0EESV_IbLb1EEEEDaSR_SS_EUlSR_E0_NS1_11comp_targetILNS1_3genE2ELNS1_11target_archE906ELNS1_3gpuE6ELNS1_3repE0EEENS1_30default_config_static_selectorELNS0_4arch9wavefront6targetE1EEEvT1_.has_indirect_call, 0
	.section	.AMDGPU.csdata,"",@progbits
; Kernel info:
; codeLenInByte = 0
; TotalNumSgprs: 6
; NumVgprs: 0
; NumAgprs: 0
; TotalNumVgprs: 0
; ScratchSize: 0
; MemoryBound: 0
; FloatMode: 240
; IeeeMode: 1
; LDSByteSize: 0 bytes/workgroup (compile time only)
; SGPRBlocks: 0
; VGPRBlocks: 0
; NumSGPRsForWavesPerEU: 6
; NumVGPRsForWavesPerEU: 1
; AccumOffset: 4
; Occupancy: 8
; WaveLimiterHint : 0
; COMPUTE_PGM_RSRC2:SCRATCH_EN: 0
; COMPUTE_PGM_RSRC2:USER_SGPR: 2
; COMPUTE_PGM_RSRC2:TRAP_HANDLER: 0
; COMPUTE_PGM_RSRC2:TGID_X_EN: 1
; COMPUTE_PGM_RSRC2:TGID_Y_EN: 0
; COMPUTE_PGM_RSRC2:TGID_Z_EN: 0
; COMPUTE_PGM_RSRC2:TIDIG_COMP_CNT: 0
; COMPUTE_PGM_RSRC3_GFX90A:ACCUM_OFFSET: 0
; COMPUTE_PGM_RSRC3_GFX90A:TG_SPLIT: 0
	.section	.text._ZN7rocprim17ROCPRIM_400000_NS6detail17trampoline_kernelINS0_14default_configENS1_20scan_config_selectorIdEEZZNS1_9scan_implILNS1_25lookback_scan_determinismE0ELb0ELb0ES3_PKdPddZZZN2at6native31launch_logcumsumexp_cuda_kernelERKNSB_10TensorBaseESF_lENKUlvE_clEvENKUlvE_clEvEUlddE_dEEDaPvRmT3_T4_T5_mT6_P12ihipStream_tbENKUlT_T0_E_clISt17integral_constantIbLb0EESV_IbLb1EEEEDaSR_SS_EUlSR_E0_NS1_11comp_targetILNS1_3genE10ELNS1_11target_archE1201ELNS1_3gpuE5ELNS1_3repE0EEENS1_30default_config_static_selectorELNS0_4arch9wavefront6targetE1EEEvT1_,"axG",@progbits,_ZN7rocprim17ROCPRIM_400000_NS6detail17trampoline_kernelINS0_14default_configENS1_20scan_config_selectorIdEEZZNS1_9scan_implILNS1_25lookback_scan_determinismE0ELb0ELb0ES3_PKdPddZZZN2at6native31launch_logcumsumexp_cuda_kernelERKNSB_10TensorBaseESF_lENKUlvE_clEvENKUlvE_clEvEUlddE_dEEDaPvRmT3_T4_T5_mT6_P12ihipStream_tbENKUlT_T0_E_clISt17integral_constantIbLb0EESV_IbLb1EEEEDaSR_SS_EUlSR_E0_NS1_11comp_targetILNS1_3genE10ELNS1_11target_archE1201ELNS1_3gpuE5ELNS1_3repE0EEENS1_30default_config_static_selectorELNS0_4arch9wavefront6targetE1EEEvT1_,comdat
	.globl	_ZN7rocprim17ROCPRIM_400000_NS6detail17trampoline_kernelINS0_14default_configENS1_20scan_config_selectorIdEEZZNS1_9scan_implILNS1_25lookback_scan_determinismE0ELb0ELb0ES3_PKdPddZZZN2at6native31launch_logcumsumexp_cuda_kernelERKNSB_10TensorBaseESF_lENKUlvE_clEvENKUlvE_clEvEUlddE_dEEDaPvRmT3_T4_T5_mT6_P12ihipStream_tbENKUlT_T0_E_clISt17integral_constantIbLb0EESV_IbLb1EEEEDaSR_SS_EUlSR_E0_NS1_11comp_targetILNS1_3genE10ELNS1_11target_archE1201ELNS1_3gpuE5ELNS1_3repE0EEENS1_30default_config_static_selectorELNS0_4arch9wavefront6targetE1EEEvT1_ ; -- Begin function _ZN7rocprim17ROCPRIM_400000_NS6detail17trampoline_kernelINS0_14default_configENS1_20scan_config_selectorIdEEZZNS1_9scan_implILNS1_25lookback_scan_determinismE0ELb0ELb0ES3_PKdPddZZZN2at6native31launch_logcumsumexp_cuda_kernelERKNSB_10TensorBaseESF_lENKUlvE_clEvENKUlvE_clEvEUlddE_dEEDaPvRmT3_T4_T5_mT6_P12ihipStream_tbENKUlT_T0_E_clISt17integral_constantIbLb0EESV_IbLb1EEEEDaSR_SS_EUlSR_E0_NS1_11comp_targetILNS1_3genE10ELNS1_11target_archE1201ELNS1_3gpuE5ELNS1_3repE0EEENS1_30default_config_static_selectorELNS0_4arch9wavefront6targetE1EEEvT1_
	.p2align	8
	.type	_ZN7rocprim17ROCPRIM_400000_NS6detail17trampoline_kernelINS0_14default_configENS1_20scan_config_selectorIdEEZZNS1_9scan_implILNS1_25lookback_scan_determinismE0ELb0ELb0ES3_PKdPddZZZN2at6native31launch_logcumsumexp_cuda_kernelERKNSB_10TensorBaseESF_lENKUlvE_clEvENKUlvE_clEvEUlddE_dEEDaPvRmT3_T4_T5_mT6_P12ihipStream_tbENKUlT_T0_E_clISt17integral_constantIbLb0EESV_IbLb1EEEEDaSR_SS_EUlSR_E0_NS1_11comp_targetILNS1_3genE10ELNS1_11target_archE1201ELNS1_3gpuE5ELNS1_3repE0EEENS1_30default_config_static_selectorELNS0_4arch9wavefront6targetE1EEEvT1_,@function
_ZN7rocprim17ROCPRIM_400000_NS6detail17trampoline_kernelINS0_14default_configENS1_20scan_config_selectorIdEEZZNS1_9scan_implILNS1_25lookback_scan_determinismE0ELb0ELb0ES3_PKdPddZZZN2at6native31launch_logcumsumexp_cuda_kernelERKNSB_10TensorBaseESF_lENKUlvE_clEvENKUlvE_clEvEUlddE_dEEDaPvRmT3_T4_T5_mT6_P12ihipStream_tbENKUlT_T0_E_clISt17integral_constantIbLb0EESV_IbLb1EEEEDaSR_SS_EUlSR_E0_NS1_11comp_targetILNS1_3genE10ELNS1_11target_archE1201ELNS1_3gpuE5ELNS1_3repE0EEENS1_30default_config_static_selectorELNS0_4arch9wavefront6targetE1EEEvT1_: ; @_ZN7rocprim17ROCPRIM_400000_NS6detail17trampoline_kernelINS0_14default_configENS1_20scan_config_selectorIdEEZZNS1_9scan_implILNS1_25lookback_scan_determinismE0ELb0ELb0ES3_PKdPddZZZN2at6native31launch_logcumsumexp_cuda_kernelERKNSB_10TensorBaseESF_lENKUlvE_clEvENKUlvE_clEvEUlddE_dEEDaPvRmT3_T4_T5_mT6_P12ihipStream_tbENKUlT_T0_E_clISt17integral_constantIbLb0EESV_IbLb1EEEEDaSR_SS_EUlSR_E0_NS1_11comp_targetILNS1_3genE10ELNS1_11target_archE1201ELNS1_3gpuE5ELNS1_3repE0EEENS1_30default_config_static_selectorELNS0_4arch9wavefront6targetE1EEEvT1_
; %bb.0:
	.section	.rodata,"a",@progbits
	.p2align	6, 0x0
	.amdhsa_kernel _ZN7rocprim17ROCPRIM_400000_NS6detail17trampoline_kernelINS0_14default_configENS1_20scan_config_selectorIdEEZZNS1_9scan_implILNS1_25lookback_scan_determinismE0ELb0ELb0ES3_PKdPddZZZN2at6native31launch_logcumsumexp_cuda_kernelERKNSB_10TensorBaseESF_lENKUlvE_clEvENKUlvE_clEvEUlddE_dEEDaPvRmT3_T4_T5_mT6_P12ihipStream_tbENKUlT_T0_E_clISt17integral_constantIbLb0EESV_IbLb1EEEEDaSR_SS_EUlSR_E0_NS1_11comp_targetILNS1_3genE10ELNS1_11target_archE1201ELNS1_3gpuE5ELNS1_3repE0EEENS1_30default_config_static_selectorELNS0_4arch9wavefront6targetE1EEEvT1_
		.amdhsa_group_segment_fixed_size 0
		.amdhsa_private_segment_fixed_size 0
		.amdhsa_kernarg_size 40
		.amdhsa_user_sgpr_count 2
		.amdhsa_user_sgpr_dispatch_ptr 0
		.amdhsa_user_sgpr_queue_ptr 0
		.amdhsa_user_sgpr_kernarg_segment_ptr 1
		.amdhsa_user_sgpr_dispatch_id 0
		.amdhsa_user_sgpr_kernarg_preload_length 0
		.amdhsa_user_sgpr_kernarg_preload_offset 0
		.amdhsa_user_sgpr_private_segment_size 0
		.amdhsa_uses_dynamic_stack 0
		.amdhsa_enable_private_segment 0
		.amdhsa_system_sgpr_workgroup_id_x 1
		.amdhsa_system_sgpr_workgroup_id_y 0
		.amdhsa_system_sgpr_workgroup_id_z 0
		.amdhsa_system_sgpr_workgroup_info 0
		.amdhsa_system_vgpr_workitem_id 0
		.amdhsa_next_free_vgpr 1
		.amdhsa_next_free_sgpr 0
		.amdhsa_accum_offset 4
		.amdhsa_reserve_vcc 0
		.amdhsa_float_round_mode_32 0
		.amdhsa_float_round_mode_16_64 0
		.amdhsa_float_denorm_mode_32 3
		.amdhsa_float_denorm_mode_16_64 3
		.amdhsa_dx10_clamp 1
		.amdhsa_ieee_mode 1
		.amdhsa_fp16_overflow 0
		.amdhsa_tg_split 0
		.amdhsa_exception_fp_ieee_invalid_op 0
		.amdhsa_exception_fp_denorm_src 0
		.amdhsa_exception_fp_ieee_div_zero 0
		.amdhsa_exception_fp_ieee_overflow 0
		.amdhsa_exception_fp_ieee_underflow 0
		.amdhsa_exception_fp_ieee_inexact 0
		.amdhsa_exception_int_div_zero 0
	.end_amdhsa_kernel
	.section	.text._ZN7rocprim17ROCPRIM_400000_NS6detail17trampoline_kernelINS0_14default_configENS1_20scan_config_selectorIdEEZZNS1_9scan_implILNS1_25lookback_scan_determinismE0ELb0ELb0ES3_PKdPddZZZN2at6native31launch_logcumsumexp_cuda_kernelERKNSB_10TensorBaseESF_lENKUlvE_clEvENKUlvE_clEvEUlddE_dEEDaPvRmT3_T4_T5_mT6_P12ihipStream_tbENKUlT_T0_E_clISt17integral_constantIbLb0EESV_IbLb1EEEEDaSR_SS_EUlSR_E0_NS1_11comp_targetILNS1_3genE10ELNS1_11target_archE1201ELNS1_3gpuE5ELNS1_3repE0EEENS1_30default_config_static_selectorELNS0_4arch9wavefront6targetE1EEEvT1_,"axG",@progbits,_ZN7rocprim17ROCPRIM_400000_NS6detail17trampoline_kernelINS0_14default_configENS1_20scan_config_selectorIdEEZZNS1_9scan_implILNS1_25lookback_scan_determinismE0ELb0ELb0ES3_PKdPddZZZN2at6native31launch_logcumsumexp_cuda_kernelERKNSB_10TensorBaseESF_lENKUlvE_clEvENKUlvE_clEvEUlddE_dEEDaPvRmT3_T4_T5_mT6_P12ihipStream_tbENKUlT_T0_E_clISt17integral_constantIbLb0EESV_IbLb1EEEEDaSR_SS_EUlSR_E0_NS1_11comp_targetILNS1_3genE10ELNS1_11target_archE1201ELNS1_3gpuE5ELNS1_3repE0EEENS1_30default_config_static_selectorELNS0_4arch9wavefront6targetE1EEEvT1_,comdat
.Lfunc_end80:
	.size	_ZN7rocprim17ROCPRIM_400000_NS6detail17trampoline_kernelINS0_14default_configENS1_20scan_config_selectorIdEEZZNS1_9scan_implILNS1_25lookback_scan_determinismE0ELb0ELb0ES3_PKdPddZZZN2at6native31launch_logcumsumexp_cuda_kernelERKNSB_10TensorBaseESF_lENKUlvE_clEvENKUlvE_clEvEUlddE_dEEDaPvRmT3_T4_T5_mT6_P12ihipStream_tbENKUlT_T0_E_clISt17integral_constantIbLb0EESV_IbLb1EEEEDaSR_SS_EUlSR_E0_NS1_11comp_targetILNS1_3genE10ELNS1_11target_archE1201ELNS1_3gpuE5ELNS1_3repE0EEENS1_30default_config_static_selectorELNS0_4arch9wavefront6targetE1EEEvT1_, .Lfunc_end80-_ZN7rocprim17ROCPRIM_400000_NS6detail17trampoline_kernelINS0_14default_configENS1_20scan_config_selectorIdEEZZNS1_9scan_implILNS1_25lookback_scan_determinismE0ELb0ELb0ES3_PKdPddZZZN2at6native31launch_logcumsumexp_cuda_kernelERKNSB_10TensorBaseESF_lENKUlvE_clEvENKUlvE_clEvEUlddE_dEEDaPvRmT3_T4_T5_mT6_P12ihipStream_tbENKUlT_T0_E_clISt17integral_constantIbLb0EESV_IbLb1EEEEDaSR_SS_EUlSR_E0_NS1_11comp_targetILNS1_3genE10ELNS1_11target_archE1201ELNS1_3gpuE5ELNS1_3repE0EEENS1_30default_config_static_selectorELNS0_4arch9wavefront6targetE1EEEvT1_
                                        ; -- End function
	.set _ZN7rocprim17ROCPRIM_400000_NS6detail17trampoline_kernelINS0_14default_configENS1_20scan_config_selectorIdEEZZNS1_9scan_implILNS1_25lookback_scan_determinismE0ELb0ELb0ES3_PKdPddZZZN2at6native31launch_logcumsumexp_cuda_kernelERKNSB_10TensorBaseESF_lENKUlvE_clEvENKUlvE_clEvEUlddE_dEEDaPvRmT3_T4_T5_mT6_P12ihipStream_tbENKUlT_T0_E_clISt17integral_constantIbLb0EESV_IbLb1EEEEDaSR_SS_EUlSR_E0_NS1_11comp_targetILNS1_3genE10ELNS1_11target_archE1201ELNS1_3gpuE5ELNS1_3repE0EEENS1_30default_config_static_selectorELNS0_4arch9wavefront6targetE1EEEvT1_.num_vgpr, 0
	.set _ZN7rocprim17ROCPRIM_400000_NS6detail17trampoline_kernelINS0_14default_configENS1_20scan_config_selectorIdEEZZNS1_9scan_implILNS1_25lookback_scan_determinismE0ELb0ELb0ES3_PKdPddZZZN2at6native31launch_logcumsumexp_cuda_kernelERKNSB_10TensorBaseESF_lENKUlvE_clEvENKUlvE_clEvEUlddE_dEEDaPvRmT3_T4_T5_mT6_P12ihipStream_tbENKUlT_T0_E_clISt17integral_constantIbLb0EESV_IbLb1EEEEDaSR_SS_EUlSR_E0_NS1_11comp_targetILNS1_3genE10ELNS1_11target_archE1201ELNS1_3gpuE5ELNS1_3repE0EEENS1_30default_config_static_selectorELNS0_4arch9wavefront6targetE1EEEvT1_.num_agpr, 0
	.set _ZN7rocprim17ROCPRIM_400000_NS6detail17trampoline_kernelINS0_14default_configENS1_20scan_config_selectorIdEEZZNS1_9scan_implILNS1_25lookback_scan_determinismE0ELb0ELb0ES3_PKdPddZZZN2at6native31launch_logcumsumexp_cuda_kernelERKNSB_10TensorBaseESF_lENKUlvE_clEvENKUlvE_clEvEUlddE_dEEDaPvRmT3_T4_T5_mT6_P12ihipStream_tbENKUlT_T0_E_clISt17integral_constantIbLb0EESV_IbLb1EEEEDaSR_SS_EUlSR_E0_NS1_11comp_targetILNS1_3genE10ELNS1_11target_archE1201ELNS1_3gpuE5ELNS1_3repE0EEENS1_30default_config_static_selectorELNS0_4arch9wavefront6targetE1EEEvT1_.numbered_sgpr, 0
	.set _ZN7rocprim17ROCPRIM_400000_NS6detail17trampoline_kernelINS0_14default_configENS1_20scan_config_selectorIdEEZZNS1_9scan_implILNS1_25lookback_scan_determinismE0ELb0ELb0ES3_PKdPddZZZN2at6native31launch_logcumsumexp_cuda_kernelERKNSB_10TensorBaseESF_lENKUlvE_clEvENKUlvE_clEvEUlddE_dEEDaPvRmT3_T4_T5_mT6_P12ihipStream_tbENKUlT_T0_E_clISt17integral_constantIbLb0EESV_IbLb1EEEEDaSR_SS_EUlSR_E0_NS1_11comp_targetILNS1_3genE10ELNS1_11target_archE1201ELNS1_3gpuE5ELNS1_3repE0EEENS1_30default_config_static_selectorELNS0_4arch9wavefront6targetE1EEEvT1_.num_named_barrier, 0
	.set _ZN7rocprim17ROCPRIM_400000_NS6detail17trampoline_kernelINS0_14default_configENS1_20scan_config_selectorIdEEZZNS1_9scan_implILNS1_25lookback_scan_determinismE0ELb0ELb0ES3_PKdPddZZZN2at6native31launch_logcumsumexp_cuda_kernelERKNSB_10TensorBaseESF_lENKUlvE_clEvENKUlvE_clEvEUlddE_dEEDaPvRmT3_T4_T5_mT6_P12ihipStream_tbENKUlT_T0_E_clISt17integral_constantIbLb0EESV_IbLb1EEEEDaSR_SS_EUlSR_E0_NS1_11comp_targetILNS1_3genE10ELNS1_11target_archE1201ELNS1_3gpuE5ELNS1_3repE0EEENS1_30default_config_static_selectorELNS0_4arch9wavefront6targetE1EEEvT1_.private_seg_size, 0
	.set _ZN7rocprim17ROCPRIM_400000_NS6detail17trampoline_kernelINS0_14default_configENS1_20scan_config_selectorIdEEZZNS1_9scan_implILNS1_25lookback_scan_determinismE0ELb0ELb0ES3_PKdPddZZZN2at6native31launch_logcumsumexp_cuda_kernelERKNSB_10TensorBaseESF_lENKUlvE_clEvENKUlvE_clEvEUlddE_dEEDaPvRmT3_T4_T5_mT6_P12ihipStream_tbENKUlT_T0_E_clISt17integral_constantIbLb0EESV_IbLb1EEEEDaSR_SS_EUlSR_E0_NS1_11comp_targetILNS1_3genE10ELNS1_11target_archE1201ELNS1_3gpuE5ELNS1_3repE0EEENS1_30default_config_static_selectorELNS0_4arch9wavefront6targetE1EEEvT1_.uses_vcc, 0
	.set _ZN7rocprim17ROCPRIM_400000_NS6detail17trampoline_kernelINS0_14default_configENS1_20scan_config_selectorIdEEZZNS1_9scan_implILNS1_25lookback_scan_determinismE0ELb0ELb0ES3_PKdPddZZZN2at6native31launch_logcumsumexp_cuda_kernelERKNSB_10TensorBaseESF_lENKUlvE_clEvENKUlvE_clEvEUlddE_dEEDaPvRmT3_T4_T5_mT6_P12ihipStream_tbENKUlT_T0_E_clISt17integral_constantIbLb0EESV_IbLb1EEEEDaSR_SS_EUlSR_E0_NS1_11comp_targetILNS1_3genE10ELNS1_11target_archE1201ELNS1_3gpuE5ELNS1_3repE0EEENS1_30default_config_static_selectorELNS0_4arch9wavefront6targetE1EEEvT1_.uses_flat_scratch, 0
	.set _ZN7rocprim17ROCPRIM_400000_NS6detail17trampoline_kernelINS0_14default_configENS1_20scan_config_selectorIdEEZZNS1_9scan_implILNS1_25lookback_scan_determinismE0ELb0ELb0ES3_PKdPddZZZN2at6native31launch_logcumsumexp_cuda_kernelERKNSB_10TensorBaseESF_lENKUlvE_clEvENKUlvE_clEvEUlddE_dEEDaPvRmT3_T4_T5_mT6_P12ihipStream_tbENKUlT_T0_E_clISt17integral_constantIbLb0EESV_IbLb1EEEEDaSR_SS_EUlSR_E0_NS1_11comp_targetILNS1_3genE10ELNS1_11target_archE1201ELNS1_3gpuE5ELNS1_3repE0EEENS1_30default_config_static_selectorELNS0_4arch9wavefront6targetE1EEEvT1_.has_dyn_sized_stack, 0
	.set _ZN7rocprim17ROCPRIM_400000_NS6detail17trampoline_kernelINS0_14default_configENS1_20scan_config_selectorIdEEZZNS1_9scan_implILNS1_25lookback_scan_determinismE0ELb0ELb0ES3_PKdPddZZZN2at6native31launch_logcumsumexp_cuda_kernelERKNSB_10TensorBaseESF_lENKUlvE_clEvENKUlvE_clEvEUlddE_dEEDaPvRmT3_T4_T5_mT6_P12ihipStream_tbENKUlT_T0_E_clISt17integral_constantIbLb0EESV_IbLb1EEEEDaSR_SS_EUlSR_E0_NS1_11comp_targetILNS1_3genE10ELNS1_11target_archE1201ELNS1_3gpuE5ELNS1_3repE0EEENS1_30default_config_static_selectorELNS0_4arch9wavefront6targetE1EEEvT1_.has_recursion, 0
	.set _ZN7rocprim17ROCPRIM_400000_NS6detail17trampoline_kernelINS0_14default_configENS1_20scan_config_selectorIdEEZZNS1_9scan_implILNS1_25lookback_scan_determinismE0ELb0ELb0ES3_PKdPddZZZN2at6native31launch_logcumsumexp_cuda_kernelERKNSB_10TensorBaseESF_lENKUlvE_clEvENKUlvE_clEvEUlddE_dEEDaPvRmT3_T4_T5_mT6_P12ihipStream_tbENKUlT_T0_E_clISt17integral_constantIbLb0EESV_IbLb1EEEEDaSR_SS_EUlSR_E0_NS1_11comp_targetILNS1_3genE10ELNS1_11target_archE1201ELNS1_3gpuE5ELNS1_3repE0EEENS1_30default_config_static_selectorELNS0_4arch9wavefront6targetE1EEEvT1_.has_indirect_call, 0
	.section	.AMDGPU.csdata,"",@progbits
; Kernel info:
; codeLenInByte = 0
; TotalNumSgprs: 6
; NumVgprs: 0
; NumAgprs: 0
; TotalNumVgprs: 0
; ScratchSize: 0
; MemoryBound: 0
; FloatMode: 240
; IeeeMode: 1
; LDSByteSize: 0 bytes/workgroup (compile time only)
; SGPRBlocks: 0
; VGPRBlocks: 0
; NumSGPRsForWavesPerEU: 6
; NumVGPRsForWavesPerEU: 1
; AccumOffset: 4
; Occupancy: 8
; WaveLimiterHint : 0
; COMPUTE_PGM_RSRC2:SCRATCH_EN: 0
; COMPUTE_PGM_RSRC2:USER_SGPR: 2
; COMPUTE_PGM_RSRC2:TRAP_HANDLER: 0
; COMPUTE_PGM_RSRC2:TGID_X_EN: 1
; COMPUTE_PGM_RSRC2:TGID_Y_EN: 0
; COMPUTE_PGM_RSRC2:TGID_Z_EN: 0
; COMPUTE_PGM_RSRC2:TIDIG_COMP_CNT: 0
; COMPUTE_PGM_RSRC3_GFX90A:ACCUM_OFFSET: 0
; COMPUTE_PGM_RSRC3_GFX90A:TG_SPLIT: 0
	.section	.text._ZN7rocprim17ROCPRIM_400000_NS6detail17trampoline_kernelINS0_14default_configENS1_20scan_config_selectorIdEEZZNS1_9scan_implILNS1_25lookback_scan_determinismE0ELb0ELb0ES3_PKdPddZZZN2at6native31launch_logcumsumexp_cuda_kernelERKNSB_10TensorBaseESF_lENKUlvE_clEvENKUlvE_clEvEUlddE_dEEDaPvRmT3_T4_T5_mT6_P12ihipStream_tbENKUlT_T0_E_clISt17integral_constantIbLb0EESV_IbLb1EEEEDaSR_SS_EUlSR_E0_NS1_11comp_targetILNS1_3genE10ELNS1_11target_archE1200ELNS1_3gpuE4ELNS1_3repE0EEENS1_30default_config_static_selectorELNS0_4arch9wavefront6targetE1EEEvT1_,"axG",@progbits,_ZN7rocprim17ROCPRIM_400000_NS6detail17trampoline_kernelINS0_14default_configENS1_20scan_config_selectorIdEEZZNS1_9scan_implILNS1_25lookback_scan_determinismE0ELb0ELb0ES3_PKdPddZZZN2at6native31launch_logcumsumexp_cuda_kernelERKNSB_10TensorBaseESF_lENKUlvE_clEvENKUlvE_clEvEUlddE_dEEDaPvRmT3_T4_T5_mT6_P12ihipStream_tbENKUlT_T0_E_clISt17integral_constantIbLb0EESV_IbLb1EEEEDaSR_SS_EUlSR_E0_NS1_11comp_targetILNS1_3genE10ELNS1_11target_archE1200ELNS1_3gpuE4ELNS1_3repE0EEENS1_30default_config_static_selectorELNS0_4arch9wavefront6targetE1EEEvT1_,comdat
	.globl	_ZN7rocprim17ROCPRIM_400000_NS6detail17trampoline_kernelINS0_14default_configENS1_20scan_config_selectorIdEEZZNS1_9scan_implILNS1_25lookback_scan_determinismE0ELb0ELb0ES3_PKdPddZZZN2at6native31launch_logcumsumexp_cuda_kernelERKNSB_10TensorBaseESF_lENKUlvE_clEvENKUlvE_clEvEUlddE_dEEDaPvRmT3_T4_T5_mT6_P12ihipStream_tbENKUlT_T0_E_clISt17integral_constantIbLb0EESV_IbLb1EEEEDaSR_SS_EUlSR_E0_NS1_11comp_targetILNS1_3genE10ELNS1_11target_archE1200ELNS1_3gpuE4ELNS1_3repE0EEENS1_30default_config_static_selectorELNS0_4arch9wavefront6targetE1EEEvT1_ ; -- Begin function _ZN7rocprim17ROCPRIM_400000_NS6detail17trampoline_kernelINS0_14default_configENS1_20scan_config_selectorIdEEZZNS1_9scan_implILNS1_25lookback_scan_determinismE0ELb0ELb0ES3_PKdPddZZZN2at6native31launch_logcumsumexp_cuda_kernelERKNSB_10TensorBaseESF_lENKUlvE_clEvENKUlvE_clEvEUlddE_dEEDaPvRmT3_T4_T5_mT6_P12ihipStream_tbENKUlT_T0_E_clISt17integral_constantIbLb0EESV_IbLb1EEEEDaSR_SS_EUlSR_E0_NS1_11comp_targetILNS1_3genE10ELNS1_11target_archE1200ELNS1_3gpuE4ELNS1_3repE0EEENS1_30default_config_static_selectorELNS0_4arch9wavefront6targetE1EEEvT1_
	.p2align	8
	.type	_ZN7rocprim17ROCPRIM_400000_NS6detail17trampoline_kernelINS0_14default_configENS1_20scan_config_selectorIdEEZZNS1_9scan_implILNS1_25lookback_scan_determinismE0ELb0ELb0ES3_PKdPddZZZN2at6native31launch_logcumsumexp_cuda_kernelERKNSB_10TensorBaseESF_lENKUlvE_clEvENKUlvE_clEvEUlddE_dEEDaPvRmT3_T4_T5_mT6_P12ihipStream_tbENKUlT_T0_E_clISt17integral_constantIbLb0EESV_IbLb1EEEEDaSR_SS_EUlSR_E0_NS1_11comp_targetILNS1_3genE10ELNS1_11target_archE1200ELNS1_3gpuE4ELNS1_3repE0EEENS1_30default_config_static_selectorELNS0_4arch9wavefront6targetE1EEEvT1_,@function
_ZN7rocprim17ROCPRIM_400000_NS6detail17trampoline_kernelINS0_14default_configENS1_20scan_config_selectorIdEEZZNS1_9scan_implILNS1_25lookback_scan_determinismE0ELb0ELb0ES3_PKdPddZZZN2at6native31launch_logcumsumexp_cuda_kernelERKNSB_10TensorBaseESF_lENKUlvE_clEvENKUlvE_clEvEUlddE_dEEDaPvRmT3_T4_T5_mT6_P12ihipStream_tbENKUlT_T0_E_clISt17integral_constantIbLb0EESV_IbLb1EEEEDaSR_SS_EUlSR_E0_NS1_11comp_targetILNS1_3genE10ELNS1_11target_archE1200ELNS1_3gpuE4ELNS1_3repE0EEENS1_30default_config_static_selectorELNS0_4arch9wavefront6targetE1EEEvT1_: ; @_ZN7rocprim17ROCPRIM_400000_NS6detail17trampoline_kernelINS0_14default_configENS1_20scan_config_selectorIdEEZZNS1_9scan_implILNS1_25lookback_scan_determinismE0ELb0ELb0ES3_PKdPddZZZN2at6native31launch_logcumsumexp_cuda_kernelERKNSB_10TensorBaseESF_lENKUlvE_clEvENKUlvE_clEvEUlddE_dEEDaPvRmT3_T4_T5_mT6_P12ihipStream_tbENKUlT_T0_E_clISt17integral_constantIbLb0EESV_IbLb1EEEEDaSR_SS_EUlSR_E0_NS1_11comp_targetILNS1_3genE10ELNS1_11target_archE1200ELNS1_3gpuE4ELNS1_3repE0EEENS1_30default_config_static_selectorELNS0_4arch9wavefront6targetE1EEEvT1_
; %bb.0:
	.section	.rodata,"a",@progbits
	.p2align	6, 0x0
	.amdhsa_kernel _ZN7rocprim17ROCPRIM_400000_NS6detail17trampoline_kernelINS0_14default_configENS1_20scan_config_selectorIdEEZZNS1_9scan_implILNS1_25lookback_scan_determinismE0ELb0ELb0ES3_PKdPddZZZN2at6native31launch_logcumsumexp_cuda_kernelERKNSB_10TensorBaseESF_lENKUlvE_clEvENKUlvE_clEvEUlddE_dEEDaPvRmT3_T4_T5_mT6_P12ihipStream_tbENKUlT_T0_E_clISt17integral_constantIbLb0EESV_IbLb1EEEEDaSR_SS_EUlSR_E0_NS1_11comp_targetILNS1_3genE10ELNS1_11target_archE1200ELNS1_3gpuE4ELNS1_3repE0EEENS1_30default_config_static_selectorELNS0_4arch9wavefront6targetE1EEEvT1_
		.amdhsa_group_segment_fixed_size 0
		.amdhsa_private_segment_fixed_size 0
		.amdhsa_kernarg_size 40
		.amdhsa_user_sgpr_count 2
		.amdhsa_user_sgpr_dispatch_ptr 0
		.amdhsa_user_sgpr_queue_ptr 0
		.amdhsa_user_sgpr_kernarg_segment_ptr 1
		.amdhsa_user_sgpr_dispatch_id 0
		.amdhsa_user_sgpr_kernarg_preload_length 0
		.amdhsa_user_sgpr_kernarg_preload_offset 0
		.amdhsa_user_sgpr_private_segment_size 0
		.amdhsa_uses_dynamic_stack 0
		.amdhsa_enable_private_segment 0
		.amdhsa_system_sgpr_workgroup_id_x 1
		.amdhsa_system_sgpr_workgroup_id_y 0
		.amdhsa_system_sgpr_workgroup_id_z 0
		.amdhsa_system_sgpr_workgroup_info 0
		.amdhsa_system_vgpr_workitem_id 0
		.amdhsa_next_free_vgpr 1
		.amdhsa_next_free_sgpr 0
		.amdhsa_accum_offset 4
		.amdhsa_reserve_vcc 0
		.amdhsa_float_round_mode_32 0
		.amdhsa_float_round_mode_16_64 0
		.amdhsa_float_denorm_mode_32 3
		.amdhsa_float_denorm_mode_16_64 3
		.amdhsa_dx10_clamp 1
		.amdhsa_ieee_mode 1
		.amdhsa_fp16_overflow 0
		.amdhsa_tg_split 0
		.amdhsa_exception_fp_ieee_invalid_op 0
		.amdhsa_exception_fp_denorm_src 0
		.amdhsa_exception_fp_ieee_div_zero 0
		.amdhsa_exception_fp_ieee_overflow 0
		.amdhsa_exception_fp_ieee_underflow 0
		.amdhsa_exception_fp_ieee_inexact 0
		.amdhsa_exception_int_div_zero 0
	.end_amdhsa_kernel
	.section	.text._ZN7rocprim17ROCPRIM_400000_NS6detail17trampoline_kernelINS0_14default_configENS1_20scan_config_selectorIdEEZZNS1_9scan_implILNS1_25lookback_scan_determinismE0ELb0ELb0ES3_PKdPddZZZN2at6native31launch_logcumsumexp_cuda_kernelERKNSB_10TensorBaseESF_lENKUlvE_clEvENKUlvE_clEvEUlddE_dEEDaPvRmT3_T4_T5_mT6_P12ihipStream_tbENKUlT_T0_E_clISt17integral_constantIbLb0EESV_IbLb1EEEEDaSR_SS_EUlSR_E0_NS1_11comp_targetILNS1_3genE10ELNS1_11target_archE1200ELNS1_3gpuE4ELNS1_3repE0EEENS1_30default_config_static_selectorELNS0_4arch9wavefront6targetE1EEEvT1_,"axG",@progbits,_ZN7rocprim17ROCPRIM_400000_NS6detail17trampoline_kernelINS0_14default_configENS1_20scan_config_selectorIdEEZZNS1_9scan_implILNS1_25lookback_scan_determinismE0ELb0ELb0ES3_PKdPddZZZN2at6native31launch_logcumsumexp_cuda_kernelERKNSB_10TensorBaseESF_lENKUlvE_clEvENKUlvE_clEvEUlddE_dEEDaPvRmT3_T4_T5_mT6_P12ihipStream_tbENKUlT_T0_E_clISt17integral_constantIbLb0EESV_IbLb1EEEEDaSR_SS_EUlSR_E0_NS1_11comp_targetILNS1_3genE10ELNS1_11target_archE1200ELNS1_3gpuE4ELNS1_3repE0EEENS1_30default_config_static_selectorELNS0_4arch9wavefront6targetE1EEEvT1_,comdat
.Lfunc_end81:
	.size	_ZN7rocprim17ROCPRIM_400000_NS6detail17trampoline_kernelINS0_14default_configENS1_20scan_config_selectorIdEEZZNS1_9scan_implILNS1_25lookback_scan_determinismE0ELb0ELb0ES3_PKdPddZZZN2at6native31launch_logcumsumexp_cuda_kernelERKNSB_10TensorBaseESF_lENKUlvE_clEvENKUlvE_clEvEUlddE_dEEDaPvRmT3_T4_T5_mT6_P12ihipStream_tbENKUlT_T0_E_clISt17integral_constantIbLb0EESV_IbLb1EEEEDaSR_SS_EUlSR_E0_NS1_11comp_targetILNS1_3genE10ELNS1_11target_archE1200ELNS1_3gpuE4ELNS1_3repE0EEENS1_30default_config_static_selectorELNS0_4arch9wavefront6targetE1EEEvT1_, .Lfunc_end81-_ZN7rocprim17ROCPRIM_400000_NS6detail17trampoline_kernelINS0_14default_configENS1_20scan_config_selectorIdEEZZNS1_9scan_implILNS1_25lookback_scan_determinismE0ELb0ELb0ES3_PKdPddZZZN2at6native31launch_logcumsumexp_cuda_kernelERKNSB_10TensorBaseESF_lENKUlvE_clEvENKUlvE_clEvEUlddE_dEEDaPvRmT3_T4_T5_mT6_P12ihipStream_tbENKUlT_T0_E_clISt17integral_constantIbLb0EESV_IbLb1EEEEDaSR_SS_EUlSR_E0_NS1_11comp_targetILNS1_3genE10ELNS1_11target_archE1200ELNS1_3gpuE4ELNS1_3repE0EEENS1_30default_config_static_selectorELNS0_4arch9wavefront6targetE1EEEvT1_
                                        ; -- End function
	.set _ZN7rocprim17ROCPRIM_400000_NS6detail17trampoline_kernelINS0_14default_configENS1_20scan_config_selectorIdEEZZNS1_9scan_implILNS1_25lookback_scan_determinismE0ELb0ELb0ES3_PKdPddZZZN2at6native31launch_logcumsumexp_cuda_kernelERKNSB_10TensorBaseESF_lENKUlvE_clEvENKUlvE_clEvEUlddE_dEEDaPvRmT3_T4_T5_mT6_P12ihipStream_tbENKUlT_T0_E_clISt17integral_constantIbLb0EESV_IbLb1EEEEDaSR_SS_EUlSR_E0_NS1_11comp_targetILNS1_3genE10ELNS1_11target_archE1200ELNS1_3gpuE4ELNS1_3repE0EEENS1_30default_config_static_selectorELNS0_4arch9wavefront6targetE1EEEvT1_.num_vgpr, 0
	.set _ZN7rocprim17ROCPRIM_400000_NS6detail17trampoline_kernelINS0_14default_configENS1_20scan_config_selectorIdEEZZNS1_9scan_implILNS1_25lookback_scan_determinismE0ELb0ELb0ES3_PKdPddZZZN2at6native31launch_logcumsumexp_cuda_kernelERKNSB_10TensorBaseESF_lENKUlvE_clEvENKUlvE_clEvEUlddE_dEEDaPvRmT3_T4_T5_mT6_P12ihipStream_tbENKUlT_T0_E_clISt17integral_constantIbLb0EESV_IbLb1EEEEDaSR_SS_EUlSR_E0_NS1_11comp_targetILNS1_3genE10ELNS1_11target_archE1200ELNS1_3gpuE4ELNS1_3repE0EEENS1_30default_config_static_selectorELNS0_4arch9wavefront6targetE1EEEvT1_.num_agpr, 0
	.set _ZN7rocprim17ROCPRIM_400000_NS6detail17trampoline_kernelINS0_14default_configENS1_20scan_config_selectorIdEEZZNS1_9scan_implILNS1_25lookback_scan_determinismE0ELb0ELb0ES3_PKdPddZZZN2at6native31launch_logcumsumexp_cuda_kernelERKNSB_10TensorBaseESF_lENKUlvE_clEvENKUlvE_clEvEUlddE_dEEDaPvRmT3_T4_T5_mT6_P12ihipStream_tbENKUlT_T0_E_clISt17integral_constantIbLb0EESV_IbLb1EEEEDaSR_SS_EUlSR_E0_NS1_11comp_targetILNS1_3genE10ELNS1_11target_archE1200ELNS1_3gpuE4ELNS1_3repE0EEENS1_30default_config_static_selectorELNS0_4arch9wavefront6targetE1EEEvT1_.numbered_sgpr, 0
	.set _ZN7rocprim17ROCPRIM_400000_NS6detail17trampoline_kernelINS0_14default_configENS1_20scan_config_selectorIdEEZZNS1_9scan_implILNS1_25lookback_scan_determinismE0ELb0ELb0ES3_PKdPddZZZN2at6native31launch_logcumsumexp_cuda_kernelERKNSB_10TensorBaseESF_lENKUlvE_clEvENKUlvE_clEvEUlddE_dEEDaPvRmT3_T4_T5_mT6_P12ihipStream_tbENKUlT_T0_E_clISt17integral_constantIbLb0EESV_IbLb1EEEEDaSR_SS_EUlSR_E0_NS1_11comp_targetILNS1_3genE10ELNS1_11target_archE1200ELNS1_3gpuE4ELNS1_3repE0EEENS1_30default_config_static_selectorELNS0_4arch9wavefront6targetE1EEEvT1_.num_named_barrier, 0
	.set _ZN7rocprim17ROCPRIM_400000_NS6detail17trampoline_kernelINS0_14default_configENS1_20scan_config_selectorIdEEZZNS1_9scan_implILNS1_25lookback_scan_determinismE0ELb0ELb0ES3_PKdPddZZZN2at6native31launch_logcumsumexp_cuda_kernelERKNSB_10TensorBaseESF_lENKUlvE_clEvENKUlvE_clEvEUlddE_dEEDaPvRmT3_T4_T5_mT6_P12ihipStream_tbENKUlT_T0_E_clISt17integral_constantIbLb0EESV_IbLb1EEEEDaSR_SS_EUlSR_E0_NS1_11comp_targetILNS1_3genE10ELNS1_11target_archE1200ELNS1_3gpuE4ELNS1_3repE0EEENS1_30default_config_static_selectorELNS0_4arch9wavefront6targetE1EEEvT1_.private_seg_size, 0
	.set _ZN7rocprim17ROCPRIM_400000_NS6detail17trampoline_kernelINS0_14default_configENS1_20scan_config_selectorIdEEZZNS1_9scan_implILNS1_25lookback_scan_determinismE0ELb0ELb0ES3_PKdPddZZZN2at6native31launch_logcumsumexp_cuda_kernelERKNSB_10TensorBaseESF_lENKUlvE_clEvENKUlvE_clEvEUlddE_dEEDaPvRmT3_T4_T5_mT6_P12ihipStream_tbENKUlT_T0_E_clISt17integral_constantIbLb0EESV_IbLb1EEEEDaSR_SS_EUlSR_E0_NS1_11comp_targetILNS1_3genE10ELNS1_11target_archE1200ELNS1_3gpuE4ELNS1_3repE0EEENS1_30default_config_static_selectorELNS0_4arch9wavefront6targetE1EEEvT1_.uses_vcc, 0
	.set _ZN7rocprim17ROCPRIM_400000_NS6detail17trampoline_kernelINS0_14default_configENS1_20scan_config_selectorIdEEZZNS1_9scan_implILNS1_25lookback_scan_determinismE0ELb0ELb0ES3_PKdPddZZZN2at6native31launch_logcumsumexp_cuda_kernelERKNSB_10TensorBaseESF_lENKUlvE_clEvENKUlvE_clEvEUlddE_dEEDaPvRmT3_T4_T5_mT6_P12ihipStream_tbENKUlT_T0_E_clISt17integral_constantIbLb0EESV_IbLb1EEEEDaSR_SS_EUlSR_E0_NS1_11comp_targetILNS1_3genE10ELNS1_11target_archE1200ELNS1_3gpuE4ELNS1_3repE0EEENS1_30default_config_static_selectorELNS0_4arch9wavefront6targetE1EEEvT1_.uses_flat_scratch, 0
	.set _ZN7rocprim17ROCPRIM_400000_NS6detail17trampoline_kernelINS0_14default_configENS1_20scan_config_selectorIdEEZZNS1_9scan_implILNS1_25lookback_scan_determinismE0ELb0ELb0ES3_PKdPddZZZN2at6native31launch_logcumsumexp_cuda_kernelERKNSB_10TensorBaseESF_lENKUlvE_clEvENKUlvE_clEvEUlddE_dEEDaPvRmT3_T4_T5_mT6_P12ihipStream_tbENKUlT_T0_E_clISt17integral_constantIbLb0EESV_IbLb1EEEEDaSR_SS_EUlSR_E0_NS1_11comp_targetILNS1_3genE10ELNS1_11target_archE1200ELNS1_3gpuE4ELNS1_3repE0EEENS1_30default_config_static_selectorELNS0_4arch9wavefront6targetE1EEEvT1_.has_dyn_sized_stack, 0
	.set _ZN7rocprim17ROCPRIM_400000_NS6detail17trampoline_kernelINS0_14default_configENS1_20scan_config_selectorIdEEZZNS1_9scan_implILNS1_25lookback_scan_determinismE0ELb0ELb0ES3_PKdPddZZZN2at6native31launch_logcumsumexp_cuda_kernelERKNSB_10TensorBaseESF_lENKUlvE_clEvENKUlvE_clEvEUlddE_dEEDaPvRmT3_T4_T5_mT6_P12ihipStream_tbENKUlT_T0_E_clISt17integral_constantIbLb0EESV_IbLb1EEEEDaSR_SS_EUlSR_E0_NS1_11comp_targetILNS1_3genE10ELNS1_11target_archE1200ELNS1_3gpuE4ELNS1_3repE0EEENS1_30default_config_static_selectorELNS0_4arch9wavefront6targetE1EEEvT1_.has_recursion, 0
	.set _ZN7rocprim17ROCPRIM_400000_NS6detail17trampoline_kernelINS0_14default_configENS1_20scan_config_selectorIdEEZZNS1_9scan_implILNS1_25lookback_scan_determinismE0ELb0ELb0ES3_PKdPddZZZN2at6native31launch_logcumsumexp_cuda_kernelERKNSB_10TensorBaseESF_lENKUlvE_clEvENKUlvE_clEvEUlddE_dEEDaPvRmT3_T4_T5_mT6_P12ihipStream_tbENKUlT_T0_E_clISt17integral_constantIbLb0EESV_IbLb1EEEEDaSR_SS_EUlSR_E0_NS1_11comp_targetILNS1_3genE10ELNS1_11target_archE1200ELNS1_3gpuE4ELNS1_3repE0EEENS1_30default_config_static_selectorELNS0_4arch9wavefront6targetE1EEEvT1_.has_indirect_call, 0
	.section	.AMDGPU.csdata,"",@progbits
; Kernel info:
; codeLenInByte = 0
; TotalNumSgprs: 6
; NumVgprs: 0
; NumAgprs: 0
; TotalNumVgprs: 0
; ScratchSize: 0
; MemoryBound: 0
; FloatMode: 240
; IeeeMode: 1
; LDSByteSize: 0 bytes/workgroup (compile time only)
; SGPRBlocks: 0
; VGPRBlocks: 0
; NumSGPRsForWavesPerEU: 6
; NumVGPRsForWavesPerEU: 1
; AccumOffset: 4
; Occupancy: 8
; WaveLimiterHint : 0
; COMPUTE_PGM_RSRC2:SCRATCH_EN: 0
; COMPUTE_PGM_RSRC2:USER_SGPR: 2
; COMPUTE_PGM_RSRC2:TRAP_HANDLER: 0
; COMPUTE_PGM_RSRC2:TGID_X_EN: 1
; COMPUTE_PGM_RSRC2:TGID_Y_EN: 0
; COMPUTE_PGM_RSRC2:TGID_Z_EN: 0
; COMPUTE_PGM_RSRC2:TIDIG_COMP_CNT: 0
; COMPUTE_PGM_RSRC3_GFX90A:ACCUM_OFFSET: 0
; COMPUTE_PGM_RSRC3_GFX90A:TG_SPLIT: 0
	.section	.text._ZN7rocprim17ROCPRIM_400000_NS6detail17trampoline_kernelINS0_14default_configENS1_20scan_config_selectorIdEEZZNS1_9scan_implILNS1_25lookback_scan_determinismE0ELb0ELb0ES3_PKdPddZZZN2at6native31launch_logcumsumexp_cuda_kernelERKNSB_10TensorBaseESF_lENKUlvE_clEvENKUlvE_clEvEUlddE_dEEDaPvRmT3_T4_T5_mT6_P12ihipStream_tbENKUlT_T0_E_clISt17integral_constantIbLb0EESV_IbLb1EEEEDaSR_SS_EUlSR_E0_NS1_11comp_targetILNS1_3genE9ELNS1_11target_archE1100ELNS1_3gpuE3ELNS1_3repE0EEENS1_30default_config_static_selectorELNS0_4arch9wavefront6targetE1EEEvT1_,"axG",@progbits,_ZN7rocprim17ROCPRIM_400000_NS6detail17trampoline_kernelINS0_14default_configENS1_20scan_config_selectorIdEEZZNS1_9scan_implILNS1_25lookback_scan_determinismE0ELb0ELb0ES3_PKdPddZZZN2at6native31launch_logcumsumexp_cuda_kernelERKNSB_10TensorBaseESF_lENKUlvE_clEvENKUlvE_clEvEUlddE_dEEDaPvRmT3_T4_T5_mT6_P12ihipStream_tbENKUlT_T0_E_clISt17integral_constantIbLb0EESV_IbLb1EEEEDaSR_SS_EUlSR_E0_NS1_11comp_targetILNS1_3genE9ELNS1_11target_archE1100ELNS1_3gpuE3ELNS1_3repE0EEENS1_30default_config_static_selectorELNS0_4arch9wavefront6targetE1EEEvT1_,comdat
	.globl	_ZN7rocprim17ROCPRIM_400000_NS6detail17trampoline_kernelINS0_14default_configENS1_20scan_config_selectorIdEEZZNS1_9scan_implILNS1_25lookback_scan_determinismE0ELb0ELb0ES3_PKdPddZZZN2at6native31launch_logcumsumexp_cuda_kernelERKNSB_10TensorBaseESF_lENKUlvE_clEvENKUlvE_clEvEUlddE_dEEDaPvRmT3_T4_T5_mT6_P12ihipStream_tbENKUlT_T0_E_clISt17integral_constantIbLb0EESV_IbLb1EEEEDaSR_SS_EUlSR_E0_NS1_11comp_targetILNS1_3genE9ELNS1_11target_archE1100ELNS1_3gpuE3ELNS1_3repE0EEENS1_30default_config_static_selectorELNS0_4arch9wavefront6targetE1EEEvT1_ ; -- Begin function _ZN7rocprim17ROCPRIM_400000_NS6detail17trampoline_kernelINS0_14default_configENS1_20scan_config_selectorIdEEZZNS1_9scan_implILNS1_25lookback_scan_determinismE0ELb0ELb0ES3_PKdPddZZZN2at6native31launch_logcumsumexp_cuda_kernelERKNSB_10TensorBaseESF_lENKUlvE_clEvENKUlvE_clEvEUlddE_dEEDaPvRmT3_T4_T5_mT6_P12ihipStream_tbENKUlT_T0_E_clISt17integral_constantIbLb0EESV_IbLb1EEEEDaSR_SS_EUlSR_E0_NS1_11comp_targetILNS1_3genE9ELNS1_11target_archE1100ELNS1_3gpuE3ELNS1_3repE0EEENS1_30default_config_static_selectorELNS0_4arch9wavefront6targetE1EEEvT1_
	.p2align	8
	.type	_ZN7rocprim17ROCPRIM_400000_NS6detail17trampoline_kernelINS0_14default_configENS1_20scan_config_selectorIdEEZZNS1_9scan_implILNS1_25lookback_scan_determinismE0ELb0ELb0ES3_PKdPddZZZN2at6native31launch_logcumsumexp_cuda_kernelERKNSB_10TensorBaseESF_lENKUlvE_clEvENKUlvE_clEvEUlddE_dEEDaPvRmT3_T4_T5_mT6_P12ihipStream_tbENKUlT_T0_E_clISt17integral_constantIbLb0EESV_IbLb1EEEEDaSR_SS_EUlSR_E0_NS1_11comp_targetILNS1_3genE9ELNS1_11target_archE1100ELNS1_3gpuE3ELNS1_3repE0EEENS1_30default_config_static_selectorELNS0_4arch9wavefront6targetE1EEEvT1_,@function
_ZN7rocprim17ROCPRIM_400000_NS6detail17trampoline_kernelINS0_14default_configENS1_20scan_config_selectorIdEEZZNS1_9scan_implILNS1_25lookback_scan_determinismE0ELb0ELb0ES3_PKdPddZZZN2at6native31launch_logcumsumexp_cuda_kernelERKNSB_10TensorBaseESF_lENKUlvE_clEvENKUlvE_clEvEUlddE_dEEDaPvRmT3_T4_T5_mT6_P12ihipStream_tbENKUlT_T0_E_clISt17integral_constantIbLb0EESV_IbLb1EEEEDaSR_SS_EUlSR_E0_NS1_11comp_targetILNS1_3genE9ELNS1_11target_archE1100ELNS1_3gpuE3ELNS1_3repE0EEENS1_30default_config_static_selectorELNS0_4arch9wavefront6targetE1EEEvT1_: ; @_ZN7rocprim17ROCPRIM_400000_NS6detail17trampoline_kernelINS0_14default_configENS1_20scan_config_selectorIdEEZZNS1_9scan_implILNS1_25lookback_scan_determinismE0ELb0ELb0ES3_PKdPddZZZN2at6native31launch_logcumsumexp_cuda_kernelERKNSB_10TensorBaseESF_lENKUlvE_clEvENKUlvE_clEvEUlddE_dEEDaPvRmT3_T4_T5_mT6_P12ihipStream_tbENKUlT_T0_E_clISt17integral_constantIbLb0EESV_IbLb1EEEEDaSR_SS_EUlSR_E0_NS1_11comp_targetILNS1_3genE9ELNS1_11target_archE1100ELNS1_3gpuE3ELNS1_3repE0EEENS1_30default_config_static_selectorELNS0_4arch9wavefront6targetE1EEEvT1_
; %bb.0:
	.section	.rodata,"a",@progbits
	.p2align	6, 0x0
	.amdhsa_kernel _ZN7rocprim17ROCPRIM_400000_NS6detail17trampoline_kernelINS0_14default_configENS1_20scan_config_selectorIdEEZZNS1_9scan_implILNS1_25lookback_scan_determinismE0ELb0ELb0ES3_PKdPddZZZN2at6native31launch_logcumsumexp_cuda_kernelERKNSB_10TensorBaseESF_lENKUlvE_clEvENKUlvE_clEvEUlddE_dEEDaPvRmT3_T4_T5_mT6_P12ihipStream_tbENKUlT_T0_E_clISt17integral_constantIbLb0EESV_IbLb1EEEEDaSR_SS_EUlSR_E0_NS1_11comp_targetILNS1_3genE9ELNS1_11target_archE1100ELNS1_3gpuE3ELNS1_3repE0EEENS1_30default_config_static_selectorELNS0_4arch9wavefront6targetE1EEEvT1_
		.amdhsa_group_segment_fixed_size 0
		.amdhsa_private_segment_fixed_size 0
		.amdhsa_kernarg_size 40
		.amdhsa_user_sgpr_count 2
		.amdhsa_user_sgpr_dispatch_ptr 0
		.amdhsa_user_sgpr_queue_ptr 0
		.amdhsa_user_sgpr_kernarg_segment_ptr 1
		.amdhsa_user_sgpr_dispatch_id 0
		.amdhsa_user_sgpr_kernarg_preload_length 0
		.amdhsa_user_sgpr_kernarg_preload_offset 0
		.amdhsa_user_sgpr_private_segment_size 0
		.amdhsa_uses_dynamic_stack 0
		.amdhsa_enable_private_segment 0
		.amdhsa_system_sgpr_workgroup_id_x 1
		.amdhsa_system_sgpr_workgroup_id_y 0
		.amdhsa_system_sgpr_workgroup_id_z 0
		.amdhsa_system_sgpr_workgroup_info 0
		.amdhsa_system_vgpr_workitem_id 0
		.amdhsa_next_free_vgpr 1
		.amdhsa_next_free_sgpr 0
		.amdhsa_accum_offset 4
		.amdhsa_reserve_vcc 0
		.amdhsa_float_round_mode_32 0
		.amdhsa_float_round_mode_16_64 0
		.amdhsa_float_denorm_mode_32 3
		.amdhsa_float_denorm_mode_16_64 3
		.amdhsa_dx10_clamp 1
		.amdhsa_ieee_mode 1
		.amdhsa_fp16_overflow 0
		.amdhsa_tg_split 0
		.amdhsa_exception_fp_ieee_invalid_op 0
		.amdhsa_exception_fp_denorm_src 0
		.amdhsa_exception_fp_ieee_div_zero 0
		.amdhsa_exception_fp_ieee_overflow 0
		.amdhsa_exception_fp_ieee_underflow 0
		.amdhsa_exception_fp_ieee_inexact 0
		.amdhsa_exception_int_div_zero 0
	.end_amdhsa_kernel
	.section	.text._ZN7rocprim17ROCPRIM_400000_NS6detail17trampoline_kernelINS0_14default_configENS1_20scan_config_selectorIdEEZZNS1_9scan_implILNS1_25lookback_scan_determinismE0ELb0ELb0ES3_PKdPddZZZN2at6native31launch_logcumsumexp_cuda_kernelERKNSB_10TensorBaseESF_lENKUlvE_clEvENKUlvE_clEvEUlddE_dEEDaPvRmT3_T4_T5_mT6_P12ihipStream_tbENKUlT_T0_E_clISt17integral_constantIbLb0EESV_IbLb1EEEEDaSR_SS_EUlSR_E0_NS1_11comp_targetILNS1_3genE9ELNS1_11target_archE1100ELNS1_3gpuE3ELNS1_3repE0EEENS1_30default_config_static_selectorELNS0_4arch9wavefront6targetE1EEEvT1_,"axG",@progbits,_ZN7rocprim17ROCPRIM_400000_NS6detail17trampoline_kernelINS0_14default_configENS1_20scan_config_selectorIdEEZZNS1_9scan_implILNS1_25lookback_scan_determinismE0ELb0ELb0ES3_PKdPddZZZN2at6native31launch_logcumsumexp_cuda_kernelERKNSB_10TensorBaseESF_lENKUlvE_clEvENKUlvE_clEvEUlddE_dEEDaPvRmT3_T4_T5_mT6_P12ihipStream_tbENKUlT_T0_E_clISt17integral_constantIbLb0EESV_IbLb1EEEEDaSR_SS_EUlSR_E0_NS1_11comp_targetILNS1_3genE9ELNS1_11target_archE1100ELNS1_3gpuE3ELNS1_3repE0EEENS1_30default_config_static_selectorELNS0_4arch9wavefront6targetE1EEEvT1_,comdat
.Lfunc_end82:
	.size	_ZN7rocprim17ROCPRIM_400000_NS6detail17trampoline_kernelINS0_14default_configENS1_20scan_config_selectorIdEEZZNS1_9scan_implILNS1_25lookback_scan_determinismE0ELb0ELb0ES3_PKdPddZZZN2at6native31launch_logcumsumexp_cuda_kernelERKNSB_10TensorBaseESF_lENKUlvE_clEvENKUlvE_clEvEUlddE_dEEDaPvRmT3_T4_T5_mT6_P12ihipStream_tbENKUlT_T0_E_clISt17integral_constantIbLb0EESV_IbLb1EEEEDaSR_SS_EUlSR_E0_NS1_11comp_targetILNS1_3genE9ELNS1_11target_archE1100ELNS1_3gpuE3ELNS1_3repE0EEENS1_30default_config_static_selectorELNS0_4arch9wavefront6targetE1EEEvT1_, .Lfunc_end82-_ZN7rocprim17ROCPRIM_400000_NS6detail17trampoline_kernelINS0_14default_configENS1_20scan_config_selectorIdEEZZNS1_9scan_implILNS1_25lookback_scan_determinismE0ELb0ELb0ES3_PKdPddZZZN2at6native31launch_logcumsumexp_cuda_kernelERKNSB_10TensorBaseESF_lENKUlvE_clEvENKUlvE_clEvEUlddE_dEEDaPvRmT3_T4_T5_mT6_P12ihipStream_tbENKUlT_T0_E_clISt17integral_constantIbLb0EESV_IbLb1EEEEDaSR_SS_EUlSR_E0_NS1_11comp_targetILNS1_3genE9ELNS1_11target_archE1100ELNS1_3gpuE3ELNS1_3repE0EEENS1_30default_config_static_selectorELNS0_4arch9wavefront6targetE1EEEvT1_
                                        ; -- End function
	.set _ZN7rocprim17ROCPRIM_400000_NS6detail17trampoline_kernelINS0_14default_configENS1_20scan_config_selectorIdEEZZNS1_9scan_implILNS1_25lookback_scan_determinismE0ELb0ELb0ES3_PKdPddZZZN2at6native31launch_logcumsumexp_cuda_kernelERKNSB_10TensorBaseESF_lENKUlvE_clEvENKUlvE_clEvEUlddE_dEEDaPvRmT3_T4_T5_mT6_P12ihipStream_tbENKUlT_T0_E_clISt17integral_constantIbLb0EESV_IbLb1EEEEDaSR_SS_EUlSR_E0_NS1_11comp_targetILNS1_3genE9ELNS1_11target_archE1100ELNS1_3gpuE3ELNS1_3repE0EEENS1_30default_config_static_selectorELNS0_4arch9wavefront6targetE1EEEvT1_.num_vgpr, 0
	.set _ZN7rocprim17ROCPRIM_400000_NS6detail17trampoline_kernelINS0_14default_configENS1_20scan_config_selectorIdEEZZNS1_9scan_implILNS1_25lookback_scan_determinismE0ELb0ELb0ES3_PKdPddZZZN2at6native31launch_logcumsumexp_cuda_kernelERKNSB_10TensorBaseESF_lENKUlvE_clEvENKUlvE_clEvEUlddE_dEEDaPvRmT3_T4_T5_mT6_P12ihipStream_tbENKUlT_T0_E_clISt17integral_constantIbLb0EESV_IbLb1EEEEDaSR_SS_EUlSR_E0_NS1_11comp_targetILNS1_3genE9ELNS1_11target_archE1100ELNS1_3gpuE3ELNS1_3repE0EEENS1_30default_config_static_selectorELNS0_4arch9wavefront6targetE1EEEvT1_.num_agpr, 0
	.set _ZN7rocprim17ROCPRIM_400000_NS6detail17trampoline_kernelINS0_14default_configENS1_20scan_config_selectorIdEEZZNS1_9scan_implILNS1_25lookback_scan_determinismE0ELb0ELb0ES3_PKdPddZZZN2at6native31launch_logcumsumexp_cuda_kernelERKNSB_10TensorBaseESF_lENKUlvE_clEvENKUlvE_clEvEUlddE_dEEDaPvRmT3_T4_T5_mT6_P12ihipStream_tbENKUlT_T0_E_clISt17integral_constantIbLb0EESV_IbLb1EEEEDaSR_SS_EUlSR_E0_NS1_11comp_targetILNS1_3genE9ELNS1_11target_archE1100ELNS1_3gpuE3ELNS1_3repE0EEENS1_30default_config_static_selectorELNS0_4arch9wavefront6targetE1EEEvT1_.numbered_sgpr, 0
	.set _ZN7rocprim17ROCPRIM_400000_NS6detail17trampoline_kernelINS0_14default_configENS1_20scan_config_selectorIdEEZZNS1_9scan_implILNS1_25lookback_scan_determinismE0ELb0ELb0ES3_PKdPddZZZN2at6native31launch_logcumsumexp_cuda_kernelERKNSB_10TensorBaseESF_lENKUlvE_clEvENKUlvE_clEvEUlddE_dEEDaPvRmT3_T4_T5_mT6_P12ihipStream_tbENKUlT_T0_E_clISt17integral_constantIbLb0EESV_IbLb1EEEEDaSR_SS_EUlSR_E0_NS1_11comp_targetILNS1_3genE9ELNS1_11target_archE1100ELNS1_3gpuE3ELNS1_3repE0EEENS1_30default_config_static_selectorELNS0_4arch9wavefront6targetE1EEEvT1_.num_named_barrier, 0
	.set _ZN7rocprim17ROCPRIM_400000_NS6detail17trampoline_kernelINS0_14default_configENS1_20scan_config_selectorIdEEZZNS1_9scan_implILNS1_25lookback_scan_determinismE0ELb0ELb0ES3_PKdPddZZZN2at6native31launch_logcumsumexp_cuda_kernelERKNSB_10TensorBaseESF_lENKUlvE_clEvENKUlvE_clEvEUlddE_dEEDaPvRmT3_T4_T5_mT6_P12ihipStream_tbENKUlT_T0_E_clISt17integral_constantIbLb0EESV_IbLb1EEEEDaSR_SS_EUlSR_E0_NS1_11comp_targetILNS1_3genE9ELNS1_11target_archE1100ELNS1_3gpuE3ELNS1_3repE0EEENS1_30default_config_static_selectorELNS0_4arch9wavefront6targetE1EEEvT1_.private_seg_size, 0
	.set _ZN7rocprim17ROCPRIM_400000_NS6detail17trampoline_kernelINS0_14default_configENS1_20scan_config_selectorIdEEZZNS1_9scan_implILNS1_25lookback_scan_determinismE0ELb0ELb0ES3_PKdPddZZZN2at6native31launch_logcumsumexp_cuda_kernelERKNSB_10TensorBaseESF_lENKUlvE_clEvENKUlvE_clEvEUlddE_dEEDaPvRmT3_T4_T5_mT6_P12ihipStream_tbENKUlT_T0_E_clISt17integral_constantIbLb0EESV_IbLb1EEEEDaSR_SS_EUlSR_E0_NS1_11comp_targetILNS1_3genE9ELNS1_11target_archE1100ELNS1_3gpuE3ELNS1_3repE0EEENS1_30default_config_static_selectorELNS0_4arch9wavefront6targetE1EEEvT1_.uses_vcc, 0
	.set _ZN7rocprim17ROCPRIM_400000_NS6detail17trampoline_kernelINS0_14default_configENS1_20scan_config_selectorIdEEZZNS1_9scan_implILNS1_25lookback_scan_determinismE0ELb0ELb0ES3_PKdPddZZZN2at6native31launch_logcumsumexp_cuda_kernelERKNSB_10TensorBaseESF_lENKUlvE_clEvENKUlvE_clEvEUlddE_dEEDaPvRmT3_T4_T5_mT6_P12ihipStream_tbENKUlT_T0_E_clISt17integral_constantIbLb0EESV_IbLb1EEEEDaSR_SS_EUlSR_E0_NS1_11comp_targetILNS1_3genE9ELNS1_11target_archE1100ELNS1_3gpuE3ELNS1_3repE0EEENS1_30default_config_static_selectorELNS0_4arch9wavefront6targetE1EEEvT1_.uses_flat_scratch, 0
	.set _ZN7rocprim17ROCPRIM_400000_NS6detail17trampoline_kernelINS0_14default_configENS1_20scan_config_selectorIdEEZZNS1_9scan_implILNS1_25lookback_scan_determinismE0ELb0ELb0ES3_PKdPddZZZN2at6native31launch_logcumsumexp_cuda_kernelERKNSB_10TensorBaseESF_lENKUlvE_clEvENKUlvE_clEvEUlddE_dEEDaPvRmT3_T4_T5_mT6_P12ihipStream_tbENKUlT_T0_E_clISt17integral_constantIbLb0EESV_IbLb1EEEEDaSR_SS_EUlSR_E0_NS1_11comp_targetILNS1_3genE9ELNS1_11target_archE1100ELNS1_3gpuE3ELNS1_3repE0EEENS1_30default_config_static_selectorELNS0_4arch9wavefront6targetE1EEEvT1_.has_dyn_sized_stack, 0
	.set _ZN7rocprim17ROCPRIM_400000_NS6detail17trampoline_kernelINS0_14default_configENS1_20scan_config_selectorIdEEZZNS1_9scan_implILNS1_25lookback_scan_determinismE0ELb0ELb0ES3_PKdPddZZZN2at6native31launch_logcumsumexp_cuda_kernelERKNSB_10TensorBaseESF_lENKUlvE_clEvENKUlvE_clEvEUlddE_dEEDaPvRmT3_T4_T5_mT6_P12ihipStream_tbENKUlT_T0_E_clISt17integral_constantIbLb0EESV_IbLb1EEEEDaSR_SS_EUlSR_E0_NS1_11comp_targetILNS1_3genE9ELNS1_11target_archE1100ELNS1_3gpuE3ELNS1_3repE0EEENS1_30default_config_static_selectorELNS0_4arch9wavefront6targetE1EEEvT1_.has_recursion, 0
	.set _ZN7rocprim17ROCPRIM_400000_NS6detail17trampoline_kernelINS0_14default_configENS1_20scan_config_selectorIdEEZZNS1_9scan_implILNS1_25lookback_scan_determinismE0ELb0ELb0ES3_PKdPddZZZN2at6native31launch_logcumsumexp_cuda_kernelERKNSB_10TensorBaseESF_lENKUlvE_clEvENKUlvE_clEvEUlddE_dEEDaPvRmT3_T4_T5_mT6_P12ihipStream_tbENKUlT_T0_E_clISt17integral_constantIbLb0EESV_IbLb1EEEEDaSR_SS_EUlSR_E0_NS1_11comp_targetILNS1_3genE9ELNS1_11target_archE1100ELNS1_3gpuE3ELNS1_3repE0EEENS1_30default_config_static_selectorELNS0_4arch9wavefront6targetE1EEEvT1_.has_indirect_call, 0
	.section	.AMDGPU.csdata,"",@progbits
; Kernel info:
; codeLenInByte = 0
; TotalNumSgprs: 6
; NumVgprs: 0
; NumAgprs: 0
; TotalNumVgprs: 0
; ScratchSize: 0
; MemoryBound: 0
; FloatMode: 240
; IeeeMode: 1
; LDSByteSize: 0 bytes/workgroup (compile time only)
; SGPRBlocks: 0
; VGPRBlocks: 0
; NumSGPRsForWavesPerEU: 6
; NumVGPRsForWavesPerEU: 1
; AccumOffset: 4
; Occupancy: 8
; WaveLimiterHint : 0
; COMPUTE_PGM_RSRC2:SCRATCH_EN: 0
; COMPUTE_PGM_RSRC2:USER_SGPR: 2
; COMPUTE_PGM_RSRC2:TRAP_HANDLER: 0
; COMPUTE_PGM_RSRC2:TGID_X_EN: 1
; COMPUTE_PGM_RSRC2:TGID_Y_EN: 0
; COMPUTE_PGM_RSRC2:TGID_Z_EN: 0
; COMPUTE_PGM_RSRC2:TIDIG_COMP_CNT: 0
; COMPUTE_PGM_RSRC3_GFX90A:ACCUM_OFFSET: 0
; COMPUTE_PGM_RSRC3_GFX90A:TG_SPLIT: 0
	.section	.text._ZN7rocprim17ROCPRIM_400000_NS6detail17trampoline_kernelINS0_14default_configENS1_20scan_config_selectorIdEEZZNS1_9scan_implILNS1_25lookback_scan_determinismE0ELb0ELb0ES3_PKdPddZZZN2at6native31launch_logcumsumexp_cuda_kernelERKNSB_10TensorBaseESF_lENKUlvE_clEvENKUlvE_clEvEUlddE_dEEDaPvRmT3_T4_T5_mT6_P12ihipStream_tbENKUlT_T0_E_clISt17integral_constantIbLb0EESV_IbLb1EEEEDaSR_SS_EUlSR_E0_NS1_11comp_targetILNS1_3genE8ELNS1_11target_archE1030ELNS1_3gpuE2ELNS1_3repE0EEENS1_30default_config_static_selectorELNS0_4arch9wavefront6targetE1EEEvT1_,"axG",@progbits,_ZN7rocprim17ROCPRIM_400000_NS6detail17trampoline_kernelINS0_14default_configENS1_20scan_config_selectorIdEEZZNS1_9scan_implILNS1_25lookback_scan_determinismE0ELb0ELb0ES3_PKdPddZZZN2at6native31launch_logcumsumexp_cuda_kernelERKNSB_10TensorBaseESF_lENKUlvE_clEvENKUlvE_clEvEUlddE_dEEDaPvRmT3_T4_T5_mT6_P12ihipStream_tbENKUlT_T0_E_clISt17integral_constantIbLb0EESV_IbLb1EEEEDaSR_SS_EUlSR_E0_NS1_11comp_targetILNS1_3genE8ELNS1_11target_archE1030ELNS1_3gpuE2ELNS1_3repE0EEENS1_30default_config_static_selectorELNS0_4arch9wavefront6targetE1EEEvT1_,comdat
	.globl	_ZN7rocprim17ROCPRIM_400000_NS6detail17trampoline_kernelINS0_14default_configENS1_20scan_config_selectorIdEEZZNS1_9scan_implILNS1_25lookback_scan_determinismE0ELb0ELb0ES3_PKdPddZZZN2at6native31launch_logcumsumexp_cuda_kernelERKNSB_10TensorBaseESF_lENKUlvE_clEvENKUlvE_clEvEUlddE_dEEDaPvRmT3_T4_T5_mT6_P12ihipStream_tbENKUlT_T0_E_clISt17integral_constantIbLb0EESV_IbLb1EEEEDaSR_SS_EUlSR_E0_NS1_11comp_targetILNS1_3genE8ELNS1_11target_archE1030ELNS1_3gpuE2ELNS1_3repE0EEENS1_30default_config_static_selectorELNS0_4arch9wavefront6targetE1EEEvT1_ ; -- Begin function _ZN7rocprim17ROCPRIM_400000_NS6detail17trampoline_kernelINS0_14default_configENS1_20scan_config_selectorIdEEZZNS1_9scan_implILNS1_25lookback_scan_determinismE0ELb0ELb0ES3_PKdPddZZZN2at6native31launch_logcumsumexp_cuda_kernelERKNSB_10TensorBaseESF_lENKUlvE_clEvENKUlvE_clEvEUlddE_dEEDaPvRmT3_T4_T5_mT6_P12ihipStream_tbENKUlT_T0_E_clISt17integral_constantIbLb0EESV_IbLb1EEEEDaSR_SS_EUlSR_E0_NS1_11comp_targetILNS1_3genE8ELNS1_11target_archE1030ELNS1_3gpuE2ELNS1_3repE0EEENS1_30default_config_static_selectorELNS0_4arch9wavefront6targetE1EEEvT1_
	.p2align	8
	.type	_ZN7rocprim17ROCPRIM_400000_NS6detail17trampoline_kernelINS0_14default_configENS1_20scan_config_selectorIdEEZZNS1_9scan_implILNS1_25lookback_scan_determinismE0ELb0ELb0ES3_PKdPddZZZN2at6native31launch_logcumsumexp_cuda_kernelERKNSB_10TensorBaseESF_lENKUlvE_clEvENKUlvE_clEvEUlddE_dEEDaPvRmT3_T4_T5_mT6_P12ihipStream_tbENKUlT_T0_E_clISt17integral_constantIbLb0EESV_IbLb1EEEEDaSR_SS_EUlSR_E0_NS1_11comp_targetILNS1_3genE8ELNS1_11target_archE1030ELNS1_3gpuE2ELNS1_3repE0EEENS1_30default_config_static_selectorELNS0_4arch9wavefront6targetE1EEEvT1_,@function
_ZN7rocprim17ROCPRIM_400000_NS6detail17trampoline_kernelINS0_14default_configENS1_20scan_config_selectorIdEEZZNS1_9scan_implILNS1_25lookback_scan_determinismE0ELb0ELb0ES3_PKdPddZZZN2at6native31launch_logcumsumexp_cuda_kernelERKNSB_10TensorBaseESF_lENKUlvE_clEvENKUlvE_clEvEUlddE_dEEDaPvRmT3_T4_T5_mT6_P12ihipStream_tbENKUlT_T0_E_clISt17integral_constantIbLb0EESV_IbLb1EEEEDaSR_SS_EUlSR_E0_NS1_11comp_targetILNS1_3genE8ELNS1_11target_archE1030ELNS1_3gpuE2ELNS1_3repE0EEENS1_30default_config_static_selectorELNS0_4arch9wavefront6targetE1EEEvT1_: ; @_ZN7rocprim17ROCPRIM_400000_NS6detail17trampoline_kernelINS0_14default_configENS1_20scan_config_selectorIdEEZZNS1_9scan_implILNS1_25lookback_scan_determinismE0ELb0ELb0ES3_PKdPddZZZN2at6native31launch_logcumsumexp_cuda_kernelERKNSB_10TensorBaseESF_lENKUlvE_clEvENKUlvE_clEvEUlddE_dEEDaPvRmT3_T4_T5_mT6_P12ihipStream_tbENKUlT_T0_E_clISt17integral_constantIbLb0EESV_IbLb1EEEEDaSR_SS_EUlSR_E0_NS1_11comp_targetILNS1_3genE8ELNS1_11target_archE1030ELNS1_3gpuE2ELNS1_3repE0EEENS1_30default_config_static_selectorELNS0_4arch9wavefront6targetE1EEEvT1_
; %bb.0:
	.section	.rodata,"a",@progbits
	.p2align	6, 0x0
	.amdhsa_kernel _ZN7rocprim17ROCPRIM_400000_NS6detail17trampoline_kernelINS0_14default_configENS1_20scan_config_selectorIdEEZZNS1_9scan_implILNS1_25lookback_scan_determinismE0ELb0ELb0ES3_PKdPddZZZN2at6native31launch_logcumsumexp_cuda_kernelERKNSB_10TensorBaseESF_lENKUlvE_clEvENKUlvE_clEvEUlddE_dEEDaPvRmT3_T4_T5_mT6_P12ihipStream_tbENKUlT_T0_E_clISt17integral_constantIbLb0EESV_IbLb1EEEEDaSR_SS_EUlSR_E0_NS1_11comp_targetILNS1_3genE8ELNS1_11target_archE1030ELNS1_3gpuE2ELNS1_3repE0EEENS1_30default_config_static_selectorELNS0_4arch9wavefront6targetE1EEEvT1_
		.amdhsa_group_segment_fixed_size 0
		.amdhsa_private_segment_fixed_size 0
		.amdhsa_kernarg_size 40
		.amdhsa_user_sgpr_count 2
		.amdhsa_user_sgpr_dispatch_ptr 0
		.amdhsa_user_sgpr_queue_ptr 0
		.amdhsa_user_sgpr_kernarg_segment_ptr 1
		.amdhsa_user_sgpr_dispatch_id 0
		.amdhsa_user_sgpr_kernarg_preload_length 0
		.amdhsa_user_sgpr_kernarg_preload_offset 0
		.amdhsa_user_sgpr_private_segment_size 0
		.amdhsa_uses_dynamic_stack 0
		.amdhsa_enable_private_segment 0
		.amdhsa_system_sgpr_workgroup_id_x 1
		.amdhsa_system_sgpr_workgroup_id_y 0
		.amdhsa_system_sgpr_workgroup_id_z 0
		.amdhsa_system_sgpr_workgroup_info 0
		.amdhsa_system_vgpr_workitem_id 0
		.amdhsa_next_free_vgpr 1
		.amdhsa_next_free_sgpr 0
		.amdhsa_accum_offset 4
		.amdhsa_reserve_vcc 0
		.amdhsa_float_round_mode_32 0
		.amdhsa_float_round_mode_16_64 0
		.amdhsa_float_denorm_mode_32 3
		.amdhsa_float_denorm_mode_16_64 3
		.amdhsa_dx10_clamp 1
		.amdhsa_ieee_mode 1
		.amdhsa_fp16_overflow 0
		.amdhsa_tg_split 0
		.amdhsa_exception_fp_ieee_invalid_op 0
		.amdhsa_exception_fp_denorm_src 0
		.amdhsa_exception_fp_ieee_div_zero 0
		.amdhsa_exception_fp_ieee_overflow 0
		.amdhsa_exception_fp_ieee_underflow 0
		.amdhsa_exception_fp_ieee_inexact 0
		.amdhsa_exception_int_div_zero 0
	.end_amdhsa_kernel
	.section	.text._ZN7rocprim17ROCPRIM_400000_NS6detail17trampoline_kernelINS0_14default_configENS1_20scan_config_selectorIdEEZZNS1_9scan_implILNS1_25lookback_scan_determinismE0ELb0ELb0ES3_PKdPddZZZN2at6native31launch_logcumsumexp_cuda_kernelERKNSB_10TensorBaseESF_lENKUlvE_clEvENKUlvE_clEvEUlddE_dEEDaPvRmT3_T4_T5_mT6_P12ihipStream_tbENKUlT_T0_E_clISt17integral_constantIbLb0EESV_IbLb1EEEEDaSR_SS_EUlSR_E0_NS1_11comp_targetILNS1_3genE8ELNS1_11target_archE1030ELNS1_3gpuE2ELNS1_3repE0EEENS1_30default_config_static_selectorELNS0_4arch9wavefront6targetE1EEEvT1_,"axG",@progbits,_ZN7rocprim17ROCPRIM_400000_NS6detail17trampoline_kernelINS0_14default_configENS1_20scan_config_selectorIdEEZZNS1_9scan_implILNS1_25lookback_scan_determinismE0ELb0ELb0ES3_PKdPddZZZN2at6native31launch_logcumsumexp_cuda_kernelERKNSB_10TensorBaseESF_lENKUlvE_clEvENKUlvE_clEvEUlddE_dEEDaPvRmT3_T4_T5_mT6_P12ihipStream_tbENKUlT_T0_E_clISt17integral_constantIbLb0EESV_IbLb1EEEEDaSR_SS_EUlSR_E0_NS1_11comp_targetILNS1_3genE8ELNS1_11target_archE1030ELNS1_3gpuE2ELNS1_3repE0EEENS1_30default_config_static_selectorELNS0_4arch9wavefront6targetE1EEEvT1_,comdat
.Lfunc_end83:
	.size	_ZN7rocprim17ROCPRIM_400000_NS6detail17trampoline_kernelINS0_14default_configENS1_20scan_config_selectorIdEEZZNS1_9scan_implILNS1_25lookback_scan_determinismE0ELb0ELb0ES3_PKdPddZZZN2at6native31launch_logcumsumexp_cuda_kernelERKNSB_10TensorBaseESF_lENKUlvE_clEvENKUlvE_clEvEUlddE_dEEDaPvRmT3_T4_T5_mT6_P12ihipStream_tbENKUlT_T0_E_clISt17integral_constantIbLb0EESV_IbLb1EEEEDaSR_SS_EUlSR_E0_NS1_11comp_targetILNS1_3genE8ELNS1_11target_archE1030ELNS1_3gpuE2ELNS1_3repE0EEENS1_30default_config_static_selectorELNS0_4arch9wavefront6targetE1EEEvT1_, .Lfunc_end83-_ZN7rocprim17ROCPRIM_400000_NS6detail17trampoline_kernelINS0_14default_configENS1_20scan_config_selectorIdEEZZNS1_9scan_implILNS1_25lookback_scan_determinismE0ELb0ELb0ES3_PKdPddZZZN2at6native31launch_logcumsumexp_cuda_kernelERKNSB_10TensorBaseESF_lENKUlvE_clEvENKUlvE_clEvEUlddE_dEEDaPvRmT3_T4_T5_mT6_P12ihipStream_tbENKUlT_T0_E_clISt17integral_constantIbLb0EESV_IbLb1EEEEDaSR_SS_EUlSR_E0_NS1_11comp_targetILNS1_3genE8ELNS1_11target_archE1030ELNS1_3gpuE2ELNS1_3repE0EEENS1_30default_config_static_selectorELNS0_4arch9wavefront6targetE1EEEvT1_
                                        ; -- End function
	.set _ZN7rocprim17ROCPRIM_400000_NS6detail17trampoline_kernelINS0_14default_configENS1_20scan_config_selectorIdEEZZNS1_9scan_implILNS1_25lookback_scan_determinismE0ELb0ELb0ES3_PKdPddZZZN2at6native31launch_logcumsumexp_cuda_kernelERKNSB_10TensorBaseESF_lENKUlvE_clEvENKUlvE_clEvEUlddE_dEEDaPvRmT3_T4_T5_mT6_P12ihipStream_tbENKUlT_T0_E_clISt17integral_constantIbLb0EESV_IbLb1EEEEDaSR_SS_EUlSR_E0_NS1_11comp_targetILNS1_3genE8ELNS1_11target_archE1030ELNS1_3gpuE2ELNS1_3repE0EEENS1_30default_config_static_selectorELNS0_4arch9wavefront6targetE1EEEvT1_.num_vgpr, 0
	.set _ZN7rocprim17ROCPRIM_400000_NS6detail17trampoline_kernelINS0_14default_configENS1_20scan_config_selectorIdEEZZNS1_9scan_implILNS1_25lookback_scan_determinismE0ELb0ELb0ES3_PKdPddZZZN2at6native31launch_logcumsumexp_cuda_kernelERKNSB_10TensorBaseESF_lENKUlvE_clEvENKUlvE_clEvEUlddE_dEEDaPvRmT3_T4_T5_mT6_P12ihipStream_tbENKUlT_T0_E_clISt17integral_constantIbLb0EESV_IbLb1EEEEDaSR_SS_EUlSR_E0_NS1_11comp_targetILNS1_3genE8ELNS1_11target_archE1030ELNS1_3gpuE2ELNS1_3repE0EEENS1_30default_config_static_selectorELNS0_4arch9wavefront6targetE1EEEvT1_.num_agpr, 0
	.set _ZN7rocprim17ROCPRIM_400000_NS6detail17trampoline_kernelINS0_14default_configENS1_20scan_config_selectorIdEEZZNS1_9scan_implILNS1_25lookback_scan_determinismE0ELb0ELb0ES3_PKdPddZZZN2at6native31launch_logcumsumexp_cuda_kernelERKNSB_10TensorBaseESF_lENKUlvE_clEvENKUlvE_clEvEUlddE_dEEDaPvRmT3_T4_T5_mT6_P12ihipStream_tbENKUlT_T0_E_clISt17integral_constantIbLb0EESV_IbLb1EEEEDaSR_SS_EUlSR_E0_NS1_11comp_targetILNS1_3genE8ELNS1_11target_archE1030ELNS1_3gpuE2ELNS1_3repE0EEENS1_30default_config_static_selectorELNS0_4arch9wavefront6targetE1EEEvT1_.numbered_sgpr, 0
	.set _ZN7rocprim17ROCPRIM_400000_NS6detail17trampoline_kernelINS0_14default_configENS1_20scan_config_selectorIdEEZZNS1_9scan_implILNS1_25lookback_scan_determinismE0ELb0ELb0ES3_PKdPddZZZN2at6native31launch_logcumsumexp_cuda_kernelERKNSB_10TensorBaseESF_lENKUlvE_clEvENKUlvE_clEvEUlddE_dEEDaPvRmT3_T4_T5_mT6_P12ihipStream_tbENKUlT_T0_E_clISt17integral_constantIbLb0EESV_IbLb1EEEEDaSR_SS_EUlSR_E0_NS1_11comp_targetILNS1_3genE8ELNS1_11target_archE1030ELNS1_3gpuE2ELNS1_3repE0EEENS1_30default_config_static_selectorELNS0_4arch9wavefront6targetE1EEEvT1_.num_named_barrier, 0
	.set _ZN7rocprim17ROCPRIM_400000_NS6detail17trampoline_kernelINS0_14default_configENS1_20scan_config_selectorIdEEZZNS1_9scan_implILNS1_25lookback_scan_determinismE0ELb0ELb0ES3_PKdPddZZZN2at6native31launch_logcumsumexp_cuda_kernelERKNSB_10TensorBaseESF_lENKUlvE_clEvENKUlvE_clEvEUlddE_dEEDaPvRmT3_T4_T5_mT6_P12ihipStream_tbENKUlT_T0_E_clISt17integral_constantIbLb0EESV_IbLb1EEEEDaSR_SS_EUlSR_E0_NS1_11comp_targetILNS1_3genE8ELNS1_11target_archE1030ELNS1_3gpuE2ELNS1_3repE0EEENS1_30default_config_static_selectorELNS0_4arch9wavefront6targetE1EEEvT1_.private_seg_size, 0
	.set _ZN7rocprim17ROCPRIM_400000_NS6detail17trampoline_kernelINS0_14default_configENS1_20scan_config_selectorIdEEZZNS1_9scan_implILNS1_25lookback_scan_determinismE0ELb0ELb0ES3_PKdPddZZZN2at6native31launch_logcumsumexp_cuda_kernelERKNSB_10TensorBaseESF_lENKUlvE_clEvENKUlvE_clEvEUlddE_dEEDaPvRmT3_T4_T5_mT6_P12ihipStream_tbENKUlT_T0_E_clISt17integral_constantIbLb0EESV_IbLb1EEEEDaSR_SS_EUlSR_E0_NS1_11comp_targetILNS1_3genE8ELNS1_11target_archE1030ELNS1_3gpuE2ELNS1_3repE0EEENS1_30default_config_static_selectorELNS0_4arch9wavefront6targetE1EEEvT1_.uses_vcc, 0
	.set _ZN7rocprim17ROCPRIM_400000_NS6detail17trampoline_kernelINS0_14default_configENS1_20scan_config_selectorIdEEZZNS1_9scan_implILNS1_25lookback_scan_determinismE0ELb0ELb0ES3_PKdPddZZZN2at6native31launch_logcumsumexp_cuda_kernelERKNSB_10TensorBaseESF_lENKUlvE_clEvENKUlvE_clEvEUlddE_dEEDaPvRmT3_T4_T5_mT6_P12ihipStream_tbENKUlT_T0_E_clISt17integral_constantIbLb0EESV_IbLb1EEEEDaSR_SS_EUlSR_E0_NS1_11comp_targetILNS1_3genE8ELNS1_11target_archE1030ELNS1_3gpuE2ELNS1_3repE0EEENS1_30default_config_static_selectorELNS0_4arch9wavefront6targetE1EEEvT1_.uses_flat_scratch, 0
	.set _ZN7rocprim17ROCPRIM_400000_NS6detail17trampoline_kernelINS0_14default_configENS1_20scan_config_selectorIdEEZZNS1_9scan_implILNS1_25lookback_scan_determinismE0ELb0ELb0ES3_PKdPddZZZN2at6native31launch_logcumsumexp_cuda_kernelERKNSB_10TensorBaseESF_lENKUlvE_clEvENKUlvE_clEvEUlddE_dEEDaPvRmT3_T4_T5_mT6_P12ihipStream_tbENKUlT_T0_E_clISt17integral_constantIbLb0EESV_IbLb1EEEEDaSR_SS_EUlSR_E0_NS1_11comp_targetILNS1_3genE8ELNS1_11target_archE1030ELNS1_3gpuE2ELNS1_3repE0EEENS1_30default_config_static_selectorELNS0_4arch9wavefront6targetE1EEEvT1_.has_dyn_sized_stack, 0
	.set _ZN7rocprim17ROCPRIM_400000_NS6detail17trampoline_kernelINS0_14default_configENS1_20scan_config_selectorIdEEZZNS1_9scan_implILNS1_25lookback_scan_determinismE0ELb0ELb0ES3_PKdPddZZZN2at6native31launch_logcumsumexp_cuda_kernelERKNSB_10TensorBaseESF_lENKUlvE_clEvENKUlvE_clEvEUlddE_dEEDaPvRmT3_T4_T5_mT6_P12ihipStream_tbENKUlT_T0_E_clISt17integral_constantIbLb0EESV_IbLb1EEEEDaSR_SS_EUlSR_E0_NS1_11comp_targetILNS1_3genE8ELNS1_11target_archE1030ELNS1_3gpuE2ELNS1_3repE0EEENS1_30default_config_static_selectorELNS0_4arch9wavefront6targetE1EEEvT1_.has_recursion, 0
	.set _ZN7rocprim17ROCPRIM_400000_NS6detail17trampoline_kernelINS0_14default_configENS1_20scan_config_selectorIdEEZZNS1_9scan_implILNS1_25lookback_scan_determinismE0ELb0ELb0ES3_PKdPddZZZN2at6native31launch_logcumsumexp_cuda_kernelERKNSB_10TensorBaseESF_lENKUlvE_clEvENKUlvE_clEvEUlddE_dEEDaPvRmT3_T4_T5_mT6_P12ihipStream_tbENKUlT_T0_E_clISt17integral_constantIbLb0EESV_IbLb1EEEEDaSR_SS_EUlSR_E0_NS1_11comp_targetILNS1_3genE8ELNS1_11target_archE1030ELNS1_3gpuE2ELNS1_3repE0EEENS1_30default_config_static_selectorELNS0_4arch9wavefront6targetE1EEEvT1_.has_indirect_call, 0
	.section	.AMDGPU.csdata,"",@progbits
; Kernel info:
; codeLenInByte = 0
; TotalNumSgprs: 6
; NumVgprs: 0
; NumAgprs: 0
; TotalNumVgprs: 0
; ScratchSize: 0
; MemoryBound: 0
; FloatMode: 240
; IeeeMode: 1
; LDSByteSize: 0 bytes/workgroup (compile time only)
; SGPRBlocks: 0
; VGPRBlocks: 0
; NumSGPRsForWavesPerEU: 6
; NumVGPRsForWavesPerEU: 1
; AccumOffset: 4
; Occupancy: 8
; WaveLimiterHint : 0
; COMPUTE_PGM_RSRC2:SCRATCH_EN: 0
; COMPUTE_PGM_RSRC2:USER_SGPR: 2
; COMPUTE_PGM_RSRC2:TRAP_HANDLER: 0
; COMPUTE_PGM_RSRC2:TGID_X_EN: 1
; COMPUTE_PGM_RSRC2:TGID_Y_EN: 0
; COMPUTE_PGM_RSRC2:TGID_Z_EN: 0
; COMPUTE_PGM_RSRC2:TIDIG_COMP_CNT: 0
; COMPUTE_PGM_RSRC3_GFX90A:ACCUM_OFFSET: 0
; COMPUTE_PGM_RSRC3_GFX90A:TG_SPLIT: 0
	.section	.text._ZN2at6native32tensor_kernel_scan_innermost_dimIdZZZNS0_31launch_logcumsumexp_cuda_kernelERKNS_10TensorBaseES4_lENKUlvE_clEvENKUlvE_clEvEUlddE_EEvPT_PKS8_jjjS8_T0_,"axG",@progbits,_ZN2at6native32tensor_kernel_scan_innermost_dimIdZZZNS0_31launch_logcumsumexp_cuda_kernelERKNS_10TensorBaseES4_lENKUlvE_clEvENKUlvE_clEvEUlddE_EEvPT_PKS8_jjjS8_T0_,comdat
	.globl	_ZN2at6native32tensor_kernel_scan_innermost_dimIdZZZNS0_31launch_logcumsumexp_cuda_kernelERKNS_10TensorBaseES4_lENKUlvE_clEvENKUlvE_clEvEUlddE_EEvPT_PKS8_jjjS8_T0_ ; -- Begin function _ZN2at6native32tensor_kernel_scan_innermost_dimIdZZZNS0_31launch_logcumsumexp_cuda_kernelERKNS_10TensorBaseES4_lENKUlvE_clEvENKUlvE_clEvEUlddE_EEvPT_PKS8_jjjS8_T0_
	.p2align	8
	.type	_ZN2at6native32tensor_kernel_scan_innermost_dimIdZZZNS0_31launch_logcumsumexp_cuda_kernelERKNS_10TensorBaseES4_lENKUlvE_clEvENKUlvE_clEvEUlddE_EEvPT_PKS8_jjjS8_T0_,@function
_ZN2at6native32tensor_kernel_scan_innermost_dimIdZZZNS0_31launch_logcumsumexp_cuda_kernelERKNS_10TensorBaseES4_lENKUlvE_clEvENKUlvE_clEvEUlddE_EEvPT_PKS8_jjjS8_T0_: ; @_ZN2at6native32tensor_kernel_scan_innermost_dimIdZZZNS0_31launch_logcumsumexp_cuda_kernelERKNS_10TensorBaseES4_lENKUlvE_clEvENKUlvE_clEvEUlddE_EEvPT_PKS8_jjjS8_T0_
; %bb.0:
	s_load_dwordx8 s[16:23], s[0:1], 0x0
	s_load_dwordx2 s[14:15], s[0:1], 0x20
	v_bfe_u32 v2, v0, 10, 10
	s_waitcnt lgkmcnt(0)
	s_lshl_b32 s3, 2, s22
	v_mul_lo_u32 v1, s3, v2
	s_mul_hi_u32 s4, s20, s21
	v_lshl_add_u32 v48, v1, 3, 0
	s_cmp_lg_u32 s4, 0
	s_mov_b64 s[4:5], -1
	s_cbranch_scc1 .LBB84_30
; %bb.1:
	s_load_dword s6, s[0:1], 0x3c
	s_add_u32 s4, s0, 48
	s_addc_u32 s5, s1, 0
	s_waitcnt lgkmcnt(0)
	s_lshr_b32 s6, s6, 16
	s_mul_i32 s23, s2, s6
	s_cmp_ge_u32 s23, s20
	s_cbranch_scc1 .LBB84_29
; %bb.2:
	s_load_dword s54, s[4:5], 0x0
	s_lshl_b32 s33, 1, s22
	s_cmp_lg_u32 s21, 0
	s_cselect_b64 s[10:11], -1, 0
	v_and_b32_e32 v1, 0x3ff, v0
	v_lshl_add_u32 v3, v1, 3, v48
	s_lshl_b32 s4, s3, 3
	v_cndmask_b32_e64 v4, 0, 1, s[10:11]
	s_mov_b32 s24, 0x652b82fe
	s_mov_b32 s26, 0xfefa39ef
	;; [unrolled: 1-line block ×9, first 2 shown]
	v_lshl_add_u32 v49, s33, 3, v3
	v_cmp_eq_u32_e64 s[8:9], 0, v1
	v_add3_u32 v50, v48, s4, -8
	s_waitcnt lgkmcnt(0)
	s_mul_i32 s54, s54, s6
	s_add_i32 s55, s22, 1
	v_cmp_ne_u32_e64 s[4:5], 1, v4
	v_mov_b32_e32 v5, 0
	s_movk_i32 s56, 0x1f8
	s_mov_b32 s25, 0x3ff71547
	s_mov_b32 s27, 0xbfe62e42
	;; [unrolled: 1-line block ×11, first 2 shown]
	v_mov_b32_e32 v6, 0xfca7ab0c
	v_mov_b32_e32 v7, 0x3e928af3
	;; [unrolled: 1-line block ×33, first 2 shown]
	s_branch .LBB84_4
.LBB84_3:                               ;   in Loop: Header=BB84_4 Depth=1
	s_add_i32 s23, s23, s54
	s_cmp_ge_u32 s23, s20
	s_cbranch_scc1 .LBB84_29
.LBB84_4:                               ; =>This Loop Header: Depth=1
                                        ;     Child Loop BB84_7 Depth 2
                                        ;       Child Loop BB84_19 Depth 3
	s_and_b64 vcc, exec, s[4:5]
	s_cbranch_vccnz .LBB84_3
; %bb.5:                                ;   in Loop: Header=BB84_4 Depth=1
	v_add_u32_e32 v40, s23, v2
	v_mul_lo_u32 v4, v40, s21
	v_lshlrev_b64 v[38:39], 3, v[4:5]
	v_lshl_add_u64 v[36:37], s[18:19], 0, v[38:39]
	v_lshl_add_u64 v[38:39], s[16:17], 0, v[38:39]
	v_cmp_gt_u32_e32 vcc, s20, v40
	v_cmp_le_u32_e64 s[6:7], s20, v40
	s_mov_b32 s57, 0
	v_mov_b64_e32 v[42:43], s[14:15]
	s_branch .LBB84_7
.LBB84_6:                               ;   in Loop: Header=BB84_7 Depth=2
	s_or_b64 exec, exec, s[12:13]
	ds_read_b64 v[42:43], v50
	s_add_i32 s57, s57, s3
	s_cmp_ge_u32 s57, s21
	s_waitcnt lgkmcnt(0)
	s_barrier
	s_cbranch_scc1 .LBB84_3
.LBB84_7:                               ;   Parent Loop BB84_4 Depth=1
                                        ; =>  This Loop Header: Depth=2
                                        ;       Child Loop BB84_19 Depth 3
	v_add_u32_e32 v4, s57, v1
	v_add_u32_e32 v40, s33, v4
	s_and_saveexec_b64 s[48:49], vcc
	s_cbranch_execz .LBB84_16
; %bb.8:                                ;   in Loop: Header=BB84_7 Depth=2
	v_cmp_gt_u32_e64 s[10:11], s21, v4
	v_mov_b64_e32 v[44:45], s[14:15]
	s_and_saveexec_b64 s[12:13], s[10:11]
	s_cbranch_execz .LBB84_10
; %bb.9:                                ;   in Loop: Header=BB84_7 Depth=2
	v_lshl_add_u64 v[44:45], v[4:5], 3, v[36:37]
	global_load_dwordx2 v[44:45], v[44:45], off
.LBB84_10:                              ;   in Loop: Header=BB84_7 Depth=2
	s_or_b64 exec, exec, s[12:13]
	s_waitcnt vmcnt(0)
	ds_write_b64 v3, v[44:45]
	v_cmp_gt_u32_e64 s[10:11], s21, v40
	v_mov_b64_e32 v[44:45], s[14:15]
	s_and_saveexec_b64 s[12:13], s[10:11]
	s_cbranch_execz .LBB84_12
; %bb.11:                               ;   in Loop: Header=BB84_7 Depth=2
	v_mov_b32_e32 v41, v5
	v_lshl_add_u64 v[44:45], v[40:41], 3, v[36:37]
	global_load_dwordx2 v[44:45], v[44:45], off
.LBB84_12:                              ;   in Loop: Header=BB84_7 Depth=2
	s_or_b64 exec, exec, s[12:13]
	s_waitcnt vmcnt(0)
	ds_write_b64 v49, v[44:45]
	s_and_b64 exec, exec, s[8:9]
	s_cbranch_execz .LBB84_16
; %bb.13:                               ;   in Loop: Header=BB84_7 Depth=2
	ds_read_b64 v[44:45], v48
	v_max_f64 v[54:55], v[42:43], v[42:43]
	v_cmp_u_f64_e64 s[12:13], v[42:43], v[42:43]
	s_waitcnt lgkmcnt(0)
	v_max_f64 v[56:57], v[44:45], v[44:45]
	v_min_f64 v[46:47], v[56:57], v[54:55]
	v_cmp_u_f64_e64 s[10:11], v[44:45], v[44:45]
	v_max_f64 v[54:55], v[56:57], v[54:55]
	s_nop 0
	v_cndmask_b32_e64 v41, v46, v44, s[10:11]
	v_cndmask_b32_e64 v46, v47, v45, s[10:11]
	;; [unrolled: 1-line block ×8, first 2 shown]
	v_cmp_neq_f64_e64 s[10:11], v[46:47], v[42:43]
	v_cmp_class_f64_e64 s[12:13], v[46:47], s56
	s_or_b64 s[10:11], s[10:11], s[12:13]
	s_and_saveexec_b64 s[50:51], s[10:11]
	s_cbranch_execz .LBB84_15
; %bb.14:                               ;   in Loop: Header=BB84_7 Depth=2
	v_add_f64 v[44:45], v[46:47], -v[42:43]
	v_mul_f64 v[46:47], v[44:45], s[24:25]
	v_rndne_f64_e32 v[46:47], v[46:47]
	v_fma_f64 v[54:55], s[26:27], v[46:47], v[44:45]
	v_fmac_f64_e32 v[54:55], s[28:29], v[46:47]
	v_mov_b64_e32 v[56:57], v[6:7]
	v_fmac_f64_e32 v[56:57], s[30:31], v[54:55]
	v_mov_b64_e32 v[58:59], v[8:9]
	;; [unrolled: 2-line block ×9, first 2 shown]
	v_fmac_f64_e32 v[56:57], v[54:55], v[58:59]
	v_fma_f64 v[56:57], v[54:55], v[56:57], 1.0
	v_fma_f64 v[54:55], v[54:55], v[56:57], 1.0
	v_cvt_i32_f64_e32 v41, v[46:47]
	v_ldexp_f64 v[46:47], v[54:55], v41
	v_cmp_nlt_f64_e64 s[10:11], s[34:35], v[44:45]
	v_cmp_ngt_f64_e64 s[12:13], s[36:37], v[44:45]
	s_mov_b32 s42, s26
	v_cndmask_b32_e64 v41, v51, v47, s[10:11]
	s_and_b64 s[10:11], s[12:13], s[10:11]
	v_cndmask_b32_e64 v45, 0, v41, s[12:13]
	v_cndmask_b32_e64 v44, 0, v46, s[10:11]
	v_add_f64 v[46:47], v[44:45], 1.0
	v_add_f64 v[54:55], v[46:47], -1.0
	v_add_f64 v[56:57], v[54:55], -v[46:47]
	v_add_f64 v[56:57], v[56:57], 1.0
	v_add_f64 v[54:55], v[44:45], -v[54:55]
	v_add_f64 v[54:55], v[54:55], v[56:57]
	v_frexp_mant_f64_e32 v[56:57], v[46:47]
	v_frexp_exp_i32_f64_e32 v41, v[46:47]
	v_cmp_gt_f64_e64 s[10:11], s[38:39], v[56:57]
	s_mov_b32 s44, s28
	v_cmp_ngt_f64_e64 s[12:13], -1.0, v[44:45]
	v_subbrev_co_u32_e64 v41, s[10:11], 0, v41, s[10:11]
	v_sub_u32_e32 v56, 0, v41
	v_ldexp_f64 v[46:47], v[46:47], v56
	v_ldexp_f64 v[54:55], v[54:55], v56
	v_add_f64 v[56:57], v[46:47], -1.0
	v_add_f64 v[62:63], v[46:47], 1.0
	v_add_f64 v[58:59], v[56:57], 1.0
	v_add_f64 v[64:65], v[62:63], -1.0
	v_add_f64 v[58:59], v[46:47], -v[58:59]
	v_add_f64 v[46:47], v[46:47], -v[64:65]
	v_add_f64 v[46:47], v[54:55], v[46:47]
	v_add_f64 v[58:59], v[54:55], v[58:59]
	;; [unrolled: 1-line block ×3, first 2 shown]
	v_rcp_f64_e32 v[64:65], v[54:55]
	v_add_f64 v[60:61], v[56:57], v[58:59]
	v_add_f64 v[56:57], v[60:61], -v[56:57]
	v_add_f64 v[56:57], v[58:59], -v[56:57]
	v_add_f64 v[58:59], v[54:55], -v[62:63]
	v_add_f64 v[46:47], v[46:47], -v[58:59]
	v_fma_f64 v[58:59], -v[54:55], v[64:65], 1.0
	v_fmac_f64_e32 v[64:65], v[58:59], v[64:65]
	v_fma_f64 v[58:59], -v[54:55], v[64:65], 1.0
	v_fmac_f64_e32 v[64:65], v[58:59], v[64:65]
	v_mul_f64 v[58:59], v[60:61], v[64:65]
	v_mul_f64 v[62:63], v[54:55], v[58:59]
	v_fma_f64 v[66:67], v[58:59], v[54:55], -v[62:63]
	v_fmac_f64_e32 v[66:67], v[58:59], v[46:47]
	v_add_f64 v[68:69], v[62:63], v[66:67]
	v_add_f64 v[70:71], v[60:61], -v[68:69]
	v_add_f64 v[60:61], v[60:61], -v[70:71]
	;; [unrolled: 1-line block ×4, first 2 shown]
	v_add_f64 v[56:57], v[56:57], v[60:61]
	v_add_f64 v[60:61], v[62:63], -v[66:67]
	v_add_f64 v[56:57], v[60:61], v[56:57]
	v_add_f64 v[60:61], v[70:71], v[56:57]
	v_add_f64 v[62:63], v[70:71], -v[60:61]
	v_add_f64 v[56:57], v[56:57], v[62:63]
	v_mul_f64 v[62:63], v[64:65], v[60:61]
	v_mul_f64 v[66:67], v[54:55], v[62:63]
	v_fma_f64 v[54:55], v[62:63], v[54:55], -v[66:67]
	v_fmac_f64_e32 v[54:55], v[62:63], v[46:47]
	v_add_f64 v[46:47], v[66:67], v[54:55]
	v_add_f64 v[68:69], v[60:61], -v[46:47]
	v_add_f64 v[60:61], v[60:61], -v[68:69]
	;; [unrolled: 1-line block ×4, first 2 shown]
	v_add_f64 v[46:47], v[56:57], v[46:47]
	v_add_f64 v[54:55], v[66:67], -v[54:55]
	v_add_f64 v[46:47], v[54:55], v[46:47]
	v_add_f64 v[54:55], v[58:59], v[62:63]
	;; [unrolled: 1-line block ×3, first 2 shown]
	v_add_f64 v[56:57], v[54:55], -v[58:59]
	v_mul_f64 v[46:47], v[64:65], v[46:47]
	v_add_f64 v[56:57], v[62:63], -v[56:57]
	v_add_f64 v[46:47], v[56:57], v[46:47]
	v_add_f64 v[56:57], v[54:55], v[46:47]
	v_add_f64 v[54:55], v[56:57], -v[54:55]
	v_add_f64 v[46:47], v[46:47], -v[54:55]
	v_mul_f64 v[54:55], v[56:57], v[56:57]
	v_mov_b64_e32 v[58:59], v[24:25]
	v_fmac_f64_e32 v[58:59], s[40:41], v[54:55]
	v_mov_b64_e32 v[60:61], v[26:27]
	v_fmac_f64_e32 v[60:61], v[54:55], v[58:59]
	;; [unrolled: 2-line block ×6, first 2 shown]
	v_cvt_f64_i32_e32 v[58:59], v41
	v_mul_f64 v[62:63], v[58:59], s[42:43]
	v_fma_f64 v[64:65], v[58:59], s[42:43], -v[62:63]
	v_fmac_f64_e32 v[64:65], s[44:45], v[58:59]
	v_add_f64 v[58:59], v[62:63], v[64:65]
	v_add_f64 v[62:63], v[58:59], -v[62:63]
	v_mul_f64 v[54:55], v[56:57], v[54:55]
	v_add_f64 v[62:63], v[64:65], -v[62:63]
	v_ldexp_f64 v[64:65], v[56:57], 1
	v_mul_f64 v[54:55], v[54:55], v[60:61]
	v_add_f64 v[56:57], v[64:65], v[54:55]
	v_add_f64 v[60:61], v[56:57], -v[64:65]
	v_ldexp_f64 v[46:47], v[46:47], 1
	v_add_f64 v[54:55], v[54:55], -v[60:61]
	v_add_f64 v[46:47], v[46:47], v[54:55]
	v_add_f64 v[54:55], v[56:57], v[46:47]
	v_add_f64 v[56:57], v[54:55], -v[56:57]
	v_add_f64 v[46:47], v[46:47], -v[56:57]
	v_add_f64 v[56:57], v[58:59], v[54:55]
	v_add_f64 v[60:61], v[56:57], -v[58:59]
	v_add_f64 v[64:65], v[56:57], -v[60:61]
	;; [unrolled: 1-line block ×4, first 2 shown]
	v_add_f64 v[54:55], v[54:55], v[58:59]
	v_add_f64 v[58:59], v[62:63], v[46:47]
	v_add_f64 v[60:61], v[58:59], -v[62:63]
	v_add_f64 v[54:55], v[58:59], v[54:55]
	v_add_f64 v[64:65], v[58:59], -v[60:61]
	;; [unrolled: 2-line block ×3, first 2 shown]
	v_add_f64 v[46:47], v[46:47], -v[60:61]
	v_add_f64 v[56:57], v[58:59], -v[56:57]
	v_add_f64 v[46:47], v[46:47], v[62:63]
	v_add_f64 v[54:55], v[54:55], -v[56:57]
	v_add_f64 v[46:47], v[46:47], v[54:55]
	v_add_f64 v[46:47], v[58:59], v[46:47]
	v_cmp_neq_f64_e64 s[10:11], s[46:47], v[44:45]
	s_nop 1
	v_cndmask_b32_e64 v41, v51, v47, s[10:11]
	v_cndmask_b32_e64 v41, v52, v41, s[12:13]
	v_cmp_nge_f64_e64 s[12:13], -1.0, v[44:45]
	s_and_b64 s[10:11], s[12:13], s[10:11]
	v_cndmask_b32_e64 v46, 0, v46, s[10:11]
	v_cmp_neq_f64_e64 s[10:11], -1.0, v[44:45]
	s_nop 1
	v_cndmask_b32_e64 v47, v53, v41, s[10:11]
	v_add_f64 v[44:45], v[42:43], v[46:47]
.LBB84_15:                              ;   in Loop: Header=BB84_7 Depth=2
	s_or_b64 exec, exec, s[50:51]
	ds_write_b64 v48, v[44:45]
.LBB84_16:                              ;   in Loop: Header=BB84_7 Depth=2
	s_or_b64 exec, exec, s[48:49]
	v_mov_b32_e32 v42, 0
	s_mov_b64 s[48:49], 0
	s_waitcnt lgkmcnt(0)
	s_barrier
	s_branch .LBB84_19
.LBB84_17:                              ;   in Loop: Header=BB84_19 Depth=3
	s_or_b64 exec, exec, s[52:53]
	ds_write_b64 v54, v[44:45]
.LBB84_18:                              ;   in Loop: Header=BB84_19 Depth=3
	s_or_b64 exec, exec, s[50:51]
	v_cmp_eq_u32_e64 s[10:11], s55, v41
	s_or_b64 s[48:49], s[10:11], s[48:49]
	v_mov_b32_e32 v42, v41
	s_waitcnt lgkmcnt(0)
	s_barrier
	s_andn2_b64 exec, exec, s[48:49]
	s_cbranch_execz .LBB84_24
.LBB84_19:                              ;   Parent Loop BB84_4 Depth=1
                                        ;     Parent Loop BB84_7 Depth=2
                                        ; =>    This Inner Loop Header: Depth=3
	v_add_u32_e32 v41, 1, v42
	s_and_saveexec_b64 s[10:11], s[6:7]
	s_xor_b64 s[10:11], exec, s[10:11]
; %bb.20:                               ;   in Loop: Header=BB84_19 Depth=3
	v_add_u32_e32 v41, 1, v42
                                        ; implicit-def: $vgpr42
; %bb.21:                               ;   in Loop: Header=BB84_19 Depth=3
	s_andn2_saveexec_b64 s[50:51], s[10:11]
	s_cbranch_execz .LBB84_18
; %bb.22:                               ;   in Loop: Header=BB84_19 Depth=3
	v_lshlrev_b32_e64 v43, v42, 1
	v_lshrrev_b32_e32 v44, v42, v1
	v_lshl_or_b32 v43, v44, v41, v43
	v_bfm_b32 v42, v42, 0
	v_and_b32_e32 v42, v42, v1
	v_lshl_add_u32 v43, v43, 3, v48
	v_lshl_add_u32 v54, v42, 3, v43
	v_add_u32_e32 v42, -8, v43
	ds_read_b64 v[42:43], v42
	ds_read_b64 v[44:45], v54
	s_waitcnt lgkmcnt(1)
	v_max_f64 v[56:57], v[42:43], v[42:43]
	s_waitcnt lgkmcnt(0)
	v_max_f64 v[58:59], v[44:45], v[44:45]
	v_min_f64 v[46:47], v[58:59], v[56:57]
	v_cmp_u_f64_e64 s[10:11], v[44:45], v[44:45]
	v_max_f64 v[56:57], v[58:59], v[56:57]
	v_cmp_u_f64_e64 s[12:13], v[42:43], v[42:43]
	v_cndmask_b32_e64 v46, v46, v44, s[10:11]
	v_cndmask_b32_e64 v47, v47, v45, s[10:11]
	v_cndmask_b32_e64 v55, v56, v44, s[10:11]
	v_cndmask_b32_e64 v56, v57, v45, s[10:11]
	v_cndmask_b32_e64 v47, v47, v43, s[12:13]
	v_cndmask_b32_e64 v46, v46, v42, s[12:13]
	v_cndmask_b32_e64 v43, v56, v43, s[12:13]
	v_cndmask_b32_e64 v42, v55, v42, s[12:13]
	v_cmp_neq_f64_e64 s[10:11], v[46:47], v[42:43]
	v_cmp_class_f64_e64 s[12:13], v[46:47], s56
	s_or_b64 s[10:11], s[10:11], s[12:13]
	s_and_saveexec_b64 s[52:53], s[10:11]
	s_cbranch_execz .LBB84_17
; %bb.23:                               ;   in Loop: Header=BB84_19 Depth=3
	v_add_f64 v[44:45], v[46:47], -v[42:43]
	v_mul_f64 v[46:47], v[44:45], s[24:25]
	v_rndne_f64_e32 v[46:47], v[46:47]
	v_fma_f64 v[56:57], s[26:27], v[46:47], v[44:45]
	v_fmac_f64_e32 v[56:57], s[28:29], v[46:47]
	v_mov_b64_e32 v[58:59], v[6:7]
	v_fmac_f64_e32 v[58:59], s[30:31], v[56:57]
	v_mov_b64_e32 v[60:61], v[8:9]
	;; [unrolled: 2-line block ×9, first 2 shown]
	v_fmac_f64_e32 v[58:59], v[56:57], v[60:61]
	v_fma_f64 v[58:59], v[56:57], v[58:59], 1.0
	v_fma_f64 v[56:57], v[56:57], v[58:59], 1.0
	v_cvt_i32_f64_e32 v46, v[46:47]
	v_ldexp_f64 v[46:47], v[56:57], v46
	v_cmp_nlt_f64_e64 s[10:11], s[34:35], v[44:45]
	v_cmp_ngt_f64_e64 s[12:13], s[36:37], v[44:45]
	s_mov_b32 s42, s26
	v_cndmask_b32_e64 v47, v51, v47, s[10:11]
	s_and_b64 s[10:11], s[12:13], s[10:11]
	v_cndmask_b32_e64 v45, 0, v47, s[12:13]
	v_cndmask_b32_e64 v44, 0, v46, s[10:11]
	v_add_f64 v[46:47], v[44:45], 1.0
	v_add_f64 v[56:57], v[46:47], -1.0
	v_add_f64 v[58:59], v[56:57], -v[46:47]
	v_add_f64 v[58:59], v[58:59], 1.0
	v_add_f64 v[56:57], v[44:45], -v[56:57]
	v_add_f64 v[56:57], v[56:57], v[58:59]
	v_frexp_mant_f64_e32 v[58:59], v[46:47]
	v_frexp_exp_i32_f64_e32 v55, v[46:47]
	v_cmp_gt_f64_e64 s[10:11], s[38:39], v[58:59]
	s_mov_b32 s44, s28
	v_cmp_ngt_f64_e64 s[12:13], -1.0, v[44:45]
	v_subbrev_co_u32_e64 v55, s[10:11], 0, v55, s[10:11]
	v_sub_u32_e32 v58, 0, v55
	v_ldexp_f64 v[46:47], v[46:47], v58
	v_ldexp_f64 v[56:57], v[56:57], v58
	v_add_f64 v[58:59], v[46:47], -1.0
	v_add_f64 v[64:65], v[46:47], 1.0
	v_add_f64 v[60:61], v[58:59], 1.0
	v_add_f64 v[66:67], v[64:65], -1.0
	v_add_f64 v[60:61], v[46:47], -v[60:61]
	v_add_f64 v[46:47], v[46:47], -v[66:67]
	v_add_f64 v[46:47], v[56:57], v[46:47]
	v_add_f64 v[60:61], v[56:57], v[60:61]
	;; [unrolled: 1-line block ×3, first 2 shown]
	v_rcp_f64_e32 v[66:67], v[56:57]
	v_add_f64 v[62:63], v[58:59], v[60:61]
	v_add_f64 v[58:59], v[62:63], -v[58:59]
	v_add_f64 v[58:59], v[60:61], -v[58:59]
	;; [unrolled: 1-line block ×4, first 2 shown]
	v_fma_f64 v[60:61], -v[56:57], v[66:67], 1.0
	v_fmac_f64_e32 v[66:67], v[60:61], v[66:67]
	v_fma_f64 v[60:61], -v[56:57], v[66:67], 1.0
	v_fmac_f64_e32 v[66:67], v[60:61], v[66:67]
	v_mul_f64 v[60:61], v[62:63], v[66:67]
	v_mul_f64 v[64:65], v[56:57], v[60:61]
	v_fma_f64 v[68:69], v[60:61], v[56:57], -v[64:65]
	v_fmac_f64_e32 v[68:69], v[60:61], v[46:47]
	v_add_f64 v[70:71], v[64:65], v[68:69]
	v_add_f64 v[72:73], v[62:63], -v[70:71]
	v_add_f64 v[62:63], v[62:63], -v[72:73]
	;; [unrolled: 1-line block ×4, first 2 shown]
	v_add_f64 v[58:59], v[58:59], v[62:63]
	v_add_f64 v[62:63], v[64:65], -v[68:69]
	v_add_f64 v[58:59], v[62:63], v[58:59]
	v_add_f64 v[62:63], v[72:73], v[58:59]
	v_add_f64 v[64:65], v[72:73], -v[62:63]
	v_add_f64 v[58:59], v[58:59], v[64:65]
	v_mul_f64 v[64:65], v[66:67], v[62:63]
	v_mul_f64 v[68:69], v[56:57], v[64:65]
	v_fma_f64 v[56:57], v[64:65], v[56:57], -v[68:69]
	v_fmac_f64_e32 v[56:57], v[64:65], v[46:47]
	v_add_f64 v[46:47], v[68:69], v[56:57]
	v_add_f64 v[70:71], v[62:63], -v[46:47]
	v_add_f64 v[62:63], v[62:63], -v[70:71]
	;; [unrolled: 1-line block ×4, first 2 shown]
	v_add_f64 v[46:47], v[58:59], v[46:47]
	v_add_f64 v[56:57], v[68:69], -v[56:57]
	v_add_f64 v[46:47], v[56:57], v[46:47]
	v_add_f64 v[56:57], v[60:61], v[64:65]
	v_add_f64 v[46:47], v[70:71], v[46:47]
	v_add_f64 v[58:59], v[56:57], -v[60:61]
	v_mul_f64 v[46:47], v[66:67], v[46:47]
	v_add_f64 v[58:59], v[64:65], -v[58:59]
	v_add_f64 v[46:47], v[58:59], v[46:47]
	v_add_f64 v[58:59], v[56:57], v[46:47]
	v_add_f64 v[56:57], v[58:59], -v[56:57]
	v_add_f64 v[46:47], v[46:47], -v[56:57]
	v_mul_f64 v[56:57], v[58:59], v[58:59]
	v_mov_b64_e32 v[60:61], v[24:25]
	v_fmac_f64_e32 v[60:61], s[40:41], v[56:57]
	v_mov_b64_e32 v[62:63], v[26:27]
	v_fmac_f64_e32 v[62:63], v[56:57], v[60:61]
	;; [unrolled: 2-line block ×6, first 2 shown]
	v_cvt_f64_i32_e32 v[60:61], v55
	v_mul_f64 v[64:65], v[60:61], s[42:43]
	v_fma_f64 v[66:67], v[60:61], s[42:43], -v[64:65]
	v_fmac_f64_e32 v[66:67], s[44:45], v[60:61]
	v_add_f64 v[60:61], v[64:65], v[66:67]
	v_add_f64 v[64:65], v[60:61], -v[64:65]
	v_mul_f64 v[56:57], v[58:59], v[56:57]
	v_add_f64 v[64:65], v[66:67], -v[64:65]
	v_ldexp_f64 v[66:67], v[58:59], 1
	v_mul_f64 v[56:57], v[56:57], v[62:63]
	v_add_f64 v[58:59], v[66:67], v[56:57]
	v_add_f64 v[62:63], v[58:59], -v[66:67]
	v_ldexp_f64 v[46:47], v[46:47], 1
	v_add_f64 v[56:57], v[56:57], -v[62:63]
	v_add_f64 v[46:47], v[46:47], v[56:57]
	v_add_f64 v[56:57], v[58:59], v[46:47]
	v_add_f64 v[58:59], v[56:57], -v[58:59]
	v_add_f64 v[46:47], v[46:47], -v[58:59]
	v_add_f64 v[58:59], v[60:61], v[56:57]
	v_add_f64 v[62:63], v[58:59], -v[60:61]
	v_add_f64 v[66:67], v[58:59], -v[62:63]
	;; [unrolled: 1-line block ×4, first 2 shown]
	v_add_f64 v[56:57], v[56:57], v[60:61]
	v_add_f64 v[60:61], v[64:65], v[46:47]
	v_add_f64 v[62:63], v[60:61], -v[64:65]
	v_add_f64 v[56:57], v[60:61], v[56:57]
	v_add_f64 v[66:67], v[60:61], -v[62:63]
	;; [unrolled: 2-line block ×3, first 2 shown]
	v_add_f64 v[46:47], v[46:47], -v[62:63]
	v_add_f64 v[58:59], v[60:61], -v[58:59]
	v_add_f64 v[46:47], v[46:47], v[64:65]
	v_add_f64 v[56:57], v[56:57], -v[58:59]
	v_add_f64 v[46:47], v[46:47], v[56:57]
	v_add_f64 v[46:47], v[60:61], v[46:47]
	v_cmp_neq_f64_e64 s[10:11], s[46:47], v[44:45]
	s_nop 1
	v_cndmask_b32_e64 v47, v51, v47, s[10:11]
	v_cndmask_b32_e64 v47, v52, v47, s[12:13]
	v_cmp_nge_f64_e64 s[12:13], -1.0, v[44:45]
	s_and_b64 s[10:11], s[12:13], s[10:11]
	v_cndmask_b32_e64 v46, 0, v46, s[10:11]
	v_cmp_neq_f64_e64 s[10:11], -1.0, v[44:45]
	s_nop 1
	v_cndmask_b32_e64 v47, v53, v47, s[10:11]
	v_add_f64 v[44:45], v[42:43], v[46:47]
	s_branch .LBB84_17
.LBB84_24:                              ;   in Loop: Header=BB84_7 Depth=2
	s_or_b64 exec, exec, s[48:49]
	s_and_saveexec_b64 s[12:13], vcc
	s_cbranch_execz .LBB84_6
; %bb.25:                               ;   in Loop: Header=BB84_7 Depth=2
	v_cmp_gt_u32_e64 s[10:11], s21, v4
	s_and_saveexec_b64 s[48:49], s[10:11]
	s_cbranch_execz .LBB84_27
; %bb.26:                               ;   in Loop: Header=BB84_7 Depth=2
	ds_read_b64 v[42:43], v3
	v_lshl_add_u64 v[44:45], v[4:5], 3, v[38:39]
	s_waitcnt lgkmcnt(0)
	global_store_dwordx2 v[44:45], v[42:43], off
.LBB84_27:                              ;   in Loop: Header=BB84_7 Depth=2
	s_or_b64 exec, exec, s[48:49]
	v_cmp_gt_u32_e64 s[10:11], s21, v40
	s_and_b64 exec, exec, s[10:11]
	s_cbranch_execz .LBB84_6
; %bb.28:                               ;   in Loop: Header=BB84_7 Depth=2
	ds_read_b64 v[42:43], v49
	v_mov_b32_e32 v41, v5
	v_lshl_add_u64 v[40:41], v[40:41], 3, v[38:39]
	s_waitcnt lgkmcnt(0)
	global_store_dwordx2 v[40:41], v[42:43], off
	s_branch .LBB84_6
.LBB84_29:
	s_mov_b64 s[4:5], 0
.LBB84_30:
	s_andn2_b64 vcc, exec, s[4:5]
	s_cbranch_vccnz .LBB84_61
; %bb.31:
	s_load_dword s3, s[0:1], 0x3c
	s_add_u32 s0, s0, 48
	s_mov_b32 s11, 0
	s_addc_u32 s1, s1, 0
	s_mov_b32 s10, s20
	s_waitcnt lgkmcnt(0)
	s_lshr_b32 s3, s3, 16
	s_mul_hi_u32 s13, s3, s2
	s_mul_i32 s12, s3, s2
	v_mov_b64_e32 v[4:5], s[10:11]
	v_cmp_ge_u64_e32 vcc, s[12:13], v[4:5]
	s_cbranch_vccnz .LBB84_61
; %bb.32:
	s_lshl_b32 s24, 1, s22
	s_load_dword s5, s[0:1], 0x0
	s_and_b32 s4, 0xffff, s3
	s_ashr_i32 s25, s24, 31
	s_cmp_lg_u32 s21, 0
	s_mov_b32 s26, s21
	s_cselect_b64 s[2:3], -1, 0
	v_and_b32_e32 v0, 0x3ff, v0
	s_lshl_b64 s[20:21], s[24:25], 1
	v_mov_b32_e32 v3, 0
	v_lshl_add_u32 v49, v0, 3, v48
	s_lshl_b32 s6, s20, 3
	s_add_i32 s58, s22, 1
	v_cndmask_b32_e64 v4, 0, 1, s[2:3]
	s_mov_b32 s22, 0x652b82fe
	s_mov_b32 s28, 0xfefa39ef
	;; [unrolled: 1-line block ×10, first 2 shown]
	v_mov_b32_e32 v1, v3
	v_lshl_add_u32 v50, s24, 3, v49
	v_cmp_eq_u32_e64 s[0:1], 0, v0
	v_add3_u32 v51, v48, s6, -8
	s_waitcnt lgkmcnt(0)
	s_mul_i32 s33, s5, s4
	v_cmp_ne_u32_e64 s[2:3], 1, v4
	s_movk_i32 s59, 0x1f8
	s_mov_b32 s23, 0x3ff71547
	s_mov_b32 s29, 0xbfe62e42
	;; [unrolled: 1-line block ×11, first 2 shown]
	v_mov_b32_e32 v4, 0xfca7ab0c
	v_mov_b32_e32 v5, 0x3e928af3
	;; [unrolled: 1-line block ×33, first 2 shown]
	s_branch .LBB84_34
.LBB84_33:                              ;   in Loop: Header=BB84_34 Depth=1
	s_add_u32 s12, s12, s33
	s_addc_u32 s13, s13, 0
	v_mov_b64_e32 v[34:35], s[10:11]
	v_cmp_ge_u64_e32 vcc, s[12:13], v[34:35]
	s_cbranch_vccnz .LBB84_61
.LBB84_34:                              ; =>This Loop Header: Depth=1
                                        ;     Child Loop BB84_37 Depth 2
                                        ;       Child Loop BB84_49 Depth 3
	s_and_b64 vcc, exec, s[2:3]
	s_cbranch_vccnz .LBB84_33
; %bb.35:                               ;   in Loop: Header=BB84_34 Depth=1
	v_lshl_add_u64 v[38:39], s[12:13], 0, v[2:3]
	v_mad_u64_u32 v[34:35], s[4:5], v38, s26, 0
	v_mov_b32_e32 v36, v35
	v_mad_u64_u32 v[36:37], s[4:5], v39, s26, v[36:37]
	v_mov_b32_e32 v35, v36
	v_lshlrev_b64 v[36:37], 3, v[34:35]
	v_lshl_add_u64 v[34:35], s[18:19], 0, v[36:37]
	v_lshl_add_u64 v[36:37], s[16:17], 0, v[36:37]
	v_cmp_gt_u64_e64 s[4:5], s[10:11], v[38:39]
	v_cmp_le_u64_e64 s[6:7], s[10:11], v[38:39]
	s_mov_b64 s[50:51], 0
	v_mov_b64_e32 v[42:43], s[14:15]
	s_branch .LBB84_37
.LBB84_36:                              ;   in Loop: Header=BB84_37 Depth=2
	s_or_b64 exec, exec, s[8:9]
	ds_read_b64 v[42:43], v51
	s_add_u32 s50, s50, s20
	s_addc_u32 s51, s51, s21
	v_mov_b64_e32 v[38:39], s[26:27]
	v_cmp_ge_u64_e32 vcc, s[50:51], v[38:39]
	s_waitcnt lgkmcnt(0)
	s_barrier
	s_cbranch_vccnz .LBB84_33
.LBB84_37:                              ;   Parent Loop BB84_34 Depth=1
                                        ; =>  This Loop Header: Depth=2
                                        ;       Child Loop BB84_49 Depth 3
	v_lshl_add_u64 v[40:41], s[50:51], 0, v[0:1]
	v_lshl_add_u64 v[38:39], v[40:41], 0, s[24:25]
	s_and_saveexec_b64 s[52:53], s[4:5]
	s_cbranch_execz .LBB84_46
; %bb.38:                               ;   in Loop: Header=BB84_37 Depth=2
	v_cmp_gt_u64_e32 vcc, s[26:27], v[40:41]
	v_mov_b64_e32 v[44:45], s[14:15]
	s_and_saveexec_b64 s[8:9], vcc
	s_cbranch_execz .LBB84_40
; %bb.39:                               ;   in Loop: Header=BB84_37 Depth=2
	v_lshl_add_u64 v[44:45], v[40:41], 3, v[34:35]
	global_load_dwordx2 v[44:45], v[44:45], off
.LBB84_40:                              ;   in Loop: Header=BB84_37 Depth=2
	s_or_b64 exec, exec, s[8:9]
	s_waitcnt vmcnt(0)
	ds_write_b64 v49, v[44:45]
	v_cmp_gt_u64_e32 vcc, s[26:27], v[38:39]
	v_mov_b64_e32 v[44:45], s[14:15]
	s_and_saveexec_b64 s[8:9], vcc
	s_cbranch_execz .LBB84_42
; %bb.41:                               ;   in Loop: Header=BB84_37 Depth=2
	v_lshl_add_u64 v[44:45], v[38:39], 3, v[34:35]
	global_load_dwordx2 v[44:45], v[44:45], off
.LBB84_42:                              ;   in Loop: Header=BB84_37 Depth=2
	s_or_b64 exec, exec, s[8:9]
	s_waitcnt vmcnt(0)
	ds_write_b64 v50, v[44:45]
	s_and_b64 exec, exec, s[0:1]
	s_cbranch_execz .LBB84_46
; %bb.43:                               ;   in Loop: Header=BB84_37 Depth=2
	ds_read_b64 v[44:45], v48
	v_max_f64 v[56:57], v[42:43], v[42:43]
	v_cmp_u_f64_e64 s[8:9], v[42:43], v[42:43]
	s_waitcnt lgkmcnt(0)
	v_max_f64 v[58:59], v[44:45], v[44:45]
	v_min_f64 v[46:47], v[58:59], v[56:57]
	v_cmp_u_f64_e32 vcc, v[44:45], v[44:45]
	v_max_f64 v[56:57], v[58:59], v[56:57]
	s_nop 0
	v_cndmask_b32_e32 v46, v46, v44, vcc
	v_cndmask_b32_e32 v47, v47, v45, vcc
	;; [unrolled: 1-line block ×4, first 2 shown]
	v_cndmask_b32_e64 v47, v47, v43, s[8:9]
	v_cndmask_b32_e64 v46, v46, v42, s[8:9]
	;; [unrolled: 1-line block ×4, first 2 shown]
	v_cmp_neq_f64_e32 vcc, v[46:47], v[42:43]
	v_cmp_class_f64_e64 s[8:9], v[46:47], s59
	s_or_b64 s[8:9], vcc, s[8:9]
	s_and_saveexec_b64 s[54:55], s[8:9]
	s_cbranch_execz .LBB84_45
; %bb.44:                               ;   in Loop: Header=BB84_37 Depth=2
	v_add_f64 v[44:45], v[46:47], -v[42:43]
	v_mul_f64 v[46:47], v[44:45], s[22:23]
	v_rndne_f64_e32 v[46:47], v[46:47]
	v_fma_f64 v[56:57], s[28:29], v[46:47], v[44:45]
	v_fmac_f64_e32 v[56:57], s[30:31], v[46:47]
	v_mov_b64_e32 v[58:59], v[4:5]
	v_fmac_f64_e32 v[58:59], s[34:35], v[56:57]
	v_mov_b64_e32 v[60:61], v[6:7]
	;; [unrolled: 2-line block ×9, first 2 shown]
	v_fmac_f64_e32 v[58:59], v[56:57], v[60:61]
	v_fma_f64 v[58:59], v[56:57], v[58:59], 1.0
	v_fma_f64 v[56:57], v[56:57], v[58:59], 1.0
	v_cvt_i32_f64_e32 v46, v[46:47]
	v_ldexp_f64 v[46:47], v[56:57], v46
	v_cmp_nlt_f64_e32 vcc, s[36:37], v[44:45]
	v_cmp_ngt_f64_e64 s[8:9], s[38:39], v[44:45]
	s_mov_b32 s44, s28
	v_cndmask_b32_e32 v47, v52, v47, vcc
	s_and_b64 vcc, s[8:9], vcc
	v_cndmask_b32_e64 v45, 0, v47, s[8:9]
	v_cndmask_b32_e32 v44, 0, v46, vcc
	v_add_f64 v[46:47], v[44:45], 1.0
	v_add_f64 v[56:57], v[46:47], -1.0
	v_add_f64 v[58:59], v[56:57], -v[46:47]
	v_add_f64 v[58:59], v[58:59], 1.0
	v_add_f64 v[56:57], v[44:45], -v[56:57]
	v_add_f64 v[56:57], v[56:57], v[58:59]
	v_frexp_mant_f64_e32 v[58:59], v[46:47]
	v_frexp_exp_i32_f64_e32 v55, v[46:47]
	v_cmp_gt_f64_e32 vcc, s[40:41], v[58:59]
	s_mov_b32 s46, s30
	v_cmp_ngt_f64_e64 s[8:9], -1.0, v[44:45]
	v_subbrev_co_u32_e32 v55, vcc, 0, v55, vcc
	v_sub_u32_e32 v58, 0, v55
	v_ldexp_f64 v[46:47], v[46:47], v58
	v_ldexp_f64 v[56:57], v[56:57], v58
	v_add_f64 v[58:59], v[46:47], -1.0
	v_add_f64 v[64:65], v[46:47], 1.0
	v_add_f64 v[60:61], v[58:59], 1.0
	v_add_f64 v[66:67], v[64:65], -1.0
	v_add_f64 v[60:61], v[46:47], -v[60:61]
	v_add_f64 v[46:47], v[46:47], -v[66:67]
	v_add_f64 v[46:47], v[56:57], v[46:47]
	v_add_f64 v[60:61], v[56:57], v[60:61]
	;; [unrolled: 1-line block ×3, first 2 shown]
	v_rcp_f64_e32 v[66:67], v[56:57]
	v_add_f64 v[62:63], v[58:59], v[60:61]
	v_add_f64 v[58:59], v[62:63], -v[58:59]
	v_add_f64 v[58:59], v[60:61], -v[58:59]
	;; [unrolled: 1-line block ×4, first 2 shown]
	v_fma_f64 v[60:61], -v[56:57], v[66:67], 1.0
	v_fmac_f64_e32 v[66:67], v[60:61], v[66:67]
	v_fma_f64 v[60:61], -v[56:57], v[66:67], 1.0
	v_fmac_f64_e32 v[66:67], v[60:61], v[66:67]
	v_mul_f64 v[60:61], v[62:63], v[66:67]
	v_mul_f64 v[64:65], v[56:57], v[60:61]
	v_fma_f64 v[68:69], v[60:61], v[56:57], -v[64:65]
	v_fmac_f64_e32 v[68:69], v[60:61], v[46:47]
	v_add_f64 v[70:71], v[64:65], v[68:69]
	v_add_f64 v[72:73], v[62:63], -v[70:71]
	v_add_f64 v[62:63], v[62:63], -v[72:73]
	;; [unrolled: 1-line block ×4, first 2 shown]
	v_add_f64 v[58:59], v[58:59], v[62:63]
	v_add_f64 v[62:63], v[64:65], -v[68:69]
	v_add_f64 v[58:59], v[62:63], v[58:59]
	v_add_f64 v[62:63], v[72:73], v[58:59]
	v_add_f64 v[64:65], v[72:73], -v[62:63]
	v_add_f64 v[58:59], v[58:59], v[64:65]
	v_mul_f64 v[64:65], v[66:67], v[62:63]
	v_mul_f64 v[68:69], v[56:57], v[64:65]
	v_fma_f64 v[56:57], v[64:65], v[56:57], -v[68:69]
	v_fmac_f64_e32 v[56:57], v[64:65], v[46:47]
	v_add_f64 v[46:47], v[68:69], v[56:57]
	v_add_f64 v[70:71], v[62:63], -v[46:47]
	v_add_f64 v[62:63], v[62:63], -v[70:71]
	;; [unrolled: 1-line block ×4, first 2 shown]
	v_add_f64 v[46:47], v[58:59], v[46:47]
	v_add_f64 v[56:57], v[68:69], -v[56:57]
	v_add_f64 v[46:47], v[56:57], v[46:47]
	v_add_f64 v[56:57], v[60:61], v[64:65]
	;; [unrolled: 1-line block ×3, first 2 shown]
	v_add_f64 v[58:59], v[56:57], -v[60:61]
	v_mul_f64 v[46:47], v[66:67], v[46:47]
	v_add_f64 v[58:59], v[64:65], -v[58:59]
	v_add_f64 v[46:47], v[58:59], v[46:47]
	v_add_f64 v[58:59], v[56:57], v[46:47]
	v_add_f64 v[56:57], v[58:59], -v[56:57]
	v_add_f64 v[46:47], v[46:47], -v[56:57]
	v_mul_f64 v[56:57], v[58:59], v[58:59]
	v_mov_b64_e32 v[60:61], v[22:23]
	v_fmac_f64_e32 v[60:61], s[42:43], v[56:57]
	v_mov_b64_e32 v[62:63], v[24:25]
	v_fmac_f64_e32 v[62:63], v[56:57], v[60:61]
	;; [unrolled: 2-line block ×6, first 2 shown]
	v_cvt_f64_i32_e32 v[60:61], v55
	v_mul_f64 v[64:65], v[60:61], s[44:45]
	v_fma_f64 v[66:67], v[60:61], s[44:45], -v[64:65]
	v_fmac_f64_e32 v[66:67], s[46:47], v[60:61]
	v_add_f64 v[60:61], v[64:65], v[66:67]
	v_add_f64 v[64:65], v[60:61], -v[64:65]
	v_mul_f64 v[56:57], v[58:59], v[56:57]
	v_add_f64 v[64:65], v[66:67], -v[64:65]
	v_ldexp_f64 v[66:67], v[58:59], 1
	v_mul_f64 v[56:57], v[56:57], v[62:63]
	v_add_f64 v[58:59], v[66:67], v[56:57]
	v_add_f64 v[62:63], v[58:59], -v[66:67]
	v_ldexp_f64 v[46:47], v[46:47], 1
	v_add_f64 v[56:57], v[56:57], -v[62:63]
	v_add_f64 v[46:47], v[46:47], v[56:57]
	v_add_f64 v[56:57], v[58:59], v[46:47]
	v_add_f64 v[58:59], v[56:57], -v[58:59]
	v_add_f64 v[46:47], v[46:47], -v[58:59]
	v_add_f64 v[58:59], v[60:61], v[56:57]
	v_add_f64 v[62:63], v[58:59], -v[60:61]
	v_add_f64 v[66:67], v[58:59], -v[62:63]
	;; [unrolled: 1-line block ×4, first 2 shown]
	v_add_f64 v[56:57], v[56:57], v[60:61]
	v_add_f64 v[60:61], v[64:65], v[46:47]
	v_add_f64 v[62:63], v[60:61], -v[64:65]
	v_add_f64 v[56:57], v[60:61], v[56:57]
	v_add_f64 v[66:67], v[60:61], -v[62:63]
	v_add_f64 v[60:61], v[58:59], v[56:57]
	v_add_f64 v[64:65], v[64:65], -v[66:67]
	v_add_f64 v[46:47], v[46:47], -v[62:63]
	v_add_f64 v[58:59], v[60:61], -v[58:59]
	v_add_f64 v[46:47], v[46:47], v[64:65]
	v_add_f64 v[56:57], v[56:57], -v[58:59]
	v_add_f64 v[46:47], v[46:47], v[56:57]
	v_add_f64 v[46:47], v[60:61], v[46:47]
	v_cmp_neq_f64_e32 vcc, s[48:49], v[44:45]
	s_nop 1
	v_cndmask_b32_e32 v47, v52, v47, vcc
	v_cndmask_b32_e64 v47, v53, v47, s[8:9]
	v_cmp_nge_f64_e64 s[8:9], -1.0, v[44:45]
	s_and_b64 vcc, s[8:9], vcc
	v_cndmask_b32_e32 v46, 0, v46, vcc
	v_cmp_neq_f64_e32 vcc, -1.0, v[44:45]
	s_nop 1
	v_cndmask_b32_e32 v47, v54, v47, vcc
	v_add_f64 v[44:45], v[42:43], v[46:47]
.LBB84_45:                              ;   in Loop: Header=BB84_37 Depth=2
	s_or_b64 exec, exec, s[54:55]
	ds_write_b64 v48, v[44:45]
.LBB84_46:                              ;   in Loop: Header=BB84_37 Depth=2
	s_or_b64 exec, exec, s[52:53]
	v_mov_b32_e32 v46, 0
	s_mov_b64 s[52:53], 0
	s_waitcnt lgkmcnt(0)
	s_barrier
	s_branch .LBB84_49
.LBB84_47:                              ;   in Loop: Header=BB84_49 Depth=3
	s_or_b64 exec, exec, s[56:57]
	ds_write_b64 v56, v[44:45]
.LBB84_48:                              ;   in Loop: Header=BB84_49 Depth=3
	s_or_b64 exec, exec, s[54:55]
	v_cmp_eq_u32_e32 vcc, s58, v55
	s_or_b64 s[52:53], vcc, s[52:53]
	v_mov_b32_e32 v46, v55
	s_waitcnt lgkmcnt(0)
	s_barrier
	s_andn2_b64 exec, exec, s[52:53]
	s_cbranch_execz .LBB84_56
.LBB84_49:                              ;   Parent Loop BB84_34 Depth=1
                                        ;     Parent Loop BB84_37 Depth=2
                                        ; =>    This Inner Loop Header: Depth=3
	v_add_u32_e32 v55, 1, v46
	s_and_saveexec_b64 s[8:9], s[6:7]
	s_xor_b64 s[8:9], exec, s[8:9]
; %bb.50:                               ;   in Loop: Header=BB84_49 Depth=3
	v_add_u32_e32 v55, 1, v46
                                        ; implicit-def: $vgpr46
; %bb.51:                               ;   in Loop: Header=BB84_49 Depth=3
	s_andn2_saveexec_b64 s[54:55], s[8:9]
	s_cbranch_execz .LBB84_48
; %bb.52:                               ;   in Loop: Header=BB84_49 Depth=3
	v_lshlrev_b32_e64 v42, v46, 1
	v_ashrrev_i32_e32 v43, 31, v42
	v_cmp_ge_u64_e32 vcc, v[0:1], v[42:43]
	v_mov_b64_e32 v[44:45], v[0:1]
	s_and_saveexec_b64 s[8:9], vcc
	s_cbranch_execz .LBB84_54
; %bb.53:                               ;   in Loop: Header=BB84_49 Depth=3
	v_cvt_f32_u32_e32 v43, v42
	v_sub_u32_e32 v44, 0, v42
	v_rcp_iflag_f32_e32 v43, v43
	s_nop 0
	v_mul_f32_e32 v43, 0x4f7ffffe, v43
	v_cvt_u32_f32_e32 v43, v43
	v_mul_lo_u32 v44, v44, v43
	v_mul_hi_u32 v44, v43, v44
	v_add_u32_e32 v43, v43, v44
	v_mul_hi_u32 v43, v0, v43
	v_mul_lo_u32 v43, v43, v42
	v_sub_u32_e32 v43, v0, v43
	v_sub_u32_e32 v44, v43, v42
	v_cmp_ge_u32_e32 vcc, v43, v42
	s_nop 1
	v_cndmask_b32_e32 v43, v43, v44, vcc
	v_sub_u32_e32 v44, v43, v42
	v_cmp_ge_u32_e32 vcc, v43, v42
	s_nop 1
	v_cndmask_b32_e32 v44, v43, v44, vcc
.LBB84_54:                              ;   in Loop: Header=BB84_49 Depth=3
	s_or_b64 exec, exec, s[8:9]
	v_lshrrev_b32_e32 v43, v46, v0
	v_lshl_or_b32 v42, v43, v55, v42
	v_lshl_add_u32 v42, v42, 3, v48
	v_lshl_add_u32 v56, v44, 3, v42
	v_add_u32_e32 v42, -8, v42
	ds_read_b64 v[42:43], v42
	ds_read_b64 v[44:45], v56
	s_waitcnt lgkmcnt(1)
	v_max_f64 v[58:59], v[42:43], v[42:43]
	s_waitcnt lgkmcnt(0)
	v_max_f64 v[60:61], v[44:45], v[44:45]
	v_min_f64 v[46:47], v[60:61], v[58:59]
	v_cmp_u_f64_e32 vcc, v[44:45], v[44:45]
	v_max_f64 v[58:59], v[60:61], v[58:59]
	v_cmp_u_f64_e64 s[8:9], v[42:43], v[42:43]
	v_cndmask_b32_e32 v46, v46, v44, vcc
	v_cndmask_b32_e32 v47, v47, v45, vcc
	;; [unrolled: 1-line block ×4, first 2 shown]
	v_cndmask_b32_e64 v47, v47, v43, s[8:9]
	v_cndmask_b32_e64 v46, v46, v42, s[8:9]
	;; [unrolled: 1-line block ×4, first 2 shown]
	v_cmp_neq_f64_e32 vcc, v[46:47], v[42:43]
	v_cmp_class_f64_e64 s[8:9], v[46:47], s59
	s_or_b64 s[8:9], vcc, s[8:9]
	s_and_saveexec_b64 s[56:57], s[8:9]
	s_cbranch_execz .LBB84_47
; %bb.55:                               ;   in Loop: Header=BB84_49 Depth=3
	v_add_f64 v[44:45], v[46:47], -v[42:43]
	v_mul_f64 v[46:47], v[44:45], s[22:23]
	v_rndne_f64_e32 v[46:47], v[46:47]
	v_fma_f64 v[58:59], s[28:29], v[46:47], v[44:45]
	v_fmac_f64_e32 v[58:59], s[30:31], v[46:47]
	v_mov_b64_e32 v[60:61], v[4:5]
	v_fmac_f64_e32 v[60:61], s[34:35], v[58:59]
	v_mov_b64_e32 v[62:63], v[6:7]
	;; [unrolled: 2-line block ×9, first 2 shown]
	v_fmac_f64_e32 v[60:61], v[58:59], v[62:63]
	v_fma_f64 v[60:61], v[58:59], v[60:61], 1.0
	v_fma_f64 v[58:59], v[58:59], v[60:61], 1.0
	v_cvt_i32_f64_e32 v46, v[46:47]
	v_ldexp_f64 v[46:47], v[58:59], v46
	v_cmp_nlt_f64_e32 vcc, s[36:37], v[44:45]
	v_cmp_ngt_f64_e64 s[8:9], s[38:39], v[44:45]
	s_mov_b32 s44, s28
	v_cndmask_b32_e32 v47, v52, v47, vcc
	s_and_b64 vcc, s[8:9], vcc
	v_cndmask_b32_e64 v45, 0, v47, s[8:9]
	v_cndmask_b32_e32 v44, 0, v46, vcc
	v_add_f64 v[46:47], v[44:45], 1.0
	v_add_f64 v[58:59], v[46:47], -1.0
	v_add_f64 v[60:61], v[58:59], -v[46:47]
	v_add_f64 v[60:61], v[60:61], 1.0
	v_add_f64 v[58:59], v[44:45], -v[58:59]
	v_add_f64 v[58:59], v[58:59], v[60:61]
	v_frexp_mant_f64_e32 v[60:61], v[46:47]
	v_frexp_exp_i32_f64_e32 v57, v[46:47]
	v_cmp_gt_f64_e32 vcc, s[40:41], v[60:61]
	s_mov_b32 s46, s30
	v_cmp_ngt_f64_e64 s[8:9], -1.0, v[44:45]
	v_subbrev_co_u32_e32 v57, vcc, 0, v57, vcc
	v_sub_u32_e32 v60, 0, v57
	v_ldexp_f64 v[46:47], v[46:47], v60
	v_ldexp_f64 v[58:59], v[58:59], v60
	v_add_f64 v[60:61], v[46:47], -1.0
	v_add_f64 v[66:67], v[46:47], 1.0
	v_add_f64 v[62:63], v[60:61], 1.0
	v_add_f64 v[68:69], v[66:67], -1.0
	v_add_f64 v[62:63], v[46:47], -v[62:63]
	v_add_f64 v[46:47], v[46:47], -v[68:69]
	v_add_f64 v[46:47], v[58:59], v[46:47]
	v_add_f64 v[62:63], v[58:59], v[62:63]
	;; [unrolled: 1-line block ×3, first 2 shown]
	v_rcp_f64_e32 v[68:69], v[58:59]
	v_add_f64 v[64:65], v[60:61], v[62:63]
	v_add_f64 v[60:61], v[64:65], -v[60:61]
	v_add_f64 v[60:61], v[62:63], -v[60:61]
	;; [unrolled: 1-line block ×4, first 2 shown]
	v_fma_f64 v[62:63], -v[58:59], v[68:69], 1.0
	v_fmac_f64_e32 v[68:69], v[62:63], v[68:69]
	v_fma_f64 v[62:63], -v[58:59], v[68:69], 1.0
	v_fmac_f64_e32 v[68:69], v[62:63], v[68:69]
	v_mul_f64 v[62:63], v[64:65], v[68:69]
	v_mul_f64 v[66:67], v[58:59], v[62:63]
	v_fma_f64 v[70:71], v[62:63], v[58:59], -v[66:67]
	v_fmac_f64_e32 v[70:71], v[62:63], v[46:47]
	v_add_f64 v[72:73], v[66:67], v[70:71]
	v_add_f64 v[74:75], v[64:65], -v[72:73]
	v_add_f64 v[64:65], v[64:65], -v[74:75]
	;; [unrolled: 1-line block ×4, first 2 shown]
	v_add_f64 v[60:61], v[60:61], v[64:65]
	v_add_f64 v[64:65], v[66:67], -v[70:71]
	v_add_f64 v[60:61], v[64:65], v[60:61]
	v_add_f64 v[64:65], v[74:75], v[60:61]
	v_add_f64 v[66:67], v[74:75], -v[64:65]
	v_add_f64 v[60:61], v[60:61], v[66:67]
	v_mul_f64 v[66:67], v[68:69], v[64:65]
	v_mul_f64 v[70:71], v[58:59], v[66:67]
	v_fma_f64 v[58:59], v[66:67], v[58:59], -v[70:71]
	v_fmac_f64_e32 v[58:59], v[66:67], v[46:47]
	v_add_f64 v[46:47], v[70:71], v[58:59]
	v_add_f64 v[72:73], v[64:65], -v[46:47]
	v_add_f64 v[64:65], v[64:65], -v[72:73]
	;; [unrolled: 1-line block ×4, first 2 shown]
	v_add_f64 v[46:47], v[60:61], v[46:47]
	v_add_f64 v[58:59], v[70:71], -v[58:59]
	v_add_f64 v[46:47], v[58:59], v[46:47]
	v_add_f64 v[58:59], v[62:63], v[66:67]
	;; [unrolled: 1-line block ×3, first 2 shown]
	v_add_f64 v[60:61], v[58:59], -v[62:63]
	v_mul_f64 v[46:47], v[68:69], v[46:47]
	v_add_f64 v[60:61], v[66:67], -v[60:61]
	v_add_f64 v[46:47], v[60:61], v[46:47]
	v_add_f64 v[60:61], v[58:59], v[46:47]
	v_add_f64 v[58:59], v[60:61], -v[58:59]
	v_add_f64 v[46:47], v[46:47], -v[58:59]
	v_mul_f64 v[58:59], v[60:61], v[60:61]
	v_mov_b64_e32 v[62:63], v[22:23]
	v_fmac_f64_e32 v[62:63], s[42:43], v[58:59]
	v_mov_b64_e32 v[64:65], v[24:25]
	v_fmac_f64_e32 v[64:65], v[58:59], v[62:63]
	;; [unrolled: 2-line block ×6, first 2 shown]
	v_cvt_f64_i32_e32 v[62:63], v57
	v_mul_f64 v[66:67], v[62:63], s[44:45]
	v_fma_f64 v[68:69], v[62:63], s[44:45], -v[66:67]
	v_fmac_f64_e32 v[68:69], s[46:47], v[62:63]
	v_add_f64 v[62:63], v[66:67], v[68:69]
	v_add_f64 v[66:67], v[62:63], -v[66:67]
	v_mul_f64 v[58:59], v[60:61], v[58:59]
	v_add_f64 v[66:67], v[68:69], -v[66:67]
	v_ldexp_f64 v[68:69], v[60:61], 1
	v_mul_f64 v[58:59], v[58:59], v[64:65]
	v_add_f64 v[60:61], v[68:69], v[58:59]
	v_add_f64 v[64:65], v[60:61], -v[68:69]
	v_ldexp_f64 v[46:47], v[46:47], 1
	v_add_f64 v[58:59], v[58:59], -v[64:65]
	v_add_f64 v[46:47], v[46:47], v[58:59]
	v_add_f64 v[58:59], v[60:61], v[46:47]
	v_add_f64 v[60:61], v[58:59], -v[60:61]
	v_add_f64 v[46:47], v[46:47], -v[60:61]
	v_add_f64 v[60:61], v[62:63], v[58:59]
	v_add_f64 v[64:65], v[60:61], -v[62:63]
	v_add_f64 v[68:69], v[60:61], -v[64:65]
	;; [unrolled: 1-line block ×4, first 2 shown]
	v_add_f64 v[58:59], v[58:59], v[62:63]
	v_add_f64 v[62:63], v[66:67], v[46:47]
	v_add_f64 v[64:65], v[62:63], -v[66:67]
	v_add_f64 v[58:59], v[62:63], v[58:59]
	v_add_f64 v[68:69], v[62:63], -v[64:65]
	v_add_f64 v[62:63], v[60:61], v[58:59]
	v_add_f64 v[66:67], v[66:67], -v[68:69]
	v_add_f64 v[46:47], v[46:47], -v[64:65]
	v_add_f64 v[60:61], v[62:63], -v[60:61]
	v_add_f64 v[46:47], v[46:47], v[66:67]
	v_add_f64 v[58:59], v[58:59], -v[60:61]
	v_add_f64 v[46:47], v[46:47], v[58:59]
	v_add_f64 v[46:47], v[62:63], v[46:47]
	v_cmp_neq_f64_e32 vcc, s[48:49], v[44:45]
	s_nop 1
	v_cndmask_b32_e32 v47, v52, v47, vcc
	v_cndmask_b32_e64 v47, v53, v47, s[8:9]
	v_cmp_nge_f64_e64 s[8:9], -1.0, v[44:45]
	s_and_b64 vcc, s[8:9], vcc
	v_cndmask_b32_e32 v46, 0, v46, vcc
	v_cmp_neq_f64_e32 vcc, -1.0, v[44:45]
	s_nop 1
	v_cndmask_b32_e32 v47, v54, v47, vcc
	v_add_f64 v[44:45], v[42:43], v[46:47]
	s_branch .LBB84_47
.LBB84_56:                              ;   in Loop: Header=BB84_37 Depth=2
	s_or_b64 exec, exec, s[52:53]
	s_and_saveexec_b64 s[8:9], s[4:5]
	s_cbranch_execz .LBB84_36
; %bb.57:                               ;   in Loop: Header=BB84_37 Depth=2
	v_cmp_gt_u64_e32 vcc, s[26:27], v[40:41]
	s_and_saveexec_b64 s[52:53], vcc
	s_cbranch_execz .LBB84_59
; %bb.58:                               ;   in Loop: Header=BB84_37 Depth=2
	ds_read_b64 v[42:43], v49
	v_lshl_add_u64 v[40:41], v[40:41], 3, v[36:37]
	s_waitcnt lgkmcnt(0)
	global_store_dwordx2 v[40:41], v[42:43], off
.LBB84_59:                              ;   in Loop: Header=BB84_37 Depth=2
	s_or_b64 exec, exec, s[52:53]
	v_cmp_gt_u64_e32 vcc, s[26:27], v[38:39]
	s_and_b64 exec, exec, vcc
	s_cbranch_execz .LBB84_36
; %bb.60:                               ;   in Loop: Header=BB84_37 Depth=2
	ds_read_b64 v[40:41], v50
	v_lshl_add_u64 v[38:39], v[38:39], 3, v[36:37]
	s_waitcnt lgkmcnt(0)
	global_store_dwordx2 v[38:39], v[40:41], off
	s_branch .LBB84_36
.LBB84_61:
	s_endpgm
	.section	.rodata,"a",@progbits
	.p2align	6, 0x0
	.amdhsa_kernel _ZN2at6native32tensor_kernel_scan_innermost_dimIdZZZNS0_31launch_logcumsumexp_cuda_kernelERKNS_10TensorBaseES4_lENKUlvE_clEvENKUlvE_clEvEUlddE_EEvPT_PKS8_jjjS8_T0_
		.amdhsa_group_segment_fixed_size 0
		.amdhsa_private_segment_fixed_size 0
		.amdhsa_kernarg_size 304
		.amdhsa_user_sgpr_count 2
		.amdhsa_user_sgpr_dispatch_ptr 0
		.amdhsa_user_sgpr_queue_ptr 0
		.amdhsa_user_sgpr_kernarg_segment_ptr 1
		.amdhsa_user_sgpr_dispatch_id 0
		.amdhsa_user_sgpr_kernarg_preload_length 0
		.amdhsa_user_sgpr_kernarg_preload_offset 0
		.amdhsa_user_sgpr_private_segment_size 0
		.amdhsa_uses_dynamic_stack 0
		.amdhsa_enable_private_segment 0
		.amdhsa_system_sgpr_workgroup_id_x 1
		.amdhsa_system_sgpr_workgroup_id_y 0
		.amdhsa_system_sgpr_workgroup_id_z 0
		.amdhsa_system_sgpr_workgroup_info 0
		.amdhsa_system_vgpr_workitem_id 1
		.amdhsa_next_free_vgpr 76
		.amdhsa_next_free_sgpr 60
		.amdhsa_accum_offset 76
		.amdhsa_reserve_vcc 1
		.amdhsa_float_round_mode_32 0
		.amdhsa_float_round_mode_16_64 0
		.amdhsa_float_denorm_mode_32 3
		.amdhsa_float_denorm_mode_16_64 3
		.amdhsa_dx10_clamp 1
		.amdhsa_ieee_mode 1
		.amdhsa_fp16_overflow 0
		.amdhsa_tg_split 0
		.amdhsa_exception_fp_ieee_invalid_op 0
		.amdhsa_exception_fp_denorm_src 0
		.amdhsa_exception_fp_ieee_div_zero 0
		.amdhsa_exception_fp_ieee_overflow 0
		.amdhsa_exception_fp_ieee_underflow 0
		.amdhsa_exception_fp_ieee_inexact 0
		.amdhsa_exception_int_div_zero 0
	.end_amdhsa_kernel
	.section	.text._ZN2at6native32tensor_kernel_scan_innermost_dimIdZZZNS0_31launch_logcumsumexp_cuda_kernelERKNS_10TensorBaseES4_lENKUlvE_clEvENKUlvE_clEvEUlddE_EEvPT_PKS8_jjjS8_T0_,"axG",@progbits,_ZN2at6native32tensor_kernel_scan_innermost_dimIdZZZNS0_31launch_logcumsumexp_cuda_kernelERKNS_10TensorBaseES4_lENKUlvE_clEvENKUlvE_clEvEUlddE_EEvPT_PKS8_jjjS8_T0_,comdat
.Lfunc_end84:
	.size	_ZN2at6native32tensor_kernel_scan_innermost_dimIdZZZNS0_31launch_logcumsumexp_cuda_kernelERKNS_10TensorBaseES4_lENKUlvE_clEvENKUlvE_clEvEUlddE_EEvPT_PKS8_jjjS8_T0_, .Lfunc_end84-_ZN2at6native32tensor_kernel_scan_innermost_dimIdZZZNS0_31launch_logcumsumexp_cuda_kernelERKNS_10TensorBaseES4_lENKUlvE_clEvENKUlvE_clEvEUlddE_EEvPT_PKS8_jjjS8_T0_
                                        ; -- End function
	.set _ZN2at6native32tensor_kernel_scan_innermost_dimIdZZZNS0_31launch_logcumsumexp_cuda_kernelERKNS_10TensorBaseES4_lENKUlvE_clEvENKUlvE_clEvEUlddE_EEvPT_PKS8_jjjS8_T0_.num_vgpr, 76
	.set _ZN2at6native32tensor_kernel_scan_innermost_dimIdZZZNS0_31launch_logcumsumexp_cuda_kernelERKNS_10TensorBaseES4_lENKUlvE_clEvENKUlvE_clEvEUlddE_EEvPT_PKS8_jjjS8_T0_.num_agpr, 0
	.set _ZN2at6native32tensor_kernel_scan_innermost_dimIdZZZNS0_31launch_logcumsumexp_cuda_kernelERKNS_10TensorBaseES4_lENKUlvE_clEvENKUlvE_clEvEUlddE_EEvPT_PKS8_jjjS8_T0_.numbered_sgpr, 60
	.set _ZN2at6native32tensor_kernel_scan_innermost_dimIdZZZNS0_31launch_logcumsumexp_cuda_kernelERKNS_10TensorBaseES4_lENKUlvE_clEvENKUlvE_clEvEUlddE_EEvPT_PKS8_jjjS8_T0_.num_named_barrier, 0
	.set _ZN2at6native32tensor_kernel_scan_innermost_dimIdZZZNS0_31launch_logcumsumexp_cuda_kernelERKNS_10TensorBaseES4_lENKUlvE_clEvENKUlvE_clEvEUlddE_EEvPT_PKS8_jjjS8_T0_.private_seg_size, 0
	.set _ZN2at6native32tensor_kernel_scan_innermost_dimIdZZZNS0_31launch_logcumsumexp_cuda_kernelERKNS_10TensorBaseES4_lENKUlvE_clEvENKUlvE_clEvEUlddE_EEvPT_PKS8_jjjS8_T0_.uses_vcc, 1
	.set _ZN2at6native32tensor_kernel_scan_innermost_dimIdZZZNS0_31launch_logcumsumexp_cuda_kernelERKNS_10TensorBaseES4_lENKUlvE_clEvENKUlvE_clEvEUlddE_EEvPT_PKS8_jjjS8_T0_.uses_flat_scratch, 0
	.set _ZN2at6native32tensor_kernel_scan_innermost_dimIdZZZNS0_31launch_logcumsumexp_cuda_kernelERKNS_10TensorBaseES4_lENKUlvE_clEvENKUlvE_clEvEUlddE_EEvPT_PKS8_jjjS8_T0_.has_dyn_sized_stack, 0
	.set _ZN2at6native32tensor_kernel_scan_innermost_dimIdZZZNS0_31launch_logcumsumexp_cuda_kernelERKNS_10TensorBaseES4_lENKUlvE_clEvENKUlvE_clEvEUlddE_EEvPT_PKS8_jjjS8_T0_.has_recursion, 0
	.set _ZN2at6native32tensor_kernel_scan_innermost_dimIdZZZNS0_31launch_logcumsumexp_cuda_kernelERKNS_10TensorBaseES4_lENKUlvE_clEvENKUlvE_clEvEUlddE_EEvPT_PKS8_jjjS8_T0_.has_indirect_call, 0
	.section	.AMDGPU.csdata,"",@progbits
; Kernel info:
; codeLenInByte = 7368
; TotalNumSgprs: 66
; NumVgprs: 76
; NumAgprs: 0
; TotalNumVgprs: 76
; ScratchSize: 0
; MemoryBound: 0
; FloatMode: 240
; IeeeMode: 1
; LDSByteSize: 0 bytes/workgroup (compile time only)
; SGPRBlocks: 8
; VGPRBlocks: 9
; NumSGPRsForWavesPerEU: 66
; NumVGPRsForWavesPerEU: 76
; AccumOffset: 76
; Occupancy: 6
; WaveLimiterHint : 0
; COMPUTE_PGM_RSRC2:SCRATCH_EN: 0
; COMPUTE_PGM_RSRC2:USER_SGPR: 2
; COMPUTE_PGM_RSRC2:TRAP_HANDLER: 0
; COMPUTE_PGM_RSRC2:TGID_X_EN: 1
; COMPUTE_PGM_RSRC2:TGID_Y_EN: 0
; COMPUTE_PGM_RSRC2:TGID_Z_EN: 0
; COMPUTE_PGM_RSRC2:TIDIG_COMP_CNT: 1
; COMPUTE_PGM_RSRC3_GFX90A:ACCUM_OFFSET: 18
; COMPUTE_PGM_RSRC3_GFX90A:TG_SPLIT: 0
	.section	.text._ZN2at6native28tensor_kernel_scan_outer_dimIdjZZZNS0_31launch_logcumsumexp_cuda_kernelERKNS_10TensorBaseES4_lENKUlvE_clEvENKUlvE_clEvEUlddE_EEvPT_PKS8_jjjS8_T1_,"axG",@progbits,_ZN2at6native28tensor_kernel_scan_outer_dimIdjZZZNS0_31launch_logcumsumexp_cuda_kernelERKNS_10TensorBaseES4_lENKUlvE_clEvENKUlvE_clEvEUlddE_EEvPT_PKS8_jjjS8_T1_,comdat
	.globl	_ZN2at6native28tensor_kernel_scan_outer_dimIdjZZZNS0_31launch_logcumsumexp_cuda_kernelERKNS_10TensorBaseES4_lENKUlvE_clEvENKUlvE_clEvEUlddE_EEvPT_PKS8_jjjS8_T1_ ; -- Begin function _ZN2at6native28tensor_kernel_scan_outer_dimIdjZZZNS0_31launch_logcumsumexp_cuda_kernelERKNS_10TensorBaseES4_lENKUlvE_clEvENKUlvE_clEvEUlddE_EEvPT_PKS8_jjjS8_T1_
	.p2align	8
	.type	_ZN2at6native28tensor_kernel_scan_outer_dimIdjZZZNS0_31launch_logcumsumexp_cuda_kernelERKNS_10TensorBaseES4_lENKUlvE_clEvENKUlvE_clEvEUlddE_EEvPT_PKS8_jjjS8_T1_,@function
_ZN2at6native28tensor_kernel_scan_outer_dimIdjZZZNS0_31launch_logcumsumexp_cuda_kernelERKNS_10TensorBaseES4_lENKUlvE_clEvENKUlvE_clEvEUlddE_EEvPT_PKS8_jjjS8_T1_: ; @_ZN2at6native28tensor_kernel_scan_outer_dimIdjZZZNS0_31launch_logcumsumexp_cuda_kernelERKNS_10TensorBaseES4_lENKUlvE_clEvENKUlvE_clEvEUlddE_EEvPT_PKS8_jjjS8_T1_
; %bb.0:
	s_load_dwordx4 s[8:11], s[0:1], 0x10
	s_waitcnt lgkmcnt(0)
	s_cmp_ge_u32 s2, s8
	s_cbranch_scc1 .LBB85_11
; %bb.1:
	s_load_dword s11, s[0:1], 0x30
	s_load_dword s4, s[0:1], 0x3c
	s_load_dwordx4 s[12:15], s[0:1], 0x0
	s_load_dwordx2 s[16:17], s[0:1], 0x20
	s_add_u32 s18, s0, 48
	s_addc_u32 s19, s1, 0
	s_waitcnt lgkmcnt(0)
	s_and_b32 s33, s4, 0xffff
	s_mul_i32 s3, s3, s33
	s_cmp_lg_u32 s10, 0
	v_add_u32_e32 v40, s3, v0
	s_cselect_b64 s[4:5], -1, 0
	s_mul_i32 s3, s2, s10
	s_mov_b32 s21, 0
	s_mov_b32 s20, s9
	s_mul_i32 s6, s3, s9
	s_mul_i32 s3, s11, s10
	v_cndmask_b32_e64 v0, 0, 1, s[4:5]
	s_mov_b32 s24, 0x652b82fe
	s_mov_b32 s26, 0xfefa39ef
	;; [unrolled: 1-line block ×9, first 2 shown]
	v_cmp_gt_u32_e64 s[0:1], s9, v40
	s_mul_i32 s3, s3, s9
	s_lshl_b64 s[22:23], s[20:21], 3
	v_cmp_ne_u32_e64 s[4:5], 1, v0
	v_mov_b32_e32 v1, 0
	s_movk_i32 s56, 0x1f8
	s_mov_b32 s25, 0x3ff71547
	s_mov_b32 s27, 0xbfe62e42
	;; [unrolled: 1-line block ×11, first 2 shown]
	v_mov_b32_e32 v2, 0xfca7ab0c
	v_mov_b32_e32 v3, 0x3e928af3
	;; [unrolled: 1-line block ×32, first 2 shown]
	s_mov_b32 s20, s6
	s_branch .LBB85_3
.LBB85_2:                               ;   in Loop: Header=BB85_3 Depth=1
	s_or_b64 exec, exec, s[48:49]
	s_add_i32 s2, s11, s2
	s_add_i32 s20, s20, s3
	s_cmp_ge_u32 s2, s8
	s_cbranch_scc1 .LBB85_11
.LBB85_3:                               ; =>This Loop Header: Depth=1
                                        ;     Child Loop BB85_6 Depth 2
                                        ;       Child Loop BB85_9 Depth 3
	s_and_saveexec_b64 s[48:49], s[0:1]
	s_cbranch_execz .LBB85_2
; %bb.4:                                ;   in Loop: Header=BB85_3 Depth=1
	s_load_dword s57, s[18:19], 0x4
	s_lshl_b64 s[50:51], s[20:21], 3
	s_mov_b64 s[52:53], 0
	v_mov_b32_e32 v0, v40
	s_waitcnt lgkmcnt(0)
	s_mul_i32 s57, s57, s33
	s_branch .LBB85_6
.LBB85_5:                               ;   in Loop: Header=BB85_6 Depth=2
	v_add_u32_e32 v0, s57, v0
	v_cmp_le_u32_e32 vcc, s9, v0
	s_or_b64 s[52:53], vcc, s[52:53]
	s_andn2_b64 exec, exec, s[52:53]
	s_cbranch_execz .LBB85_2
.LBB85_6:                               ;   Parent Loop BB85_3 Depth=1
                                        ; =>  This Loop Header: Depth=2
                                        ;       Child Loop BB85_9 Depth 3
	s_and_b64 vcc, exec, s[4:5]
	s_cbranch_vccnz .LBB85_5
; %bb.7:                                ;   in Loop: Header=BB85_6 Depth=2
	v_lshl_add_u64 v[32:33], v[0:1], 3, s[50:51]
	v_mov_b64_e32 v[36:37], s[16:17]
	s_mov_b32 s58, s10
	s_branch .LBB85_9
.LBB85_8:                               ;   in Loop: Header=BB85_9 Depth=3
	s_or_b64 exec, exec, s[54:55]
	s_add_i32 s58, s58, -1
	v_lshl_add_u64 v[34:35], s[12:13], 0, v[32:33]
	s_cmp_eq_u32 s58, 0
	v_lshl_add_u64 v[32:33], v[32:33], 0, s[22:23]
	global_store_dwordx2 v[34:35], v[36:37], off
	s_cbranch_scc1 .LBB85_5
.LBB85_9:                               ;   Parent Loop BB85_3 Depth=1
                                        ;     Parent Loop BB85_6 Depth=2
                                        ; =>    This Inner Loop Header: Depth=3
	v_lshl_add_u64 v[34:35], s[14:15], 0, v[32:33]
	global_load_dwordx2 v[34:35], v[34:35], off
	v_max_f64 v[38:39], v[36:37], v[36:37]
	v_cmp_u_f64_e32 vcc, v[36:37], v[36:37]
	s_waitcnt vmcnt(0)
	v_max_f64 v[44:45], v[34:35], v[34:35]
	v_min_f64 v[46:47], v[38:39], v[44:45]
	v_max_f64 v[38:39], v[38:39], v[44:45]
	v_cndmask_b32_e32 v43, v46, v36, vcc
	v_cndmask_b32_e32 v44, v47, v37, vcc
	;; [unrolled: 1-line block ×4, first 2 shown]
	v_cmp_u_f64_e32 vcc, v[34:35], v[34:35]
	s_nop 1
	v_cndmask_b32_e32 v39, v44, v35, vcc
	v_cndmask_b32_e32 v38, v43, v34, vcc
	v_cndmask_b32_e32 v35, v46, v35, vcc
	v_cndmask_b32_e32 v34, v45, v34, vcc
	v_cmp_neq_f64_e32 vcc, v[38:39], v[34:35]
	v_cmp_class_f64_e64 s[6:7], v[38:39], s56
	s_or_b64 s[6:7], vcc, s[6:7]
	s_and_saveexec_b64 s[54:55], s[6:7]
	s_cbranch_execz .LBB85_8
; %bb.10:                               ;   in Loop: Header=BB85_9 Depth=3
	v_add_f64 v[36:37], v[38:39], -v[34:35]
	v_mul_f64 v[38:39], v[36:37], s[24:25]
	v_rndne_f64_e32 v[38:39], v[38:39]
	v_fma_f64 v[44:45], s[26:27], v[38:39], v[36:37]
	v_fmac_f64_e32 v[44:45], s[28:29], v[38:39]
	v_mov_b64_e32 v[46:47], v[2:3]
	v_fmac_f64_e32 v[46:47], s[30:31], v[44:45]
	v_mov_b64_e32 v[48:49], v[4:5]
	;; [unrolled: 2-line block ×9, first 2 shown]
	v_fmac_f64_e32 v[46:47], v[44:45], v[48:49]
	v_fma_f64 v[46:47], v[44:45], v[46:47], 1.0
	v_fma_f64 v[44:45], v[44:45], v[46:47], 1.0
	v_cvt_i32_f64_e32 v38, v[38:39]
	v_ldexp_f64 v[38:39], v[44:45], v38
	v_cmp_nlt_f64_e32 vcc, s[34:35], v[36:37]
	v_cmp_ngt_f64_e64 s[6:7], s[36:37], v[36:37]
	s_mov_b32 s42, s26
	v_cndmask_b32_e32 v39, v41, v39, vcc
	s_and_b64 vcc, s[6:7], vcc
	v_cndmask_b32_e64 v37, 0, v39, s[6:7]
	v_cndmask_b32_e32 v36, 0, v38, vcc
	v_add_f64 v[38:39], v[36:37], 1.0
	v_add_f64 v[44:45], v[38:39], -1.0
	v_add_f64 v[46:47], v[44:45], -v[38:39]
	v_add_f64 v[46:47], v[46:47], 1.0
	v_add_f64 v[44:45], v[36:37], -v[44:45]
	v_add_f64 v[44:45], v[44:45], v[46:47]
	v_frexp_mant_f64_e32 v[46:47], v[38:39]
	v_frexp_exp_i32_f64_e32 v43, v[38:39]
	v_cmp_gt_f64_e32 vcc, s[38:39], v[46:47]
	s_mov_b32 s44, s28
	v_cmp_ngt_f64_e64 s[6:7], -1.0, v[36:37]
	v_subbrev_co_u32_e32 v43, vcc, 0, v43, vcc
	v_sub_u32_e32 v46, 0, v43
	v_ldexp_f64 v[38:39], v[38:39], v46
	v_ldexp_f64 v[44:45], v[44:45], v46
	v_add_f64 v[46:47], v[38:39], -1.0
	v_add_f64 v[52:53], v[38:39], 1.0
	v_add_f64 v[48:49], v[46:47], 1.0
	v_add_f64 v[54:55], v[52:53], -1.0
	v_add_f64 v[48:49], v[38:39], -v[48:49]
	v_add_f64 v[38:39], v[38:39], -v[54:55]
	v_add_f64 v[38:39], v[44:45], v[38:39]
	v_add_f64 v[48:49], v[44:45], v[48:49]
	v_add_f64 v[44:45], v[52:53], v[38:39]
	v_rcp_f64_e32 v[54:55], v[44:45]
	v_add_f64 v[50:51], v[46:47], v[48:49]
	v_add_f64 v[46:47], v[50:51], -v[46:47]
	v_add_f64 v[46:47], v[48:49], -v[46:47]
	;; [unrolled: 1-line block ×4, first 2 shown]
	v_fma_f64 v[48:49], -v[44:45], v[54:55], 1.0
	v_fmac_f64_e32 v[54:55], v[48:49], v[54:55]
	v_fma_f64 v[48:49], -v[44:45], v[54:55], 1.0
	v_fmac_f64_e32 v[54:55], v[48:49], v[54:55]
	v_mul_f64 v[48:49], v[50:51], v[54:55]
	v_mul_f64 v[52:53], v[44:45], v[48:49]
	v_fma_f64 v[56:57], v[48:49], v[44:45], -v[52:53]
	v_fmac_f64_e32 v[56:57], v[48:49], v[38:39]
	v_add_f64 v[58:59], v[52:53], v[56:57]
	v_add_f64 v[60:61], v[50:51], -v[58:59]
	v_add_f64 v[50:51], v[50:51], -v[60:61]
	;; [unrolled: 1-line block ×4, first 2 shown]
	v_add_f64 v[46:47], v[46:47], v[50:51]
	v_add_f64 v[50:51], v[52:53], -v[56:57]
	v_add_f64 v[46:47], v[50:51], v[46:47]
	v_add_f64 v[50:51], v[60:61], v[46:47]
	v_add_f64 v[52:53], v[60:61], -v[50:51]
	v_add_f64 v[46:47], v[46:47], v[52:53]
	v_mul_f64 v[52:53], v[54:55], v[50:51]
	v_mul_f64 v[56:57], v[44:45], v[52:53]
	v_fma_f64 v[44:45], v[52:53], v[44:45], -v[56:57]
	v_fmac_f64_e32 v[44:45], v[52:53], v[38:39]
	v_add_f64 v[38:39], v[56:57], v[44:45]
	v_add_f64 v[58:59], v[50:51], -v[38:39]
	v_add_f64 v[50:51], v[50:51], -v[58:59]
	;; [unrolled: 1-line block ×4, first 2 shown]
	v_add_f64 v[38:39], v[46:47], v[38:39]
	v_add_f64 v[44:45], v[56:57], -v[44:45]
	v_add_f64 v[38:39], v[44:45], v[38:39]
	v_add_f64 v[44:45], v[48:49], v[52:53]
	;; [unrolled: 1-line block ×3, first 2 shown]
	v_add_f64 v[46:47], v[44:45], -v[48:49]
	v_mul_f64 v[38:39], v[54:55], v[38:39]
	v_add_f64 v[46:47], v[52:53], -v[46:47]
	v_add_f64 v[38:39], v[46:47], v[38:39]
	v_add_f64 v[46:47], v[44:45], v[38:39]
	v_add_f64 v[44:45], v[46:47], -v[44:45]
	v_add_f64 v[38:39], v[38:39], -v[44:45]
	v_mul_f64 v[44:45], v[46:47], v[46:47]
	v_mov_b64_e32 v[48:49], v[20:21]
	v_fmac_f64_e32 v[48:49], s[40:41], v[44:45]
	v_mov_b64_e32 v[50:51], v[22:23]
	v_fmac_f64_e32 v[50:51], v[44:45], v[48:49]
	;; [unrolled: 2-line block ×6, first 2 shown]
	v_cvt_f64_i32_e32 v[48:49], v43
	v_mul_f64 v[52:53], v[48:49], s[42:43]
	v_fma_f64 v[54:55], v[48:49], s[42:43], -v[52:53]
	v_fmac_f64_e32 v[54:55], s[44:45], v[48:49]
	v_add_f64 v[48:49], v[52:53], v[54:55]
	v_add_f64 v[52:53], v[48:49], -v[52:53]
	v_mul_f64 v[44:45], v[46:47], v[44:45]
	v_add_f64 v[52:53], v[54:55], -v[52:53]
	v_ldexp_f64 v[54:55], v[46:47], 1
	v_mul_f64 v[44:45], v[44:45], v[50:51]
	v_add_f64 v[46:47], v[54:55], v[44:45]
	v_add_f64 v[50:51], v[46:47], -v[54:55]
	v_ldexp_f64 v[38:39], v[38:39], 1
	v_add_f64 v[44:45], v[44:45], -v[50:51]
	v_add_f64 v[38:39], v[38:39], v[44:45]
	v_add_f64 v[44:45], v[46:47], v[38:39]
	v_add_f64 v[46:47], v[44:45], -v[46:47]
	v_add_f64 v[38:39], v[38:39], -v[46:47]
	v_add_f64 v[46:47], v[48:49], v[44:45]
	v_add_f64 v[50:51], v[46:47], -v[48:49]
	v_add_f64 v[54:55], v[46:47], -v[50:51]
	v_add_f64 v[48:49], v[48:49], -v[54:55]
	v_add_f64 v[44:45], v[44:45], -v[50:51]
	v_add_f64 v[44:45], v[44:45], v[48:49]
	v_add_f64 v[48:49], v[52:53], v[38:39]
	v_add_f64 v[50:51], v[48:49], -v[52:53]
	v_add_f64 v[44:45], v[48:49], v[44:45]
	v_add_f64 v[54:55], v[48:49], -v[50:51]
	;; [unrolled: 2-line block ×3, first 2 shown]
	v_add_f64 v[38:39], v[38:39], -v[50:51]
	v_add_f64 v[46:47], v[48:49], -v[46:47]
	v_add_f64 v[38:39], v[38:39], v[52:53]
	v_add_f64 v[44:45], v[44:45], -v[46:47]
	v_add_f64 v[38:39], v[38:39], v[44:45]
	v_add_f64 v[38:39], v[48:49], v[38:39]
	v_cmp_neq_f64_e32 vcc, s[46:47], v[36:37]
	v_mov_b32_e32 v43, 0x7ff80000
	s_nop 0
	v_cndmask_b32_e32 v39, v41, v39, vcc
	v_cndmask_b32_e64 v39, v43, v39, s[6:7]
	v_cmp_nge_f64_e64 s[6:7], -1.0, v[36:37]
	s_and_b64 vcc, s[6:7], vcc
	v_cndmask_b32_e32 v38, 0, v38, vcc
	v_cmp_neq_f64_e32 vcc, -1.0, v[36:37]
	s_nop 1
	v_cndmask_b32_e32 v39, v42, v39, vcc
	v_add_f64 v[36:37], v[34:35], v[38:39]
	s_branch .LBB85_8
.LBB85_11:
	s_endpgm
	.section	.rodata,"a",@progbits
	.p2align	6, 0x0
	.amdhsa_kernel _ZN2at6native28tensor_kernel_scan_outer_dimIdjZZZNS0_31launch_logcumsumexp_cuda_kernelERKNS_10TensorBaseES4_lENKUlvE_clEvENKUlvE_clEvEUlddE_EEvPT_PKS8_jjjS8_T1_
		.amdhsa_group_segment_fixed_size 0
		.amdhsa_private_segment_fixed_size 0
		.amdhsa_kernarg_size 304
		.amdhsa_user_sgpr_count 2
		.amdhsa_user_sgpr_dispatch_ptr 0
		.amdhsa_user_sgpr_queue_ptr 0
		.amdhsa_user_sgpr_kernarg_segment_ptr 1
		.amdhsa_user_sgpr_dispatch_id 0
		.amdhsa_user_sgpr_kernarg_preload_length 0
		.amdhsa_user_sgpr_kernarg_preload_offset 0
		.amdhsa_user_sgpr_private_segment_size 0
		.amdhsa_uses_dynamic_stack 0
		.amdhsa_enable_private_segment 0
		.amdhsa_system_sgpr_workgroup_id_x 1
		.amdhsa_system_sgpr_workgroup_id_y 1
		.amdhsa_system_sgpr_workgroup_id_z 0
		.amdhsa_system_sgpr_workgroup_info 0
		.amdhsa_system_vgpr_workitem_id 0
		.amdhsa_next_free_vgpr 62
		.amdhsa_next_free_sgpr 59
		.amdhsa_accum_offset 64
		.amdhsa_reserve_vcc 1
		.amdhsa_float_round_mode_32 0
		.amdhsa_float_round_mode_16_64 0
		.amdhsa_float_denorm_mode_32 3
		.amdhsa_float_denorm_mode_16_64 3
		.amdhsa_dx10_clamp 1
		.amdhsa_ieee_mode 1
		.amdhsa_fp16_overflow 0
		.amdhsa_tg_split 0
		.amdhsa_exception_fp_ieee_invalid_op 0
		.amdhsa_exception_fp_denorm_src 0
		.amdhsa_exception_fp_ieee_div_zero 0
		.amdhsa_exception_fp_ieee_overflow 0
		.amdhsa_exception_fp_ieee_underflow 0
		.amdhsa_exception_fp_ieee_inexact 0
		.amdhsa_exception_int_div_zero 0
	.end_amdhsa_kernel
	.section	.text._ZN2at6native28tensor_kernel_scan_outer_dimIdjZZZNS0_31launch_logcumsumexp_cuda_kernelERKNS_10TensorBaseES4_lENKUlvE_clEvENKUlvE_clEvEUlddE_EEvPT_PKS8_jjjS8_T1_,"axG",@progbits,_ZN2at6native28tensor_kernel_scan_outer_dimIdjZZZNS0_31launch_logcumsumexp_cuda_kernelERKNS_10TensorBaseES4_lENKUlvE_clEvENKUlvE_clEvEUlddE_EEvPT_PKS8_jjjS8_T1_,comdat
.Lfunc_end85:
	.size	_ZN2at6native28tensor_kernel_scan_outer_dimIdjZZZNS0_31launch_logcumsumexp_cuda_kernelERKNS_10TensorBaseES4_lENKUlvE_clEvENKUlvE_clEvEUlddE_EEvPT_PKS8_jjjS8_T1_, .Lfunc_end85-_ZN2at6native28tensor_kernel_scan_outer_dimIdjZZZNS0_31launch_logcumsumexp_cuda_kernelERKNS_10TensorBaseES4_lENKUlvE_clEvENKUlvE_clEvEUlddE_EEvPT_PKS8_jjjS8_T1_
                                        ; -- End function
	.set _ZN2at6native28tensor_kernel_scan_outer_dimIdjZZZNS0_31launch_logcumsumexp_cuda_kernelERKNS_10TensorBaseES4_lENKUlvE_clEvENKUlvE_clEvEUlddE_EEvPT_PKS8_jjjS8_T1_.num_vgpr, 62
	.set _ZN2at6native28tensor_kernel_scan_outer_dimIdjZZZNS0_31launch_logcumsumexp_cuda_kernelERKNS_10TensorBaseES4_lENKUlvE_clEvENKUlvE_clEvEUlddE_EEvPT_PKS8_jjjS8_T1_.num_agpr, 0
	.set _ZN2at6native28tensor_kernel_scan_outer_dimIdjZZZNS0_31launch_logcumsumexp_cuda_kernelERKNS_10TensorBaseES4_lENKUlvE_clEvENKUlvE_clEvEUlddE_EEvPT_PKS8_jjjS8_T1_.numbered_sgpr, 59
	.set _ZN2at6native28tensor_kernel_scan_outer_dimIdjZZZNS0_31launch_logcumsumexp_cuda_kernelERKNS_10TensorBaseES4_lENKUlvE_clEvENKUlvE_clEvEUlddE_EEvPT_PKS8_jjjS8_T1_.num_named_barrier, 0
	.set _ZN2at6native28tensor_kernel_scan_outer_dimIdjZZZNS0_31launch_logcumsumexp_cuda_kernelERKNS_10TensorBaseES4_lENKUlvE_clEvENKUlvE_clEvEUlddE_EEvPT_PKS8_jjjS8_T1_.private_seg_size, 0
	.set _ZN2at6native28tensor_kernel_scan_outer_dimIdjZZZNS0_31launch_logcumsumexp_cuda_kernelERKNS_10TensorBaseES4_lENKUlvE_clEvENKUlvE_clEvEUlddE_EEvPT_PKS8_jjjS8_T1_.uses_vcc, 1
	.set _ZN2at6native28tensor_kernel_scan_outer_dimIdjZZZNS0_31launch_logcumsumexp_cuda_kernelERKNS_10TensorBaseES4_lENKUlvE_clEvENKUlvE_clEvEUlddE_EEvPT_PKS8_jjjS8_T1_.uses_flat_scratch, 0
	.set _ZN2at6native28tensor_kernel_scan_outer_dimIdjZZZNS0_31launch_logcumsumexp_cuda_kernelERKNS_10TensorBaseES4_lENKUlvE_clEvENKUlvE_clEvEUlddE_EEvPT_PKS8_jjjS8_T1_.has_dyn_sized_stack, 0
	.set _ZN2at6native28tensor_kernel_scan_outer_dimIdjZZZNS0_31launch_logcumsumexp_cuda_kernelERKNS_10TensorBaseES4_lENKUlvE_clEvENKUlvE_clEvEUlddE_EEvPT_PKS8_jjjS8_T1_.has_recursion, 0
	.set _ZN2at6native28tensor_kernel_scan_outer_dimIdjZZZNS0_31launch_logcumsumexp_cuda_kernelERKNS_10TensorBaseES4_lENKUlvE_clEvENKUlvE_clEvEUlddE_EEvPT_PKS8_jjjS8_T1_.has_indirect_call, 0
	.section	.AMDGPU.csdata,"",@progbits
; Kernel info:
; codeLenInByte = 1916
; TotalNumSgprs: 65
; NumVgprs: 62
; NumAgprs: 0
; TotalNumVgprs: 62
; ScratchSize: 0
; MemoryBound: 0
; FloatMode: 240
; IeeeMode: 1
; LDSByteSize: 0 bytes/workgroup (compile time only)
; SGPRBlocks: 8
; VGPRBlocks: 7
; NumSGPRsForWavesPerEU: 65
; NumVGPRsForWavesPerEU: 62
; AccumOffset: 64
; Occupancy: 8
; WaveLimiterHint : 0
; COMPUTE_PGM_RSRC2:SCRATCH_EN: 0
; COMPUTE_PGM_RSRC2:USER_SGPR: 2
; COMPUTE_PGM_RSRC2:TRAP_HANDLER: 0
; COMPUTE_PGM_RSRC2:TGID_X_EN: 1
; COMPUTE_PGM_RSRC2:TGID_Y_EN: 1
; COMPUTE_PGM_RSRC2:TGID_Z_EN: 0
; COMPUTE_PGM_RSRC2:TIDIG_COMP_CNT: 0
; COMPUTE_PGM_RSRC3_GFX90A:ACCUM_OFFSET: 15
; COMPUTE_PGM_RSRC3_GFX90A:TG_SPLIT: 0
	.section	.text._ZN2at6native28tensor_kernel_scan_outer_dimIdmZZZNS0_31launch_logcumsumexp_cuda_kernelERKNS_10TensorBaseES4_lENKUlvE_clEvENKUlvE_clEvEUlddE_EEvPT_PKS8_jjjS8_T1_,"axG",@progbits,_ZN2at6native28tensor_kernel_scan_outer_dimIdmZZZNS0_31launch_logcumsumexp_cuda_kernelERKNS_10TensorBaseES4_lENKUlvE_clEvENKUlvE_clEvEUlddE_EEvPT_PKS8_jjjS8_T1_,comdat
	.globl	_ZN2at6native28tensor_kernel_scan_outer_dimIdmZZZNS0_31launch_logcumsumexp_cuda_kernelERKNS_10TensorBaseES4_lENKUlvE_clEvENKUlvE_clEvEUlddE_EEvPT_PKS8_jjjS8_T1_ ; -- Begin function _ZN2at6native28tensor_kernel_scan_outer_dimIdmZZZNS0_31launch_logcumsumexp_cuda_kernelERKNS_10TensorBaseES4_lENKUlvE_clEvENKUlvE_clEvEUlddE_EEvPT_PKS8_jjjS8_T1_
	.p2align	8
	.type	_ZN2at6native28tensor_kernel_scan_outer_dimIdmZZZNS0_31launch_logcumsumexp_cuda_kernelERKNS_10TensorBaseES4_lENKUlvE_clEvENKUlvE_clEvEUlddE_EEvPT_PKS8_jjjS8_T1_,@function
_ZN2at6native28tensor_kernel_scan_outer_dimIdmZZZNS0_31launch_logcumsumexp_cuda_kernelERKNS_10TensorBaseES4_lENKUlvE_clEvENKUlvE_clEvEUlddE_EEvPT_PKS8_jjjS8_T1_: ; @_ZN2at6native28tensor_kernel_scan_outer_dimIdmZZZNS0_31launch_logcumsumexp_cuda_kernelERKNS_10TensorBaseES4_lENKUlvE_clEvENKUlvE_clEvEUlddE_EEvPT_PKS8_jjjS8_T1_
; %bb.0:
	s_load_dwordx4 s[8:11], s[0:1], 0x10
	s_waitcnt lgkmcnt(0)
	s_cmp_ge_u32 s2, s8
	s_cbranch_scc1 .LBB86_11
; %bb.1:
	s_load_dword s11, s[0:1], 0x30
	s_load_dword s4, s[0:1], 0x3c
	s_load_dwordx4 s[12:15], s[0:1], 0x0
	s_load_dwordx2 s[16:17], s[0:1], 0x20
	s_add_u32 s18, s0, 48
	s_addc_u32 s19, s1, 0
	s_waitcnt lgkmcnt(0)
	s_and_b32 s33, s4, 0xffff
	s_cmp_lg_u32 s10, 0
	s_mul_i32 s3, s3, s33
	s_cselect_b64 s[6:7], -1, 0
	v_add_u32_e32 v40, s3, v0
	s_mov_b32 s5, 0
	s_mov_b32 s4, s9
	s_mul_hi_u32 s21, s10, s9
	s_mul_i32 s20, s10, s9
	v_cndmask_b32_e64 v0, 0, 1, s[6:7]
	s_mov_b32 s24, 0x652b82fe
	s_mov_b32 s26, 0xfefa39ef
	;; [unrolled: 1-line block ×9, first 2 shown]
	v_cmp_gt_u32_e64 s[0:1], s9, v40
	s_lshl_b64 s[20:21], s[20:21], 3
	s_lshl_b64 s[22:23], s[4:5], 3
	v_cmp_ne_u32_e64 s[4:5], 1, v0
	v_mov_b32_e32 v1, 0
	s_movk_i32 s3, 0x1f8
	s_mov_b32 s25, 0x3ff71547
	s_mov_b32 s27, 0xbfe62e42
	;; [unrolled: 1-line block ×11, first 2 shown]
	v_mov_b32_e32 v2, 0xfca7ab0c
	v_mov_b32_e32 v3, 0x3e928af3
	v_mov_b32_e32 v4, 0x623fde64
	v_mov_b32_e32 v5, 0x3ec71dee
	v_mov_b32_e32 v6, 0x7c89e6b0
	v_mov_b32_e32 v7, 0x3efa0199
	v_mov_b32_e32 v8, 0x14761f6e
	v_mov_b32_e32 v9, 0x3f2a01a0
	v_mov_b32_e32 v10, 0x1852b7b0
	v_mov_b32_e32 v11, 0x3f56c16c
	v_mov_b32_e32 v12, 0x11122322
	v_mov_b32_e32 v13, 0x3f811111
	v_mov_b32_e32 v14, 0x555502a1
	v_mov_b32_e32 v15, 0x3fa55555
	v_mov_b32_e32 v16, 0x55555511
	v_mov_b32_e32 v17, 0x3fc55555
	v_mov_b32_e32 v18, 11
	v_mov_b32_e32 v19, 0x3fe00000
	v_mov_b32_e32 v41, 0x7ff00000
	v_mov_b32_e32 v20, 0x6b47b09a
	v_mov_b32_e32 v21, 0x3fc38538
	v_mov_b32_e32 v22, 0xd7f4df2e
	v_mov_b32_e32 v23, 0x3fc7474d
	v_mov_b32_e32 v24, 0x16291751
	v_mov_b32_e32 v25, 0x3fcc71c0
	v_mov_b32_e32 v26, 0x9b27acf1
	v_mov_b32_e32 v27, 0x3fd24924
	v_mov_b32_e32 v28, 0x998ef7b6
	v_mov_b32_e32 v29, 0x3fd99999
	v_mov_b32_e32 v30, 0x55555780
	v_mov_b32_e32 v31, 0x3fe55555
	v_mov_b32_e32 v42, 0xfff00000
	s_branch .LBB86_3
.LBB86_2:                               ;   in Loop: Header=BB86_3 Depth=1
	s_or_b64 exec, exec, s[48:49]
	s_add_i32 s2, s2, s11
	s_cmp_ge_u32 s2, s8
	s_cbranch_scc1 .LBB86_11
.LBB86_3:                               ; =>This Loop Header: Depth=1
                                        ;     Child Loop BB86_6 Depth 2
                                        ;       Child Loop BB86_9 Depth 3
	s_and_saveexec_b64 s[48:49], s[0:1]
	s_cbranch_execz .LBB86_2
; %bb.4:                                ;   in Loop: Header=BB86_3 Depth=1
	s_load_dword s56, s[18:19], 0x4
	s_mul_i32 s6, s21, s2
	s_mul_hi_u32 s7, s20, s2
	s_mul_i32 s50, s20, s2
	s_add_i32 s51, s7, s6
	s_waitcnt lgkmcnt(0)
	s_mul_i32 s56, s56, s33
	s_mov_b64 s[52:53], 0
	v_mov_b32_e32 v0, v40
	s_branch .LBB86_6
.LBB86_5:                               ;   in Loop: Header=BB86_6 Depth=2
	v_add_u32_e32 v0, s56, v0
	v_cmp_le_u32_e32 vcc, s9, v0
	s_or_b64 s[52:53], vcc, s[52:53]
	s_andn2_b64 exec, exec, s[52:53]
	s_cbranch_execz .LBB86_2
.LBB86_6:                               ;   Parent Loop BB86_3 Depth=1
                                        ; =>  This Loop Header: Depth=2
                                        ;       Child Loop BB86_9 Depth 3
	s_and_b64 vcc, exec, s[4:5]
	s_cbranch_vccnz .LBB86_5
; %bb.7:                                ;   in Loop: Header=BB86_6 Depth=2
	v_lshl_add_u64 v[32:33], v[0:1], 3, s[50:51]
	v_mov_b64_e32 v[36:37], s[16:17]
	s_mov_b32 s57, s10
	s_branch .LBB86_9
.LBB86_8:                               ;   in Loop: Header=BB86_9 Depth=3
	s_or_b64 exec, exec, s[54:55]
	s_add_i32 s57, s57, -1
	v_lshl_add_u64 v[34:35], s[12:13], 0, v[32:33]
	s_cmp_eq_u32 s57, 0
	v_lshl_add_u64 v[32:33], v[32:33], 0, s[22:23]
	global_store_dwordx2 v[34:35], v[36:37], off
	s_cbranch_scc1 .LBB86_5
.LBB86_9:                               ;   Parent Loop BB86_3 Depth=1
                                        ;     Parent Loop BB86_6 Depth=2
                                        ; =>    This Inner Loop Header: Depth=3
	v_lshl_add_u64 v[34:35], s[14:15], 0, v[32:33]
	global_load_dwordx2 v[34:35], v[34:35], off
	v_max_f64 v[38:39], v[36:37], v[36:37]
	v_cmp_u_f64_e32 vcc, v[36:37], v[36:37]
	s_waitcnt vmcnt(0)
	v_max_f64 v[44:45], v[34:35], v[34:35]
	v_min_f64 v[46:47], v[38:39], v[44:45]
	v_max_f64 v[38:39], v[38:39], v[44:45]
	v_cndmask_b32_e32 v43, v46, v36, vcc
	v_cndmask_b32_e32 v44, v47, v37, vcc
	v_cndmask_b32_e32 v45, v38, v36, vcc
	v_cndmask_b32_e32 v46, v39, v37, vcc
	v_cmp_u_f64_e32 vcc, v[34:35], v[34:35]
	s_nop 1
	v_cndmask_b32_e32 v39, v44, v35, vcc
	v_cndmask_b32_e32 v38, v43, v34, vcc
	;; [unrolled: 1-line block ×4, first 2 shown]
	v_cmp_neq_f64_e32 vcc, v[38:39], v[34:35]
	v_cmp_class_f64_e64 s[6:7], v[38:39], s3
	s_or_b64 s[6:7], vcc, s[6:7]
	s_and_saveexec_b64 s[54:55], s[6:7]
	s_cbranch_execz .LBB86_8
; %bb.10:                               ;   in Loop: Header=BB86_9 Depth=3
	v_add_f64 v[36:37], v[38:39], -v[34:35]
	v_mul_f64 v[38:39], v[36:37], s[24:25]
	v_rndne_f64_e32 v[38:39], v[38:39]
	v_fma_f64 v[44:45], s[26:27], v[38:39], v[36:37]
	v_fmac_f64_e32 v[44:45], s[28:29], v[38:39]
	v_mov_b64_e32 v[46:47], v[2:3]
	v_fmac_f64_e32 v[46:47], s[30:31], v[44:45]
	v_mov_b64_e32 v[48:49], v[4:5]
	;; [unrolled: 2-line block ×9, first 2 shown]
	v_fmac_f64_e32 v[46:47], v[44:45], v[48:49]
	v_fma_f64 v[46:47], v[44:45], v[46:47], 1.0
	v_fma_f64 v[44:45], v[44:45], v[46:47], 1.0
	v_cvt_i32_f64_e32 v38, v[38:39]
	v_ldexp_f64 v[38:39], v[44:45], v38
	v_cmp_nlt_f64_e32 vcc, s[34:35], v[36:37]
	v_cmp_ngt_f64_e64 s[6:7], s[36:37], v[36:37]
	s_mov_b32 s42, s26
	v_cndmask_b32_e32 v39, v41, v39, vcc
	s_and_b64 vcc, s[6:7], vcc
	v_cndmask_b32_e64 v37, 0, v39, s[6:7]
	v_cndmask_b32_e32 v36, 0, v38, vcc
	v_add_f64 v[38:39], v[36:37], 1.0
	v_add_f64 v[44:45], v[38:39], -1.0
	v_add_f64 v[46:47], v[44:45], -v[38:39]
	v_add_f64 v[46:47], v[46:47], 1.0
	v_add_f64 v[44:45], v[36:37], -v[44:45]
	v_add_f64 v[44:45], v[44:45], v[46:47]
	v_frexp_mant_f64_e32 v[46:47], v[38:39]
	v_frexp_exp_i32_f64_e32 v43, v[38:39]
	v_cmp_gt_f64_e32 vcc, s[38:39], v[46:47]
	s_mov_b32 s44, s28
	v_cmp_ngt_f64_e64 s[6:7], -1.0, v[36:37]
	v_subbrev_co_u32_e32 v43, vcc, 0, v43, vcc
	v_sub_u32_e32 v46, 0, v43
	v_ldexp_f64 v[38:39], v[38:39], v46
	v_ldexp_f64 v[44:45], v[44:45], v46
	v_add_f64 v[46:47], v[38:39], -1.0
	v_add_f64 v[52:53], v[38:39], 1.0
	v_add_f64 v[48:49], v[46:47], 1.0
	v_add_f64 v[54:55], v[52:53], -1.0
	v_add_f64 v[48:49], v[38:39], -v[48:49]
	v_add_f64 v[38:39], v[38:39], -v[54:55]
	v_add_f64 v[38:39], v[44:45], v[38:39]
	v_add_f64 v[48:49], v[44:45], v[48:49]
	;; [unrolled: 1-line block ×3, first 2 shown]
	v_rcp_f64_e32 v[54:55], v[44:45]
	v_add_f64 v[50:51], v[46:47], v[48:49]
	v_add_f64 v[46:47], v[50:51], -v[46:47]
	v_add_f64 v[46:47], v[48:49], -v[46:47]
	;; [unrolled: 1-line block ×4, first 2 shown]
	v_fma_f64 v[48:49], -v[44:45], v[54:55], 1.0
	v_fmac_f64_e32 v[54:55], v[48:49], v[54:55]
	v_fma_f64 v[48:49], -v[44:45], v[54:55], 1.0
	v_fmac_f64_e32 v[54:55], v[48:49], v[54:55]
	v_mul_f64 v[48:49], v[50:51], v[54:55]
	v_mul_f64 v[52:53], v[44:45], v[48:49]
	v_fma_f64 v[56:57], v[48:49], v[44:45], -v[52:53]
	v_fmac_f64_e32 v[56:57], v[48:49], v[38:39]
	v_add_f64 v[58:59], v[52:53], v[56:57]
	v_add_f64 v[60:61], v[50:51], -v[58:59]
	v_add_f64 v[50:51], v[50:51], -v[60:61]
	;; [unrolled: 1-line block ×4, first 2 shown]
	v_add_f64 v[46:47], v[46:47], v[50:51]
	v_add_f64 v[50:51], v[52:53], -v[56:57]
	v_add_f64 v[46:47], v[50:51], v[46:47]
	v_add_f64 v[50:51], v[60:61], v[46:47]
	v_add_f64 v[52:53], v[60:61], -v[50:51]
	v_add_f64 v[46:47], v[46:47], v[52:53]
	v_mul_f64 v[52:53], v[54:55], v[50:51]
	v_mul_f64 v[56:57], v[44:45], v[52:53]
	v_fma_f64 v[44:45], v[52:53], v[44:45], -v[56:57]
	v_fmac_f64_e32 v[44:45], v[52:53], v[38:39]
	v_add_f64 v[38:39], v[56:57], v[44:45]
	v_add_f64 v[58:59], v[50:51], -v[38:39]
	v_add_f64 v[50:51], v[50:51], -v[58:59]
	;; [unrolled: 1-line block ×4, first 2 shown]
	v_add_f64 v[38:39], v[46:47], v[38:39]
	v_add_f64 v[44:45], v[56:57], -v[44:45]
	v_add_f64 v[38:39], v[44:45], v[38:39]
	v_add_f64 v[44:45], v[48:49], v[52:53]
	;; [unrolled: 1-line block ×3, first 2 shown]
	v_add_f64 v[46:47], v[44:45], -v[48:49]
	v_mul_f64 v[38:39], v[54:55], v[38:39]
	v_add_f64 v[46:47], v[52:53], -v[46:47]
	v_add_f64 v[38:39], v[46:47], v[38:39]
	v_add_f64 v[46:47], v[44:45], v[38:39]
	v_add_f64 v[44:45], v[46:47], -v[44:45]
	v_add_f64 v[38:39], v[38:39], -v[44:45]
	v_mul_f64 v[44:45], v[46:47], v[46:47]
	v_mov_b64_e32 v[48:49], v[20:21]
	v_fmac_f64_e32 v[48:49], s[40:41], v[44:45]
	v_mov_b64_e32 v[50:51], v[22:23]
	v_fmac_f64_e32 v[50:51], v[44:45], v[48:49]
	;; [unrolled: 2-line block ×6, first 2 shown]
	v_cvt_f64_i32_e32 v[48:49], v43
	v_mul_f64 v[52:53], v[48:49], s[42:43]
	v_fma_f64 v[54:55], v[48:49], s[42:43], -v[52:53]
	v_fmac_f64_e32 v[54:55], s[44:45], v[48:49]
	v_add_f64 v[48:49], v[52:53], v[54:55]
	v_add_f64 v[52:53], v[48:49], -v[52:53]
	v_mul_f64 v[44:45], v[46:47], v[44:45]
	v_add_f64 v[52:53], v[54:55], -v[52:53]
	v_ldexp_f64 v[54:55], v[46:47], 1
	v_mul_f64 v[44:45], v[44:45], v[50:51]
	v_add_f64 v[46:47], v[54:55], v[44:45]
	v_add_f64 v[50:51], v[46:47], -v[54:55]
	v_ldexp_f64 v[38:39], v[38:39], 1
	v_add_f64 v[44:45], v[44:45], -v[50:51]
	v_add_f64 v[38:39], v[38:39], v[44:45]
	v_add_f64 v[44:45], v[46:47], v[38:39]
	v_add_f64 v[46:47], v[44:45], -v[46:47]
	v_add_f64 v[38:39], v[38:39], -v[46:47]
	v_add_f64 v[46:47], v[48:49], v[44:45]
	v_add_f64 v[50:51], v[46:47], -v[48:49]
	v_add_f64 v[54:55], v[46:47], -v[50:51]
	;; [unrolled: 1-line block ×4, first 2 shown]
	v_add_f64 v[44:45], v[44:45], v[48:49]
	v_add_f64 v[48:49], v[52:53], v[38:39]
	v_add_f64 v[50:51], v[48:49], -v[52:53]
	v_add_f64 v[44:45], v[48:49], v[44:45]
	v_add_f64 v[54:55], v[48:49], -v[50:51]
	;; [unrolled: 2-line block ×3, first 2 shown]
	v_add_f64 v[38:39], v[38:39], -v[50:51]
	v_add_f64 v[46:47], v[48:49], -v[46:47]
	v_add_f64 v[38:39], v[38:39], v[52:53]
	v_add_f64 v[44:45], v[44:45], -v[46:47]
	v_add_f64 v[38:39], v[38:39], v[44:45]
	v_add_f64 v[38:39], v[48:49], v[38:39]
	v_cmp_neq_f64_e32 vcc, s[46:47], v[36:37]
	v_mov_b32_e32 v43, 0x7ff80000
	s_nop 0
	v_cndmask_b32_e32 v39, v41, v39, vcc
	v_cndmask_b32_e64 v39, v43, v39, s[6:7]
	v_cmp_nge_f64_e64 s[6:7], -1.0, v[36:37]
	s_and_b64 vcc, s[6:7], vcc
	v_cndmask_b32_e32 v38, 0, v38, vcc
	v_cmp_neq_f64_e32 vcc, -1.0, v[36:37]
	s_nop 1
	v_cndmask_b32_e32 v39, v42, v39, vcc
	v_add_f64 v[36:37], v[34:35], v[38:39]
	s_branch .LBB86_8
.LBB86_11:
	s_endpgm
	.section	.rodata,"a",@progbits
	.p2align	6, 0x0
	.amdhsa_kernel _ZN2at6native28tensor_kernel_scan_outer_dimIdmZZZNS0_31launch_logcumsumexp_cuda_kernelERKNS_10TensorBaseES4_lENKUlvE_clEvENKUlvE_clEvEUlddE_EEvPT_PKS8_jjjS8_T1_
		.amdhsa_group_segment_fixed_size 0
		.amdhsa_private_segment_fixed_size 0
		.amdhsa_kernarg_size 304
		.amdhsa_user_sgpr_count 2
		.amdhsa_user_sgpr_dispatch_ptr 0
		.amdhsa_user_sgpr_queue_ptr 0
		.amdhsa_user_sgpr_kernarg_segment_ptr 1
		.amdhsa_user_sgpr_dispatch_id 0
		.amdhsa_user_sgpr_kernarg_preload_length 0
		.amdhsa_user_sgpr_kernarg_preload_offset 0
		.amdhsa_user_sgpr_private_segment_size 0
		.amdhsa_uses_dynamic_stack 0
		.amdhsa_enable_private_segment 0
		.amdhsa_system_sgpr_workgroup_id_x 1
		.amdhsa_system_sgpr_workgroup_id_y 1
		.amdhsa_system_sgpr_workgroup_id_z 0
		.amdhsa_system_sgpr_workgroup_info 0
		.amdhsa_system_vgpr_workitem_id 0
		.amdhsa_next_free_vgpr 62
		.amdhsa_next_free_sgpr 58
		.amdhsa_accum_offset 64
		.amdhsa_reserve_vcc 1
		.amdhsa_float_round_mode_32 0
		.amdhsa_float_round_mode_16_64 0
		.amdhsa_float_denorm_mode_32 3
		.amdhsa_float_denorm_mode_16_64 3
		.amdhsa_dx10_clamp 1
		.amdhsa_ieee_mode 1
		.amdhsa_fp16_overflow 0
		.amdhsa_tg_split 0
		.amdhsa_exception_fp_ieee_invalid_op 0
		.amdhsa_exception_fp_denorm_src 0
		.amdhsa_exception_fp_ieee_div_zero 0
		.amdhsa_exception_fp_ieee_overflow 0
		.amdhsa_exception_fp_ieee_underflow 0
		.amdhsa_exception_fp_ieee_inexact 0
		.amdhsa_exception_int_div_zero 0
	.end_amdhsa_kernel
	.section	.text._ZN2at6native28tensor_kernel_scan_outer_dimIdmZZZNS0_31launch_logcumsumexp_cuda_kernelERKNS_10TensorBaseES4_lENKUlvE_clEvENKUlvE_clEvEUlddE_EEvPT_PKS8_jjjS8_T1_,"axG",@progbits,_ZN2at6native28tensor_kernel_scan_outer_dimIdmZZZNS0_31launch_logcumsumexp_cuda_kernelERKNS_10TensorBaseES4_lENKUlvE_clEvENKUlvE_clEvEUlddE_EEvPT_PKS8_jjjS8_T1_,comdat
.Lfunc_end86:
	.size	_ZN2at6native28tensor_kernel_scan_outer_dimIdmZZZNS0_31launch_logcumsumexp_cuda_kernelERKNS_10TensorBaseES4_lENKUlvE_clEvENKUlvE_clEvEUlddE_EEvPT_PKS8_jjjS8_T1_, .Lfunc_end86-_ZN2at6native28tensor_kernel_scan_outer_dimIdmZZZNS0_31launch_logcumsumexp_cuda_kernelERKNS_10TensorBaseES4_lENKUlvE_clEvENKUlvE_clEvEUlddE_EEvPT_PKS8_jjjS8_T1_
                                        ; -- End function
	.set _ZN2at6native28tensor_kernel_scan_outer_dimIdmZZZNS0_31launch_logcumsumexp_cuda_kernelERKNS_10TensorBaseES4_lENKUlvE_clEvENKUlvE_clEvEUlddE_EEvPT_PKS8_jjjS8_T1_.num_vgpr, 62
	.set _ZN2at6native28tensor_kernel_scan_outer_dimIdmZZZNS0_31launch_logcumsumexp_cuda_kernelERKNS_10TensorBaseES4_lENKUlvE_clEvENKUlvE_clEvEUlddE_EEvPT_PKS8_jjjS8_T1_.num_agpr, 0
	.set _ZN2at6native28tensor_kernel_scan_outer_dimIdmZZZNS0_31launch_logcumsumexp_cuda_kernelERKNS_10TensorBaseES4_lENKUlvE_clEvENKUlvE_clEvEUlddE_EEvPT_PKS8_jjjS8_T1_.numbered_sgpr, 58
	.set _ZN2at6native28tensor_kernel_scan_outer_dimIdmZZZNS0_31launch_logcumsumexp_cuda_kernelERKNS_10TensorBaseES4_lENKUlvE_clEvENKUlvE_clEvEUlddE_EEvPT_PKS8_jjjS8_T1_.num_named_barrier, 0
	.set _ZN2at6native28tensor_kernel_scan_outer_dimIdmZZZNS0_31launch_logcumsumexp_cuda_kernelERKNS_10TensorBaseES4_lENKUlvE_clEvENKUlvE_clEvEUlddE_EEvPT_PKS8_jjjS8_T1_.private_seg_size, 0
	.set _ZN2at6native28tensor_kernel_scan_outer_dimIdmZZZNS0_31launch_logcumsumexp_cuda_kernelERKNS_10TensorBaseES4_lENKUlvE_clEvENKUlvE_clEvEUlddE_EEvPT_PKS8_jjjS8_T1_.uses_vcc, 1
	.set _ZN2at6native28tensor_kernel_scan_outer_dimIdmZZZNS0_31launch_logcumsumexp_cuda_kernelERKNS_10TensorBaseES4_lENKUlvE_clEvENKUlvE_clEvEUlddE_EEvPT_PKS8_jjjS8_T1_.uses_flat_scratch, 0
	.set _ZN2at6native28tensor_kernel_scan_outer_dimIdmZZZNS0_31launch_logcumsumexp_cuda_kernelERKNS_10TensorBaseES4_lENKUlvE_clEvENKUlvE_clEvEUlddE_EEvPT_PKS8_jjjS8_T1_.has_dyn_sized_stack, 0
	.set _ZN2at6native28tensor_kernel_scan_outer_dimIdmZZZNS0_31launch_logcumsumexp_cuda_kernelERKNS_10TensorBaseES4_lENKUlvE_clEvENKUlvE_clEvEUlddE_EEvPT_PKS8_jjjS8_T1_.has_recursion, 0
	.set _ZN2at6native28tensor_kernel_scan_outer_dimIdmZZZNS0_31launch_logcumsumexp_cuda_kernelERKNS_10TensorBaseES4_lENKUlvE_clEvENKUlvE_clEvEUlddE_EEvPT_PKS8_jjjS8_T1_.has_indirect_call, 0
	.section	.AMDGPU.csdata,"",@progbits
; Kernel info:
; codeLenInByte = 1916
; TotalNumSgprs: 64
; NumVgprs: 62
; NumAgprs: 0
; TotalNumVgprs: 62
; ScratchSize: 0
; MemoryBound: 0
; FloatMode: 240
; IeeeMode: 1
; LDSByteSize: 0 bytes/workgroup (compile time only)
; SGPRBlocks: 7
; VGPRBlocks: 7
; NumSGPRsForWavesPerEU: 64
; NumVGPRsForWavesPerEU: 62
; AccumOffset: 64
; Occupancy: 8
; WaveLimiterHint : 0
; COMPUTE_PGM_RSRC2:SCRATCH_EN: 0
; COMPUTE_PGM_RSRC2:USER_SGPR: 2
; COMPUTE_PGM_RSRC2:TRAP_HANDLER: 0
; COMPUTE_PGM_RSRC2:TGID_X_EN: 1
; COMPUTE_PGM_RSRC2:TGID_Y_EN: 1
; COMPUTE_PGM_RSRC2:TGID_Z_EN: 0
; COMPUTE_PGM_RSRC2:TIDIG_COMP_CNT: 0
; COMPUTE_PGM_RSRC3_GFX90A:ACCUM_OFFSET: 15
; COMPUTE_PGM_RSRC3_GFX90A:TG_SPLIT: 0
	.section	.text._ZN7rocprim17ROCPRIM_400000_NS6detail31init_lookback_scan_state_kernelINS1_19lookback_scan_stateIfLb0ELb1EEENS1_16block_id_wrapperIjLb0EEEEEvT_jT0_jPNS7_10value_typeE,"axG",@progbits,_ZN7rocprim17ROCPRIM_400000_NS6detail31init_lookback_scan_state_kernelINS1_19lookback_scan_stateIfLb0ELb1EEENS1_16block_id_wrapperIjLb0EEEEEvT_jT0_jPNS7_10value_typeE,comdat
	.protected	_ZN7rocprim17ROCPRIM_400000_NS6detail31init_lookback_scan_state_kernelINS1_19lookback_scan_stateIfLb0ELb1EEENS1_16block_id_wrapperIjLb0EEEEEvT_jT0_jPNS7_10value_typeE ; -- Begin function _ZN7rocprim17ROCPRIM_400000_NS6detail31init_lookback_scan_state_kernelINS1_19lookback_scan_stateIfLb0ELb1EEENS1_16block_id_wrapperIjLb0EEEEEvT_jT0_jPNS7_10value_typeE
	.globl	_ZN7rocprim17ROCPRIM_400000_NS6detail31init_lookback_scan_state_kernelINS1_19lookback_scan_stateIfLb0ELb1EEENS1_16block_id_wrapperIjLb0EEEEEvT_jT0_jPNS7_10value_typeE
	.p2align	8
	.type	_ZN7rocprim17ROCPRIM_400000_NS6detail31init_lookback_scan_state_kernelINS1_19lookback_scan_stateIfLb0ELb1EEENS1_16block_id_wrapperIjLb0EEEEEvT_jT0_jPNS7_10value_typeE,@function
_ZN7rocprim17ROCPRIM_400000_NS6detail31init_lookback_scan_state_kernelINS1_19lookback_scan_stateIfLb0ELb1EEENS1_16block_id_wrapperIjLb0EEEEEvT_jT0_jPNS7_10value_typeE: ; @_ZN7rocprim17ROCPRIM_400000_NS6detail31init_lookback_scan_state_kernelINS1_19lookback_scan_stateIfLb0ELb1EEENS1_16block_id_wrapperIjLb0EEEEEvT_jT0_jPNS7_10value_typeE
; %bb.0:
	s_load_dword s3, s[0:1], 0x2c
	s_load_dwordx2 s[6:7], s[0:1], 0x18
	s_load_dwordx2 s[4:5], s[0:1], 0x0
	s_load_dword s8, s[0:1], 0x8
	s_waitcnt lgkmcnt(0)
	s_and_b32 s3, s3, 0xffff
	s_mul_i32 s2, s2, s3
	s_cmp_eq_u64 s[6:7], 0
	v_add_u32_e32 v0, s2, v0
	s_cbranch_scc1 .LBB87_6
; %bb.1:
	s_load_dword s2, s[0:1], 0x10
	s_mov_b32 s3, 0
	s_waitcnt lgkmcnt(0)
	s_cmp_lt_u32 s2, s8
	s_cselect_b32 s0, s2, 0
	v_cmp_eq_u32_e32 vcc, s0, v0
	s_and_saveexec_b64 s[0:1], vcc
	s_cbranch_execz .LBB87_5
; %bb.2:
	s_add_i32 s2, s2, 64
	s_lshl_b64 s[2:3], s[2:3], 3
	s_add_u32 s2, s4, s2
	s_addc_u32 s3, s5, s3
	v_mov_b32_e32 v4, 0
	global_load_dwordx2 v[2:3], v4, s[2:3] sc1
	s_waitcnt vmcnt(0)
	v_and_b32_e32 v5, 0xff, v3
	v_cmp_ne_u64_e32 vcc, 0, v[4:5]
	s_cbranch_vccnz .LBB87_4
.LBB87_3:                               ; =>This Inner Loop Header: Depth=1
	global_load_dwordx2 v[2:3], v4, s[2:3] sc1
	s_waitcnt vmcnt(0)
	v_and_b32_e32 v5, 0xff, v3
	v_cmp_eq_u64_e32 vcc, 0, v[4:5]
	s_cbranch_vccnz .LBB87_3
.LBB87_4:
	v_mov_b32_e32 v1, 0
	global_store_dword v1, v2, s[6:7]
.LBB87_5:
	s_or_b64 exec, exec, s[0:1]
.LBB87_6:
	v_cmp_gt_u32_e32 vcc, s8, v0
	s_and_saveexec_b64 s[0:1], vcc
	s_cbranch_execnz .LBB87_9
; %bb.7:
	s_or_b64 exec, exec, s[0:1]
	v_cmp_gt_u32_e32 vcc, 64, v0
	s_and_saveexec_b64 s[0:1], vcc
	s_cbranch_execnz .LBB87_10
.LBB87_8:
	s_endpgm
.LBB87_9:
	v_add_u32_e32 v2, 64, v0
	v_mov_b32_e32 v3, 0
	v_lshl_add_u64 v[4:5], v[2:3], 3, s[4:5]
	v_mov_b32_e32 v2, v3
	global_store_dwordx2 v[4:5], v[2:3], off
	s_or_b64 exec, exec, s[0:1]
	v_cmp_gt_u32_e32 vcc, 64, v0
	s_and_saveexec_b64 s[0:1], vcc
	s_cbranch_execz .LBB87_8
.LBB87_10:
	v_mov_b32_e32 v1, 0
	v_lshl_add_u64 v[2:3], v[0:1], 3, s[4:5]
	v_mov_b32_e32 v5, 0xff
	v_mov_b32_e32 v4, v1
	global_store_dwordx2 v[2:3], v[4:5], off
	s_endpgm
	.section	.rodata,"a",@progbits
	.p2align	6, 0x0
	.amdhsa_kernel _ZN7rocprim17ROCPRIM_400000_NS6detail31init_lookback_scan_state_kernelINS1_19lookback_scan_stateIfLb0ELb1EEENS1_16block_id_wrapperIjLb0EEEEEvT_jT0_jPNS7_10value_typeE
		.amdhsa_group_segment_fixed_size 0
		.amdhsa_private_segment_fixed_size 0
		.amdhsa_kernarg_size 288
		.amdhsa_user_sgpr_count 2
		.amdhsa_user_sgpr_dispatch_ptr 0
		.amdhsa_user_sgpr_queue_ptr 0
		.amdhsa_user_sgpr_kernarg_segment_ptr 1
		.amdhsa_user_sgpr_dispatch_id 0
		.amdhsa_user_sgpr_kernarg_preload_length 0
		.amdhsa_user_sgpr_kernarg_preload_offset 0
		.amdhsa_user_sgpr_private_segment_size 0
		.amdhsa_uses_dynamic_stack 0
		.amdhsa_enable_private_segment 0
		.amdhsa_system_sgpr_workgroup_id_x 1
		.amdhsa_system_sgpr_workgroup_id_y 0
		.amdhsa_system_sgpr_workgroup_id_z 0
		.amdhsa_system_sgpr_workgroup_info 0
		.amdhsa_system_vgpr_workitem_id 0
		.amdhsa_next_free_vgpr 6
		.amdhsa_next_free_sgpr 9
		.amdhsa_accum_offset 8
		.amdhsa_reserve_vcc 1
		.amdhsa_float_round_mode_32 0
		.amdhsa_float_round_mode_16_64 0
		.amdhsa_float_denorm_mode_32 3
		.amdhsa_float_denorm_mode_16_64 3
		.amdhsa_dx10_clamp 1
		.amdhsa_ieee_mode 1
		.amdhsa_fp16_overflow 0
		.amdhsa_tg_split 0
		.amdhsa_exception_fp_ieee_invalid_op 0
		.amdhsa_exception_fp_denorm_src 0
		.amdhsa_exception_fp_ieee_div_zero 0
		.amdhsa_exception_fp_ieee_overflow 0
		.amdhsa_exception_fp_ieee_underflow 0
		.amdhsa_exception_fp_ieee_inexact 0
		.amdhsa_exception_int_div_zero 0
	.end_amdhsa_kernel
	.section	.text._ZN7rocprim17ROCPRIM_400000_NS6detail31init_lookback_scan_state_kernelINS1_19lookback_scan_stateIfLb0ELb1EEENS1_16block_id_wrapperIjLb0EEEEEvT_jT0_jPNS7_10value_typeE,"axG",@progbits,_ZN7rocprim17ROCPRIM_400000_NS6detail31init_lookback_scan_state_kernelINS1_19lookback_scan_stateIfLb0ELb1EEENS1_16block_id_wrapperIjLb0EEEEEvT_jT0_jPNS7_10value_typeE,comdat
.Lfunc_end87:
	.size	_ZN7rocprim17ROCPRIM_400000_NS6detail31init_lookback_scan_state_kernelINS1_19lookback_scan_stateIfLb0ELb1EEENS1_16block_id_wrapperIjLb0EEEEEvT_jT0_jPNS7_10value_typeE, .Lfunc_end87-_ZN7rocprim17ROCPRIM_400000_NS6detail31init_lookback_scan_state_kernelINS1_19lookback_scan_stateIfLb0ELb1EEENS1_16block_id_wrapperIjLb0EEEEEvT_jT0_jPNS7_10value_typeE
                                        ; -- End function
	.set _ZN7rocprim17ROCPRIM_400000_NS6detail31init_lookback_scan_state_kernelINS1_19lookback_scan_stateIfLb0ELb1EEENS1_16block_id_wrapperIjLb0EEEEEvT_jT0_jPNS7_10value_typeE.num_vgpr, 6
	.set _ZN7rocprim17ROCPRIM_400000_NS6detail31init_lookback_scan_state_kernelINS1_19lookback_scan_stateIfLb0ELb1EEENS1_16block_id_wrapperIjLb0EEEEEvT_jT0_jPNS7_10value_typeE.num_agpr, 0
	.set _ZN7rocprim17ROCPRIM_400000_NS6detail31init_lookback_scan_state_kernelINS1_19lookback_scan_stateIfLb0ELb1EEENS1_16block_id_wrapperIjLb0EEEEEvT_jT0_jPNS7_10value_typeE.numbered_sgpr, 9
	.set _ZN7rocprim17ROCPRIM_400000_NS6detail31init_lookback_scan_state_kernelINS1_19lookback_scan_stateIfLb0ELb1EEENS1_16block_id_wrapperIjLb0EEEEEvT_jT0_jPNS7_10value_typeE.num_named_barrier, 0
	.set _ZN7rocprim17ROCPRIM_400000_NS6detail31init_lookback_scan_state_kernelINS1_19lookback_scan_stateIfLb0ELb1EEENS1_16block_id_wrapperIjLb0EEEEEvT_jT0_jPNS7_10value_typeE.private_seg_size, 0
	.set _ZN7rocprim17ROCPRIM_400000_NS6detail31init_lookback_scan_state_kernelINS1_19lookback_scan_stateIfLb0ELb1EEENS1_16block_id_wrapperIjLb0EEEEEvT_jT0_jPNS7_10value_typeE.uses_vcc, 1
	.set _ZN7rocprim17ROCPRIM_400000_NS6detail31init_lookback_scan_state_kernelINS1_19lookback_scan_stateIfLb0ELb1EEENS1_16block_id_wrapperIjLb0EEEEEvT_jT0_jPNS7_10value_typeE.uses_flat_scratch, 0
	.set _ZN7rocprim17ROCPRIM_400000_NS6detail31init_lookback_scan_state_kernelINS1_19lookback_scan_stateIfLb0ELb1EEENS1_16block_id_wrapperIjLb0EEEEEvT_jT0_jPNS7_10value_typeE.has_dyn_sized_stack, 0
	.set _ZN7rocprim17ROCPRIM_400000_NS6detail31init_lookback_scan_state_kernelINS1_19lookback_scan_stateIfLb0ELb1EEENS1_16block_id_wrapperIjLb0EEEEEvT_jT0_jPNS7_10value_typeE.has_recursion, 0
	.set _ZN7rocprim17ROCPRIM_400000_NS6detail31init_lookback_scan_state_kernelINS1_19lookback_scan_stateIfLb0ELb1EEENS1_16block_id_wrapperIjLb0EEEEEvT_jT0_jPNS7_10value_typeE.has_indirect_call, 0
	.section	.AMDGPU.csdata,"",@progbits
; Kernel info:
; codeLenInByte = 300
; TotalNumSgprs: 15
; NumVgprs: 6
; NumAgprs: 0
; TotalNumVgprs: 6
; ScratchSize: 0
; MemoryBound: 0
; FloatMode: 240
; IeeeMode: 1
; LDSByteSize: 0 bytes/workgroup (compile time only)
; SGPRBlocks: 1
; VGPRBlocks: 0
; NumSGPRsForWavesPerEU: 15
; NumVGPRsForWavesPerEU: 6
; AccumOffset: 8
; Occupancy: 8
; WaveLimiterHint : 0
; COMPUTE_PGM_RSRC2:SCRATCH_EN: 0
; COMPUTE_PGM_RSRC2:USER_SGPR: 2
; COMPUTE_PGM_RSRC2:TRAP_HANDLER: 0
; COMPUTE_PGM_RSRC2:TGID_X_EN: 1
; COMPUTE_PGM_RSRC2:TGID_Y_EN: 0
; COMPUTE_PGM_RSRC2:TGID_Z_EN: 0
; COMPUTE_PGM_RSRC2:TIDIG_COMP_CNT: 0
; COMPUTE_PGM_RSRC3_GFX90A:ACCUM_OFFSET: 1
; COMPUTE_PGM_RSRC3_GFX90A:TG_SPLIT: 0
	.section	.text._ZN7rocprim17ROCPRIM_400000_NS6detail17trampoline_kernelINS0_14default_configENS1_20scan_config_selectorIfEEZZNS1_9scan_implILNS1_25lookback_scan_determinismE0ELb0ELb0ES3_PKfPffZZZN2at6native31launch_logcumsumexp_cuda_kernelERKNSB_10TensorBaseESF_lENKUlvE_clEvENKUlvE0_clEvEUlffE_fEEDaPvRmT3_T4_T5_mT6_P12ihipStream_tbENKUlT_T0_E_clISt17integral_constantIbLb0EESW_EEDaSR_SS_EUlSR_E_NS1_11comp_targetILNS1_3genE0ELNS1_11target_archE4294967295ELNS1_3gpuE0ELNS1_3repE0EEENS1_30default_config_static_selectorELNS0_4arch9wavefront6targetE1EEEvT1_,"axG",@progbits,_ZN7rocprim17ROCPRIM_400000_NS6detail17trampoline_kernelINS0_14default_configENS1_20scan_config_selectorIfEEZZNS1_9scan_implILNS1_25lookback_scan_determinismE0ELb0ELb0ES3_PKfPffZZZN2at6native31launch_logcumsumexp_cuda_kernelERKNSB_10TensorBaseESF_lENKUlvE_clEvENKUlvE0_clEvEUlffE_fEEDaPvRmT3_T4_T5_mT6_P12ihipStream_tbENKUlT_T0_E_clISt17integral_constantIbLb0EESW_EEDaSR_SS_EUlSR_E_NS1_11comp_targetILNS1_3genE0ELNS1_11target_archE4294967295ELNS1_3gpuE0ELNS1_3repE0EEENS1_30default_config_static_selectorELNS0_4arch9wavefront6targetE1EEEvT1_,comdat
	.globl	_ZN7rocprim17ROCPRIM_400000_NS6detail17trampoline_kernelINS0_14default_configENS1_20scan_config_selectorIfEEZZNS1_9scan_implILNS1_25lookback_scan_determinismE0ELb0ELb0ES3_PKfPffZZZN2at6native31launch_logcumsumexp_cuda_kernelERKNSB_10TensorBaseESF_lENKUlvE_clEvENKUlvE0_clEvEUlffE_fEEDaPvRmT3_T4_T5_mT6_P12ihipStream_tbENKUlT_T0_E_clISt17integral_constantIbLb0EESW_EEDaSR_SS_EUlSR_E_NS1_11comp_targetILNS1_3genE0ELNS1_11target_archE4294967295ELNS1_3gpuE0ELNS1_3repE0EEENS1_30default_config_static_selectorELNS0_4arch9wavefront6targetE1EEEvT1_ ; -- Begin function _ZN7rocprim17ROCPRIM_400000_NS6detail17trampoline_kernelINS0_14default_configENS1_20scan_config_selectorIfEEZZNS1_9scan_implILNS1_25lookback_scan_determinismE0ELb0ELb0ES3_PKfPffZZZN2at6native31launch_logcumsumexp_cuda_kernelERKNSB_10TensorBaseESF_lENKUlvE_clEvENKUlvE0_clEvEUlffE_fEEDaPvRmT3_T4_T5_mT6_P12ihipStream_tbENKUlT_T0_E_clISt17integral_constantIbLb0EESW_EEDaSR_SS_EUlSR_E_NS1_11comp_targetILNS1_3genE0ELNS1_11target_archE4294967295ELNS1_3gpuE0ELNS1_3repE0EEENS1_30default_config_static_selectorELNS0_4arch9wavefront6targetE1EEEvT1_
	.p2align	8
	.type	_ZN7rocprim17ROCPRIM_400000_NS6detail17trampoline_kernelINS0_14default_configENS1_20scan_config_selectorIfEEZZNS1_9scan_implILNS1_25lookback_scan_determinismE0ELb0ELb0ES3_PKfPffZZZN2at6native31launch_logcumsumexp_cuda_kernelERKNSB_10TensorBaseESF_lENKUlvE_clEvENKUlvE0_clEvEUlffE_fEEDaPvRmT3_T4_T5_mT6_P12ihipStream_tbENKUlT_T0_E_clISt17integral_constantIbLb0EESW_EEDaSR_SS_EUlSR_E_NS1_11comp_targetILNS1_3genE0ELNS1_11target_archE4294967295ELNS1_3gpuE0ELNS1_3repE0EEENS1_30default_config_static_selectorELNS0_4arch9wavefront6targetE1EEEvT1_,@function
_ZN7rocprim17ROCPRIM_400000_NS6detail17trampoline_kernelINS0_14default_configENS1_20scan_config_selectorIfEEZZNS1_9scan_implILNS1_25lookback_scan_determinismE0ELb0ELb0ES3_PKfPffZZZN2at6native31launch_logcumsumexp_cuda_kernelERKNSB_10TensorBaseESF_lENKUlvE_clEvENKUlvE0_clEvEUlffE_fEEDaPvRmT3_T4_T5_mT6_P12ihipStream_tbENKUlT_T0_E_clISt17integral_constantIbLb0EESW_EEDaSR_SS_EUlSR_E_NS1_11comp_targetILNS1_3genE0ELNS1_11target_archE4294967295ELNS1_3gpuE0ELNS1_3repE0EEENS1_30default_config_static_selectorELNS0_4arch9wavefront6targetE1EEEvT1_: ; @_ZN7rocprim17ROCPRIM_400000_NS6detail17trampoline_kernelINS0_14default_configENS1_20scan_config_selectorIfEEZZNS1_9scan_implILNS1_25lookback_scan_determinismE0ELb0ELb0ES3_PKfPffZZZN2at6native31launch_logcumsumexp_cuda_kernelERKNSB_10TensorBaseESF_lENKUlvE_clEvENKUlvE0_clEvEUlffE_fEEDaPvRmT3_T4_T5_mT6_P12ihipStream_tbENKUlT_T0_E_clISt17integral_constantIbLb0EESW_EEDaSR_SS_EUlSR_E_NS1_11comp_targetILNS1_3genE0ELNS1_11target_archE4294967295ELNS1_3gpuE0ELNS1_3repE0EEENS1_30default_config_static_selectorELNS0_4arch9wavefront6targetE1EEEvT1_
; %bb.0:
	s_load_dwordx8 s[40:47], s[0:1], 0x0
	s_load_dword s3, s[0:1], 0x30
	s_mul_i32 s4, s2, 0xe00
	s_mov_b32 s5, 0
	v_lshlrev_b32_e32 v30, 2, v0
	s_waitcnt lgkmcnt(0)
	s_lshl_b64 s[48:49], s[42:43], 2
	s_add_u32 s6, s40, s48
	s_addc_u32 s7, s41, s49
	s_add_i32 s3, s3, -1
	s_mul_i32 s8, s3, 0xe00
	s_sub_u32 s33, s46, s8
	s_subb_u32 s56, s47, 0
	s_cmp_lg_u32 s2, s3
	s_cselect_b64 s[46:47], -1, 0
	s_lshl_b64 s[50:51], s[4:5], 2
	s_add_u32 s6, s6, s50
	s_addc_u32 s7, s7, s51
	s_mov_b64 s[4:5], -1
	s_and_b64 vcc, exec, s[46:47]
	s_cbranch_vccz .LBB88_2
; %bb.1:
	v_mov_b32_e32 v31, 0
	v_lshl_add_u64 v[2:3], s[6:7], 0, v[30:31]
	v_add_co_u32_e32 v4, vcc, 0x1000, v2
	global_load_dword v1, v30, s[6:7]
	global_load_dword v8, v30, s[6:7] offset:1024
	global_load_dword v9, v30, s[6:7] offset:2048
	;; [unrolled: 1-line block ×3, first 2 shown]
	v_addc_co_u32_e32 v5, vcc, 0, v3, vcc
	v_add_co_u32_e32 v6, vcc, 0x2000, v2
	s_mov_b64 s[4:5], 0
	s_nop 0
	v_addc_co_u32_e32 v7, vcc, 0, v3, vcc
	v_add_co_u32_e32 v2, vcc, 0x3000, v2
	global_load_dword v11, v[4:5], off
	global_load_dword v12, v[4:5], off offset:1024
	global_load_dword v13, v[4:5], off offset:2048
	;; [unrolled: 1-line block ×3, first 2 shown]
	global_load_dword v15, v[6:7], off
	global_load_dword v16, v[6:7], off offset:1024
	global_load_dword v17, v[6:7], off offset:2048
	;; [unrolled: 1-line block ×3, first 2 shown]
	v_addc_co_u32_e32 v3, vcc, 0, v3, vcc
	global_load_dword v4, v[2:3], off
	global_load_dword v5, v[2:3], off offset:1024
	s_waitcnt vmcnt(12)
	ds_write2st64_b32 v30, v1, v8 offset1:4
	s_waitcnt vmcnt(10)
	ds_write2st64_b32 v30, v9, v10 offset0:8 offset1:12
	s_waitcnt vmcnt(8)
	ds_write2st64_b32 v30, v11, v12 offset0:16 offset1:20
	;; [unrolled: 2-line block ×6, first 2 shown]
	s_waitcnt lgkmcnt(0)
	s_barrier
.LBB88_2:
	s_load_dwordx2 s[52:53], s[0:1], 0x28
	s_andn2_b64 vcc, exec, s[4:5]
	v_cmp_gt_u32_e64 s[4:5], s33, v0
	s_cbranch_vccnz .LBB88_32
; %bb.3:
	s_load_dword s8, s[6:7], 0x0
	s_waitcnt lgkmcnt(0)
	s_mov_b32 s9, s8
	s_mov_b32 s10, s8
	;; [unrolled: 1-line block ×13, first 2 shown]
	v_mov_b64_e32 v[2:3], s[8:9]
	v_mov_b64_e32 v[4:5], s[10:11]
	;; [unrolled: 1-line block ×7, first 2 shown]
	v_mov_b32_e32 v1, s8
	v_mov_b64_e32 v[16:17], s[22:23]
	s_and_saveexec_b64 s[10:11], s[4:5]
	s_cbranch_execz .LBB88_5
; %bb.4:
	global_load_dword v1, v30, s[6:7]
	v_mov_b32_e32 v3, s8
	v_mov_b32_e32 v4, s8
	;; [unrolled: 1-line block ×13, first 2 shown]
.LBB88_5:
	s_or_b64 exec, exec, s[10:11]
	v_or_b32_e32 v2, 0x100, v0
	v_cmp_gt_u32_e32 vcc, s33, v2
	s_and_saveexec_b64 s[4:5], vcc
	s_cbranch_execz .LBB88_7
; %bb.6:
	global_load_dword v3, v30, s[6:7] offset:1024
.LBB88_7:
	s_or_b64 exec, exec, s[4:5]
	v_or_b32_e32 v2, 0x200, v0
	v_cmp_gt_u32_e32 vcc, s33, v2
	s_and_saveexec_b64 s[4:5], vcc
	s_cbranch_execz .LBB88_9
; %bb.8:
	global_load_dword v4, v30, s[6:7] offset:2048
.LBB88_9:
	;; [unrolled: 8-line block ×3, first 2 shown]
	s_or_b64 exec, exec, s[4:5]
	v_or_b32_e32 v2, 0x400, v0
	v_cmp_gt_u32_e32 vcc, s33, v2
	s_and_saveexec_b64 s[4:5], vcc
	s_cbranch_execz .LBB88_13
; %bb.12:
	v_lshlrev_b32_e32 v2, 2, v2
	global_load_dword v6, v2, s[6:7]
.LBB88_13:
	s_or_b64 exec, exec, s[4:5]
	v_or_b32_e32 v2, 0x500, v0
	v_cmp_gt_u32_e32 vcc, s33, v2
	s_and_saveexec_b64 s[4:5], vcc
	s_cbranch_execz .LBB88_15
; %bb.14:
	v_lshlrev_b32_e32 v2, 2, v2
	global_load_dword v7, v2, s[6:7]
.LBB88_15:
	;; [unrolled: 9-line block ×10, first 2 shown]
	s_or_b64 exec, exec, s[4:5]
	s_waitcnt vmcnt(0)
	ds_write2st64_b32 v30, v1, v3 offset1:4
	ds_write2st64_b32 v30, v4, v5 offset0:8 offset1:12
	ds_write2st64_b32 v30, v6, v7 offset0:16 offset1:20
	;; [unrolled: 1-line block ×6, first 2 shown]
	s_waitcnt lgkmcnt(0)
	s_barrier
.LBB88_32:
	v_mul_u32_u24_e32 v1, 56, v0
	s_waitcnt lgkmcnt(0)
	ds_read2_b64 v[2:5], v1 offset1:1
	ds_read2_b64 v[26:29], v1 offset0:2 offset1:3
	ds_read2_b64 v[22:25], v1 offset0:4 offset1:5
	ds_read_b64 v[32:33], v1 offset:48
	s_cmp_lg_u32 s2, 0
	s_waitcnt lgkmcnt(0)
	s_barrier
	s_cbranch_scc0 .LBB88_166
; %bb.33:
	v_max_f32_e32 v42, v2, v2
	v_max_f32_e32 v18, v3, v3
	v_min_f32_e32 v6, v42, v18
	v_cmp_u_f32_e64 s[28:29], v2, v2
	v_cmp_u_f32_e64 s[38:39], v3, v3
	s_movk_i32 s3, 0x1f8
	v_cndmask_b32_e64 v6, v6, v2, s[28:29]
	v_cndmask_b32_e64 v7, v6, v3, s[38:39]
	v_max_f32_e32 v6, v42, v18
	v_cndmask_b32_e64 v6, v6, v2, s[28:29]
	v_cndmask_b32_e64 v6, v6, v3, s[38:39]
	v_cmp_neq_f32_e32 vcc, v7, v6
	v_cmp_class_f32_e64 s[4:5], v7, s3
	s_or_b64 s[6:7], vcc, s[4:5]
	v_mov_b32_e32 v43, v2
	s_and_saveexec_b64 s[4:5], s[6:7]
	s_cbranch_execz .LBB88_35
; %bb.34:
	v_sub_f32_e32 v7, v7, v6
	s_mov_b32 s6, 0x3fb8aa3b
	v_mul_f32_e32 v8, 0x3fb8aa3b, v7
	v_fma_f32 v9, v7, s6, -v8
	v_rndne_f32_e32 v10, v8
	v_fmamk_f32 v9, v7, 0x32a5705f, v9
	v_sub_f32_e32 v8, v8, v10
	v_add_f32_e32 v8, v8, v9
	v_exp_f32_e32 v8, v8
	v_cvt_i32_f32_e32 v9, v10
	s_mov_b32 s6, 0xc2ce8ed0
	v_cmp_ngt_f32_e32 vcc, s6, v7
	s_mov_b32 s6, 0x42b17218
	v_ldexp_f32 v8, v8, v9
	v_cndmask_b32_e32 v8, 0, v8, vcc
	v_mov_b32_e32 v19, 0x7f800000
	v_cmp_nlt_f32_e32 vcc, s6, v7
	s_mov_b32 s6, 0x3f2aaaab
	s_mov_b32 s7, 0x7f800000
	v_cndmask_b32_e32 v7, v19, v8, vcc
	v_add_f32_e32 v10, 1.0, v7
	v_add_f32_e32 v8, -1.0, v10
	v_sub_f32_e32 v9, v8, v10
	v_add_f32_e32 v9, 1.0, v9
	v_sub_f32_e32 v8, v7, v8
	v_add_f32_e32 v11, v8, v9
	v_frexp_mant_f32_e32 v12, v10
	v_cvt_f64_f32_e32 v[8:9], v10
	v_frexp_exp_i32_f64_e32 v8, v[8:9]
	v_cmp_gt_f32_e32 vcc, s6, v12
	s_mov_b32 s6, 0x3f317218
	s_nop 0
	v_subbrev_co_u32_e32 v16, vcc, 0, v8, vcc
	v_sub_u32_e32 v8, 0, v16
	v_ldexp_f32 v9, v10, v8
	v_add_f32_e32 v10, -1.0, v9
	v_add_f32_e32 v12, 1.0, v9
	v_ldexp_f32 v8, v11, v8
	v_add_f32_e32 v11, 1.0, v10
	v_add_f32_e32 v13, -1.0, v12
	v_sub_f32_e32 v11, v9, v11
	v_sub_f32_e32 v9, v9, v13
	v_add_f32_e32 v11, v8, v11
	v_add_f32_e32 v8, v8, v9
	;; [unrolled: 1-line block ×3, first 2 shown]
	v_rcp_f32_e32 v21, v17
	v_sub_f32_e32 v9, v12, v17
	v_add_f32_e32 v20, v8, v9
	v_add_f32_e32 v9, v10, v11
	v_mul_f32_e32 v34, v9, v21
	v_sub_f32_e32 v8, v10, v9
	v_mul_f32_e32 v10, v17, v34
	v_fma_f32 v12, v34, v17, -v10
	v_fmac_f32_e32 v12, v34, v20
	v_add_f32_e32 v31, v11, v8
	v_add_f32_e32 v8, v10, v12
	v_sub_f32_e32 v11, v9, v8
	v_pk_add_f32 v[14:15], v[8:9], v[10:11] neg_lo:[0,1] neg_hi:[0,1]
	v_mov_b32_e32 v13, v8
	v_pk_add_f32 v[8:9], v[14:15], v[12:13] neg_lo:[0,1] neg_hi:[0,1]
	v_cmp_neq_f32_e32 vcc, s7, v7
	v_add_f32_e32 v9, v31, v9
	v_add_f32_e32 v8, v8, v9
	;; [unrolled: 1-line block ×3, first 2 shown]
	v_mul_f32_e32 v31, v21, v9
	v_mul_f32_e32 v10, v17, v31
	v_fma_f32 v12, v31, v17, -v10
	v_fmac_f32_e32 v12, v31, v20
	v_sub_f32_e32 v11, v11, v9
	v_add_f32_e32 v17, v8, v11
	v_add_f32_e32 v8, v10, v12
	v_sub_f32_e32 v11, v9, v8
	v_pk_add_f32 v[14:15], v[8:9], v[10:11] neg_lo:[0,1] neg_hi:[0,1]
	v_mov_b32_e32 v13, v8
	v_pk_add_f32 v[8:9], v[14:15], v[12:13] neg_lo:[0,1] neg_hi:[0,1]
	v_cvt_f32_i32_e32 v10, v16
	v_add_f32_e32 v9, v17, v9
	v_add_f32_e32 v8, v8, v9
	;; [unrolled: 1-line block ×4, first 2 shown]
	v_sub_f32_e32 v9, v11, v34
	v_mul_f32_e32 v8, v21, v8
	v_sub_f32_e32 v9, v31, v9
	v_add_f32_e32 v8, v9, v8
	v_add_f32_e32 v12, v11, v8
	v_mul_f32_e32 v14, v12, v12
	v_mov_b32_e32 v9, 0x3ecc95a3
	v_sub_f32_e32 v11, v12, v11
	v_fmac_f32_e32 v9, 0x3e9b6dac, v14
	v_sub_f32_e32 v8, v8, v11
	v_fmaak_f32 v9, v14, v9, 0x3f2aaada
	v_ldexp_f32 v15, v8, 1
	v_mul_f32_e32 v11, v12, v14
	v_mov_b32_e32 v8, 0x3f317218
	v_pk_mul_f32 v[8:9], v[10:11], v[8:9]
	v_ldexp_f32 v13, v12, 1
	v_fma_f32 v11, v10, s6, -v8
	v_fmamk_f32 v12, v10, 0xb102e308, v11
	v_pk_add_f32 v[10:11], v[8:9], v[12:13]
	v_mov_b32_e32 v14, v8
	v_sub_f32_e32 v13, v11, v13
	v_sub_f32_e32 v13, v9, v13
	v_add_f32_e32 v15, v15, v13
	v_pk_add_f32 v[8:9], v[10:11], v[8:9] neg_lo:[0,1] neg_hi:[0,1]
	v_pk_add_f32 v[16:17], v[10:11], v[14:15]
	v_mov_b32_e32 v13, v10
	v_mov_b32_e32 v9, v17
	v_pk_add_f32 v[20:21], v[12:13], v[8:9] neg_lo:[0,1] neg_hi:[0,1]
	v_pk_add_f32 v[8:9], v[12:13], v[8:9]
	v_mov_b32_e32 v14, v15
	v_pk_add_f32 v[12:13], v[8:9], v[10:11] op_sel:[1,0] op_sel_hi:[0,1] neg_lo:[0,1] neg_hi:[0,1]
	v_pk_add_f32 v[34:35], v[16:17], v[12:13] op_sel_hi:[1,0] neg_lo:[0,1] neg_hi:[0,1]
	v_mov_b32_e32 v16, v17
	v_mov_b32_e32 v17, v9
	v_pk_mov_b32 v[12:13], v[10:11], v[12:13] op_sel:[1,0]
	v_mov_b32_e32 v15, v10
	v_pk_add_f32 v[12:13], v[16:17], v[12:13] neg_lo:[0,1] neg_hi:[0,1]
	v_mov_b32_e32 v34, v20
	v_pk_add_f32 v[10:11], v[14:15], v[12:13] neg_lo:[0,1] neg_hi:[0,1]
	v_mov_b32_e32 v21, v9
	v_pk_add_f32 v[12:13], v[34:35], v[10:11]
	s_mov_b32 s6, 0x33800000
	v_pk_add_f32 v[14:15], v[12:13], v[12:13] op_sel:[0,1] op_sel_hi:[1,0]
	s_nop 0
	v_pk_add_f32 v[8:9], v[8:9], v[14:15] op_sel:[1,0] op_sel_hi:[0,1]
	v_mov_b32_e32 v13, v8
	v_pk_add_f32 v[16:17], v[12:13], v[20:21] neg_lo:[0,1] neg_hi:[0,1]
	v_mov_b32_e32 v11, v14
	v_sub_f32_e32 v9, v12, v16
	v_pk_add_f32 v[10:11], v[10:11], v[16:17] neg_lo:[0,1] neg_hi:[0,1]
	v_sub_f32_e32 v9, v20, v9
	v_add_f32_e32 v9, v10, v9
	v_add_f32_e32 v9, v9, v11
	;; [unrolled: 1-line block ×3, first 2 shown]
	v_cndmask_b32_e32 v8, v19, v8, vcc
	v_cmp_lt_f32_e64 vcc, |v7|, s6
	s_nop 1
	v_cndmask_b32_e32 v7, v8, v7, vcc
	v_add_f32_e32 v43, v6, v7
.LBB88_35:
	s_or_b64 exec, exec, s[4:5]
	v_max_f32_e32 v6, v43, v43
	v_max_f32_e32 v19, v4, v4
	v_min_f32_e32 v7, v6, v19
	v_cmp_u_f32_e32 vcc, v43, v43
	v_max_f32_e32 v6, v6, v19
	v_cmp_u_f32_e64 s[4:5], v4, v4
	v_cndmask_b32_e32 v7, v7, v43, vcc
	v_cndmask_b32_e32 v6, v6, v43, vcc
	v_cndmask_b32_e64 v7, v7, v4, s[4:5]
	v_cndmask_b32_e64 v6, v6, v4, s[4:5]
	v_cmp_neq_f32_e32 vcc, v7, v6
	v_cmp_class_f32_e64 s[6:7], v7, s3
	s_or_b64 s[8:9], vcc, s[6:7]
	s_and_saveexec_b64 s[6:7], s[8:9]
	s_cbranch_execz .LBB88_37
; %bb.36:
	v_sub_f32_e32 v7, v7, v6
	s_mov_b32 s3, 0x3fb8aa3b
	v_mul_f32_e32 v8, 0x3fb8aa3b, v7
	v_fma_f32 v9, v7, s3, -v8
	v_rndne_f32_e32 v10, v8
	v_fmamk_f32 v9, v7, 0x32a5705f, v9
	v_sub_f32_e32 v8, v8, v10
	v_add_f32_e32 v8, v8, v9
	v_exp_f32_e32 v8, v8
	v_cvt_i32_f32_e32 v9, v10
	s_mov_b32 s3, 0xc2ce8ed0
	v_cmp_ngt_f32_e32 vcc, s3, v7
	s_mov_b32 s3, 0x42b17218
	v_ldexp_f32 v8, v8, v9
	v_cndmask_b32_e32 v8, 0, v8, vcc
	v_mov_b32_e32 v31, 0x7f800000
	v_cmp_nlt_f32_e32 vcc, s3, v7
	s_mov_b32 s3, 0x3f2aaaab
	s_mov_b32 s8, 0x7f800000
	v_cndmask_b32_e32 v7, v31, v8, vcc
	v_add_f32_e32 v10, 1.0, v7
	v_add_f32_e32 v8, -1.0, v10
	v_sub_f32_e32 v9, v8, v10
	v_add_f32_e32 v9, 1.0, v9
	v_sub_f32_e32 v8, v7, v8
	v_add_f32_e32 v11, v8, v9
	v_frexp_mant_f32_e32 v12, v10
	v_cvt_f64_f32_e32 v[8:9], v10
	v_frexp_exp_i32_f64_e32 v8, v[8:9]
	v_cmp_gt_f32_e32 vcc, s3, v12
	s_mov_b32 s3, 0x3f317218
	s_nop 0
	v_subbrev_co_u32_e32 v16, vcc, 0, v8, vcc
	v_sub_u32_e32 v8, 0, v16
	v_ldexp_f32 v9, v10, v8
	v_add_f32_e32 v10, -1.0, v9
	v_add_f32_e32 v12, 1.0, v9
	v_ldexp_f32 v8, v11, v8
	v_add_f32_e32 v11, 1.0, v10
	v_add_f32_e32 v13, -1.0, v12
	v_sub_f32_e32 v11, v9, v11
	v_sub_f32_e32 v9, v9, v13
	v_add_f32_e32 v11, v8, v11
	v_add_f32_e32 v8, v8, v9
	;; [unrolled: 1-line block ×3, first 2 shown]
	v_rcp_f32_e32 v21, v17
	v_sub_f32_e32 v9, v12, v17
	v_add_f32_e32 v20, v8, v9
	v_add_f32_e32 v9, v10, v11
	v_mul_f32_e32 v35, v9, v21
	v_sub_f32_e32 v8, v10, v9
	v_mul_f32_e32 v10, v17, v35
	v_fma_f32 v12, v35, v17, -v10
	v_fmac_f32_e32 v12, v35, v20
	v_add_f32_e32 v34, v11, v8
	v_add_f32_e32 v8, v10, v12
	v_sub_f32_e32 v11, v9, v8
	v_pk_add_f32 v[14:15], v[8:9], v[10:11] neg_lo:[0,1] neg_hi:[0,1]
	v_mov_b32_e32 v13, v8
	v_pk_add_f32 v[8:9], v[14:15], v[12:13] neg_lo:[0,1] neg_hi:[0,1]
	v_cmp_neq_f32_e32 vcc, s8, v7
	v_add_f32_e32 v9, v34, v9
	v_add_f32_e32 v8, v8, v9
	;; [unrolled: 1-line block ×3, first 2 shown]
	v_mul_f32_e32 v34, v21, v9
	v_mul_f32_e32 v10, v17, v34
	v_fma_f32 v12, v34, v17, -v10
	v_fmac_f32_e32 v12, v34, v20
	v_sub_f32_e32 v11, v11, v9
	v_add_f32_e32 v17, v8, v11
	v_add_f32_e32 v8, v10, v12
	v_sub_f32_e32 v11, v9, v8
	v_pk_add_f32 v[14:15], v[8:9], v[10:11] neg_lo:[0,1] neg_hi:[0,1]
	v_mov_b32_e32 v13, v8
	v_pk_add_f32 v[8:9], v[14:15], v[12:13] neg_lo:[0,1] neg_hi:[0,1]
	v_cvt_f32_i32_e32 v10, v16
	v_add_f32_e32 v9, v17, v9
	v_add_f32_e32 v8, v8, v9
	;; [unrolled: 1-line block ×4, first 2 shown]
	v_sub_f32_e32 v9, v11, v35
	v_mul_f32_e32 v8, v21, v8
	v_sub_f32_e32 v9, v34, v9
	v_add_f32_e32 v8, v9, v8
	v_add_f32_e32 v12, v11, v8
	v_mul_f32_e32 v14, v12, v12
	v_mov_b32_e32 v9, 0x3ecc95a3
	v_sub_f32_e32 v11, v12, v11
	v_fmac_f32_e32 v9, 0x3e9b6dac, v14
	v_sub_f32_e32 v8, v8, v11
	v_fmaak_f32 v9, v14, v9, 0x3f2aaada
	v_ldexp_f32 v15, v8, 1
	v_mul_f32_e32 v11, v12, v14
	v_mov_b32_e32 v8, 0x3f317218
	v_pk_mul_f32 v[8:9], v[10:11], v[8:9]
	v_ldexp_f32 v13, v12, 1
	v_fma_f32 v11, v10, s3, -v8
	v_fmamk_f32 v12, v10, 0xb102e308, v11
	v_pk_add_f32 v[10:11], v[8:9], v[12:13]
	v_mov_b32_e32 v14, v8
	v_sub_f32_e32 v13, v11, v13
	v_sub_f32_e32 v13, v9, v13
	v_add_f32_e32 v15, v15, v13
	v_pk_add_f32 v[8:9], v[10:11], v[8:9] neg_lo:[0,1] neg_hi:[0,1]
	v_pk_add_f32 v[16:17], v[10:11], v[14:15]
	v_mov_b32_e32 v13, v10
	v_mov_b32_e32 v9, v17
	v_pk_add_f32 v[20:21], v[12:13], v[8:9] neg_lo:[0,1] neg_hi:[0,1]
	v_pk_add_f32 v[8:9], v[12:13], v[8:9]
	v_mov_b32_e32 v14, v15
	v_pk_add_f32 v[12:13], v[8:9], v[10:11] op_sel:[1,0] op_sel_hi:[0,1] neg_lo:[0,1] neg_hi:[0,1]
	v_pk_add_f32 v[34:35], v[16:17], v[12:13] op_sel_hi:[1,0] neg_lo:[0,1] neg_hi:[0,1]
	v_mov_b32_e32 v16, v17
	v_mov_b32_e32 v17, v9
	v_pk_mov_b32 v[12:13], v[10:11], v[12:13] op_sel:[1,0]
	v_mov_b32_e32 v15, v10
	v_pk_add_f32 v[12:13], v[16:17], v[12:13] neg_lo:[0,1] neg_hi:[0,1]
	v_mov_b32_e32 v34, v20
	v_pk_add_f32 v[10:11], v[14:15], v[12:13] neg_lo:[0,1] neg_hi:[0,1]
	v_mov_b32_e32 v21, v9
	v_pk_add_f32 v[12:13], v[34:35], v[10:11]
	s_mov_b32 s3, 0x33800000
	v_pk_add_f32 v[14:15], v[12:13], v[12:13] op_sel:[0,1] op_sel_hi:[1,0]
	s_nop 0
	v_pk_add_f32 v[8:9], v[8:9], v[14:15] op_sel:[1,0] op_sel_hi:[0,1]
	v_mov_b32_e32 v13, v8
	v_pk_add_f32 v[16:17], v[12:13], v[20:21] neg_lo:[0,1] neg_hi:[0,1]
	v_mov_b32_e32 v11, v14
	v_sub_f32_e32 v9, v12, v16
	v_pk_add_f32 v[10:11], v[10:11], v[16:17] neg_lo:[0,1] neg_hi:[0,1]
	v_sub_f32_e32 v9, v20, v9
	v_add_f32_e32 v9, v10, v9
	v_add_f32_e32 v9, v9, v11
	;; [unrolled: 1-line block ×3, first 2 shown]
	v_cndmask_b32_e32 v8, v31, v8, vcc
	v_cmp_lt_f32_e64 vcc, |v7|, s3
	s_nop 1
	v_cndmask_b32_e32 v7, v8, v7, vcc
	v_add_f32_e32 v43, v6, v7
.LBB88_37:
	s_or_b64 exec, exec, s[6:7]
	v_max_f32_e32 v6, v43, v43
	v_max_f32_e32 v20, v5, v5
	v_min_f32_e32 v7, v6, v20
	v_cmp_u_f32_e32 vcc, v43, v43
	v_max_f32_e32 v6, v6, v20
	v_cmp_u_f32_e64 s[6:7], v5, v5
	v_cndmask_b32_e32 v7, v7, v43, vcc
	v_cndmask_b32_e32 v6, v6, v43, vcc
	v_cndmask_b32_e64 v7, v7, v5, s[6:7]
	v_cndmask_b32_e64 v6, v6, v5, s[6:7]
	s_movk_i32 s3, 0x1f8
	v_cmp_neq_f32_e32 vcc, v7, v6
	v_cmp_class_f32_e64 s[8:9], v7, s3
	s_or_b64 s[10:11], vcc, s[8:9]
	s_and_saveexec_b64 s[8:9], s[10:11]
	s_cbranch_execz .LBB88_39
; %bb.38:
	v_sub_f32_e32 v7, v7, v6
	s_mov_b32 s10, 0x3fb8aa3b
	v_mul_f32_e32 v8, 0x3fb8aa3b, v7
	v_fma_f32 v9, v7, s10, -v8
	v_rndne_f32_e32 v10, v8
	v_fmamk_f32 v9, v7, 0x32a5705f, v9
	v_sub_f32_e32 v8, v8, v10
	v_add_f32_e32 v8, v8, v9
	v_exp_f32_e32 v8, v8
	v_cvt_i32_f32_e32 v9, v10
	s_mov_b32 s10, 0xc2ce8ed0
	v_cmp_ngt_f32_e32 vcc, s10, v7
	s_mov_b32 s10, 0x42b17218
	v_ldexp_f32 v8, v8, v9
	v_cndmask_b32_e32 v8, 0, v8, vcc
	v_mov_b32_e32 v21, 0x7f800000
	v_cmp_nlt_f32_e32 vcc, s10, v7
	s_mov_b32 s10, 0x3f2aaaab
	s_mov_b32 s11, 0x7f800000
	v_cndmask_b32_e32 v7, v21, v8, vcc
	v_add_f32_e32 v10, 1.0, v7
	v_add_f32_e32 v8, -1.0, v10
	v_sub_f32_e32 v9, v8, v10
	v_add_f32_e32 v9, 1.0, v9
	v_sub_f32_e32 v8, v7, v8
	v_add_f32_e32 v11, v8, v9
	v_frexp_mant_f32_e32 v12, v10
	v_cvt_f64_f32_e32 v[8:9], v10
	v_frexp_exp_i32_f64_e32 v8, v[8:9]
	v_cmp_gt_f32_e32 vcc, s10, v12
	s_mov_b32 s10, 0x3f317218
	s_nop 0
	v_subbrev_co_u32_e32 v16, vcc, 0, v8, vcc
	v_sub_u32_e32 v8, 0, v16
	v_ldexp_f32 v9, v10, v8
	v_add_f32_e32 v10, -1.0, v9
	v_add_f32_e32 v12, 1.0, v9
	v_ldexp_f32 v8, v11, v8
	v_add_f32_e32 v11, 1.0, v10
	v_add_f32_e32 v13, -1.0, v12
	v_sub_f32_e32 v11, v9, v11
	v_sub_f32_e32 v9, v9, v13
	v_add_f32_e32 v11, v8, v11
	v_add_f32_e32 v8, v8, v9
	;; [unrolled: 1-line block ×3, first 2 shown]
	v_rcp_f32_e32 v34, v17
	v_sub_f32_e32 v9, v12, v17
	v_add_f32_e32 v31, v8, v9
	v_add_f32_e32 v9, v10, v11
	v_mul_f32_e32 v36, v9, v34
	v_sub_f32_e32 v8, v10, v9
	v_mul_f32_e32 v10, v17, v36
	v_fma_f32 v12, v36, v17, -v10
	v_fmac_f32_e32 v12, v36, v31
	v_add_f32_e32 v35, v11, v8
	v_add_f32_e32 v8, v10, v12
	v_sub_f32_e32 v11, v9, v8
	v_pk_add_f32 v[14:15], v[8:9], v[10:11] neg_lo:[0,1] neg_hi:[0,1]
	v_mov_b32_e32 v13, v8
	v_pk_add_f32 v[8:9], v[14:15], v[12:13] neg_lo:[0,1] neg_hi:[0,1]
	v_cmp_neq_f32_e32 vcc, s11, v7
	v_add_f32_e32 v9, v35, v9
	v_add_f32_e32 v8, v8, v9
	;; [unrolled: 1-line block ×3, first 2 shown]
	v_mul_f32_e32 v35, v34, v9
	v_mul_f32_e32 v10, v17, v35
	v_fma_f32 v12, v35, v17, -v10
	v_fmac_f32_e32 v12, v35, v31
	v_sub_f32_e32 v11, v11, v9
	v_add_f32_e32 v17, v8, v11
	v_add_f32_e32 v8, v10, v12
	v_sub_f32_e32 v11, v9, v8
	v_pk_add_f32 v[14:15], v[8:9], v[10:11] neg_lo:[0,1] neg_hi:[0,1]
	v_mov_b32_e32 v13, v8
	v_pk_add_f32 v[8:9], v[14:15], v[12:13] neg_lo:[0,1] neg_hi:[0,1]
	v_cvt_f32_i32_e32 v10, v16
	v_add_f32_e32 v9, v17, v9
	v_add_f32_e32 v8, v8, v9
	;; [unrolled: 1-line block ×4, first 2 shown]
	v_sub_f32_e32 v9, v11, v36
	v_mul_f32_e32 v8, v34, v8
	v_sub_f32_e32 v9, v35, v9
	v_add_f32_e32 v8, v9, v8
	v_add_f32_e32 v12, v11, v8
	v_mul_f32_e32 v14, v12, v12
	v_mov_b32_e32 v9, 0x3ecc95a3
	v_sub_f32_e32 v11, v12, v11
	v_fmac_f32_e32 v9, 0x3e9b6dac, v14
	v_sub_f32_e32 v8, v8, v11
	v_fmaak_f32 v9, v14, v9, 0x3f2aaada
	v_ldexp_f32 v15, v8, 1
	v_mul_f32_e32 v11, v12, v14
	v_mov_b32_e32 v8, 0x3f317218
	v_pk_mul_f32 v[8:9], v[10:11], v[8:9]
	v_ldexp_f32 v13, v12, 1
	v_fma_f32 v11, v10, s10, -v8
	v_fmamk_f32 v12, v10, 0xb102e308, v11
	v_pk_add_f32 v[10:11], v[8:9], v[12:13]
	v_mov_b32_e32 v14, v8
	v_sub_f32_e32 v13, v11, v13
	v_sub_f32_e32 v13, v9, v13
	v_add_f32_e32 v15, v15, v13
	v_pk_add_f32 v[8:9], v[10:11], v[8:9] neg_lo:[0,1] neg_hi:[0,1]
	v_pk_add_f32 v[16:17], v[10:11], v[14:15]
	v_mov_b32_e32 v13, v10
	v_mov_b32_e32 v9, v17
	v_pk_add_f32 v[34:35], v[12:13], v[8:9] neg_lo:[0,1] neg_hi:[0,1]
	v_pk_add_f32 v[8:9], v[12:13], v[8:9]
	v_mov_b32_e32 v14, v15
	v_pk_add_f32 v[12:13], v[8:9], v[10:11] op_sel:[1,0] op_sel_hi:[0,1] neg_lo:[0,1] neg_hi:[0,1]
	v_pk_add_f32 v[36:37], v[16:17], v[12:13] op_sel_hi:[1,0] neg_lo:[0,1] neg_hi:[0,1]
	v_mov_b32_e32 v16, v17
	v_mov_b32_e32 v17, v9
	v_pk_mov_b32 v[12:13], v[10:11], v[12:13] op_sel:[1,0]
	v_mov_b32_e32 v15, v10
	v_pk_add_f32 v[12:13], v[16:17], v[12:13] neg_lo:[0,1] neg_hi:[0,1]
	v_mov_b32_e32 v36, v34
	v_pk_add_f32 v[10:11], v[14:15], v[12:13] neg_lo:[0,1] neg_hi:[0,1]
	v_mov_b32_e32 v35, v9
	v_pk_add_f32 v[12:13], v[36:37], v[10:11]
	s_mov_b32 s10, 0x33800000
	v_pk_add_f32 v[14:15], v[12:13], v[12:13] op_sel:[0,1] op_sel_hi:[1,0]
	s_nop 0
	v_pk_add_f32 v[8:9], v[8:9], v[14:15] op_sel:[1,0] op_sel_hi:[0,1]
	v_mov_b32_e32 v13, v8
	v_pk_add_f32 v[16:17], v[12:13], v[34:35] neg_lo:[0,1] neg_hi:[0,1]
	v_mov_b32_e32 v11, v14
	v_sub_f32_e32 v9, v12, v16
	v_pk_add_f32 v[10:11], v[10:11], v[16:17] neg_lo:[0,1] neg_hi:[0,1]
	v_sub_f32_e32 v9, v34, v9
	v_add_f32_e32 v9, v10, v9
	v_add_f32_e32 v9, v9, v11
	;; [unrolled: 1-line block ×3, first 2 shown]
	v_cndmask_b32_e32 v8, v21, v8, vcc
	v_cmp_lt_f32_e64 vcc, |v7|, s10
	s_nop 1
	v_cndmask_b32_e32 v7, v8, v7, vcc
	v_add_f32_e32 v43, v6, v7
.LBB88_39:
	s_or_b64 exec, exec, s[8:9]
	v_max_f32_e32 v6, v43, v43
	v_max_f32_e32 v21, v26, v26
	v_min_f32_e32 v7, v6, v21
	v_cmp_u_f32_e32 vcc, v43, v43
	v_max_f32_e32 v6, v6, v21
	v_cmp_u_f32_e64 s[8:9], v26, v26
	v_cndmask_b32_e32 v7, v7, v43, vcc
	v_cndmask_b32_e32 v6, v6, v43, vcc
	v_cndmask_b32_e64 v7, v7, v26, s[8:9]
	v_cndmask_b32_e64 v6, v6, v26, s[8:9]
	v_cmp_neq_f32_e32 vcc, v7, v6
	v_cmp_class_f32_e64 s[10:11], v7, s3
	s_or_b64 s[12:13], vcc, s[10:11]
	s_and_saveexec_b64 s[10:11], s[12:13]
	s_cbranch_execz .LBB88_41
; %bb.40:
	v_sub_f32_e32 v7, v7, v6
	s_mov_b32 s3, 0x3fb8aa3b
	v_mul_f32_e32 v8, 0x3fb8aa3b, v7
	v_fma_f32 v9, v7, s3, -v8
	v_rndne_f32_e32 v10, v8
	v_fmamk_f32 v9, v7, 0x32a5705f, v9
	v_sub_f32_e32 v8, v8, v10
	v_add_f32_e32 v8, v8, v9
	v_exp_f32_e32 v8, v8
	v_cvt_i32_f32_e32 v9, v10
	s_mov_b32 s3, 0xc2ce8ed0
	v_cmp_ngt_f32_e32 vcc, s3, v7
	s_mov_b32 s3, 0x42b17218
	v_ldexp_f32 v8, v8, v9
	v_cndmask_b32_e32 v8, 0, v8, vcc
	v_mov_b32_e32 v31, 0x7f800000
	v_cmp_nlt_f32_e32 vcc, s3, v7
	s_mov_b32 s3, 0x3f2aaaab
	s_mov_b32 s12, 0x7f800000
	v_cndmask_b32_e32 v7, v31, v8, vcc
	v_add_f32_e32 v10, 1.0, v7
	v_add_f32_e32 v8, -1.0, v10
	v_sub_f32_e32 v9, v8, v10
	v_add_f32_e32 v9, 1.0, v9
	v_sub_f32_e32 v8, v7, v8
	v_add_f32_e32 v11, v8, v9
	v_frexp_mant_f32_e32 v12, v10
	v_cvt_f64_f32_e32 v[8:9], v10
	v_frexp_exp_i32_f64_e32 v8, v[8:9]
	v_cmp_gt_f32_e32 vcc, s3, v12
	s_mov_b32 s3, 0x3f317218
	s_nop 0
	v_subbrev_co_u32_e32 v16, vcc, 0, v8, vcc
	v_sub_u32_e32 v8, 0, v16
	v_ldexp_f32 v9, v10, v8
	v_add_f32_e32 v10, -1.0, v9
	v_add_f32_e32 v12, 1.0, v9
	v_ldexp_f32 v8, v11, v8
	v_add_f32_e32 v11, 1.0, v10
	v_add_f32_e32 v13, -1.0, v12
	v_sub_f32_e32 v11, v9, v11
	v_sub_f32_e32 v9, v9, v13
	v_add_f32_e32 v11, v8, v11
	v_add_f32_e32 v8, v8, v9
	v_add_f32_e32 v17, v12, v8
	v_rcp_f32_e32 v35, v17
	v_sub_f32_e32 v9, v12, v17
	v_add_f32_e32 v34, v8, v9
	v_add_f32_e32 v9, v10, v11
	v_mul_f32_e32 v37, v9, v35
	v_sub_f32_e32 v8, v10, v9
	v_mul_f32_e32 v10, v17, v37
	v_fma_f32 v12, v37, v17, -v10
	v_fmac_f32_e32 v12, v37, v34
	v_add_f32_e32 v36, v11, v8
	v_add_f32_e32 v8, v10, v12
	v_sub_f32_e32 v11, v9, v8
	v_pk_add_f32 v[14:15], v[8:9], v[10:11] neg_lo:[0,1] neg_hi:[0,1]
	v_mov_b32_e32 v13, v8
	v_pk_add_f32 v[8:9], v[14:15], v[12:13] neg_lo:[0,1] neg_hi:[0,1]
	v_cmp_neq_f32_e32 vcc, s12, v7
	v_add_f32_e32 v9, v36, v9
	v_add_f32_e32 v8, v8, v9
	;; [unrolled: 1-line block ×3, first 2 shown]
	v_mul_f32_e32 v36, v35, v9
	v_mul_f32_e32 v10, v17, v36
	v_fma_f32 v12, v36, v17, -v10
	v_fmac_f32_e32 v12, v36, v34
	v_sub_f32_e32 v11, v11, v9
	v_add_f32_e32 v17, v8, v11
	v_add_f32_e32 v8, v10, v12
	v_sub_f32_e32 v11, v9, v8
	v_pk_add_f32 v[14:15], v[8:9], v[10:11] neg_lo:[0,1] neg_hi:[0,1]
	v_mov_b32_e32 v13, v8
	v_pk_add_f32 v[8:9], v[14:15], v[12:13] neg_lo:[0,1] neg_hi:[0,1]
	v_cvt_f32_i32_e32 v10, v16
	v_add_f32_e32 v9, v17, v9
	v_add_f32_e32 v8, v8, v9
	;; [unrolled: 1-line block ×4, first 2 shown]
	v_sub_f32_e32 v9, v11, v37
	v_mul_f32_e32 v8, v35, v8
	v_sub_f32_e32 v9, v36, v9
	v_add_f32_e32 v8, v9, v8
	v_add_f32_e32 v12, v11, v8
	v_mul_f32_e32 v14, v12, v12
	v_mov_b32_e32 v9, 0x3ecc95a3
	v_sub_f32_e32 v11, v12, v11
	v_fmac_f32_e32 v9, 0x3e9b6dac, v14
	v_sub_f32_e32 v8, v8, v11
	v_fmaak_f32 v9, v14, v9, 0x3f2aaada
	v_ldexp_f32 v15, v8, 1
	v_mul_f32_e32 v11, v12, v14
	v_mov_b32_e32 v8, 0x3f317218
	v_pk_mul_f32 v[8:9], v[10:11], v[8:9]
	v_ldexp_f32 v13, v12, 1
	v_fma_f32 v11, v10, s3, -v8
	v_fmamk_f32 v12, v10, 0xb102e308, v11
	v_pk_add_f32 v[10:11], v[8:9], v[12:13]
	v_mov_b32_e32 v14, v8
	v_sub_f32_e32 v13, v11, v13
	v_sub_f32_e32 v13, v9, v13
	v_add_f32_e32 v15, v15, v13
	v_pk_add_f32 v[8:9], v[10:11], v[8:9] neg_lo:[0,1] neg_hi:[0,1]
	v_pk_add_f32 v[16:17], v[10:11], v[14:15]
	v_mov_b32_e32 v13, v10
	v_mov_b32_e32 v9, v17
	v_pk_add_f32 v[34:35], v[12:13], v[8:9] neg_lo:[0,1] neg_hi:[0,1]
	v_pk_add_f32 v[8:9], v[12:13], v[8:9]
	v_mov_b32_e32 v14, v15
	v_pk_add_f32 v[12:13], v[8:9], v[10:11] op_sel:[1,0] op_sel_hi:[0,1] neg_lo:[0,1] neg_hi:[0,1]
	v_pk_add_f32 v[36:37], v[16:17], v[12:13] op_sel_hi:[1,0] neg_lo:[0,1] neg_hi:[0,1]
	v_mov_b32_e32 v16, v17
	v_mov_b32_e32 v17, v9
	v_pk_mov_b32 v[12:13], v[10:11], v[12:13] op_sel:[1,0]
	v_mov_b32_e32 v15, v10
	v_pk_add_f32 v[12:13], v[16:17], v[12:13] neg_lo:[0,1] neg_hi:[0,1]
	v_mov_b32_e32 v36, v34
	v_pk_add_f32 v[10:11], v[14:15], v[12:13] neg_lo:[0,1] neg_hi:[0,1]
	v_mov_b32_e32 v35, v9
	v_pk_add_f32 v[12:13], v[36:37], v[10:11]
	s_mov_b32 s3, 0x33800000
	v_pk_add_f32 v[14:15], v[12:13], v[12:13] op_sel:[0,1] op_sel_hi:[1,0]
	s_nop 0
	v_pk_add_f32 v[8:9], v[8:9], v[14:15] op_sel:[1,0] op_sel_hi:[0,1]
	v_mov_b32_e32 v13, v8
	v_pk_add_f32 v[16:17], v[12:13], v[34:35] neg_lo:[0,1] neg_hi:[0,1]
	v_mov_b32_e32 v11, v14
	v_sub_f32_e32 v9, v12, v16
	v_pk_add_f32 v[10:11], v[10:11], v[16:17] neg_lo:[0,1] neg_hi:[0,1]
	v_sub_f32_e32 v9, v34, v9
	v_add_f32_e32 v9, v10, v9
	v_add_f32_e32 v9, v9, v11
	;; [unrolled: 1-line block ×3, first 2 shown]
	v_cndmask_b32_e32 v8, v31, v8, vcc
	v_cmp_lt_f32_e64 vcc, |v7|, s3
	s_nop 1
	v_cndmask_b32_e32 v7, v8, v7, vcc
	v_add_f32_e32 v43, v6, v7
.LBB88_41:
	s_or_b64 exec, exec, s[10:11]
	v_max_f32_e32 v6, v43, v43
	v_max_f32_e32 v31, v27, v27
	v_min_f32_e32 v7, v6, v31
	v_cmp_u_f32_e32 vcc, v43, v43
	v_max_f32_e32 v6, v6, v31
	v_cmp_u_f32_e64 s[10:11], v27, v27
	v_cndmask_b32_e32 v7, v7, v43, vcc
	v_cndmask_b32_e32 v6, v6, v43, vcc
	v_cndmask_b32_e64 v7, v7, v27, s[10:11]
	v_cndmask_b32_e64 v6, v6, v27, s[10:11]
	s_movk_i32 s3, 0x1f8
	v_cmp_neq_f32_e32 vcc, v7, v6
	v_cmp_class_f32_e64 s[12:13], v7, s3
	s_or_b64 s[14:15], vcc, s[12:13]
	s_and_saveexec_b64 s[12:13], s[14:15]
	s_cbranch_execz .LBB88_43
; %bb.42:
	v_sub_f32_e32 v7, v7, v6
	s_mov_b32 s14, 0x3fb8aa3b
	v_mul_f32_e32 v8, 0x3fb8aa3b, v7
	v_fma_f32 v9, v7, s14, -v8
	v_rndne_f32_e32 v10, v8
	v_fmamk_f32 v9, v7, 0x32a5705f, v9
	v_sub_f32_e32 v8, v8, v10
	v_add_f32_e32 v8, v8, v9
	v_exp_f32_e32 v8, v8
	v_cvt_i32_f32_e32 v9, v10
	s_mov_b32 s14, 0xc2ce8ed0
	v_cmp_ngt_f32_e32 vcc, s14, v7
	s_mov_b32 s14, 0x42b17218
	v_ldexp_f32 v8, v8, v9
	v_cndmask_b32_e32 v8, 0, v8, vcc
	v_mov_b32_e32 v38, 0x7f800000
	v_cmp_nlt_f32_e32 vcc, s14, v7
	s_mov_b32 s14, 0x3f2aaaab
	s_mov_b32 s15, 0x7f800000
	v_cndmask_b32_e32 v7, v38, v8, vcc
	v_add_f32_e32 v10, 1.0, v7
	v_add_f32_e32 v8, -1.0, v10
	v_sub_f32_e32 v9, v8, v10
	v_add_f32_e32 v9, 1.0, v9
	v_sub_f32_e32 v8, v7, v8
	v_add_f32_e32 v11, v8, v9
	v_frexp_mant_f32_e32 v12, v10
	v_cvt_f64_f32_e32 v[8:9], v10
	v_frexp_exp_i32_f64_e32 v8, v[8:9]
	v_cmp_gt_f32_e32 vcc, s14, v12
	s_mov_b32 s14, 0x3f317218
	s_nop 0
	v_subbrev_co_u32_e32 v16, vcc, 0, v8, vcc
	v_sub_u32_e32 v8, 0, v16
	v_ldexp_f32 v9, v10, v8
	v_add_f32_e32 v10, -1.0, v9
	v_add_f32_e32 v12, 1.0, v9
	v_ldexp_f32 v8, v11, v8
	v_add_f32_e32 v11, 1.0, v10
	v_add_f32_e32 v13, -1.0, v12
	v_sub_f32_e32 v11, v9, v11
	v_sub_f32_e32 v9, v9, v13
	v_add_f32_e32 v11, v8, v11
	v_add_f32_e32 v8, v8, v9
	;; [unrolled: 1-line block ×3, first 2 shown]
	v_rcp_f32_e32 v35, v17
	v_sub_f32_e32 v9, v12, v17
	v_add_f32_e32 v34, v8, v9
	v_add_f32_e32 v9, v10, v11
	v_mul_f32_e32 v37, v9, v35
	v_sub_f32_e32 v8, v10, v9
	v_mul_f32_e32 v10, v17, v37
	v_fma_f32 v12, v37, v17, -v10
	v_fmac_f32_e32 v12, v37, v34
	v_add_f32_e32 v36, v11, v8
	v_add_f32_e32 v8, v10, v12
	v_sub_f32_e32 v11, v9, v8
	v_pk_add_f32 v[14:15], v[8:9], v[10:11] neg_lo:[0,1] neg_hi:[0,1]
	v_mov_b32_e32 v13, v8
	v_pk_add_f32 v[8:9], v[14:15], v[12:13] neg_lo:[0,1] neg_hi:[0,1]
	v_cmp_neq_f32_e32 vcc, s15, v7
	v_add_f32_e32 v9, v36, v9
	v_add_f32_e32 v8, v8, v9
	;; [unrolled: 1-line block ×3, first 2 shown]
	v_mul_f32_e32 v36, v35, v9
	v_mul_f32_e32 v10, v17, v36
	v_fma_f32 v12, v36, v17, -v10
	v_fmac_f32_e32 v12, v36, v34
	v_sub_f32_e32 v11, v11, v9
	v_add_f32_e32 v17, v8, v11
	v_add_f32_e32 v8, v10, v12
	v_sub_f32_e32 v11, v9, v8
	v_pk_add_f32 v[14:15], v[8:9], v[10:11] neg_lo:[0,1] neg_hi:[0,1]
	v_mov_b32_e32 v13, v8
	v_pk_add_f32 v[8:9], v[14:15], v[12:13] neg_lo:[0,1] neg_hi:[0,1]
	v_cvt_f32_i32_e32 v10, v16
	v_add_f32_e32 v9, v17, v9
	v_add_f32_e32 v8, v8, v9
	;; [unrolled: 1-line block ×4, first 2 shown]
	v_sub_f32_e32 v9, v11, v37
	v_mul_f32_e32 v8, v35, v8
	v_sub_f32_e32 v9, v36, v9
	v_add_f32_e32 v8, v9, v8
	v_add_f32_e32 v12, v11, v8
	v_mul_f32_e32 v14, v12, v12
	v_mov_b32_e32 v9, 0x3ecc95a3
	v_sub_f32_e32 v11, v12, v11
	v_fmac_f32_e32 v9, 0x3e9b6dac, v14
	v_sub_f32_e32 v8, v8, v11
	v_fmaak_f32 v9, v14, v9, 0x3f2aaada
	v_ldexp_f32 v15, v8, 1
	v_mul_f32_e32 v11, v12, v14
	v_mov_b32_e32 v8, 0x3f317218
	v_pk_mul_f32 v[8:9], v[10:11], v[8:9]
	v_ldexp_f32 v13, v12, 1
	v_fma_f32 v11, v10, s14, -v8
	v_fmamk_f32 v12, v10, 0xb102e308, v11
	v_pk_add_f32 v[10:11], v[8:9], v[12:13]
	v_mov_b32_e32 v14, v8
	v_sub_f32_e32 v13, v11, v13
	v_sub_f32_e32 v13, v9, v13
	v_add_f32_e32 v15, v15, v13
	v_pk_add_f32 v[8:9], v[10:11], v[8:9] neg_lo:[0,1] neg_hi:[0,1]
	v_pk_add_f32 v[16:17], v[10:11], v[14:15]
	v_mov_b32_e32 v13, v10
	v_mov_b32_e32 v9, v17
	v_pk_add_f32 v[34:35], v[12:13], v[8:9] neg_lo:[0,1] neg_hi:[0,1]
	v_pk_add_f32 v[8:9], v[12:13], v[8:9]
	v_mov_b32_e32 v14, v15
	v_pk_add_f32 v[12:13], v[8:9], v[10:11] op_sel:[1,0] op_sel_hi:[0,1] neg_lo:[0,1] neg_hi:[0,1]
	v_pk_add_f32 v[36:37], v[16:17], v[12:13] op_sel_hi:[1,0] neg_lo:[0,1] neg_hi:[0,1]
	v_mov_b32_e32 v16, v17
	v_mov_b32_e32 v17, v9
	v_pk_mov_b32 v[12:13], v[10:11], v[12:13] op_sel:[1,0]
	v_mov_b32_e32 v15, v10
	v_pk_add_f32 v[12:13], v[16:17], v[12:13] neg_lo:[0,1] neg_hi:[0,1]
	v_mov_b32_e32 v36, v34
	v_pk_add_f32 v[10:11], v[14:15], v[12:13] neg_lo:[0,1] neg_hi:[0,1]
	v_mov_b32_e32 v35, v9
	v_pk_add_f32 v[12:13], v[36:37], v[10:11]
	s_mov_b32 s14, 0x33800000
	v_pk_add_f32 v[14:15], v[12:13], v[12:13] op_sel:[0,1] op_sel_hi:[1,0]
	s_nop 0
	v_pk_add_f32 v[8:9], v[8:9], v[14:15] op_sel:[1,0] op_sel_hi:[0,1]
	v_mov_b32_e32 v13, v8
	v_pk_add_f32 v[16:17], v[12:13], v[34:35] neg_lo:[0,1] neg_hi:[0,1]
	v_mov_b32_e32 v11, v14
	v_sub_f32_e32 v9, v12, v16
	v_pk_add_f32 v[10:11], v[10:11], v[16:17] neg_lo:[0,1] neg_hi:[0,1]
	v_sub_f32_e32 v9, v34, v9
	v_add_f32_e32 v9, v10, v9
	v_add_f32_e32 v9, v9, v11
	;; [unrolled: 1-line block ×3, first 2 shown]
	v_cndmask_b32_e32 v8, v38, v8, vcc
	v_cmp_lt_f32_e64 vcc, |v7|, s14
	s_nop 1
	v_cndmask_b32_e32 v7, v8, v7, vcc
	v_add_f32_e32 v43, v6, v7
.LBB88_43:
	s_or_b64 exec, exec, s[12:13]
	v_max_f32_e32 v6, v43, v43
	v_max_f32_e32 v34, v28, v28
	v_min_f32_e32 v7, v6, v34
	v_cmp_u_f32_e32 vcc, v43, v43
	v_max_f32_e32 v6, v6, v34
	v_cmp_u_f32_e64 s[12:13], v28, v28
	v_cndmask_b32_e32 v7, v7, v43, vcc
	v_cndmask_b32_e32 v6, v6, v43, vcc
	v_cndmask_b32_e64 v7, v7, v28, s[12:13]
	v_cndmask_b32_e64 v6, v6, v28, s[12:13]
	v_cmp_neq_f32_e32 vcc, v7, v6
	v_cmp_class_f32_e64 s[14:15], v7, s3
	s_or_b64 s[16:17], vcc, s[14:15]
	s_and_saveexec_b64 s[14:15], s[16:17]
	s_cbranch_execz .LBB88_45
; %bb.44:
	v_sub_f32_e32 v7, v7, v6
	s_mov_b32 s3, 0x3fb8aa3b
	v_mul_f32_e32 v8, 0x3fb8aa3b, v7
	v_fma_f32 v9, v7, s3, -v8
	v_rndne_f32_e32 v10, v8
	v_fmamk_f32 v9, v7, 0x32a5705f, v9
	v_sub_f32_e32 v8, v8, v10
	v_add_f32_e32 v8, v8, v9
	v_exp_f32_e32 v8, v8
	v_cvt_i32_f32_e32 v9, v10
	s_mov_b32 s3, 0xc2ce8ed0
	v_cmp_ngt_f32_e32 vcc, s3, v7
	s_mov_b32 s3, 0x42b17218
	v_ldexp_f32 v8, v8, v9
	v_cndmask_b32_e32 v8, 0, v8, vcc
	v_mov_b32_e32 v35, 0x7f800000
	v_cmp_nlt_f32_e32 vcc, s3, v7
	s_mov_b32 s3, 0x3f2aaaab
	s_mov_b32 s16, 0x7f800000
	v_cndmask_b32_e32 v7, v35, v8, vcc
	v_add_f32_e32 v10, 1.0, v7
	v_add_f32_e32 v8, -1.0, v10
	v_sub_f32_e32 v9, v8, v10
	v_add_f32_e32 v9, 1.0, v9
	v_sub_f32_e32 v8, v7, v8
	v_add_f32_e32 v11, v8, v9
	v_frexp_mant_f32_e32 v12, v10
	v_cvt_f64_f32_e32 v[8:9], v10
	v_frexp_exp_i32_f64_e32 v8, v[8:9]
	v_cmp_gt_f32_e32 vcc, s3, v12
	s_mov_b32 s3, 0x3f317218
	s_nop 0
	v_subbrev_co_u32_e32 v16, vcc, 0, v8, vcc
	v_sub_u32_e32 v8, 0, v16
	v_ldexp_f32 v9, v10, v8
	v_add_f32_e32 v10, -1.0, v9
	v_add_f32_e32 v12, 1.0, v9
	v_ldexp_f32 v8, v11, v8
	v_add_f32_e32 v11, 1.0, v10
	v_add_f32_e32 v13, -1.0, v12
	v_sub_f32_e32 v11, v9, v11
	v_sub_f32_e32 v9, v9, v13
	v_add_f32_e32 v11, v8, v11
	v_add_f32_e32 v8, v8, v9
	;; [unrolled: 1-line block ×3, first 2 shown]
	v_rcp_f32_e32 v37, v17
	v_sub_f32_e32 v9, v12, v17
	v_add_f32_e32 v36, v8, v9
	v_add_f32_e32 v9, v10, v11
	v_mul_f32_e32 v39, v9, v37
	v_sub_f32_e32 v8, v10, v9
	v_mul_f32_e32 v10, v17, v39
	v_fma_f32 v12, v39, v17, -v10
	v_fmac_f32_e32 v12, v39, v36
	v_add_f32_e32 v38, v11, v8
	v_add_f32_e32 v8, v10, v12
	v_sub_f32_e32 v11, v9, v8
	v_pk_add_f32 v[14:15], v[8:9], v[10:11] neg_lo:[0,1] neg_hi:[0,1]
	v_mov_b32_e32 v13, v8
	v_pk_add_f32 v[8:9], v[14:15], v[12:13] neg_lo:[0,1] neg_hi:[0,1]
	v_cmp_neq_f32_e32 vcc, s16, v7
	v_add_f32_e32 v9, v38, v9
	v_add_f32_e32 v8, v8, v9
	;; [unrolled: 1-line block ×3, first 2 shown]
	v_mul_f32_e32 v38, v37, v9
	v_mul_f32_e32 v10, v17, v38
	v_fma_f32 v12, v38, v17, -v10
	v_fmac_f32_e32 v12, v38, v36
	v_sub_f32_e32 v11, v11, v9
	v_add_f32_e32 v17, v8, v11
	v_add_f32_e32 v8, v10, v12
	v_sub_f32_e32 v11, v9, v8
	v_pk_add_f32 v[14:15], v[8:9], v[10:11] neg_lo:[0,1] neg_hi:[0,1]
	v_mov_b32_e32 v13, v8
	v_pk_add_f32 v[8:9], v[14:15], v[12:13] neg_lo:[0,1] neg_hi:[0,1]
	v_cvt_f32_i32_e32 v10, v16
	v_add_f32_e32 v9, v17, v9
	v_add_f32_e32 v8, v8, v9
	;; [unrolled: 1-line block ×4, first 2 shown]
	v_sub_f32_e32 v9, v11, v39
	v_mul_f32_e32 v8, v37, v8
	v_sub_f32_e32 v9, v38, v9
	v_add_f32_e32 v8, v9, v8
	v_add_f32_e32 v12, v11, v8
	v_mul_f32_e32 v14, v12, v12
	v_mov_b32_e32 v9, 0x3ecc95a3
	v_sub_f32_e32 v11, v12, v11
	v_fmac_f32_e32 v9, 0x3e9b6dac, v14
	v_sub_f32_e32 v8, v8, v11
	v_fmaak_f32 v9, v14, v9, 0x3f2aaada
	v_ldexp_f32 v15, v8, 1
	v_mul_f32_e32 v11, v12, v14
	v_mov_b32_e32 v8, 0x3f317218
	v_pk_mul_f32 v[8:9], v[10:11], v[8:9]
	v_ldexp_f32 v13, v12, 1
	v_fma_f32 v11, v10, s3, -v8
	v_fmamk_f32 v12, v10, 0xb102e308, v11
	v_pk_add_f32 v[10:11], v[8:9], v[12:13]
	v_mov_b32_e32 v14, v8
	v_sub_f32_e32 v13, v11, v13
	v_sub_f32_e32 v13, v9, v13
	v_add_f32_e32 v15, v15, v13
	v_pk_add_f32 v[8:9], v[10:11], v[8:9] neg_lo:[0,1] neg_hi:[0,1]
	v_pk_add_f32 v[16:17], v[10:11], v[14:15]
	v_mov_b32_e32 v13, v10
	v_mov_b32_e32 v9, v17
	v_pk_add_f32 v[36:37], v[12:13], v[8:9] neg_lo:[0,1] neg_hi:[0,1]
	v_pk_add_f32 v[8:9], v[12:13], v[8:9]
	v_mov_b32_e32 v14, v15
	v_pk_add_f32 v[12:13], v[8:9], v[10:11] op_sel:[1,0] op_sel_hi:[0,1] neg_lo:[0,1] neg_hi:[0,1]
	v_pk_add_f32 v[38:39], v[16:17], v[12:13] op_sel_hi:[1,0] neg_lo:[0,1] neg_hi:[0,1]
	v_mov_b32_e32 v16, v17
	v_mov_b32_e32 v17, v9
	v_pk_mov_b32 v[12:13], v[10:11], v[12:13] op_sel:[1,0]
	v_mov_b32_e32 v15, v10
	v_pk_add_f32 v[12:13], v[16:17], v[12:13] neg_lo:[0,1] neg_hi:[0,1]
	v_mov_b32_e32 v38, v36
	v_pk_add_f32 v[10:11], v[14:15], v[12:13] neg_lo:[0,1] neg_hi:[0,1]
	v_mov_b32_e32 v37, v9
	v_pk_add_f32 v[12:13], v[38:39], v[10:11]
	s_mov_b32 s3, 0x33800000
	v_pk_add_f32 v[14:15], v[12:13], v[12:13] op_sel:[0,1] op_sel_hi:[1,0]
	s_nop 0
	v_pk_add_f32 v[8:9], v[8:9], v[14:15] op_sel:[1,0] op_sel_hi:[0,1]
	v_mov_b32_e32 v13, v8
	v_pk_add_f32 v[16:17], v[12:13], v[36:37] neg_lo:[0,1] neg_hi:[0,1]
	v_mov_b32_e32 v11, v14
	v_sub_f32_e32 v9, v12, v16
	v_pk_add_f32 v[10:11], v[10:11], v[16:17] neg_lo:[0,1] neg_hi:[0,1]
	v_sub_f32_e32 v9, v36, v9
	v_add_f32_e32 v9, v10, v9
	v_add_f32_e32 v9, v9, v11
	;; [unrolled: 1-line block ×3, first 2 shown]
	v_cndmask_b32_e32 v8, v35, v8, vcc
	v_cmp_lt_f32_e64 vcc, |v7|, s3
	s_nop 1
	v_cndmask_b32_e32 v7, v8, v7, vcc
	v_add_f32_e32 v43, v6, v7
.LBB88_45:
	s_or_b64 exec, exec, s[14:15]
	v_max_f32_e32 v6, v43, v43
	v_max_f32_e32 v35, v29, v29
	v_min_f32_e32 v7, v6, v35
	v_cmp_u_f32_e32 vcc, v43, v43
	v_max_f32_e32 v6, v6, v35
	v_cmp_u_f32_e64 s[14:15], v29, v29
	v_cndmask_b32_e32 v7, v7, v43, vcc
	v_cndmask_b32_e32 v6, v6, v43, vcc
	v_cndmask_b32_e64 v7, v7, v29, s[14:15]
	v_cndmask_b32_e64 v6, v6, v29, s[14:15]
	s_movk_i32 s3, 0x1f8
	v_cmp_neq_f32_e32 vcc, v7, v6
	v_cmp_class_f32_e64 s[16:17], v7, s3
	s_or_b64 s[18:19], vcc, s[16:17]
	s_and_saveexec_b64 s[16:17], s[18:19]
	s_cbranch_execz .LBB88_47
; %bb.46:
	v_sub_f32_e32 v7, v7, v6
	s_mov_b32 s18, 0x3fb8aa3b
	v_mul_f32_e32 v8, 0x3fb8aa3b, v7
	v_fma_f32 v9, v7, s18, -v8
	v_rndne_f32_e32 v10, v8
	v_fmamk_f32 v9, v7, 0x32a5705f, v9
	v_sub_f32_e32 v8, v8, v10
	v_add_f32_e32 v8, v8, v9
	v_exp_f32_e32 v8, v8
	v_cvt_i32_f32_e32 v9, v10
	s_mov_b32 s18, 0xc2ce8ed0
	v_cmp_ngt_f32_e32 vcc, s18, v7
	s_mov_b32 s18, 0x42b17218
	v_ldexp_f32 v8, v8, v9
	v_cndmask_b32_e32 v8, 0, v8, vcc
	v_mov_b32_e32 v40, 0x7f800000
	v_cmp_nlt_f32_e32 vcc, s18, v7
	s_mov_b32 s18, 0x3f2aaaab
	s_mov_b32 s19, 0x7f800000
	v_cndmask_b32_e32 v7, v40, v8, vcc
	v_add_f32_e32 v10, 1.0, v7
	v_add_f32_e32 v8, -1.0, v10
	v_sub_f32_e32 v9, v8, v10
	v_add_f32_e32 v9, 1.0, v9
	v_sub_f32_e32 v8, v7, v8
	v_add_f32_e32 v11, v8, v9
	v_frexp_mant_f32_e32 v12, v10
	v_cvt_f64_f32_e32 v[8:9], v10
	v_frexp_exp_i32_f64_e32 v8, v[8:9]
	v_cmp_gt_f32_e32 vcc, s18, v12
	s_mov_b32 s18, 0x3f317218
	s_nop 0
	v_subbrev_co_u32_e32 v16, vcc, 0, v8, vcc
	v_sub_u32_e32 v8, 0, v16
	v_ldexp_f32 v9, v10, v8
	v_add_f32_e32 v10, -1.0, v9
	v_add_f32_e32 v12, 1.0, v9
	v_ldexp_f32 v8, v11, v8
	v_add_f32_e32 v11, 1.0, v10
	v_add_f32_e32 v13, -1.0, v12
	v_sub_f32_e32 v11, v9, v11
	v_sub_f32_e32 v9, v9, v13
	v_add_f32_e32 v11, v8, v11
	v_add_f32_e32 v8, v8, v9
	;; [unrolled: 1-line block ×3, first 2 shown]
	v_rcp_f32_e32 v37, v17
	v_sub_f32_e32 v9, v12, v17
	v_add_f32_e32 v36, v8, v9
	v_add_f32_e32 v9, v10, v11
	v_mul_f32_e32 v39, v9, v37
	v_sub_f32_e32 v8, v10, v9
	v_mul_f32_e32 v10, v17, v39
	v_fma_f32 v12, v39, v17, -v10
	v_fmac_f32_e32 v12, v39, v36
	v_add_f32_e32 v38, v11, v8
	v_add_f32_e32 v8, v10, v12
	v_sub_f32_e32 v11, v9, v8
	v_pk_add_f32 v[14:15], v[8:9], v[10:11] neg_lo:[0,1] neg_hi:[0,1]
	v_mov_b32_e32 v13, v8
	v_pk_add_f32 v[8:9], v[14:15], v[12:13] neg_lo:[0,1] neg_hi:[0,1]
	v_cmp_neq_f32_e32 vcc, s19, v7
	v_add_f32_e32 v9, v38, v9
	v_add_f32_e32 v8, v8, v9
	;; [unrolled: 1-line block ×3, first 2 shown]
	v_mul_f32_e32 v38, v37, v9
	v_mul_f32_e32 v10, v17, v38
	v_fma_f32 v12, v38, v17, -v10
	v_fmac_f32_e32 v12, v38, v36
	v_sub_f32_e32 v11, v11, v9
	v_add_f32_e32 v17, v8, v11
	v_add_f32_e32 v8, v10, v12
	v_sub_f32_e32 v11, v9, v8
	v_pk_add_f32 v[14:15], v[8:9], v[10:11] neg_lo:[0,1] neg_hi:[0,1]
	v_mov_b32_e32 v13, v8
	v_pk_add_f32 v[8:9], v[14:15], v[12:13] neg_lo:[0,1] neg_hi:[0,1]
	v_cvt_f32_i32_e32 v10, v16
	v_add_f32_e32 v9, v17, v9
	v_add_f32_e32 v8, v8, v9
	;; [unrolled: 1-line block ×4, first 2 shown]
	v_sub_f32_e32 v9, v11, v39
	v_mul_f32_e32 v8, v37, v8
	v_sub_f32_e32 v9, v38, v9
	v_add_f32_e32 v8, v9, v8
	v_add_f32_e32 v12, v11, v8
	v_mul_f32_e32 v14, v12, v12
	v_mov_b32_e32 v9, 0x3ecc95a3
	v_sub_f32_e32 v11, v12, v11
	v_fmac_f32_e32 v9, 0x3e9b6dac, v14
	v_sub_f32_e32 v8, v8, v11
	v_fmaak_f32 v9, v14, v9, 0x3f2aaada
	v_ldexp_f32 v15, v8, 1
	v_mul_f32_e32 v11, v12, v14
	v_mov_b32_e32 v8, 0x3f317218
	v_pk_mul_f32 v[8:9], v[10:11], v[8:9]
	v_ldexp_f32 v13, v12, 1
	v_fma_f32 v11, v10, s18, -v8
	v_fmamk_f32 v12, v10, 0xb102e308, v11
	v_pk_add_f32 v[10:11], v[8:9], v[12:13]
	v_mov_b32_e32 v14, v8
	v_sub_f32_e32 v13, v11, v13
	v_sub_f32_e32 v13, v9, v13
	v_add_f32_e32 v15, v15, v13
	v_pk_add_f32 v[8:9], v[10:11], v[8:9] neg_lo:[0,1] neg_hi:[0,1]
	v_pk_add_f32 v[16:17], v[10:11], v[14:15]
	v_mov_b32_e32 v13, v10
	v_mov_b32_e32 v9, v17
	v_pk_add_f32 v[36:37], v[12:13], v[8:9] neg_lo:[0,1] neg_hi:[0,1]
	v_pk_add_f32 v[8:9], v[12:13], v[8:9]
	v_mov_b32_e32 v14, v15
	v_pk_add_f32 v[12:13], v[8:9], v[10:11] op_sel:[1,0] op_sel_hi:[0,1] neg_lo:[0,1] neg_hi:[0,1]
	v_pk_add_f32 v[38:39], v[16:17], v[12:13] op_sel_hi:[1,0] neg_lo:[0,1] neg_hi:[0,1]
	v_mov_b32_e32 v16, v17
	v_mov_b32_e32 v17, v9
	v_pk_mov_b32 v[12:13], v[10:11], v[12:13] op_sel:[1,0]
	v_mov_b32_e32 v15, v10
	v_pk_add_f32 v[12:13], v[16:17], v[12:13] neg_lo:[0,1] neg_hi:[0,1]
	v_mov_b32_e32 v38, v36
	v_pk_add_f32 v[10:11], v[14:15], v[12:13] neg_lo:[0,1] neg_hi:[0,1]
	v_mov_b32_e32 v37, v9
	v_pk_add_f32 v[12:13], v[38:39], v[10:11]
	s_mov_b32 s18, 0x33800000
	v_pk_add_f32 v[14:15], v[12:13], v[12:13] op_sel:[0,1] op_sel_hi:[1,0]
	s_nop 0
	v_pk_add_f32 v[8:9], v[8:9], v[14:15] op_sel:[1,0] op_sel_hi:[0,1]
	v_mov_b32_e32 v13, v8
	v_pk_add_f32 v[16:17], v[12:13], v[36:37] neg_lo:[0,1] neg_hi:[0,1]
	v_mov_b32_e32 v11, v14
	v_sub_f32_e32 v9, v12, v16
	v_pk_add_f32 v[10:11], v[10:11], v[16:17] neg_lo:[0,1] neg_hi:[0,1]
	v_sub_f32_e32 v9, v36, v9
	v_add_f32_e32 v9, v10, v9
	v_add_f32_e32 v9, v9, v11
	;; [unrolled: 1-line block ×3, first 2 shown]
	v_cndmask_b32_e32 v8, v40, v8, vcc
	v_cmp_lt_f32_e64 vcc, |v7|, s18
	s_nop 1
	v_cndmask_b32_e32 v7, v8, v7, vcc
	v_add_f32_e32 v43, v6, v7
.LBB88_47:
	s_or_b64 exec, exec, s[16:17]
	v_max_f32_e32 v6, v43, v43
	v_max_f32_e32 v36, v22, v22
	v_min_f32_e32 v7, v6, v36
	v_cmp_u_f32_e32 vcc, v43, v43
	v_max_f32_e32 v6, v6, v36
	v_cmp_u_f32_e64 s[16:17], v22, v22
	v_cndmask_b32_e32 v7, v7, v43, vcc
	v_cndmask_b32_e32 v6, v6, v43, vcc
	v_cndmask_b32_e64 v7, v7, v22, s[16:17]
	v_cndmask_b32_e64 v6, v6, v22, s[16:17]
	v_cmp_neq_f32_e32 vcc, v7, v6
	v_cmp_class_f32_e64 s[18:19], v7, s3
	s_or_b64 s[20:21], vcc, s[18:19]
	s_and_saveexec_b64 s[18:19], s[20:21]
	s_cbranch_execz .LBB88_49
; %bb.48:
	v_sub_f32_e32 v7, v7, v6
	s_mov_b32 s3, 0x3fb8aa3b
	v_mul_f32_e32 v8, 0x3fb8aa3b, v7
	v_fma_f32 v9, v7, s3, -v8
	v_rndne_f32_e32 v10, v8
	v_fmamk_f32 v9, v7, 0x32a5705f, v9
	v_sub_f32_e32 v8, v8, v10
	v_add_f32_e32 v8, v8, v9
	v_exp_f32_e32 v8, v8
	v_cvt_i32_f32_e32 v9, v10
	s_mov_b32 s3, 0xc2ce8ed0
	v_cmp_ngt_f32_e32 vcc, s3, v7
	s_mov_b32 s3, 0x42b17218
	v_ldexp_f32 v8, v8, v9
	v_cndmask_b32_e32 v8, 0, v8, vcc
	v_mov_b32_e32 v37, 0x7f800000
	v_cmp_nlt_f32_e32 vcc, s3, v7
	s_mov_b32 s3, 0x3f2aaaab
	s_mov_b32 s20, 0x7f800000
	v_cndmask_b32_e32 v7, v37, v8, vcc
	v_add_f32_e32 v10, 1.0, v7
	v_add_f32_e32 v8, -1.0, v10
	v_sub_f32_e32 v9, v8, v10
	v_add_f32_e32 v9, 1.0, v9
	v_sub_f32_e32 v8, v7, v8
	v_add_f32_e32 v11, v8, v9
	v_frexp_mant_f32_e32 v12, v10
	v_cvt_f64_f32_e32 v[8:9], v10
	v_frexp_exp_i32_f64_e32 v8, v[8:9]
	v_cmp_gt_f32_e32 vcc, s3, v12
	s_mov_b32 s3, 0x3f317218
	s_nop 0
	v_subbrev_co_u32_e32 v16, vcc, 0, v8, vcc
	v_sub_u32_e32 v8, 0, v16
	v_ldexp_f32 v9, v10, v8
	v_add_f32_e32 v10, -1.0, v9
	v_add_f32_e32 v12, 1.0, v9
	v_ldexp_f32 v8, v11, v8
	v_add_f32_e32 v11, 1.0, v10
	v_add_f32_e32 v13, -1.0, v12
	v_sub_f32_e32 v11, v9, v11
	v_sub_f32_e32 v9, v9, v13
	v_add_f32_e32 v11, v8, v11
	v_add_f32_e32 v8, v8, v9
	;; [unrolled: 1-line block ×3, first 2 shown]
	v_rcp_f32_e32 v39, v17
	v_sub_f32_e32 v9, v12, v17
	v_add_f32_e32 v38, v8, v9
	v_add_f32_e32 v9, v10, v11
	v_mul_f32_e32 v41, v9, v39
	v_sub_f32_e32 v8, v10, v9
	v_mul_f32_e32 v10, v17, v41
	v_fma_f32 v12, v41, v17, -v10
	v_fmac_f32_e32 v12, v41, v38
	v_add_f32_e32 v40, v11, v8
	v_add_f32_e32 v8, v10, v12
	v_sub_f32_e32 v11, v9, v8
	v_pk_add_f32 v[14:15], v[8:9], v[10:11] neg_lo:[0,1] neg_hi:[0,1]
	v_mov_b32_e32 v13, v8
	v_pk_add_f32 v[8:9], v[14:15], v[12:13] neg_lo:[0,1] neg_hi:[0,1]
	v_cmp_neq_f32_e32 vcc, s20, v7
	v_add_f32_e32 v9, v40, v9
	v_add_f32_e32 v8, v8, v9
	v_add_f32_e32 v9, v11, v8
	v_mul_f32_e32 v40, v39, v9
	v_mul_f32_e32 v10, v17, v40
	v_fma_f32 v12, v40, v17, -v10
	v_fmac_f32_e32 v12, v40, v38
	v_sub_f32_e32 v11, v11, v9
	v_add_f32_e32 v17, v8, v11
	v_add_f32_e32 v8, v10, v12
	v_sub_f32_e32 v11, v9, v8
	v_pk_add_f32 v[14:15], v[8:9], v[10:11] neg_lo:[0,1] neg_hi:[0,1]
	v_mov_b32_e32 v13, v8
	v_pk_add_f32 v[8:9], v[14:15], v[12:13] neg_lo:[0,1] neg_hi:[0,1]
	v_cvt_f32_i32_e32 v10, v16
	v_add_f32_e32 v9, v17, v9
	v_add_f32_e32 v8, v8, v9
	;; [unrolled: 1-line block ×4, first 2 shown]
	v_sub_f32_e32 v9, v11, v41
	v_mul_f32_e32 v8, v39, v8
	v_sub_f32_e32 v9, v40, v9
	v_add_f32_e32 v8, v9, v8
	v_add_f32_e32 v12, v11, v8
	v_mul_f32_e32 v14, v12, v12
	v_mov_b32_e32 v9, 0x3ecc95a3
	v_sub_f32_e32 v11, v12, v11
	v_fmac_f32_e32 v9, 0x3e9b6dac, v14
	v_sub_f32_e32 v8, v8, v11
	v_fmaak_f32 v9, v14, v9, 0x3f2aaada
	v_ldexp_f32 v15, v8, 1
	v_mul_f32_e32 v11, v12, v14
	v_mov_b32_e32 v8, 0x3f317218
	v_pk_mul_f32 v[8:9], v[10:11], v[8:9]
	v_ldexp_f32 v13, v12, 1
	v_fma_f32 v11, v10, s3, -v8
	v_fmamk_f32 v12, v10, 0xb102e308, v11
	v_pk_add_f32 v[10:11], v[8:9], v[12:13]
	v_mov_b32_e32 v14, v8
	v_sub_f32_e32 v13, v11, v13
	v_sub_f32_e32 v13, v9, v13
	v_add_f32_e32 v15, v15, v13
	v_pk_add_f32 v[8:9], v[10:11], v[8:9] neg_lo:[0,1] neg_hi:[0,1]
	v_pk_add_f32 v[16:17], v[10:11], v[14:15]
	v_mov_b32_e32 v13, v10
	v_mov_b32_e32 v9, v17
	v_pk_add_f32 v[38:39], v[12:13], v[8:9] neg_lo:[0,1] neg_hi:[0,1]
	v_pk_add_f32 v[8:9], v[12:13], v[8:9]
	v_mov_b32_e32 v14, v15
	v_pk_add_f32 v[12:13], v[8:9], v[10:11] op_sel:[1,0] op_sel_hi:[0,1] neg_lo:[0,1] neg_hi:[0,1]
	v_pk_add_f32 v[40:41], v[16:17], v[12:13] op_sel_hi:[1,0] neg_lo:[0,1] neg_hi:[0,1]
	v_mov_b32_e32 v16, v17
	v_mov_b32_e32 v17, v9
	v_pk_mov_b32 v[12:13], v[10:11], v[12:13] op_sel:[1,0]
	v_mov_b32_e32 v15, v10
	v_pk_add_f32 v[12:13], v[16:17], v[12:13] neg_lo:[0,1] neg_hi:[0,1]
	v_mov_b32_e32 v40, v38
	v_pk_add_f32 v[10:11], v[14:15], v[12:13] neg_lo:[0,1] neg_hi:[0,1]
	v_mov_b32_e32 v39, v9
	v_pk_add_f32 v[12:13], v[40:41], v[10:11]
	s_mov_b32 s3, 0x33800000
	v_pk_add_f32 v[14:15], v[12:13], v[12:13] op_sel:[0,1] op_sel_hi:[1,0]
	s_nop 0
	v_pk_add_f32 v[8:9], v[8:9], v[14:15] op_sel:[1,0] op_sel_hi:[0,1]
	v_mov_b32_e32 v13, v8
	v_pk_add_f32 v[16:17], v[12:13], v[38:39] neg_lo:[0,1] neg_hi:[0,1]
	v_mov_b32_e32 v11, v14
	v_sub_f32_e32 v9, v12, v16
	v_pk_add_f32 v[10:11], v[10:11], v[16:17] neg_lo:[0,1] neg_hi:[0,1]
	v_sub_f32_e32 v9, v38, v9
	v_add_f32_e32 v9, v10, v9
	v_add_f32_e32 v9, v9, v11
	v_add_f32_e32 v8, v8, v9
	v_cndmask_b32_e32 v8, v37, v8, vcc
	v_cmp_lt_f32_e64 vcc, |v7|, s3
	s_nop 1
	v_cndmask_b32_e32 v7, v8, v7, vcc
	v_add_f32_e32 v43, v6, v7
.LBB88_49:
	s_or_b64 exec, exec, s[18:19]
	v_max_f32_e32 v6, v43, v43
	v_max_f32_e32 v37, v23, v23
	v_min_f32_e32 v7, v6, v37
	v_cmp_u_f32_e32 vcc, v43, v43
	v_max_f32_e32 v6, v6, v37
	v_cmp_u_f32_e64 s[18:19], v23, v23
	v_cndmask_b32_e32 v7, v7, v43, vcc
	v_cndmask_b32_e32 v6, v6, v43, vcc
	v_cndmask_b32_e64 v7, v7, v23, s[18:19]
	v_cndmask_b32_e64 v6, v6, v23, s[18:19]
	s_movk_i32 s3, 0x1f8
	v_cmp_neq_f32_e32 vcc, v7, v6
	v_cmp_class_f32_e64 s[20:21], v7, s3
	s_or_b64 s[22:23], vcc, s[20:21]
	s_and_saveexec_b64 s[20:21], s[22:23]
	s_cbranch_execz .LBB88_51
; %bb.50:
	v_sub_f32_e32 v7, v7, v6
	s_mov_b32 s22, 0x3fb8aa3b
	v_mul_f32_e32 v8, 0x3fb8aa3b, v7
	v_fma_f32 v9, v7, s22, -v8
	v_rndne_f32_e32 v10, v8
	v_fmamk_f32 v9, v7, 0x32a5705f, v9
	v_sub_f32_e32 v8, v8, v10
	v_add_f32_e32 v8, v8, v9
	v_exp_f32_e32 v8, v8
	v_cvt_i32_f32_e32 v9, v10
	s_mov_b32 s22, 0xc2ce8ed0
	v_cmp_ngt_f32_e32 vcc, s22, v7
	s_mov_b32 s22, 0x42b17218
	v_ldexp_f32 v8, v8, v9
	v_cndmask_b32_e32 v8, 0, v8, vcc
	v_mov_b32_e32 v43, 0x7f800000
	v_cmp_nlt_f32_e32 vcc, s22, v7
	s_mov_b32 s22, 0x3f2aaaab
	s_mov_b32 s23, 0x7f800000
	v_cndmask_b32_e32 v7, v43, v8, vcc
	v_add_f32_e32 v10, 1.0, v7
	v_add_f32_e32 v8, -1.0, v10
	v_sub_f32_e32 v9, v8, v10
	v_add_f32_e32 v9, 1.0, v9
	v_sub_f32_e32 v8, v7, v8
	v_add_f32_e32 v11, v8, v9
	v_frexp_mant_f32_e32 v12, v10
	v_cvt_f64_f32_e32 v[8:9], v10
	v_frexp_exp_i32_f64_e32 v8, v[8:9]
	v_cmp_gt_f32_e32 vcc, s22, v12
	s_mov_b32 s22, 0x3f317218
	s_nop 0
	v_subbrev_co_u32_e32 v16, vcc, 0, v8, vcc
	v_sub_u32_e32 v8, 0, v16
	v_ldexp_f32 v9, v10, v8
	v_add_f32_e32 v10, -1.0, v9
	v_add_f32_e32 v12, 1.0, v9
	v_ldexp_f32 v8, v11, v8
	v_add_f32_e32 v11, 1.0, v10
	v_add_f32_e32 v13, -1.0, v12
	v_sub_f32_e32 v11, v9, v11
	v_sub_f32_e32 v9, v9, v13
	v_add_f32_e32 v11, v8, v11
	v_add_f32_e32 v8, v8, v9
	;; [unrolled: 1-line block ×3, first 2 shown]
	v_rcp_f32_e32 v39, v17
	v_sub_f32_e32 v9, v12, v17
	v_add_f32_e32 v38, v8, v9
	v_add_f32_e32 v9, v10, v11
	v_mul_f32_e32 v41, v9, v39
	v_sub_f32_e32 v8, v10, v9
	v_mul_f32_e32 v10, v17, v41
	v_fma_f32 v12, v41, v17, -v10
	v_fmac_f32_e32 v12, v41, v38
	v_add_f32_e32 v40, v11, v8
	v_add_f32_e32 v8, v10, v12
	v_sub_f32_e32 v11, v9, v8
	v_pk_add_f32 v[14:15], v[8:9], v[10:11] neg_lo:[0,1] neg_hi:[0,1]
	v_mov_b32_e32 v13, v8
	v_pk_add_f32 v[8:9], v[14:15], v[12:13] neg_lo:[0,1] neg_hi:[0,1]
	v_cmp_neq_f32_e32 vcc, s23, v7
	v_add_f32_e32 v9, v40, v9
	v_add_f32_e32 v8, v8, v9
	;; [unrolled: 1-line block ×3, first 2 shown]
	v_mul_f32_e32 v40, v39, v9
	v_mul_f32_e32 v10, v17, v40
	v_fma_f32 v12, v40, v17, -v10
	v_fmac_f32_e32 v12, v40, v38
	v_sub_f32_e32 v11, v11, v9
	v_add_f32_e32 v17, v8, v11
	v_add_f32_e32 v8, v10, v12
	v_sub_f32_e32 v11, v9, v8
	v_pk_add_f32 v[14:15], v[8:9], v[10:11] neg_lo:[0,1] neg_hi:[0,1]
	v_mov_b32_e32 v13, v8
	v_pk_add_f32 v[8:9], v[14:15], v[12:13] neg_lo:[0,1] neg_hi:[0,1]
	v_cvt_f32_i32_e32 v10, v16
	v_add_f32_e32 v9, v17, v9
	v_add_f32_e32 v8, v8, v9
	;; [unrolled: 1-line block ×4, first 2 shown]
	v_sub_f32_e32 v9, v11, v41
	v_mul_f32_e32 v8, v39, v8
	v_sub_f32_e32 v9, v40, v9
	v_add_f32_e32 v8, v9, v8
	v_add_f32_e32 v12, v11, v8
	v_mul_f32_e32 v14, v12, v12
	v_mov_b32_e32 v9, 0x3ecc95a3
	v_sub_f32_e32 v11, v12, v11
	v_fmac_f32_e32 v9, 0x3e9b6dac, v14
	v_sub_f32_e32 v8, v8, v11
	v_fmaak_f32 v9, v14, v9, 0x3f2aaada
	v_ldexp_f32 v15, v8, 1
	v_mul_f32_e32 v11, v12, v14
	v_mov_b32_e32 v8, 0x3f317218
	v_pk_mul_f32 v[8:9], v[10:11], v[8:9]
	v_ldexp_f32 v13, v12, 1
	v_fma_f32 v11, v10, s22, -v8
	v_fmamk_f32 v12, v10, 0xb102e308, v11
	v_pk_add_f32 v[10:11], v[8:9], v[12:13]
	v_mov_b32_e32 v14, v8
	v_sub_f32_e32 v13, v11, v13
	v_sub_f32_e32 v13, v9, v13
	v_add_f32_e32 v15, v15, v13
	v_pk_add_f32 v[8:9], v[10:11], v[8:9] neg_lo:[0,1] neg_hi:[0,1]
	v_pk_add_f32 v[16:17], v[10:11], v[14:15]
	v_mov_b32_e32 v13, v10
	v_mov_b32_e32 v9, v17
	v_pk_add_f32 v[38:39], v[12:13], v[8:9] neg_lo:[0,1] neg_hi:[0,1]
	v_pk_add_f32 v[8:9], v[12:13], v[8:9]
	v_mov_b32_e32 v14, v15
	v_pk_add_f32 v[12:13], v[8:9], v[10:11] op_sel:[1,0] op_sel_hi:[0,1] neg_lo:[0,1] neg_hi:[0,1]
	v_pk_add_f32 v[40:41], v[16:17], v[12:13] op_sel_hi:[1,0] neg_lo:[0,1] neg_hi:[0,1]
	v_mov_b32_e32 v16, v17
	v_mov_b32_e32 v17, v9
	v_pk_mov_b32 v[12:13], v[10:11], v[12:13] op_sel:[1,0]
	v_mov_b32_e32 v15, v10
	v_pk_add_f32 v[12:13], v[16:17], v[12:13] neg_lo:[0,1] neg_hi:[0,1]
	v_mov_b32_e32 v40, v38
	v_pk_add_f32 v[10:11], v[14:15], v[12:13] neg_lo:[0,1] neg_hi:[0,1]
	v_mov_b32_e32 v39, v9
	v_pk_add_f32 v[12:13], v[40:41], v[10:11]
	s_mov_b32 s22, 0x33800000
	v_pk_add_f32 v[14:15], v[12:13], v[12:13] op_sel:[0,1] op_sel_hi:[1,0]
	s_nop 0
	v_pk_add_f32 v[8:9], v[8:9], v[14:15] op_sel:[1,0] op_sel_hi:[0,1]
	v_mov_b32_e32 v13, v8
	v_pk_add_f32 v[16:17], v[12:13], v[38:39] neg_lo:[0,1] neg_hi:[0,1]
	v_mov_b32_e32 v11, v14
	v_sub_f32_e32 v9, v12, v16
	v_pk_add_f32 v[10:11], v[10:11], v[16:17] neg_lo:[0,1] neg_hi:[0,1]
	v_sub_f32_e32 v9, v38, v9
	v_add_f32_e32 v9, v10, v9
	v_add_f32_e32 v9, v9, v11
	;; [unrolled: 1-line block ×3, first 2 shown]
	v_cndmask_b32_e32 v8, v43, v8, vcc
	v_cmp_lt_f32_e64 vcc, |v7|, s22
	s_nop 1
	v_cndmask_b32_e32 v7, v8, v7, vcc
	v_add_f32_e32 v43, v6, v7
.LBB88_51:
	s_or_b64 exec, exec, s[20:21]
	v_max_f32_e32 v6, v43, v43
	v_max_f32_e32 v38, v24, v24
	v_min_f32_e32 v7, v6, v38
	v_cmp_u_f32_e32 vcc, v43, v43
	v_max_f32_e32 v6, v6, v38
	v_cmp_u_f32_e64 s[20:21], v24, v24
	v_cndmask_b32_e32 v7, v7, v43, vcc
	v_cndmask_b32_e32 v6, v6, v43, vcc
	v_cndmask_b32_e64 v7, v7, v24, s[20:21]
	v_cndmask_b32_e64 v6, v6, v24, s[20:21]
	v_cmp_neq_f32_e32 vcc, v7, v6
	v_cmp_class_f32_e64 s[22:23], v7, s3
	s_or_b64 s[24:25], vcc, s[22:23]
	s_and_saveexec_b64 s[22:23], s[24:25]
	s_cbranch_execz .LBB88_53
; %bb.52:
	v_sub_f32_e32 v7, v7, v6
	s_mov_b32 s3, 0x3fb8aa3b
	v_mul_f32_e32 v8, 0x3fb8aa3b, v7
	v_fma_f32 v9, v7, s3, -v8
	v_rndne_f32_e32 v10, v8
	v_fmamk_f32 v9, v7, 0x32a5705f, v9
	v_sub_f32_e32 v8, v8, v10
	v_add_f32_e32 v8, v8, v9
	v_exp_f32_e32 v8, v8
	v_cvt_i32_f32_e32 v9, v10
	s_mov_b32 s3, 0xc2ce8ed0
	v_cmp_ngt_f32_e32 vcc, s3, v7
	s_mov_b32 s3, 0x42b17218
	v_ldexp_f32 v8, v8, v9
	v_cndmask_b32_e32 v8, 0, v8, vcc
	v_mov_b32_e32 v39, 0x7f800000
	v_cmp_nlt_f32_e32 vcc, s3, v7
	s_mov_b32 s3, 0x3f2aaaab
	s_mov_b32 s24, 0x7f800000
	v_cndmask_b32_e32 v7, v39, v8, vcc
	v_add_f32_e32 v10, 1.0, v7
	v_add_f32_e32 v8, -1.0, v10
	v_sub_f32_e32 v9, v8, v10
	v_add_f32_e32 v9, 1.0, v9
	v_sub_f32_e32 v8, v7, v8
	v_add_f32_e32 v11, v8, v9
	v_frexp_mant_f32_e32 v12, v10
	v_cvt_f64_f32_e32 v[8:9], v10
	v_frexp_exp_i32_f64_e32 v8, v[8:9]
	v_cmp_gt_f32_e32 vcc, s3, v12
	s_mov_b32 s3, 0x3f317218
	s_nop 0
	v_subbrev_co_u32_e32 v16, vcc, 0, v8, vcc
	v_sub_u32_e32 v8, 0, v16
	v_ldexp_f32 v9, v10, v8
	v_add_f32_e32 v10, -1.0, v9
	v_add_f32_e32 v12, 1.0, v9
	v_ldexp_f32 v8, v11, v8
	v_add_f32_e32 v11, 1.0, v10
	v_add_f32_e32 v13, -1.0, v12
	v_sub_f32_e32 v11, v9, v11
	v_sub_f32_e32 v9, v9, v13
	v_add_f32_e32 v11, v8, v11
	v_add_f32_e32 v8, v8, v9
	;; [unrolled: 1-line block ×3, first 2 shown]
	v_rcp_f32_e32 v41, v17
	v_sub_f32_e32 v9, v12, v17
	v_add_f32_e32 v40, v8, v9
	v_add_f32_e32 v9, v10, v11
	v_mul_f32_e32 v44, v9, v41
	v_sub_f32_e32 v8, v10, v9
	v_mul_f32_e32 v10, v17, v44
	v_fma_f32 v12, v44, v17, -v10
	v_fmac_f32_e32 v12, v44, v40
	v_add_f32_e32 v43, v11, v8
	v_add_f32_e32 v8, v10, v12
	v_sub_f32_e32 v11, v9, v8
	v_pk_add_f32 v[14:15], v[8:9], v[10:11] neg_lo:[0,1] neg_hi:[0,1]
	v_mov_b32_e32 v13, v8
	v_pk_add_f32 v[8:9], v[14:15], v[12:13] neg_lo:[0,1] neg_hi:[0,1]
	v_cmp_neq_f32_e32 vcc, s24, v7
	v_add_f32_e32 v9, v43, v9
	v_add_f32_e32 v8, v8, v9
	v_add_f32_e32 v9, v11, v8
	v_mul_f32_e32 v43, v41, v9
	v_mul_f32_e32 v10, v17, v43
	v_fma_f32 v12, v43, v17, -v10
	v_fmac_f32_e32 v12, v43, v40
	v_sub_f32_e32 v11, v11, v9
	v_add_f32_e32 v17, v8, v11
	v_add_f32_e32 v8, v10, v12
	v_sub_f32_e32 v11, v9, v8
	v_pk_add_f32 v[14:15], v[8:9], v[10:11] neg_lo:[0,1] neg_hi:[0,1]
	v_mov_b32_e32 v13, v8
	v_pk_add_f32 v[8:9], v[14:15], v[12:13] neg_lo:[0,1] neg_hi:[0,1]
	v_cvt_f32_i32_e32 v10, v16
	v_add_f32_e32 v9, v17, v9
	v_add_f32_e32 v8, v8, v9
	;; [unrolled: 1-line block ×4, first 2 shown]
	v_sub_f32_e32 v9, v11, v44
	v_mul_f32_e32 v8, v41, v8
	v_sub_f32_e32 v9, v43, v9
	v_add_f32_e32 v8, v9, v8
	v_add_f32_e32 v12, v11, v8
	v_mul_f32_e32 v14, v12, v12
	v_mov_b32_e32 v9, 0x3ecc95a3
	v_sub_f32_e32 v11, v12, v11
	v_fmac_f32_e32 v9, 0x3e9b6dac, v14
	v_sub_f32_e32 v8, v8, v11
	v_fmaak_f32 v9, v14, v9, 0x3f2aaada
	v_ldexp_f32 v15, v8, 1
	v_mul_f32_e32 v11, v12, v14
	v_mov_b32_e32 v8, 0x3f317218
	v_pk_mul_f32 v[8:9], v[10:11], v[8:9]
	v_ldexp_f32 v13, v12, 1
	v_fma_f32 v11, v10, s3, -v8
	v_fmamk_f32 v12, v10, 0xb102e308, v11
	v_pk_add_f32 v[10:11], v[8:9], v[12:13]
	v_mov_b32_e32 v14, v8
	v_sub_f32_e32 v13, v11, v13
	v_sub_f32_e32 v13, v9, v13
	v_add_f32_e32 v15, v15, v13
	v_pk_add_f32 v[8:9], v[10:11], v[8:9] neg_lo:[0,1] neg_hi:[0,1]
	v_pk_add_f32 v[16:17], v[10:11], v[14:15]
	v_mov_b32_e32 v13, v10
	v_mov_b32_e32 v9, v17
	v_pk_add_f32 v[40:41], v[12:13], v[8:9] neg_lo:[0,1] neg_hi:[0,1]
	v_pk_add_f32 v[8:9], v[12:13], v[8:9]
	v_mov_b32_e32 v14, v15
	v_pk_add_f32 v[12:13], v[8:9], v[10:11] op_sel:[1,0] op_sel_hi:[0,1] neg_lo:[0,1] neg_hi:[0,1]
	v_pk_add_f32 v[44:45], v[16:17], v[12:13] op_sel_hi:[1,0] neg_lo:[0,1] neg_hi:[0,1]
	v_mov_b32_e32 v16, v17
	v_mov_b32_e32 v17, v9
	v_pk_mov_b32 v[12:13], v[10:11], v[12:13] op_sel:[1,0]
	v_mov_b32_e32 v15, v10
	v_pk_add_f32 v[12:13], v[16:17], v[12:13] neg_lo:[0,1] neg_hi:[0,1]
	v_mov_b32_e32 v44, v40
	v_pk_add_f32 v[10:11], v[14:15], v[12:13] neg_lo:[0,1] neg_hi:[0,1]
	v_mov_b32_e32 v41, v9
	v_pk_add_f32 v[12:13], v[44:45], v[10:11]
	s_mov_b32 s3, 0x33800000
	v_pk_add_f32 v[14:15], v[12:13], v[12:13] op_sel:[0,1] op_sel_hi:[1,0]
	s_nop 0
	v_pk_add_f32 v[8:9], v[8:9], v[14:15] op_sel:[1,0] op_sel_hi:[0,1]
	v_mov_b32_e32 v13, v8
	v_pk_add_f32 v[16:17], v[12:13], v[40:41] neg_lo:[0,1] neg_hi:[0,1]
	v_mov_b32_e32 v11, v14
	v_sub_f32_e32 v9, v12, v16
	v_pk_add_f32 v[10:11], v[10:11], v[16:17] neg_lo:[0,1] neg_hi:[0,1]
	v_sub_f32_e32 v9, v40, v9
	v_add_f32_e32 v9, v10, v9
	v_add_f32_e32 v9, v9, v11
	;; [unrolled: 1-line block ×3, first 2 shown]
	v_cndmask_b32_e32 v8, v39, v8, vcc
	v_cmp_lt_f32_e64 vcc, |v7|, s3
	s_nop 1
	v_cndmask_b32_e32 v7, v8, v7, vcc
	v_add_f32_e32 v43, v6, v7
.LBB88_53:
	s_or_b64 exec, exec, s[22:23]
	v_max_f32_e32 v6, v43, v43
	v_max_f32_e32 v39, v25, v25
	v_min_f32_e32 v7, v6, v39
	v_cmp_u_f32_e32 vcc, v43, v43
	v_max_f32_e32 v6, v6, v39
	v_cmp_u_f32_e64 s[22:23], v25, v25
	v_cndmask_b32_e32 v7, v7, v43, vcc
	v_cndmask_b32_e32 v6, v6, v43, vcc
	v_cndmask_b32_e64 v7, v7, v25, s[22:23]
	v_cndmask_b32_e64 v6, v6, v25, s[22:23]
	s_movk_i32 s3, 0x1f8
	v_cmp_neq_f32_e32 vcc, v7, v6
	v_cmp_class_f32_e64 s[24:25], v7, s3
	s_or_b64 s[26:27], vcc, s[24:25]
	s_and_saveexec_b64 s[24:25], s[26:27]
	s_cbranch_execz .LBB88_55
; %bb.54:
	v_sub_f32_e32 v7, v7, v6
	s_mov_b32 s26, 0x3fb8aa3b
	v_mul_f32_e32 v8, 0x3fb8aa3b, v7
	v_fma_f32 v9, v7, s26, -v8
	v_rndne_f32_e32 v10, v8
	v_fmamk_f32 v9, v7, 0x32a5705f, v9
	v_sub_f32_e32 v8, v8, v10
	v_add_f32_e32 v8, v8, v9
	v_exp_f32_e32 v8, v8
	v_cvt_i32_f32_e32 v9, v10
	s_mov_b32 s26, 0xc2ce8ed0
	v_cmp_ngt_f32_e32 vcc, s26, v7
	s_mov_b32 s26, 0x42b17218
	v_ldexp_f32 v8, v8, v9
	v_cndmask_b32_e32 v8, 0, v8, vcc
	v_mov_b32_e32 v43, 0x7f800000
	v_cmp_nlt_f32_e32 vcc, s26, v7
	s_mov_b32 s26, 0x3f2aaaab
	s_mov_b32 s27, 0x7f800000
	v_cndmask_b32_e32 v7, v43, v8, vcc
	v_add_f32_e32 v10, 1.0, v7
	v_add_f32_e32 v8, -1.0, v10
	v_sub_f32_e32 v9, v8, v10
	v_add_f32_e32 v9, 1.0, v9
	v_sub_f32_e32 v8, v7, v8
	v_add_f32_e32 v11, v8, v9
	v_frexp_mant_f32_e32 v12, v10
	v_cvt_f64_f32_e32 v[8:9], v10
	v_frexp_exp_i32_f64_e32 v8, v[8:9]
	v_cmp_gt_f32_e32 vcc, s26, v12
	s_mov_b32 s26, 0x3f317218
	s_nop 0
	v_subbrev_co_u32_e32 v16, vcc, 0, v8, vcc
	v_sub_u32_e32 v8, 0, v16
	v_ldexp_f32 v9, v10, v8
	v_add_f32_e32 v10, -1.0, v9
	v_add_f32_e32 v12, 1.0, v9
	v_ldexp_f32 v8, v11, v8
	v_add_f32_e32 v11, 1.0, v10
	v_add_f32_e32 v13, -1.0, v12
	v_sub_f32_e32 v11, v9, v11
	v_sub_f32_e32 v9, v9, v13
	v_add_f32_e32 v11, v8, v11
	v_add_f32_e32 v8, v8, v9
	;; [unrolled: 1-line block ×3, first 2 shown]
	v_rcp_f32_e32 v41, v17
	v_sub_f32_e32 v9, v12, v17
	v_add_f32_e32 v40, v8, v9
	v_add_f32_e32 v9, v10, v11
	v_mul_f32_e32 v45, v9, v41
	v_sub_f32_e32 v8, v10, v9
	v_mul_f32_e32 v10, v17, v45
	v_fma_f32 v12, v45, v17, -v10
	v_fmac_f32_e32 v12, v45, v40
	v_add_f32_e32 v44, v11, v8
	v_add_f32_e32 v8, v10, v12
	v_sub_f32_e32 v11, v9, v8
	v_pk_add_f32 v[14:15], v[8:9], v[10:11] neg_lo:[0,1] neg_hi:[0,1]
	v_mov_b32_e32 v13, v8
	v_pk_add_f32 v[8:9], v[14:15], v[12:13] neg_lo:[0,1] neg_hi:[0,1]
	v_cmp_neq_f32_e32 vcc, s27, v7
	v_add_f32_e32 v9, v44, v9
	v_add_f32_e32 v8, v8, v9
	;; [unrolled: 1-line block ×3, first 2 shown]
	v_mul_f32_e32 v44, v41, v9
	v_mul_f32_e32 v10, v17, v44
	v_fma_f32 v12, v44, v17, -v10
	v_fmac_f32_e32 v12, v44, v40
	v_sub_f32_e32 v11, v11, v9
	v_add_f32_e32 v17, v8, v11
	v_add_f32_e32 v8, v10, v12
	v_sub_f32_e32 v11, v9, v8
	v_pk_add_f32 v[14:15], v[8:9], v[10:11] neg_lo:[0,1] neg_hi:[0,1]
	v_mov_b32_e32 v13, v8
	v_pk_add_f32 v[8:9], v[14:15], v[12:13] neg_lo:[0,1] neg_hi:[0,1]
	v_cvt_f32_i32_e32 v10, v16
	v_add_f32_e32 v9, v17, v9
	v_add_f32_e32 v8, v8, v9
	;; [unrolled: 1-line block ×4, first 2 shown]
	v_sub_f32_e32 v9, v11, v45
	v_mul_f32_e32 v8, v41, v8
	v_sub_f32_e32 v9, v44, v9
	v_add_f32_e32 v8, v9, v8
	v_add_f32_e32 v12, v11, v8
	v_mul_f32_e32 v14, v12, v12
	v_mov_b32_e32 v9, 0x3ecc95a3
	v_sub_f32_e32 v11, v12, v11
	v_fmac_f32_e32 v9, 0x3e9b6dac, v14
	v_sub_f32_e32 v8, v8, v11
	v_fmaak_f32 v9, v14, v9, 0x3f2aaada
	v_ldexp_f32 v15, v8, 1
	v_mul_f32_e32 v11, v12, v14
	v_mov_b32_e32 v8, 0x3f317218
	v_pk_mul_f32 v[8:9], v[10:11], v[8:9]
	v_ldexp_f32 v13, v12, 1
	v_fma_f32 v11, v10, s26, -v8
	v_fmamk_f32 v12, v10, 0xb102e308, v11
	v_pk_add_f32 v[10:11], v[8:9], v[12:13]
	v_mov_b32_e32 v14, v8
	v_sub_f32_e32 v13, v11, v13
	v_sub_f32_e32 v13, v9, v13
	v_add_f32_e32 v15, v15, v13
	v_pk_add_f32 v[8:9], v[10:11], v[8:9] neg_lo:[0,1] neg_hi:[0,1]
	v_pk_add_f32 v[16:17], v[10:11], v[14:15]
	v_mov_b32_e32 v13, v10
	v_mov_b32_e32 v9, v17
	v_pk_add_f32 v[40:41], v[12:13], v[8:9] neg_lo:[0,1] neg_hi:[0,1]
	v_pk_add_f32 v[8:9], v[12:13], v[8:9]
	v_mov_b32_e32 v14, v15
	v_pk_add_f32 v[12:13], v[8:9], v[10:11] op_sel:[1,0] op_sel_hi:[0,1] neg_lo:[0,1] neg_hi:[0,1]
	v_pk_add_f32 v[44:45], v[16:17], v[12:13] op_sel_hi:[1,0] neg_lo:[0,1] neg_hi:[0,1]
	v_mov_b32_e32 v16, v17
	v_mov_b32_e32 v17, v9
	v_pk_mov_b32 v[12:13], v[10:11], v[12:13] op_sel:[1,0]
	v_mov_b32_e32 v15, v10
	v_pk_add_f32 v[12:13], v[16:17], v[12:13] neg_lo:[0,1] neg_hi:[0,1]
	v_mov_b32_e32 v44, v40
	v_pk_add_f32 v[10:11], v[14:15], v[12:13] neg_lo:[0,1] neg_hi:[0,1]
	v_mov_b32_e32 v41, v9
	v_pk_add_f32 v[12:13], v[44:45], v[10:11]
	s_mov_b32 s26, 0x33800000
	v_pk_add_f32 v[14:15], v[12:13], v[12:13] op_sel:[0,1] op_sel_hi:[1,0]
	s_nop 0
	v_pk_add_f32 v[8:9], v[8:9], v[14:15] op_sel:[1,0] op_sel_hi:[0,1]
	v_mov_b32_e32 v13, v8
	v_pk_add_f32 v[16:17], v[12:13], v[40:41] neg_lo:[0,1] neg_hi:[0,1]
	v_mov_b32_e32 v11, v14
	v_sub_f32_e32 v9, v12, v16
	v_pk_add_f32 v[10:11], v[10:11], v[16:17] neg_lo:[0,1] neg_hi:[0,1]
	v_sub_f32_e32 v9, v40, v9
	v_add_f32_e32 v9, v10, v9
	v_add_f32_e32 v9, v9, v11
	;; [unrolled: 1-line block ×3, first 2 shown]
	v_cndmask_b32_e32 v8, v43, v8, vcc
	v_cmp_lt_f32_e64 vcc, |v7|, s26
	s_nop 1
	v_cndmask_b32_e32 v7, v8, v7, vcc
	v_add_f32_e32 v43, v6, v7
.LBB88_55:
	s_or_b64 exec, exec, s[24:25]
	v_max_f32_e32 v6, v43, v43
	v_max_f32_e32 v40, v32, v32
	v_min_f32_e32 v7, v6, v40
	v_cmp_u_f32_e32 vcc, v43, v43
	v_max_f32_e32 v6, v6, v40
	v_cmp_u_f32_e64 s[24:25], v32, v32
	v_cndmask_b32_e32 v7, v7, v43, vcc
	v_cndmask_b32_e32 v6, v6, v43, vcc
	v_cndmask_b32_e64 v7, v7, v32, s[24:25]
	v_cndmask_b32_e64 v6, v6, v32, s[24:25]
	v_cmp_neq_f32_e32 vcc, v7, v6
	v_cmp_class_f32_e64 s[26:27], v7, s3
	s_or_b64 s[30:31], vcc, s[26:27]
	s_and_saveexec_b64 s[26:27], s[30:31]
	s_cbranch_execz .LBB88_57
; %bb.56:
	v_sub_f32_e32 v7, v7, v6
	s_mov_b32 s3, 0x3fb8aa3b
	v_mul_f32_e32 v8, 0x3fb8aa3b, v7
	v_fma_f32 v9, v7, s3, -v8
	v_rndne_f32_e32 v10, v8
	v_fmamk_f32 v9, v7, 0x32a5705f, v9
	v_sub_f32_e32 v8, v8, v10
	v_add_f32_e32 v8, v8, v9
	v_exp_f32_e32 v8, v8
	v_cvt_i32_f32_e32 v9, v10
	s_mov_b32 s3, 0xc2ce8ed0
	v_cmp_ngt_f32_e32 vcc, s3, v7
	s_mov_b32 s3, 0x42b17218
	v_ldexp_f32 v8, v8, v9
	v_cndmask_b32_e32 v8, 0, v8, vcc
	v_mov_b32_e32 v41, 0x7f800000
	v_cmp_nlt_f32_e32 vcc, s3, v7
	s_mov_b32 s3, 0x3f2aaaab
	s_mov_b32 s30, 0x7f800000
	v_cndmask_b32_e32 v7, v41, v8, vcc
	v_add_f32_e32 v10, 1.0, v7
	v_add_f32_e32 v8, -1.0, v10
	v_sub_f32_e32 v9, v8, v10
	v_add_f32_e32 v9, 1.0, v9
	v_sub_f32_e32 v8, v7, v8
	v_add_f32_e32 v11, v8, v9
	v_frexp_mant_f32_e32 v12, v10
	v_cvt_f64_f32_e32 v[8:9], v10
	v_frexp_exp_i32_f64_e32 v8, v[8:9]
	v_cmp_gt_f32_e32 vcc, s3, v12
	s_mov_b32 s3, 0x3f317218
	s_nop 0
	v_subbrev_co_u32_e32 v16, vcc, 0, v8, vcc
	v_sub_u32_e32 v8, 0, v16
	v_ldexp_f32 v9, v10, v8
	v_add_f32_e32 v10, -1.0, v9
	v_add_f32_e32 v12, 1.0, v9
	v_ldexp_f32 v8, v11, v8
	v_add_f32_e32 v11, 1.0, v10
	v_add_f32_e32 v13, -1.0, v12
	v_sub_f32_e32 v11, v9, v11
	v_sub_f32_e32 v9, v9, v13
	v_add_f32_e32 v11, v8, v11
	v_add_f32_e32 v8, v8, v9
	;; [unrolled: 1-line block ×3, first 2 shown]
	v_rcp_f32_e32 v44, v17
	v_sub_f32_e32 v9, v12, v17
	v_add_f32_e32 v43, v8, v9
	v_add_f32_e32 v9, v10, v11
	v_mul_f32_e32 v46, v9, v44
	v_sub_f32_e32 v8, v10, v9
	v_mul_f32_e32 v10, v17, v46
	v_fma_f32 v12, v46, v17, -v10
	v_fmac_f32_e32 v12, v46, v43
	v_add_f32_e32 v45, v11, v8
	v_add_f32_e32 v8, v10, v12
	v_sub_f32_e32 v11, v9, v8
	v_pk_add_f32 v[14:15], v[8:9], v[10:11] neg_lo:[0,1] neg_hi:[0,1]
	v_mov_b32_e32 v13, v8
	v_pk_add_f32 v[8:9], v[14:15], v[12:13] neg_lo:[0,1] neg_hi:[0,1]
	v_cmp_neq_f32_e32 vcc, s30, v7
	v_add_f32_e32 v9, v45, v9
	v_add_f32_e32 v8, v8, v9
	;; [unrolled: 1-line block ×3, first 2 shown]
	v_mul_f32_e32 v45, v44, v9
	v_mul_f32_e32 v10, v17, v45
	v_fma_f32 v12, v45, v17, -v10
	v_fmac_f32_e32 v12, v45, v43
	v_sub_f32_e32 v11, v11, v9
	v_add_f32_e32 v17, v8, v11
	v_add_f32_e32 v8, v10, v12
	v_sub_f32_e32 v11, v9, v8
	v_pk_add_f32 v[14:15], v[8:9], v[10:11] neg_lo:[0,1] neg_hi:[0,1]
	v_mov_b32_e32 v13, v8
	v_pk_add_f32 v[8:9], v[14:15], v[12:13] neg_lo:[0,1] neg_hi:[0,1]
	v_cvt_f32_i32_e32 v10, v16
	v_add_f32_e32 v9, v17, v9
	v_add_f32_e32 v8, v8, v9
	;; [unrolled: 1-line block ×4, first 2 shown]
	v_sub_f32_e32 v9, v11, v46
	v_mul_f32_e32 v8, v44, v8
	v_sub_f32_e32 v9, v45, v9
	v_add_f32_e32 v8, v9, v8
	v_add_f32_e32 v12, v11, v8
	v_mul_f32_e32 v14, v12, v12
	v_mov_b32_e32 v9, 0x3ecc95a3
	v_sub_f32_e32 v11, v12, v11
	v_fmac_f32_e32 v9, 0x3e9b6dac, v14
	v_sub_f32_e32 v8, v8, v11
	v_fmaak_f32 v9, v14, v9, 0x3f2aaada
	v_ldexp_f32 v15, v8, 1
	v_mul_f32_e32 v11, v12, v14
	v_mov_b32_e32 v8, 0x3f317218
	v_pk_mul_f32 v[8:9], v[10:11], v[8:9]
	v_ldexp_f32 v13, v12, 1
	v_fma_f32 v11, v10, s3, -v8
	v_fmamk_f32 v12, v10, 0xb102e308, v11
	v_pk_add_f32 v[10:11], v[8:9], v[12:13]
	v_mov_b32_e32 v14, v8
	v_sub_f32_e32 v13, v11, v13
	v_sub_f32_e32 v13, v9, v13
	v_add_f32_e32 v15, v15, v13
	v_pk_add_f32 v[8:9], v[10:11], v[8:9] neg_lo:[0,1] neg_hi:[0,1]
	v_pk_add_f32 v[16:17], v[10:11], v[14:15]
	v_mov_b32_e32 v13, v10
	v_mov_b32_e32 v9, v17
	v_pk_add_f32 v[44:45], v[12:13], v[8:9] neg_lo:[0,1] neg_hi:[0,1]
	v_pk_add_f32 v[8:9], v[12:13], v[8:9]
	v_mov_b32_e32 v14, v15
	v_pk_add_f32 v[12:13], v[8:9], v[10:11] op_sel:[1,0] op_sel_hi:[0,1] neg_lo:[0,1] neg_hi:[0,1]
	v_pk_add_f32 v[46:47], v[16:17], v[12:13] op_sel_hi:[1,0] neg_lo:[0,1] neg_hi:[0,1]
	v_mov_b32_e32 v16, v17
	v_mov_b32_e32 v17, v9
	v_pk_mov_b32 v[12:13], v[10:11], v[12:13] op_sel:[1,0]
	v_mov_b32_e32 v15, v10
	v_pk_add_f32 v[12:13], v[16:17], v[12:13] neg_lo:[0,1] neg_hi:[0,1]
	v_mov_b32_e32 v46, v44
	v_pk_add_f32 v[10:11], v[14:15], v[12:13] neg_lo:[0,1] neg_hi:[0,1]
	v_mov_b32_e32 v45, v9
	v_pk_add_f32 v[12:13], v[46:47], v[10:11]
	s_mov_b32 s3, 0x33800000
	v_pk_add_f32 v[14:15], v[12:13], v[12:13] op_sel:[0,1] op_sel_hi:[1,0]
	s_nop 0
	v_pk_add_f32 v[8:9], v[8:9], v[14:15] op_sel:[1,0] op_sel_hi:[0,1]
	v_mov_b32_e32 v13, v8
	v_pk_add_f32 v[16:17], v[12:13], v[44:45] neg_lo:[0,1] neg_hi:[0,1]
	v_mov_b32_e32 v11, v14
	v_sub_f32_e32 v9, v12, v16
	v_pk_add_f32 v[10:11], v[10:11], v[16:17] neg_lo:[0,1] neg_hi:[0,1]
	v_sub_f32_e32 v9, v44, v9
	v_add_f32_e32 v9, v10, v9
	v_add_f32_e32 v9, v9, v11
	;; [unrolled: 1-line block ×3, first 2 shown]
	v_cndmask_b32_e32 v8, v41, v8, vcc
	v_cmp_lt_f32_e64 vcc, |v7|, s3
	s_nop 1
	v_cndmask_b32_e32 v7, v8, v7, vcc
	v_add_f32_e32 v43, v6, v7
.LBB88_57:
	s_or_b64 exec, exec, s[26:27]
	v_max_f32_e32 v6, v43, v43
	v_max_f32_e32 v41, v33, v33
	v_min_f32_e32 v7, v6, v41
	v_cmp_u_f32_e32 vcc, v43, v43
	v_max_f32_e32 v6, v6, v41
	v_cmp_u_f32_e64 s[26:27], v33, v33
	v_cndmask_b32_e32 v7, v7, v43, vcc
	v_cndmask_b32_e32 v6, v6, v43, vcc
	v_cndmask_b32_e64 v7, v7, v33, s[26:27]
	v_cndmask_b32_e64 v6, v6, v33, s[26:27]
	s_movk_i32 s3, 0x1f8
	v_cmp_neq_f32_e32 vcc, v7, v6
	v_cmp_class_f32_e64 s[30:31], v7, s3
	s_or_b64 s[34:35], vcc, s[30:31]
	s_and_saveexec_b64 s[30:31], s[34:35]
	s_cbranch_execz .LBB88_59
; %bb.58:
	v_sub_f32_e32 v7, v7, v6
	s_mov_b32 s3, 0x3fb8aa3b
	v_mul_f32_e32 v8, 0x3fb8aa3b, v7
	v_fma_f32 v9, v7, s3, -v8
	v_rndne_f32_e32 v10, v8
	v_fmamk_f32 v9, v7, 0x32a5705f, v9
	v_sub_f32_e32 v8, v8, v10
	v_add_f32_e32 v8, v8, v9
	v_exp_f32_e32 v8, v8
	v_cvt_i32_f32_e32 v9, v10
	s_mov_b32 s3, 0xc2ce8ed0
	v_cmp_ngt_f32_e32 vcc, s3, v7
	s_mov_b32 s3, 0x42b17218
	v_ldexp_f32 v8, v8, v9
	v_cndmask_b32_e32 v8, 0, v8, vcc
	v_mov_b32_e32 v43, 0x7f800000
	v_cmp_nlt_f32_e32 vcc, s3, v7
	s_mov_b32 s3, 0x3f2aaaab
	s_mov_b32 s34, 0x7f800000
	v_cndmask_b32_e32 v7, v43, v8, vcc
	v_add_f32_e32 v10, 1.0, v7
	v_add_f32_e32 v8, -1.0, v10
	v_sub_f32_e32 v9, v8, v10
	v_add_f32_e32 v9, 1.0, v9
	v_sub_f32_e32 v8, v7, v8
	v_add_f32_e32 v11, v8, v9
	v_frexp_mant_f32_e32 v12, v10
	v_cvt_f64_f32_e32 v[8:9], v10
	v_frexp_exp_i32_f64_e32 v8, v[8:9]
	v_cmp_gt_f32_e32 vcc, s3, v12
	s_mov_b32 s3, 0x3f317218
	s_nop 0
	v_subbrev_co_u32_e32 v16, vcc, 0, v8, vcc
	v_sub_u32_e32 v8, 0, v16
	v_ldexp_f32 v9, v10, v8
	v_add_f32_e32 v10, -1.0, v9
	v_add_f32_e32 v12, 1.0, v9
	v_ldexp_f32 v8, v11, v8
	v_add_f32_e32 v11, 1.0, v10
	v_add_f32_e32 v13, -1.0, v12
	v_sub_f32_e32 v11, v9, v11
	v_sub_f32_e32 v9, v9, v13
	v_add_f32_e32 v11, v8, v11
	v_add_f32_e32 v8, v8, v9
	;; [unrolled: 1-line block ×3, first 2 shown]
	v_rcp_f32_e32 v45, v17
	v_sub_f32_e32 v9, v12, v17
	v_add_f32_e32 v44, v8, v9
	v_add_f32_e32 v9, v10, v11
	v_mul_f32_e32 v47, v9, v45
	v_sub_f32_e32 v8, v10, v9
	v_mul_f32_e32 v10, v17, v47
	v_fma_f32 v12, v47, v17, -v10
	v_fmac_f32_e32 v12, v47, v44
	v_add_f32_e32 v46, v11, v8
	v_add_f32_e32 v8, v10, v12
	v_sub_f32_e32 v11, v9, v8
	v_pk_add_f32 v[14:15], v[8:9], v[10:11] neg_lo:[0,1] neg_hi:[0,1]
	v_mov_b32_e32 v13, v8
	v_pk_add_f32 v[8:9], v[14:15], v[12:13] neg_lo:[0,1] neg_hi:[0,1]
	v_cmp_neq_f32_e32 vcc, s34, v7
	v_add_f32_e32 v9, v46, v9
	v_add_f32_e32 v8, v8, v9
	;; [unrolled: 1-line block ×3, first 2 shown]
	v_mul_f32_e32 v46, v45, v9
	v_mul_f32_e32 v10, v17, v46
	v_fma_f32 v12, v46, v17, -v10
	v_fmac_f32_e32 v12, v46, v44
	v_sub_f32_e32 v11, v11, v9
	v_add_f32_e32 v17, v8, v11
	v_add_f32_e32 v8, v10, v12
	v_sub_f32_e32 v11, v9, v8
	v_pk_add_f32 v[14:15], v[8:9], v[10:11] neg_lo:[0,1] neg_hi:[0,1]
	v_mov_b32_e32 v13, v8
	v_pk_add_f32 v[8:9], v[14:15], v[12:13] neg_lo:[0,1] neg_hi:[0,1]
	v_cvt_f32_i32_e32 v10, v16
	v_add_f32_e32 v9, v17, v9
	v_add_f32_e32 v8, v8, v9
	;; [unrolled: 1-line block ×4, first 2 shown]
	v_sub_f32_e32 v9, v11, v47
	v_mul_f32_e32 v8, v45, v8
	v_sub_f32_e32 v9, v46, v9
	v_add_f32_e32 v8, v9, v8
	v_add_f32_e32 v12, v11, v8
	v_mul_f32_e32 v14, v12, v12
	v_mov_b32_e32 v9, 0x3ecc95a3
	v_sub_f32_e32 v11, v12, v11
	v_fmac_f32_e32 v9, 0x3e9b6dac, v14
	v_sub_f32_e32 v8, v8, v11
	v_fmaak_f32 v9, v14, v9, 0x3f2aaada
	v_ldexp_f32 v15, v8, 1
	v_mul_f32_e32 v11, v12, v14
	v_mov_b32_e32 v8, 0x3f317218
	v_pk_mul_f32 v[8:9], v[10:11], v[8:9]
	v_ldexp_f32 v13, v12, 1
	v_fma_f32 v11, v10, s3, -v8
	v_fmamk_f32 v12, v10, 0xb102e308, v11
	v_pk_add_f32 v[10:11], v[8:9], v[12:13]
	v_mov_b32_e32 v14, v8
	v_sub_f32_e32 v13, v11, v13
	v_sub_f32_e32 v13, v9, v13
	v_add_f32_e32 v15, v15, v13
	v_pk_add_f32 v[8:9], v[10:11], v[8:9] neg_lo:[0,1] neg_hi:[0,1]
	v_pk_add_f32 v[16:17], v[10:11], v[14:15]
	v_mov_b32_e32 v13, v10
	v_mov_b32_e32 v9, v17
	v_pk_add_f32 v[44:45], v[12:13], v[8:9] neg_lo:[0,1] neg_hi:[0,1]
	v_pk_add_f32 v[8:9], v[12:13], v[8:9]
	v_mov_b32_e32 v14, v15
	v_pk_add_f32 v[12:13], v[8:9], v[10:11] op_sel:[1,0] op_sel_hi:[0,1] neg_lo:[0,1] neg_hi:[0,1]
	v_pk_add_f32 v[46:47], v[16:17], v[12:13] op_sel_hi:[1,0] neg_lo:[0,1] neg_hi:[0,1]
	v_mov_b32_e32 v16, v17
	v_mov_b32_e32 v17, v9
	v_pk_mov_b32 v[12:13], v[10:11], v[12:13] op_sel:[1,0]
	v_mov_b32_e32 v15, v10
	v_pk_add_f32 v[12:13], v[16:17], v[12:13] neg_lo:[0,1] neg_hi:[0,1]
	v_mov_b32_e32 v46, v44
	v_pk_add_f32 v[10:11], v[14:15], v[12:13] neg_lo:[0,1] neg_hi:[0,1]
	v_mov_b32_e32 v45, v9
	v_pk_add_f32 v[12:13], v[46:47], v[10:11]
	s_mov_b32 s3, 0x33800000
	v_pk_add_f32 v[14:15], v[12:13], v[12:13] op_sel:[0,1] op_sel_hi:[1,0]
	s_nop 0
	v_pk_add_f32 v[8:9], v[8:9], v[14:15] op_sel:[1,0] op_sel_hi:[0,1]
	v_mov_b32_e32 v13, v8
	v_pk_add_f32 v[16:17], v[12:13], v[44:45] neg_lo:[0,1] neg_hi:[0,1]
	v_mov_b32_e32 v11, v14
	v_sub_f32_e32 v9, v12, v16
	v_pk_add_f32 v[10:11], v[10:11], v[16:17] neg_lo:[0,1] neg_hi:[0,1]
	v_sub_f32_e32 v9, v44, v9
	v_add_f32_e32 v9, v10, v9
	v_add_f32_e32 v9, v9, v11
	;; [unrolled: 1-line block ×3, first 2 shown]
	v_cndmask_b32_e32 v8, v43, v8, vcc
	v_cmp_lt_f32_e64 vcc, |v7|, s3
	s_nop 1
	v_cndmask_b32_e32 v7, v8, v7, vcc
	v_add_f32_e32 v43, v6, v7
.LBB88_59:
	s_or_b64 exec, exec, s[30:31]
	v_lshrrev_b32_e32 v6, 3, v0
	v_and_b32_e32 v6, 28, v6
	v_lshl_add_u32 v6, v0, 2, v6
	v_cmp_gt_u32_e32 vcc, 64, v0
	ds_write_b32 v6, v43
	s_waitcnt lgkmcnt(0)
	s_barrier
	s_and_saveexec_b64 s[40:41], vcc
	s_cbranch_execz .LBB88_99
; %bb.60:
	v_lshrrev_b32_e32 v6, 1, v0
	v_and_b32_e32 v6, 0x7c, v6
	v_lshlrev_b32_e32 v7, 4, v0
	v_add_u32_e32 v8, v6, v7
	ds_read2_b32 v[6:7], v8 offset1:1
	s_movk_i32 s3, 0x1f8
	s_waitcnt lgkmcnt(0)
	v_max_f32_e32 v11, v7, v7
	v_max_f32_e32 v9, v6, v6
	v_min_f32_e32 v10, v9, v11
	v_cmp_u_f32_e64 s[30:31], v6, v6
	v_max_f32_e32 v11, v9, v11
	v_cmp_u_f32_e64 s[34:35], v7, v7
	v_cndmask_b32_e64 v10, v10, v6, s[30:31]
	v_cndmask_b32_e64 v11, v11, v6, s[30:31]
	;; [unrolled: 1-line block ×4, first 2 shown]
	v_cmp_neq_f32_e64 s[34:35], v10, v7
	v_cmp_class_f32_e64 s[36:37], v10, s3
	s_or_b64 s[34:35], s[34:35], s[36:37]
	v_mov_b32_e32 v11, v6
	s_and_saveexec_b64 s[36:37], s[34:35]
	s_cbranch_execz .LBB88_62
; %bb.61:
	v_sub_f32_e32 v10, v10, v7
	s_mov_b32 s34, 0x3fb8aa3b
	v_mul_f32_e32 v11, 0x3fb8aa3b, v10
	v_fma_f32 v12, v10, s34, -v11
	v_rndne_f32_e32 v13, v11
	v_fmamk_f32 v12, v10, 0x32a5705f, v12
	v_sub_f32_e32 v11, v11, v13
	v_add_f32_e32 v11, v11, v12
	v_exp_f32_e32 v11, v11
	v_cvt_i32_f32_e32 v12, v13
	s_mov_b32 s34, 0xc2ce8ed0
	v_cmp_ngt_f32_e64 s[34:35], s34, v10
	v_mov_b32_e32 v50, 0x7f800000
	v_ldexp_f32 v11, v11, v12
	v_cndmask_b32_e64 v11, 0, v11, s[34:35]
	s_mov_b32 s34, 0x42b17218
	v_cmp_nlt_f32_e64 s[34:35], s34, v10
	s_mov_b32 s42, 0x7f800000
	s_nop 0
	v_cndmask_b32_e64 v51, v50, v11, s[34:35]
	v_add_f32_e32 v12, 1.0, v51
	v_add_f32_e32 v10, -1.0, v12
	v_sub_f32_e32 v11, v10, v12
	v_add_f32_e32 v11, 1.0, v11
	v_sub_f32_e32 v10, v51, v10
	v_add_f32_e32 v13, v10, v11
	v_frexp_mant_f32_e32 v14, v12
	s_mov_b32 s34, 0x3f2aaaab
	v_cvt_f64_f32_e32 v[10:11], v12
	v_frexp_exp_i32_f64_e32 v10, v[10:11]
	v_cmp_gt_f32_e64 s[34:35], s34, v14
	s_nop 1
	v_subbrev_co_u32_e64 v44, s[34:35], 0, v10, s[34:35]
	v_sub_u32_e32 v10, 0, v44
	v_ldexp_f32 v11, v12, v10
	v_add_f32_e32 v12, -1.0, v11
	v_add_f32_e32 v14, 1.0, v11
	v_ldexp_f32 v10, v13, v10
	v_add_f32_e32 v13, 1.0, v12
	v_add_f32_e32 v15, -1.0, v14
	v_sub_f32_e32 v13, v11, v13
	v_sub_f32_e32 v11, v11, v15
	v_add_f32_e32 v13, v10, v13
	v_add_f32_e32 v10, v10, v11
	;; [unrolled: 1-line block ×3, first 2 shown]
	v_rcp_f32_e32 v47, v45
	v_sub_f32_e32 v11, v14, v45
	v_add_f32_e32 v46, v10, v11
	v_add_f32_e32 v11, v12, v13
	v_mul_f32_e32 v49, v11, v47
	v_sub_f32_e32 v10, v12, v11
	v_mul_f32_e32 v12, v45, v49
	v_fma_f32 v14, v49, v45, -v12
	v_fmac_f32_e32 v14, v49, v46
	v_add_f32_e32 v48, v13, v10
	v_add_f32_e32 v10, v12, v14
	v_sub_f32_e32 v13, v11, v10
	v_pk_add_f32 v[16:17], v[10:11], v[12:13] neg_lo:[0,1] neg_hi:[0,1]
	v_mov_b32_e32 v15, v10
	v_pk_add_f32 v[10:11], v[16:17], v[14:15] neg_lo:[0,1] neg_hi:[0,1]
	s_mov_b32 s34, 0x3f317218
	v_add_f32_e32 v11, v48, v11
	v_add_f32_e32 v10, v10, v11
	;; [unrolled: 1-line block ×3, first 2 shown]
	v_mul_f32_e32 v48, v47, v11
	v_mul_f32_e32 v12, v45, v48
	v_fma_f32 v14, v48, v45, -v12
	v_fmac_f32_e32 v14, v48, v46
	v_sub_f32_e32 v13, v13, v11
	v_add_f32_e32 v45, v10, v13
	v_add_f32_e32 v10, v12, v14
	v_sub_f32_e32 v13, v11, v10
	v_pk_add_f32 v[16:17], v[10:11], v[12:13] neg_lo:[0,1] neg_hi:[0,1]
	v_mov_b32_e32 v15, v10
	v_pk_add_f32 v[10:11], v[16:17], v[14:15] neg_lo:[0,1] neg_hi:[0,1]
	v_cvt_f32_i32_e32 v12, v44
	v_add_f32_e32 v11, v45, v11
	v_add_f32_e32 v10, v10, v11
	;; [unrolled: 1-line block ×4, first 2 shown]
	v_sub_f32_e32 v11, v13, v49
	v_mul_f32_e32 v10, v47, v10
	v_sub_f32_e32 v11, v48, v11
	v_add_f32_e32 v10, v11, v10
	v_add_f32_e32 v14, v13, v10
	v_mul_f32_e32 v16, v14, v14
	v_mov_b32_e32 v11, 0x3ecc95a3
	v_sub_f32_e32 v13, v14, v13
	v_fmac_f32_e32 v11, 0x3e9b6dac, v16
	v_sub_f32_e32 v10, v10, v13
	v_fmaak_f32 v11, v16, v11, 0x3f2aaada
	v_ldexp_f32 v17, v10, 1
	v_mul_f32_e32 v13, v14, v16
	v_mov_b32_e32 v10, 0x3f317218
	v_pk_mul_f32 v[10:11], v[12:13], v[10:11]
	v_ldexp_f32 v15, v14, 1
	v_fma_f32 v13, v12, s34, -v10
	v_fmamk_f32 v14, v12, 0xb102e308, v13
	v_pk_add_f32 v[12:13], v[10:11], v[14:15]
	v_mov_b32_e32 v16, v10
	v_sub_f32_e32 v15, v13, v15
	v_sub_f32_e32 v15, v11, v15
	v_add_f32_e32 v17, v17, v15
	v_pk_add_f32 v[10:11], v[12:13], v[10:11] neg_lo:[0,1] neg_hi:[0,1]
	v_pk_add_f32 v[44:45], v[12:13], v[16:17]
	v_mov_b32_e32 v15, v12
	v_mov_b32_e32 v11, v45
	v_pk_add_f32 v[46:47], v[14:15], v[10:11] neg_lo:[0,1] neg_hi:[0,1]
	v_pk_add_f32 v[10:11], v[14:15], v[10:11]
	v_mov_b32_e32 v16, v17
	v_pk_add_f32 v[14:15], v[10:11], v[12:13] op_sel:[1,0] op_sel_hi:[0,1] neg_lo:[0,1] neg_hi:[0,1]
	v_pk_add_f32 v[48:49], v[44:45], v[14:15] op_sel_hi:[1,0] neg_lo:[0,1] neg_hi:[0,1]
	v_mov_b32_e32 v44, v45
	v_mov_b32_e32 v45, v11
	v_pk_mov_b32 v[14:15], v[12:13], v[14:15] op_sel:[1,0]
	v_mov_b32_e32 v17, v12
	v_pk_add_f32 v[14:15], v[44:45], v[14:15] neg_lo:[0,1] neg_hi:[0,1]
	v_mov_b32_e32 v48, v46
	v_pk_add_f32 v[12:13], v[16:17], v[14:15] neg_lo:[0,1] neg_hi:[0,1]
	v_mov_b32_e32 v47, v11
	v_pk_add_f32 v[14:15], v[48:49], v[12:13]
	v_cmp_neq_f32_e64 s[34:35], s42, v51
	v_pk_add_f32 v[16:17], v[14:15], v[14:15] op_sel:[0,1] op_sel_hi:[1,0]
	s_nop 0
	v_pk_add_f32 v[10:11], v[10:11], v[16:17] op_sel:[1,0] op_sel_hi:[0,1]
	v_mov_b32_e32 v15, v10
	v_pk_add_f32 v[44:45], v[14:15], v[46:47] neg_lo:[0,1] neg_hi:[0,1]
	v_mov_b32_e32 v13, v16
	v_sub_f32_e32 v11, v14, v44
	v_pk_add_f32 v[12:13], v[12:13], v[44:45] neg_lo:[0,1] neg_hi:[0,1]
	v_sub_f32_e32 v11, v46, v11
	v_add_f32_e32 v11, v12, v11
	v_add_f32_e32 v11, v11, v13
	;; [unrolled: 1-line block ×3, first 2 shown]
	v_cndmask_b32_e64 v10, v50, v10, s[34:35]
	s_mov_b32 s34, 0x33800000
	v_cmp_lt_f32_e64 s[34:35], |v51|, s34
	s_nop 1
	v_cndmask_b32_e64 v10, v10, v51, s[34:35]
	v_add_f32_e32 v11, v7, v10
.LBB88_62:
	s_or_b64 exec, exec, s[36:37]
	ds_read_b32 v7, v8 offset:8
	v_max_f32_e32 v10, v11, v11
	v_cmp_u_f32_e64 s[34:35], v11, v11
	s_waitcnt lgkmcnt(0)
	v_max_f32_e32 v12, v7, v7
	v_min_f32_e32 v13, v10, v12
	v_max_f32_e32 v12, v10, v12
	v_cndmask_b32_e64 v10, v13, v11, s[34:35]
	v_cmp_u_f32_e64 s[36:37], v7, v7
	v_cndmask_b32_e64 v12, v12, v11, s[34:35]
	s_nop 0
	v_cndmask_b32_e64 v10, v10, v7, s[36:37]
	v_cndmask_b32_e64 v7, v12, v7, s[36:37]
	v_cmp_neq_f32_e64 s[34:35], v10, v7
	v_cmp_class_f32_e64 s[36:37], v10, s3
	s_or_b64 s[34:35], s[34:35], s[36:37]
	s_and_saveexec_b64 s[36:37], s[34:35]
	s_cbranch_execz .LBB88_64
; %bb.63:
	v_sub_f32_e32 v10, v10, v7
	s_mov_b32 s3, 0x3fb8aa3b
	v_mul_f32_e32 v11, 0x3fb8aa3b, v10
	v_fma_f32 v12, v10, s3, -v11
	v_rndne_f32_e32 v13, v11
	v_fmamk_f32 v12, v10, 0x32a5705f, v12
	v_sub_f32_e32 v11, v11, v13
	v_add_f32_e32 v11, v11, v12
	v_exp_f32_e32 v11, v11
	v_cvt_i32_f32_e32 v12, v13
	s_mov_b32 s3, 0xc2ce8ed0
	v_cmp_ngt_f32_e64 s[34:35], s3, v10
	s_mov_b32 s3, 0x42b17218
	v_ldexp_f32 v11, v11, v12
	v_cndmask_b32_e64 v11, 0, v11, s[34:35]
	v_mov_b32_e32 v50, 0x7f800000
	v_cmp_nlt_f32_e64 s[34:35], s3, v10
	s_mov_b32 s3, 0x3f2aaaab
	s_mov_b32 s42, 0x7f800000
	v_cndmask_b32_e64 v51, v50, v11, s[34:35]
	v_add_f32_e32 v12, 1.0, v51
	v_add_f32_e32 v10, -1.0, v12
	v_sub_f32_e32 v11, v10, v12
	v_add_f32_e32 v11, 1.0, v11
	v_sub_f32_e32 v10, v51, v10
	v_add_f32_e32 v13, v10, v11
	v_frexp_mant_f32_e32 v14, v12
	v_cvt_f64_f32_e32 v[10:11], v12
	v_frexp_exp_i32_f64_e32 v10, v[10:11]
	v_cmp_gt_f32_e64 s[34:35], s3, v14
	s_mov_b32 s3, 0x3f317218
	s_nop 0
	v_subbrev_co_u32_e64 v44, s[34:35], 0, v10, s[34:35]
	v_sub_u32_e32 v10, 0, v44
	v_ldexp_f32 v11, v12, v10
	v_add_f32_e32 v12, -1.0, v11
	v_add_f32_e32 v14, 1.0, v11
	v_ldexp_f32 v10, v13, v10
	v_add_f32_e32 v13, 1.0, v12
	v_add_f32_e32 v15, -1.0, v14
	v_sub_f32_e32 v13, v11, v13
	v_sub_f32_e32 v11, v11, v15
	v_add_f32_e32 v13, v10, v13
	v_add_f32_e32 v10, v10, v11
	;; [unrolled: 1-line block ×3, first 2 shown]
	v_rcp_f32_e32 v47, v45
	v_sub_f32_e32 v11, v14, v45
	v_add_f32_e32 v46, v10, v11
	v_add_f32_e32 v11, v12, v13
	v_mul_f32_e32 v49, v11, v47
	v_sub_f32_e32 v10, v12, v11
	v_mul_f32_e32 v12, v45, v49
	v_fma_f32 v14, v49, v45, -v12
	v_fmac_f32_e32 v14, v49, v46
	v_add_f32_e32 v48, v13, v10
	v_add_f32_e32 v10, v12, v14
	v_sub_f32_e32 v13, v11, v10
	v_pk_add_f32 v[16:17], v[10:11], v[12:13] neg_lo:[0,1] neg_hi:[0,1]
	v_mov_b32_e32 v15, v10
	v_pk_add_f32 v[10:11], v[16:17], v[14:15] neg_lo:[0,1] neg_hi:[0,1]
	v_cmp_neq_f32_e64 s[34:35], s42, v51
	v_add_f32_e32 v11, v48, v11
	v_add_f32_e32 v10, v10, v11
	;; [unrolled: 1-line block ×3, first 2 shown]
	v_mul_f32_e32 v48, v47, v11
	v_mul_f32_e32 v12, v45, v48
	v_fma_f32 v14, v48, v45, -v12
	v_fmac_f32_e32 v14, v48, v46
	v_sub_f32_e32 v13, v13, v11
	v_add_f32_e32 v45, v10, v13
	v_add_f32_e32 v10, v12, v14
	v_sub_f32_e32 v13, v11, v10
	v_pk_add_f32 v[16:17], v[10:11], v[12:13] neg_lo:[0,1] neg_hi:[0,1]
	v_mov_b32_e32 v15, v10
	v_pk_add_f32 v[10:11], v[16:17], v[14:15] neg_lo:[0,1] neg_hi:[0,1]
	v_cvt_f32_i32_e32 v12, v44
	v_add_f32_e32 v11, v45, v11
	v_add_f32_e32 v10, v10, v11
	;; [unrolled: 1-line block ×4, first 2 shown]
	v_sub_f32_e32 v11, v13, v49
	v_mul_f32_e32 v10, v47, v10
	v_sub_f32_e32 v11, v48, v11
	v_add_f32_e32 v10, v11, v10
	v_add_f32_e32 v14, v13, v10
	v_mul_f32_e32 v16, v14, v14
	v_mov_b32_e32 v11, 0x3ecc95a3
	v_sub_f32_e32 v13, v14, v13
	v_fmac_f32_e32 v11, 0x3e9b6dac, v16
	v_sub_f32_e32 v10, v10, v13
	v_fmaak_f32 v11, v16, v11, 0x3f2aaada
	v_ldexp_f32 v17, v10, 1
	v_mul_f32_e32 v13, v14, v16
	v_mov_b32_e32 v10, 0x3f317218
	v_pk_mul_f32 v[10:11], v[12:13], v[10:11]
	v_ldexp_f32 v15, v14, 1
	v_fma_f32 v13, v12, s3, -v10
	v_fmamk_f32 v14, v12, 0xb102e308, v13
	v_pk_add_f32 v[12:13], v[10:11], v[14:15]
	v_mov_b32_e32 v16, v10
	v_sub_f32_e32 v15, v13, v15
	v_sub_f32_e32 v15, v11, v15
	v_add_f32_e32 v17, v17, v15
	v_pk_add_f32 v[10:11], v[12:13], v[10:11] neg_lo:[0,1] neg_hi:[0,1]
	v_pk_add_f32 v[44:45], v[12:13], v[16:17]
	v_mov_b32_e32 v15, v12
	v_mov_b32_e32 v11, v45
	v_pk_add_f32 v[46:47], v[14:15], v[10:11] neg_lo:[0,1] neg_hi:[0,1]
	v_pk_add_f32 v[10:11], v[14:15], v[10:11]
	v_mov_b32_e32 v16, v17
	v_pk_add_f32 v[14:15], v[10:11], v[12:13] op_sel:[1,0] op_sel_hi:[0,1] neg_lo:[0,1] neg_hi:[0,1]
	v_pk_add_f32 v[48:49], v[44:45], v[14:15] op_sel_hi:[1,0] neg_lo:[0,1] neg_hi:[0,1]
	v_mov_b32_e32 v44, v45
	v_mov_b32_e32 v45, v11
	v_pk_mov_b32 v[14:15], v[12:13], v[14:15] op_sel:[1,0]
	v_mov_b32_e32 v17, v12
	v_pk_add_f32 v[14:15], v[44:45], v[14:15] neg_lo:[0,1] neg_hi:[0,1]
	v_mov_b32_e32 v48, v46
	v_pk_add_f32 v[12:13], v[16:17], v[14:15] neg_lo:[0,1] neg_hi:[0,1]
	v_mov_b32_e32 v47, v11
	v_pk_add_f32 v[14:15], v[48:49], v[12:13]
	s_mov_b32 s3, 0x33800000
	v_pk_add_f32 v[16:17], v[14:15], v[14:15] op_sel:[0,1] op_sel_hi:[1,0]
	s_nop 0
	v_pk_add_f32 v[10:11], v[10:11], v[16:17] op_sel:[1,0] op_sel_hi:[0,1]
	v_mov_b32_e32 v15, v10
	v_pk_add_f32 v[44:45], v[14:15], v[46:47] neg_lo:[0,1] neg_hi:[0,1]
	v_mov_b32_e32 v13, v16
	v_sub_f32_e32 v11, v14, v44
	v_pk_add_f32 v[12:13], v[12:13], v[44:45] neg_lo:[0,1] neg_hi:[0,1]
	v_sub_f32_e32 v11, v46, v11
	v_add_f32_e32 v11, v12, v11
	v_add_f32_e32 v11, v11, v13
	;; [unrolled: 1-line block ×3, first 2 shown]
	v_cndmask_b32_e64 v10, v50, v10, s[34:35]
	v_cmp_lt_f32_e64 s[34:35], |v51|, s3
	s_nop 1
	v_cndmask_b32_e64 v10, v10, v51, s[34:35]
	v_add_f32_e32 v11, v7, v10
.LBB88_64:
	s_or_b64 exec, exec, s[36:37]
	ds_read_b32 v7, v8 offset:12
	v_max_f32_e32 v10, v11, v11
	v_cmp_u_f32_e64 s[34:35], v11, v11
	s_movk_i32 s3, 0x1f8
	s_waitcnt lgkmcnt(0)
	v_max_f32_e32 v12, v7, v7
	v_min_f32_e32 v13, v10, v12
	v_max_f32_e32 v12, v10, v12
	v_cndmask_b32_e64 v10, v13, v11, s[34:35]
	v_cmp_u_f32_e64 s[36:37], v7, v7
	v_cndmask_b32_e64 v12, v12, v11, s[34:35]
	s_nop 0
	v_cndmask_b32_e64 v10, v10, v7, s[36:37]
	v_cndmask_b32_e64 v7, v12, v7, s[36:37]
	v_cmp_neq_f32_e64 s[34:35], v10, v7
	v_cmp_class_f32_e64 s[36:37], v10, s3
	s_or_b64 s[34:35], s[34:35], s[36:37]
	s_and_saveexec_b64 s[36:37], s[34:35]
	s_cbranch_execz .LBB88_66
; %bb.65:
	v_sub_f32_e32 v10, v10, v7
	s_mov_b32 s3, 0x3fb8aa3b
	v_mul_f32_e32 v11, 0x3fb8aa3b, v10
	v_fma_f32 v12, v10, s3, -v11
	v_rndne_f32_e32 v13, v11
	v_fmamk_f32 v12, v10, 0x32a5705f, v12
	v_sub_f32_e32 v11, v11, v13
	v_add_f32_e32 v11, v11, v12
	v_exp_f32_e32 v11, v11
	v_cvt_i32_f32_e32 v12, v13
	s_mov_b32 s3, 0xc2ce8ed0
	v_cmp_ngt_f32_e64 s[34:35], s3, v10
	s_mov_b32 s3, 0x42b17218
	v_ldexp_f32 v11, v11, v12
	v_cndmask_b32_e64 v11, 0, v11, s[34:35]
	v_mov_b32_e32 v50, 0x7f800000
	v_cmp_nlt_f32_e64 s[34:35], s3, v10
	s_mov_b32 s3, 0x3f2aaaab
	s_mov_b32 s42, 0x7f800000
	v_cndmask_b32_e64 v51, v50, v11, s[34:35]
	v_add_f32_e32 v12, 1.0, v51
	v_add_f32_e32 v10, -1.0, v12
	v_sub_f32_e32 v11, v10, v12
	v_add_f32_e32 v11, 1.0, v11
	v_sub_f32_e32 v10, v51, v10
	v_add_f32_e32 v13, v10, v11
	v_frexp_mant_f32_e32 v14, v12
	v_cvt_f64_f32_e32 v[10:11], v12
	v_frexp_exp_i32_f64_e32 v10, v[10:11]
	v_cmp_gt_f32_e64 s[34:35], s3, v14
	s_mov_b32 s3, 0x3f317218
	s_nop 0
	v_subbrev_co_u32_e64 v44, s[34:35], 0, v10, s[34:35]
	v_sub_u32_e32 v10, 0, v44
	v_ldexp_f32 v11, v12, v10
	v_add_f32_e32 v12, -1.0, v11
	v_add_f32_e32 v14, 1.0, v11
	v_ldexp_f32 v10, v13, v10
	v_add_f32_e32 v13, 1.0, v12
	v_add_f32_e32 v15, -1.0, v14
	v_sub_f32_e32 v13, v11, v13
	v_sub_f32_e32 v11, v11, v15
	v_add_f32_e32 v13, v10, v13
	v_add_f32_e32 v10, v10, v11
	;; [unrolled: 1-line block ×3, first 2 shown]
	v_rcp_f32_e32 v47, v45
	v_sub_f32_e32 v11, v14, v45
	v_add_f32_e32 v46, v10, v11
	v_add_f32_e32 v11, v12, v13
	v_mul_f32_e32 v49, v11, v47
	v_sub_f32_e32 v10, v12, v11
	v_mul_f32_e32 v12, v45, v49
	v_fma_f32 v14, v49, v45, -v12
	v_fmac_f32_e32 v14, v49, v46
	v_add_f32_e32 v48, v13, v10
	v_add_f32_e32 v10, v12, v14
	v_sub_f32_e32 v13, v11, v10
	v_pk_add_f32 v[16:17], v[10:11], v[12:13] neg_lo:[0,1] neg_hi:[0,1]
	v_mov_b32_e32 v15, v10
	v_pk_add_f32 v[10:11], v[16:17], v[14:15] neg_lo:[0,1] neg_hi:[0,1]
	v_cmp_neq_f32_e64 s[34:35], s42, v51
	v_add_f32_e32 v11, v48, v11
	v_add_f32_e32 v10, v10, v11
	;; [unrolled: 1-line block ×3, first 2 shown]
	v_mul_f32_e32 v48, v47, v11
	v_mul_f32_e32 v12, v45, v48
	v_fma_f32 v14, v48, v45, -v12
	v_fmac_f32_e32 v14, v48, v46
	v_sub_f32_e32 v13, v13, v11
	v_add_f32_e32 v45, v10, v13
	v_add_f32_e32 v10, v12, v14
	v_sub_f32_e32 v13, v11, v10
	v_pk_add_f32 v[16:17], v[10:11], v[12:13] neg_lo:[0,1] neg_hi:[0,1]
	v_mov_b32_e32 v15, v10
	v_pk_add_f32 v[10:11], v[16:17], v[14:15] neg_lo:[0,1] neg_hi:[0,1]
	v_cvt_f32_i32_e32 v12, v44
	v_add_f32_e32 v11, v45, v11
	v_add_f32_e32 v10, v10, v11
	;; [unrolled: 1-line block ×4, first 2 shown]
	v_sub_f32_e32 v11, v13, v49
	v_mul_f32_e32 v10, v47, v10
	v_sub_f32_e32 v11, v48, v11
	v_add_f32_e32 v10, v11, v10
	v_add_f32_e32 v14, v13, v10
	v_mul_f32_e32 v16, v14, v14
	v_mov_b32_e32 v11, 0x3ecc95a3
	v_sub_f32_e32 v13, v14, v13
	v_fmac_f32_e32 v11, 0x3e9b6dac, v16
	v_sub_f32_e32 v10, v10, v13
	v_fmaak_f32 v11, v16, v11, 0x3f2aaada
	v_ldexp_f32 v17, v10, 1
	v_mul_f32_e32 v13, v14, v16
	v_mov_b32_e32 v10, 0x3f317218
	v_pk_mul_f32 v[10:11], v[12:13], v[10:11]
	v_ldexp_f32 v15, v14, 1
	v_fma_f32 v13, v12, s3, -v10
	v_fmamk_f32 v14, v12, 0xb102e308, v13
	v_pk_add_f32 v[12:13], v[10:11], v[14:15]
	v_mov_b32_e32 v16, v10
	v_sub_f32_e32 v15, v13, v15
	v_sub_f32_e32 v15, v11, v15
	v_add_f32_e32 v17, v17, v15
	v_pk_add_f32 v[10:11], v[12:13], v[10:11] neg_lo:[0,1] neg_hi:[0,1]
	v_pk_add_f32 v[44:45], v[12:13], v[16:17]
	v_mov_b32_e32 v15, v12
	v_mov_b32_e32 v11, v45
	v_pk_add_f32 v[46:47], v[14:15], v[10:11] neg_lo:[0,1] neg_hi:[0,1]
	v_pk_add_f32 v[10:11], v[14:15], v[10:11]
	v_mov_b32_e32 v16, v17
	v_pk_add_f32 v[14:15], v[10:11], v[12:13] op_sel:[1,0] op_sel_hi:[0,1] neg_lo:[0,1] neg_hi:[0,1]
	v_pk_add_f32 v[48:49], v[44:45], v[14:15] op_sel_hi:[1,0] neg_lo:[0,1] neg_hi:[0,1]
	v_mov_b32_e32 v44, v45
	v_mov_b32_e32 v45, v11
	v_pk_mov_b32 v[14:15], v[12:13], v[14:15] op_sel:[1,0]
	v_mov_b32_e32 v17, v12
	v_pk_add_f32 v[14:15], v[44:45], v[14:15] neg_lo:[0,1] neg_hi:[0,1]
	v_mov_b32_e32 v48, v46
	v_pk_add_f32 v[12:13], v[16:17], v[14:15] neg_lo:[0,1] neg_hi:[0,1]
	v_mov_b32_e32 v47, v11
	v_pk_add_f32 v[14:15], v[48:49], v[12:13]
	s_mov_b32 s3, 0x33800000
	v_pk_add_f32 v[16:17], v[14:15], v[14:15] op_sel:[0,1] op_sel_hi:[1,0]
	s_nop 0
	v_pk_add_f32 v[10:11], v[10:11], v[16:17] op_sel:[1,0] op_sel_hi:[0,1]
	v_mov_b32_e32 v15, v10
	v_pk_add_f32 v[44:45], v[14:15], v[46:47] neg_lo:[0,1] neg_hi:[0,1]
	v_mov_b32_e32 v13, v16
	v_sub_f32_e32 v11, v14, v44
	v_pk_add_f32 v[12:13], v[12:13], v[44:45] neg_lo:[0,1] neg_hi:[0,1]
	v_sub_f32_e32 v11, v46, v11
	v_add_f32_e32 v11, v12, v11
	v_add_f32_e32 v11, v11, v13
	;; [unrolled: 1-line block ×3, first 2 shown]
	v_cndmask_b32_e64 v10, v50, v10, s[34:35]
	v_cmp_lt_f32_e64 s[34:35], |v51|, s3
	s_nop 1
	v_cndmask_b32_e64 v10, v10, v51, s[34:35]
	v_add_f32_e32 v11, v7, v10
.LBB88_66:
	s_or_b64 exec, exec, s[36:37]
	v_mbcnt_lo_u32_b32 v7, -1, 0
	v_mbcnt_hi_u32_b32 v7, -1, v7
	v_and_b32_e32 v10, 15, v7
	v_mov_b32_dpp v12, v11 row_shr:1 row_mask:0xf bank_mask:0xf
	v_cmp_ne_u32_e64 s[34:35], 0, v10
	s_and_saveexec_b64 s[36:37], s[34:35]
	s_xor_b64 s[42:43], exec, s[36:37]
	s_cbranch_execz .LBB88_70
; %bb.67:
	v_max_f32_e32 v14, v11, v11
	v_max_f32_e32 v15, v12, v12
	v_min_f32_e32 v13, v15, v14
	v_cmp_u_f32_e64 s[34:35], v12, v12
	v_max_f32_e32 v14, v15, v14
	v_cmp_u_f32_e64 s[36:37], v11, v11
	v_cndmask_b32_e64 v13, v13, v12, s[34:35]
	v_cndmask_b32_e64 v14, v14, v12, s[34:35]
	;; [unrolled: 1-line block ×4, first 2 shown]
	s_movk_i32 s3, 0x1f8
	v_cmp_neq_f32_e64 s[34:35], v13, v11
	v_cmp_class_f32_e64 s[36:37], v13, s3
	s_or_b64 s[34:35], s[34:35], s[36:37]
	s_and_saveexec_b64 s[36:37], s[34:35]
	s_cbranch_execz .LBB88_69
; %bb.68:
	v_sub_f32_e32 v12, v13, v11
	s_mov_b32 s3, 0x3fb8aa3b
	v_mul_f32_e32 v13, 0x3fb8aa3b, v12
	v_fma_f32 v14, v12, s3, -v13
	v_rndne_f32_e32 v15, v13
	v_fmamk_f32 v14, v12, 0x32a5705f, v14
	v_sub_f32_e32 v13, v13, v15
	v_add_f32_e32 v13, v13, v14
	v_exp_f32_e32 v13, v13
	v_cvt_i32_f32_e32 v14, v15
	s_mov_b32 s3, 0xc2ce8ed0
	v_cmp_ngt_f32_e64 s[34:35], s3, v12
	s_mov_b32 s3, 0x42b17218
	v_ldexp_f32 v13, v13, v14
	v_cndmask_b32_e64 v13, 0, v13, s[34:35]
	v_mov_b32_e32 v52, 0x7f800000
	v_cmp_nlt_f32_e64 s[34:35], s3, v12
	s_mov_b32 s3, 0x3f2aaaab
	s_mov_b32 s54, 0x7f800000
	v_cndmask_b32_e64 v53, v52, v13, s[34:35]
	v_add_f32_e32 v14, 1.0, v53
	v_add_f32_e32 v12, -1.0, v14
	v_sub_f32_e32 v13, v12, v14
	v_add_f32_e32 v13, 1.0, v13
	v_sub_f32_e32 v12, v53, v12
	v_add_f32_e32 v15, v12, v13
	v_frexp_mant_f32_e32 v16, v14
	v_cvt_f64_f32_e32 v[12:13], v14
	v_frexp_exp_i32_f64_e32 v12, v[12:13]
	v_cmp_gt_f32_e64 s[34:35], s3, v16
	s_mov_b32 s3, 0x3f317218
	s_nop 0
	v_subbrev_co_u32_e64 v46, s[34:35], 0, v12, s[34:35]
	v_sub_u32_e32 v12, 0, v46
	v_ldexp_f32 v13, v14, v12
	v_add_f32_e32 v14, -1.0, v13
	v_add_f32_e32 v16, 1.0, v13
	v_ldexp_f32 v12, v15, v12
	v_add_f32_e32 v15, 1.0, v14
	v_add_f32_e32 v17, -1.0, v16
	v_sub_f32_e32 v15, v13, v15
	v_sub_f32_e32 v13, v13, v17
	v_add_f32_e32 v15, v12, v15
	v_add_f32_e32 v12, v12, v13
	;; [unrolled: 1-line block ×3, first 2 shown]
	v_rcp_f32_e32 v49, v47
	v_sub_f32_e32 v13, v16, v47
	v_add_f32_e32 v48, v12, v13
	v_add_f32_e32 v13, v14, v15
	v_mul_f32_e32 v51, v13, v49
	v_sub_f32_e32 v12, v14, v13
	v_mul_f32_e32 v14, v47, v51
	v_fma_f32 v16, v51, v47, -v14
	v_fmac_f32_e32 v16, v51, v48
	v_add_f32_e32 v50, v15, v12
	v_add_f32_e32 v12, v14, v16
	v_sub_f32_e32 v15, v13, v12
	v_pk_add_f32 v[44:45], v[12:13], v[14:15] neg_lo:[0,1] neg_hi:[0,1]
	v_mov_b32_e32 v17, v12
	v_pk_add_f32 v[12:13], v[44:45], v[16:17] neg_lo:[0,1] neg_hi:[0,1]
	v_cmp_neq_f32_e64 s[34:35], s54, v53
	v_add_f32_e32 v13, v50, v13
	v_add_f32_e32 v12, v12, v13
	v_add_f32_e32 v13, v15, v12
	v_mul_f32_e32 v50, v49, v13
	v_mul_f32_e32 v14, v47, v50
	v_fma_f32 v16, v50, v47, -v14
	v_fmac_f32_e32 v16, v50, v48
	v_sub_f32_e32 v15, v15, v13
	v_add_f32_e32 v47, v12, v15
	v_add_f32_e32 v12, v14, v16
	v_sub_f32_e32 v15, v13, v12
	v_pk_add_f32 v[44:45], v[12:13], v[14:15] neg_lo:[0,1] neg_hi:[0,1]
	v_mov_b32_e32 v17, v12
	v_pk_add_f32 v[12:13], v[44:45], v[16:17] neg_lo:[0,1] neg_hi:[0,1]
	v_cvt_f32_i32_e32 v14, v46
	v_add_f32_e32 v13, v47, v13
	v_add_f32_e32 v12, v12, v13
	;; [unrolled: 1-line block ×4, first 2 shown]
	v_sub_f32_e32 v13, v15, v51
	v_mul_f32_e32 v12, v49, v12
	v_sub_f32_e32 v13, v50, v13
	v_add_f32_e32 v12, v13, v12
	v_add_f32_e32 v16, v15, v12
	v_mul_f32_e32 v44, v16, v16
	v_mov_b32_e32 v13, 0x3ecc95a3
	v_sub_f32_e32 v15, v16, v15
	v_fmac_f32_e32 v13, 0x3e9b6dac, v44
	v_sub_f32_e32 v12, v12, v15
	v_fmaak_f32 v13, v44, v13, 0x3f2aaada
	v_ldexp_f32 v45, v12, 1
	v_mul_f32_e32 v15, v16, v44
	v_mov_b32_e32 v12, 0x3f317218
	v_pk_mul_f32 v[12:13], v[14:15], v[12:13]
	v_ldexp_f32 v17, v16, 1
	v_fma_f32 v15, v14, s3, -v12
	v_fmamk_f32 v16, v14, 0xb102e308, v15
	v_pk_add_f32 v[14:15], v[12:13], v[16:17]
	v_mov_b32_e32 v44, v12
	v_sub_f32_e32 v17, v15, v17
	v_sub_f32_e32 v17, v13, v17
	v_add_f32_e32 v45, v45, v17
	v_pk_add_f32 v[12:13], v[14:15], v[12:13] neg_lo:[0,1] neg_hi:[0,1]
	v_pk_add_f32 v[46:47], v[14:15], v[44:45]
	v_mov_b32_e32 v17, v14
	v_mov_b32_e32 v13, v47
	v_pk_add_f32 v[48:49], v[16:17], v[12:13] neg_lo:[0,1] neg_hi:[0,1]
	v_pk_add_f32 v[12:13], v[16:17], v[12:13]
	v_mov_b32_e32 v44, v45
	v_pk_add_f32 v[16:17], v[12:13], v[14:15] op_sel:[1,0] op_sel_hi:[0,1] neg_lo:[0,1] neg_hi:[0,1]
	v_pk_add_f32 v[50:51], v[46:47], v[16:17] op_sel_hi:[1,0] neg_lo:[0,1] neg_hi:[0,1]
	v_mov_b32_e32 v46, v47
	v_mov_b32_e32 v47, v13
	v_pk_mov_b32 v[16:17], v[14:15], v[16:17] op_sel:[1,0]
	v_mov_b32_e32 v45, v14
	v_pk_add_f32 v[16:17], v[46:47], v[16:17] neg_lo:[0,1] neg_hi:[0,1]
	v_mov_b32_e32 v50, v48
	v_pk_add_f32 v[14:15], v[44:45], v[16:17] neg_lo:[0,1] neg_hi:[0,1]
	v_mov_b32_e32 v49, v13
	v_pk_add_f32 v[16:17], v[50:51], v[14:15]
	s_mov_b32 s3, 0x33800000
	v_pk_add_f32 v[44:45], v[16:17], v[16:17] op_sel:[0,1] op_sel_hi:[1,0]
	s_nop 0
	v_pk_add_f32 v[12:13], v[12:13], v[44:45] op_sel:[1,0] op_sel_hi:[0,1]
	v_mov_b32_e32 v17, v12
	v_pk_add_f32 v[46:47], v[16:17], v[48:49] neg_lo:[0,1] neg_hi:[0,1]
	v_mov_b32_e32 v15, v44
	v_sub_f32_e32 v13, v16, v46
	v_pk_add_f32 v[14:15], v[14:15], v[46:47] neg_lo:[0,1] neg_hi:[0,1]
	v_sub_f32_e32 v13, v48, v13
	v_add_f32_e32 v13, v14, v13
	v_add_f32_e32 v13, v13, v15
	;; [unrolled: 1-line block ×3, first 2 shown]
	v_cndmask_b32_e64 v12, v52, v12, s[34:35]
	v_cmp_lt_f32_e64 s[34:35], |v53|, s3
	s_nop 1
	v_cndmask_b32_e64 v12, v12, v53, s[34:35]
	v_add_f32_e32 v12, v11, v12
.LBB88_69:
	s_or_b64 exec, exec, s[36:37]
	v_mov_b32_e32 v11, v12
.LBB88_70:
	s_or_b64 exec, exec, s[42:43]
	s_nop 0
	v_mov_b32_dpp v12, v11 row_shr:2 row_mask:0xf bank_mask:0xf
	v_cmp_lt_u32_e64 s[34:35], 1, v10
	s_and_saveexec_b64 s[42:43], s[34:35]
	s_cbranch_execz .LBB88_74
; %bb.71:
	v_max_f32_e32 v14, v11, v11
	v_max_f32_e32 v15, v12, v12
	v_min_f32_e32 v13, v15, v14
	v_cmp_u_f32_e64 s[34:35], v12, v12
	v_max_f32_e32 v14, v15, v14
	v_cmp_u_f32_e64 s[36:37], v11, v11
	v_cndmask_b32_e64 v13, v13, v12, s[34:35]
	v_cndmask_b32_e64 v14, v14, v12, s[34:35]
	v_cndmask_b32_e64 v13, v13, v11, s[36:37]
	v_cndmask_b32_e64 v11, v14, v11, s[36:37]
	s_movk_i32 s3, 0x1f8
	v_cmp_neq_f32_e64 s[34:35], v13, v11
	v_cmp_class_f32_e64 s[36:37], v13, s3
	s_or_b64 s[34:35], s[34:35], s[36:37]
	s_and_saveexec_b64 s[36:37], s[34:35]
	s_cbranch_execz .LBB88_73
; %bb.72:
	v_sub_f32_e32 v12, v13, v11
	s_mov_b32 s3, 0x3fb8aa3b
	v_mul_f32_e32 v13, 0x3fb8aa3b, v12
	v_fma_f32 v14, v12, s3, -v13
	v_rndne_f32_e32 v15, v13
	v_fmamk_f32 v14, v12, 0x32a5705f, v14
	v_sub_f32_e32 v13, v13, v15
	v_add_f32_e32 v13, v13, v14
	v_exp_f32_e32 v13, v13
	v_cvt_i32_f32_e32 v14, v15
	s_mov_b32 s3, 0xc2ce8ed0
	v_cmp_ngt_f32_e64 s[34:35], s3, v12
	s_mov_b32 s3, 0x42b17218
	v_ldexp_f32 v13, v13, v14
	v_cndmask_b32_e64 v13, 0, v13, s[34:35]
	v_mov_b32_e32 v52, 0x7f800000
	v_cmp_nlt_f32_e64 s[34:35], s3, v12
	s_mov_b32 s3, 0x3f2aaaab
	s_mov_b32 s54, 0x7f800000
	v_cndmask_b32_e64 v53, v52, v13, s[34:35]
	v_add_f32_e32 v14, 1.0, v53
	v_add_f32_e32 v12, -1.0, v14
	v_sub_f32_e32 v13, v12, v14
	v_add_f32_e32 v13, 1.0, v13
	v_sub_f32_e32 v12, v53, v12
	v_add_f32_e32 v15, v12, v13
	v_frexp_mant_f32_e32 v16, v14
	v_cvt_f64_f32_e32 v[12:13], v14
	v_frexp_exp_i32_f64_e32 v12, v[12:13]
	v_cmp_gt_f32_e64 s[34:35], s3, v16
	s_mov_b32 s3, 0x3f317218
	s_nop 0
	v_subbrev_co_u32_e64 v46, s[34:35], 0, v12, s[34:35]
	v_sub_u32_e32 v12, 0, v46
	v_ldexp_f32 v13, v14, v12
	v_add_f32_e32 v14, -1.0, v13
	v_add_f32_e32 v16, 1.0, v13
	v_ldexp_f32 v12, v15, v12
	v_add_f32_e32 v15, 1.0, v14
	v_add_f32_e32 v17, -1.0, v16
	v_sub_f32_e32 v15, v13, v15
	v_sub_f32_e32 v13, v13, v17
	v_add_f32_e32 v15, v12, v15
	v_add_f32_e32 v12, v12, v13
	;; [unrolled: 1-line block ×3, first 2 shown]
	v_rcp_f32_e32 v49, v47
	v_sub_f32_e32 v13, v16, v47
	v_add_f32_e32 v48, v12, v13
	v_add_f32_e32 v13, v14, v15
	v_mul_f32_e32 v51, v13, v49
	v_sub_f32_e32 v12, v14, v13
	v_mul_f32_e32 v14, v47, v51
	v_fma_f32 v16, v51, v47, -v14
	v_fmac_f32_e32 v16, v51, v48
	v_add_f32_e32 v50, v15, v12
	v_add_f32_e32 v12, v14, v16
	v_sub_f32_e32 v15, v13, v12
	v_pk_add_f32 v[44:45], v[12:13], v[14:15] neg_lo:[0,1] neg_hi:[0,1]
	v_mov_b32_e32 v17, v12
	v_pk_add_f32 v[12:13], v[44:45], v[16:17] neg_lo:[0,1] neg_hi:[0,1]
	v_cmp_neq_f32_e64 s[34:35], s54, v53
	v_add_f32_e32 v13, v50, v13
	v_add_f32_e32 v12, v12, v13
	;; [unrolled: 1-line block ×3, first 2 shown]
	v_mul_f32_e32 v50, v49, v13
	v_mul_f32_e32 v14, v47, v50
	v_fma_f32 v16, v50, v47, -v14
	v_fmac_f32_e32 v16, v50, v48
	v_sub_f32_e32 v15, v15, v13
	v_add_f32_e32 v47, v12, v15
	v_add_f32_e32 v12, v14, v16
	v_sub_f32_e32 v15, v13, v12
	v_pk_add_f32 v[44:45], v[12:13], v[14:15] neg_lo:[0,1] neg_hi:[0,1]
	v_mov_b32_e32 v17, v12
	v_pk_add_f32 v[12:13], v[44:45], v[16:17] neg_lo:[0,1] neg_hi:[0,1]
	v_cvt_f32_i32_e32 v14, v46
	v_add_f32_e32 v13, v47, v13
	v_add_f32_e32 v12, v12, v13
	;; [unrolled: 1-line block ×4, first 2 shown]
	v_sub_f32_e32 v13, v15, v51
	v_mul_f32_e32 v12, v49, v12
	v_sub_f32_e32 v13, v50, v13
	v_add_f32_e32 v12, v13, v12
	v_add_f32_e32 v16, v15, v12
	v_mul_f32_e32 v44, v16, v16
	v_mov_b32_e32 v13, 0x3ecc95a3
	v_sub_f32_e32 v15, v16, v15
	v_fmac_f32_e32 v13, 0x3e9b6dac, v44
	v_sub_f32_e32 v12, v12, v15
	v_fmaak_f32 v13, v44, v13, 0x3f2aaada
	v_ldexp_f32 v45, v12, 1
	v_mul_f32_e32 v15, v16, v44
	v_mov_b32_e32 v12, 0x3f317218
	v_pk_mul_f32 v[12:13], v[14:15], v[12:13]
	v_ldexp_f32 v17, v16, 1
	v_fma_f32 v15, v14, s3, -v12
	v_fmamk_f32 v16, v14, 0xb102e308, v15
	v_pk_add_f32 v[14:15], v[12:13], v[16:17]
	v_mov_b32_e32 v44, v12
	v_sub_f32_e32 v17, v15, v17
	v_sub_f32_e32 v17, v13, v17
	v_add_f32_e32 v45, v45, v17
	v_pk_add_f32 v[12:13], v[14:15], v[12:13] neg_lo:[0,1] neg_hi:[0,1]
	v_pk_add_f32 v[46:47], v[14:15], v[44:45]
	v_mov_b32_e32 v17, v14
	v_mov_b32_e32 v13, v47
	v_pk_add_f32 v[48:49], v[16:17], v[12:13] neg_lo:[0,1] neg_hi:[0,1]
	v_pk_add_f32 v[12:13], v[16:17], v[12:13]
	v_mov_b32_e32 v44, v45
	v_pk_add_f32 v[16:17], v[12:13], v[14:15] op_sel:[1,0] op_sel_hi:[0,1] neg_lo:[0,1] neg_hi:[0,1]
	v_pk_add_f32 v[50:51], v[46:47], v[16:17] op_sel_hi:[1,0] neg_lo:[0,1] neg_hi:[0,1]
	v_mov_b32_e32 v46, v47
	v_mov_b32_e32 v47, v13
	v_pk_mov_b32 v[16:17], v[14:15], v[16:17] op_sel:[1,0]
	v_mov_b32_e32 v45, v14
	v_pk_add_f32 v[16:17], v[46:47], v[16:17] neg_lo:[0,1] neg_hi:[0,1]
	v_mov_b32_e32 v50, v48
	v_pk_add_f32 v[14:15], v[44:45], v[16:17] neg_lo:[0,1] neg_hi:[0,1]
	v_mov_b32_e32 v49, v13
	v_pk_add_f32 v[16:17], v[50:51], v[14:15]
	s_mov_b32 s3, 0x33800000
	v_pk_add_f32 v[44:45], v[16:17], v[16:17] op_sel:[0,1] op_sel_hi:[1,0]
	s_nop 0
	v_pk_add_f32 v[12:13], v[12:13], v[44:45] op_sel:[1,0] op_sel_hi:[0,1]
	v_mov_b32_e32 v17, v12
	v_pk_add_f32 v[46:47], v[16:17], v[48:49] neg_lo:[0,1] neg_hi:[0,1]
	v_mov_b32_e32 v15, v44
	v_sub_f32_e32 v13, v16, v46
	v_pk_add_f32 v[14:15], v[14:15], v[46:47] neg_lo:[0,1] neg_hi:[0,1]
	v_sub_f32_e32 v13, v48, v13
	v_add_f32_e32 v13, v14, v13
	v_add_f32_e32 v13, v13, v15
	;; [unrolled: 1-line block ×3, first 2 shown]
	v_cndmask_b32_e64 v12, v52, v12, s[34:35]
	v_cmp_lt_f32_e64 s[34:35], |v53|, s3
	s_nop 1
	v_cndmask_b32_e64 v12, v12, v53, s[34:35]
	v_add_f32_e32 v12, v11, v12
.LBB88_73:
	s_or_b64 exec, exec, s[36:37]
	v_mov_b32_e32 v11, v12
.LBB88_74:
	s_or_b64 exec, exec, s[42:43]
	s_nop 0
	v_mov_b32_dpp v12, v11 row_shr:4 row_mask:0xf bank_mask:0xf
	v_cmp_lt_u32_e64 s[34:35], 3, v10
	s_and_saveexec_b64 s[42:43], s[34:35]
	s_cbranch_execz .LBB88_78
; %bb.75:
	v_max_f32_e32 v14, v11, v11
	v_max_f32_e32 v15, v12, v12
	v_min_f32_e32 v13, v15, v14
	v_cmp_u_f32_e64 s[34:35], v12, v12
	v_max_f32_e32 v14, v15, v14
	v_cmp_u_f32_e64 s[36:37], v11, v11
	v_cndmask_b32_e64 v13, v13, v12, s[34:35]
	v_cndmask_b32_e64 v14, v14, v12, s[34:35]
	;; [unrolled: 1-line block ×4, first 2 shown]
	s_movk_i32 s3, 0x1f8
	v_cmp_neq_f32_e64 s[34:35], v13, v11
	v_cmp_class_f32_e64 s[36:37], v13, s3
	s_or_b64 s[34:35], s[34:35], s[36:37]
	s_and_saveexec_b64 s[36:37], s[34:35]
	s_cbranch_execz .LBB88_77
; %bb.76:
	v_sub_f32_e32 v12, v13, v11
	s_mov_b32 s3, 0x3fb8aa3b
	v_mul_f32_e32 v13, 0x3fb8aa3b, v12
	v_fma_f32 v14, v12, s3, -v13
	v_rndne_f32_e32 v15, v13
	v_fmamk_f32 v14, v12, 0x32a5705f, v14
	v_sub_f32_e32 v13, v13, v15
	v_add_f32_e32 v13, v13, v14
	v_exp_f32_e32 v13, v13
	v_cvt_i32_f32_e32 v14, v15
	s_mov_b32 s3, 0xc2ce8ed0
	v_cmp_ngt_f32_e64 s[34:35], s3, v12
	s_mov_b32 s3, 0x42b17218
	v_ldexp_f32 v13, v13, v14
	v_cndmask_b32_e64 v13, 0, v13, s[34:35]
	v_mov_b32_e32 v52, 0x7f800000
	v_cmp_nlt_f32_e64 s[34:35], s3, v12
	s_mov_b32 s3, 0x3f2aaaab
	s_mov_b32 s54, 0x7f800000
	v_cndmask_b32_e64 v53, v52, v13, s[34:35]
	v_add_f32_e32 v14, 1.0, v53
	v_add_f32_e32 v12, -1.0, v14
	v_sub_f32_e32 v13, v12, v14
	v_add_f32_e32 v13, 1.0, v13
	v_sub_f32_e32 v12, v53, v12
	v_add_f32_e32 v15, v12, v13
	v_frexp_mant_f32_e32 v16, v14
	v_cvt_f64_f32_e32 v[12:13], v14
	v_frexp_exp_i32_f64_e32 v12, v[12:13]
	v_cmp_gt_f32_e64 s[34:35], s3, v16
	s_mov_b32 s3, 0x3f317218
	s_nop 0
	v_subbrev_co_u32_e64 v46, s[34:35], 0, v12, s[34:35]
	v_sub_u32_e32 v12, 0, v46
	v_ldexp_f32 v13, v14, v12
	v_add_f32_e32 v14, -1.0, v13
	v_add_f32_e32 v16, 1.0, v13
	v_ldexp_f32 v12, v15, v12
	v_add_f32_e32 v15, 1.0, v14
	v_add_f32_e32 v17, -1.0, v16
	v_sub_f32_e32 v15, v13, v15
	v_sub_f32_e32 v13, v13, v17
	v_add_f32_e32 v15, v12, v15
	v_add_f32_e32 v12, v12, v13
	;; [unrolled: 1-line block ×3, first 2 shown]
	v_rcp_f32_e32 v49, v47
	v_sub_f32_e32 v13, v16, v47
	v_add_f32_e32 v48, v12, v13
	v_add_f32_e32 v13, v14, v15
	v_mul_f32_e32 v51, v13, v49
	v_sub_f32_e32 v12, v14, v13
	v_mul_f32_e32 v14, v47, v51
	v_fma_f32 v16, v51, v47, -v14
	v_fmac_f32_e32 v16, v51, v48
	v_add_f32_e32 v50, v15, v12
	v_add_f32_e32 v12, v14, v16
	v_sub_f32_e32 v15, v13, v12
	v_pk_add_f32 v[44:45], v[12:13], v[14:15] neg_lo:[0,1] neg_hi:[0,1]
	v_mov_b32_e32 v17, v12
	v_pk_add_f32 v[12:13], v[44:45], v[16:17] neg_lo:[0,1] neg_hi:[0,1]
	v_cmp_neq_f32_e64 s[34:35], s54, v53
	v_add_f32_e32 v13, v50, v13
	v_add_f32_e32 v12, v12, v13
	;; [unrolled: 1-line block ×3, first 2 shown]
	v_mul_f32_e32 v50, v49, v13
	v_mul_f32_e32 v14, v47, v50
	v_fma_f32 v16, v50, v47, -v14
	v_fmac_f32_e32 v16, v50, v48
	v_sub_f32_e32 v15, v15, v13
	v_add_f32_e32 v47, v12, v15
	v_add_f32_e32 v12, v14, v16
	v_sub_f32_e32 v15, v13, v12
	v_pk_add_f32 v[44:45], v[12:13], v[14:15] neg_lo:[0,1] neg_hi:[0,1]
	v_mov_b32_e32 v17, v12
	v_pk_add_f32 v[12:13], v[44:45], v[16:17] neg_lo:[0,1] neg_hi:[0,1]
	v_cvt_f32_i32_e32 v14, v46
	v_add_f32_e32 v13, v47, v13
	v_add_f32_e32 v12, v12, v13
	;; [unrolled: 1-line block ×4, first 2 shown]
	v_sub_f32_e32 v13, v15, v51
	v_mul_f32_e32 v12, v49, v12
	v_sub_f32_e32 v13, v50, v13
	v_add_f32_e32 v12, v13, v12
	v_add_f32_e32 v16, v15, v12
	v_mul_f32_e32 v44, v16, v16
	v_mov_b32_e32 v13, 0x3ecc95a3
	v_sub_f32_e32 v15, v16, v15
	v_fmac_f32_e32 v13, 0x3e9b6dac, v44
	v_sub_f32_e32 v12, v12, v15
	v_fmaak_f32 v13, v44, v13, 0x3f2aaada
	v_ldexp_f32 v45, v12, 1
	v_mul_f32_e32 v15, v16, v44
	v_mov_b32_e32 v12, 0x3f317218
	v_pk_mul_f32 v[12:13], v[14:15], v[12:13]
	v_ldexp_f32 v17, v16, 1
	v_fma_f32 v15, v14, s3, -v12
	v_fmamk_f32 v16, v14, 0xb102e308, v15
	v_pk_add_f32 v[14:15], v[12:13], v[16:17]
	v_mov_b32_e32 v44, v12
	v_sub_f32_e32 v17, v15, v17
	v_sub_f32_e32 v17, v13, v17
	v_add_f32_e32 v45, v45, v17
	v_pk_add_f32 v[12:13], v[14:15], v[12:13] neg_lo:[0,1] neg_hi:[0,1]
	v_pk_add_f32 v[46:47], v[14:15], v[44:45]
	v_mov_b32_e32 v17, v14
	v_mov_b32_e32 v13, v47
	v_pk_add_f32 v[48:49], v[16:17], v[12:13] neg_lo:[0,1] neg_hi:[0,1]
	v_pk_add_f32 v[12:13], v[16:17], v[12:13]
	v_mov_b32_e32 v44, v45
	v_pk_add_f32 v[16:17], v[12:13], v[14:15] op_sel:[1,0] op_sel_hi:[0,1] neg_lo:[0,1] neg_hi:[0,1]
	v_pk_add_f32 v[50:51], v[46:47], v[16:17] op_sel_hi:[1,0] neg_lo:[0,1] neg_hi:[0,1]
	v_mov_b32_e32 v46, v47
	v_mov_b32_e32 v47, v13
	v_pk_mov_b32 v[16:17], v[14:15], v[16:17] op_sel:[1,0]
	v_mov_b32_e32 v45, v14
	v_pk_add_f32 v[16:17], v[46:47], v[16:17] neg_lo:[0,1] neg_hi:[0,1]
	v_mov_b32_e32 v50, v48
	v_pk_add_f32 v[14:15], v[44:45], v[16:17] neg_lo:[0,1] neg_hi:[0,1]
	v_mov_b32_e32 v49, v13
	v_pk_add_f32 v[16:17], v[50:51], v[14:15]
	s_mov_b32 s3, 0x33800000
	v_pk_add_f32 v[44:45], v[16:17], v[16:17] op_sel:[0,1] op_sel_hi:[1,0]
	s_nop 0
	v_pk_add_f32 v[12:13], v[12:13], v[44:45] op_sel:[1,0] op_sel_hi:[0,1]
	v_mov_b32_e32 v17, v12
	v_pk_add_f32 v[46:47], v[16:17], v[48:49] neg_lo:[0,1] neg_hi:[0,1]
	v_mov_b32_e32 v15, v44
	v_sub_f32_e32 v13, v16, v46
	v_pk_add_f32 v[14:15], v[14:15], v[46:47] neg_lo:[0,1] neg_hi:[0,1]
	v_sub_f32_e32 v13, v48, v13
	v_add_f32_e32 v13, v14, v13
	v_add_f32_e32 v13, v13, v15
	;; [unrolled: 1-line block ×3, first 2 shown]
	v_cndmask_b32_e64 v12, v52, v12, s[34:35]
	v_cmp_lt_f32_e64 s[34:35], |v53|, s3
	s_nop 1
	v_cndmask_b32_e64 v12, v12, v53, s[34:35]
	v_add_f32_e32 v12, v11, v12
.LBB88_77:
	s_or_b64 exec, exec, s[36:37]
	v_mov_b32_e32 v11, v12
.LBB88_78:
	s_or_b64 exec, exec, s[42:43]
	s_nop 0
	v_mov_b32_dpp v12, v11 row_shr:8 row_mask:0xf bank_mask:0xf
	v_cmp_lt_u32_e64 s[34:35], 7, v10
	s_and_saveexec_b64 s[42:43], s[34:35]
	s_cbranch_execz .LBB88_82
; %bb.79:
	v_max_f32_e32 v10, v11, v11
	v_max_f32_e32 v14, v12, v12
	v_min_f32_e32 v13, v14, v10
	v_cmp_u_f32_e64 s[34:35], v12, v12
	v_max_f32_e32 v10, v14, v10
	v_cmp_u_f32_e64 s[36:37], v11, v11
	v_cndmask_b32_e64 v13, v13, v12, s[34:35]
	v_cndmask_b32_e64 v10, v10, v12, s[34:35]
	;; [unrolled: 1-line block ×4, first 2 shown]
	s_movk_i32 s3, 0x1f8
	v_cmp_neq_f32_e64 s[34:35], v13, v10
	v_cmp_class_f32_e64 s[36:37], v13, s3
	s_or_b64 s[34:35], s[34:35], s[36:37]
	s_and_saveexec_b64 s[36:37], s[34:35]
	s_cbranch_execz .LBB88_81
; %bb.80:
	v_sub_f32_e32 v11, v13, v10
	s_mov_b32 s3, 0x3fb8aa3b
	v_mul_f32_e32 v12, 0x3fb8aa3b, v11
	v_fma_f32 v13, v11, s3, -v12
	v_rndne_f32_e32 v14, v12
	v_fmamk_f32 v13, v11, 0x32a5705f, v13
	v_sub_f32_e32 v12, v12, v14
	v_add_f32_e32 v12, v12, v13
	v_exp_f32_e32 v12, v12
	v_cvt_i32_f32_e32 v13, v14
	s_mov_b32 s3, 0xc2ce8ed0
	v_cmp_ngt_f32_e64 s[34:35], s3, v11
	s_mov_b32 s3, 0x42b17218
	v_ldexp_f32 v12, v12, v13
	v_cndmask_b32_e64 v12, 0, v12, s[34:35]
	v_mov_b32_e32 v52, 0x7f800000
	v_cmp_nlt_f32_e64 s[34:35], s3, v11
	s_mov_b32 s3, 0x3f2aaaab
	s_mov_b32 s54, 0x7f800000
	v_cndmask_b32_e64 v11, v52, v12, s[34:35]
	v_add_f32_e32 v14, 1.0, v11
	v_add_f32_e32 v12, -1.0, v14
	v_sub_f32_e32 v13, v12, v14
	v_add_f32_e32 v13, 1.0, v13
	v_sub_f32_e32 v12, v11, v12
	v_add_f32_e32 v15, v12, v13
	v_frexp_mant_f32_e32 v16, v14
	v_cvt_f64_f32_e32 v[12:13], v14
	v_frexp_exp_i32_f64_e32 v12, v[12:13]
	v_cmp_gt_f32_e64 s[34:35], s3, v16
	s_mov_b32 s3, 0x3f317218
	s_nop 0
	v_subbrev_co_u32_e64 v46, s[34:35], 0, v12, s[34:35]
	v_sub_u32_e32 v12, 0, v46
	v_ldexp_f32 v13, v14, v12
	v_add_f32_e32 v14, -1.0, v13
	v_add_f32_e32 v16, 1.0, v13
	v_ldexp_f32 v12, v15, v12
	v_add_f32_e32 v15, 1.0, v14
	v_add_f32_e32 v17, -1.0, v16
	v_sub_f32_e32 v15, v13, v15
	v_sub_f32_e32 v13, v13, v17
	v_add_f32_e32 v15, v12, v15
	v_add_f32_e32 v12, v12, v13
	;; [unrolled: 1-line block ×3, first 2 shown]
	v_rcp_f32_e32 v49, v47
	v_sub_f32_e32 v13, v16, v47
	v_add_f32_e32 v48, v12, v13
	v_add_f32_e32 v13, v14, v15
	v_mul_f32_e32 v51, v13, v49
	v_sub_f32_e32 v12, v14, v13
	v_mul_f32_e32 v14, v47, v51
	v_fma_f32 v16, v51, v47, -v14
	v_fmac_f32_e32 v16, v51, v48
	v_add_f32_e32 v50, v15, v12
	v_add_f32_e32 v12, v14, v16
	v_sub_f32_e32 v15, v13, v12
	v_pk_add_f32 v[44:45], v[12:13], v[14:15] neg_lo:[0,1] neg_hi:[0,1]
	v_mov_b32_e32 v17, v12
	v_pk_add_f32 v[12:13], v[44:45], v[16:17] neg_lo:[0,1] neg_hi:[0,1]
	v_cmp_neq_f32_e64 s[34:35], s54, v11
	v_add_f32_e32 v13, v50, v13
	v_add_f32_e32 v12, v12, v13
	;; [unrolled: 1-line block ×3, first 2 shown]
	v_mul_f32_e32 v50, v49, v13
	v_mul_f32_e32 v14, v47, v50
	v_fma_f32 v16, v50, v47, -v14
	v_fmac_f32_e32 v16, v50, v48
	v_sub_f32_e32 v15, v15, v13
	v_add_f32_e32 v47, v12, v15
	v_add_f32_e32 v12, v14, v16
	v_sub_f32_e32 v15, v13, v12
	v_pk_add_f32 v[44:45], v[12:13], v[14:15] neg_lo:[0,1] neg_hi:[0,1]
	v_mov_b32_e32 v17, v12
	v_pk_add_f32 v[12:13], v[44:45], v[16:17] neg_lo:[0,1] neg_hi:[0,1]
	v_cvt_f32_i32_e32 v14, v46
	v_add_f32_e32 v13, v47, v13
	v_add_f32_e32 v12, v12, v13
	;; [unrolled: 1-line block ×4, first 2 shown]
	v_sub_f32_e32 v13, v15, v51
	v_mul_f32_e32 v12, v49, v12
	v_sub_f32_e32 v13, v50, v13
	v_add_f32_e32 v12, v13, v12
	v_add_f32_e32 v16, v15, v12
	v_mul_f32_e32 v44, v16, v16
	v_mov_b32_e32 v13, 0x3ecc95a3
	v_sub_f32_e32 v15, v16, v15
	v_fmac_f32_e32 v13, 0x3e9b6dac, v44
	v_sub_f32_e32 v12, v12, v15
	v_fmaak_f32 v13, v44, v13, 0x3f2aaada
	v_ldexp_f32 v45, v12, 1
	v_mul_f32_e32 v15, v16, v44
	v_mov_b32_e32 v12, 0x3f317218
	v_pk_mul_f32 v[12:13], v[14:15], v[12:13]
	v_ldexp_f32 v17, v16, 1
	v_fma_f32 v15, v14, s3, -v12
	v_fmamk_f32 v16, v14, 0xb102e308, v15
	v_pk_add_f32 v[14:15], v[12:13], v[16:17]
	v_mov_b32_e32 v44, v12
	v_sub_f32_e32 v17, v15, v17
	v_sub_f32_e32 v17, v13, v17
	v_add_f32_e32 v45, v45, v17
	v_pk_add_f32 v[12:13], v[14:15], v[12:13] neg_lo:[0,1] neg_hi:[0,1]
	v_pk_add_f32 v[46:47], v[14:15], v[44:45]
	v_mov_b32_e32 v17, v14
	v_mov_b32_e32 v13, v47
	v_pk_add_f32 v[48:49], v[16:17], v[12:13] neg_lo:[0,1] neg_hi:[0,1]
	v_pk_add_f32 v[12:13], v[16:17], v[12:13]
	v_mov_b32_e32 v44, v45
	v_pk_add_f32 v[16:17], v[12:13], v[14:15] op_sel:[1,0] op_sel_hi:[0,1] neg_lo:[0,1] neg_hi:[0,1]
	v_pk_add_f32 v[50:51], v[46:47], v[16:17] op_sel_hi:[1,0] neg_lo:[0,1] neg_hi:[0,1]
	v_mov_b32_e32 v46, v47
	v_mov_b32_e32 v47, v13
	v_pk_mov_b32 v[16:17], v[14:15], v[16:17] op_sel:[1,0]
	v_mov_b32_e32 v45, v14
	v_pk_add_f32 v[16:17], v[46:47], v[16:17] neg_lo:[0,1] neg_hi:[0,1]
	v_mov_b32_e32 v50, v48
	v_pk_add_f32 v[14:15], v[44:45], v[16:17] neg_lo:[0,1] neg_hi:[0,1]
	v_mov_b32_e32 v49, v13
	v_pk_add_f32 v[16:17], v[50:51], v[14:15]
	s_mov_b32 s3, 0x33800000
	v_pk_add_f32 v[44:45], v[16:17], v[16:17] op_sel:[0,1] op_sel_hi:[1,0]
	s_nop 0
	v_pk_add_f32 v[12:13], v[12:13], v[44:45] op_sel:[1,0] op_sel_hi:[0,1]
	v_mov_b32_e32 v17, v12
	v_pk_add_f32 v[46:47], v[16:17], v[48:49] neg_lo:[0,1] neg_hi:[0,1]
	v_mov_b32_e32 v15, v44
	v_sub_f32_e32 v13, v16, v46
	v_pk_add_f32 v[14:15], v[14:15], v[46:47] neg_lo:[0,1] neg_hi:[0,1]
	v_sub_f32_e32 v13, v48, v13
	v_add_f32_e32 v13, v14, v13
	v_add_f32_e32 v13, v13, v15
	;; [unrolled: 1-line block ×3, first 2 shown]
	v_cndmask_b32_e64 v12, v52, v12, s[34:35]
	v_cmp_lt_f32_e64 s[34:35], |v11|, s3
	s_nop 1
	v_cndmask_b32_e64 v11, v12, v11, s[34:35]
	v_add_f32_e32 v12, v10, v11
.LBB88_81:
	s_or_b64 exec, exec, s[36:37]
	v_mov_b32_e32 v11, v12
.LBB88_82:
	s_or_b64 exec, exec, s[42:43]
	v_and_b32_e32 v10, 16, v7
	v_mov_b32_dpp v12, v11 row_bcast:15 row_mask:0xf bank_mask:0xf
	v_cmp_ne_u32_e64 s[34:35], 0, v10
	s_and_saveexec_b64 s[42:43], s[34:35]
	s_cbranch_execz .LBB88_86
; %bb.83:
	v_max_f32_e32 v10, v11, v11
	v_max_f32_e32 v14, v12, v12
	v_min_f32_e32 v13, v14, v10
	v_cmp_u_f32_e64 s[34:35], v12, v12
	v_max_f32_e32 v10, v14, v10
	v_cmp_u_f32_e64 s[36:37], v11, v11
	v_cndmask_b32_e64 v13, v13, v12, s[34:35]
	v_cndmask_b32_e64 v10, v10, v12, s[34:35]
	;; [unrolled: 1-line block ×4, first 2 shown]
	s_movk_i32 s3, 0x1f8
	v_cmp_neq_f32_e64 s[34:35], v13, v10
	v_cmp_class_f32_e64 s[36:37], v13, s3
	s_or_b64 s[34:35], s[34:35], s[36:37]
	s_and_saveexec_b64 s[36:37], s[34:35]
	s_cbranch_execz .LBB88_85
; %bb.84:
	v_sub_f32_e32 v11, v13, v10
	s_mov_b32 s3, 0x3fb8aa3b
	v_mul_f32_e32 v12, 0x3fb8aa3b, v11
	v_fma_f32 v13, v11, s3, -v12
	v_rndne_f32_e32 v14, v12
	v_fmamk_f32 v13, v11, 0x32a5705f, v13
	v_sub_f32_e32 v12, v12, v14
	v_add_f32_e32 v12, v12, v13
	v_exp_f32_e32 v12, v12
	v_cvt_i32_f32_e32 v13, v14
	s_mov_b32 s3, 0xc2ce8ed0
	v_cmp_ngt_f32_e64 s[34:35], s3, v11
	s_mov_b32 s3, 0x42b17218
	v_ldexp_f32 v12, v12, v13
	v_cndmask_b32_e64 v12, 0, v12, s[34:35]
	v_mov_b32_e32 v52, 0x7f800000
	v_cmp_nlt_f32_e64 s[34:35], s3, v11
	s_mov_b32 s3, 0x3f2aaaab
	s_mov_b32 s54, 0x7f800000
	v_cndmask_b32_e64 v11, v52, v12, s[34:35]
	v_add_f32_e32 v14, 1.0, v11
	v_add_f32_e32 v12, -1.0, v14
	v_sub_f32_e32 v13, v12, v14
	v_add_f32_e32 v13, 1.0, v13
	v_sub_f32_e32 v12, v11, v12
	v_add_f32_e32 v15, v12, v13
	v_frexp_mant_f32_e32 v16, v14
	v_cvt_f64_f32_e32 v[12:13], v14
	v_frexp_exp_i32_f64_e32 v12, v[12:13]
	v_cmp_gt_f32_e64 s[34:35], s3, v16
	s_mov_b32 s3, 0x3f317218
	s_nop 0
	v_subbrev_co_u32_e64 v46, s[34:35], 0, v12, s[34:35]
	v_sub_u32_e32 v12, 0, v46
	v_ldexp_f32 v13, v14, v12
	v_add_f32_e32 v14, -1.0, v13
	v_add_f32_e32 v16, 1.0, v13
	v_ldexp_f32 v12, v15, v12
	v_add_f32_e32 v15, 1.0, v14
	v_add_f32_e32 v17, -1.0, v16
	v_sub_f32_e32 v15, v13, v15
	v_sub_f32_e32 v13, v13, v17
	v_add_f32_e32 v15, v12, v15
	v_add_f32_e32 v12, v12, v13
	;; [unrolled: 1-line block ×3, first 2 shown]
	v_rcp_f32_e32 v49, v47
	v_sub_f32_e32 v13, v16, v47
	v_add_f32_e32 v48, v12, v13
	v_add_f32_e32 v13, v14, v15
	v_mul_f32_e32 v51, v13, v49
	v_sub_f32_e32 v12, v14, v13
	v_mul_f32_e32 v14, v47, v51
	v_fma_f32 v16, v51, v47, -v14
	v_fmac_f32_e32 v16, v51, v48
	v_add_f32_e32 v50, v15, v12
	v_add_f32_e32 v12, v14, v16
	v_sub_f32_e32 v15, v13, v12
	v_pk_add_f32 v[44:45], v[12:13], v[14:15] neg_lo:[0,1] neg_hi:[0,1]
	v_mov_b32_e32 v17, v12
	v_pk_add_f32 v[12:13], v[44:45], v[16:17] neg_lo:[0,1] neg_hi:[0,1]
	v_cmp_neq_f32_e64 s[34:35], s54, v11
	v_add_f32_e32 v13, v50, v13
	v_add_f32_e32 v12, v12, v13
	;; [unrolled: 1-line block ×3, first 2 shown]
	v_mul_f32_e32 v50, v49, v13
	v_mul_f32_e32 v14, v47, v50
	v_fma_f32 v16, v50, v47, -v14
	v_fmac_f32_e32 v16, v50, v48
	v_sub_f32_e32 v15, v15, v13
	v_add_f32_e32 v47, v12, v15
	v_add_f32_e32 v12, v14, v16
	v_sub_f32_e32 v15, v13, v12
	v_pk_add_f32 v[44:45], v[12:13], v[14:15] neg_lo:[0,1] neg_hi:[0,1]
	v_mov_b32_e32 v17, v12
	v_pk_add_f32 v[12:13], v[44:45], v[16:17] neg_lo:[0,1] neg_hi:[0,1]
	v_cvt_f32_i32_e32 v14, v46
	v_add_f32_e32 v13, v47, v13
	v_add_f32_e32 v12, v12, v13
	;; [unrolled: 1-line block ×4, first 2 shown]
	v_sub_f32_e32 v13, v15, v51
	v_mul_f32_e32 v12, v49, v12
	v_sub_f32_e32 v13, v50, v13
	v_add_f32_e32 v12, v13, v12
	v_add_f32_e32 v16, v15, v12
	v_mul_f32_e32 v44, v16, v16
	v_mov_b32_e32 v13, 0x3ecc95a3
	v_sub_f32_e32 v15, v16, v15
	v_fmac_f32_e32 v13, 0x3e9b6dac, v44
	v_sub_f32_e32 v12, v12, v15
	v_fmaak_f32 v13, v44, v13, 0x3f2aaada
	v_ldexp_f32 v45, v12, 1
	v_mul_f32_e32 v15, v16, v44
	v_mov_b32_e32 v12, 0x3f317218
	v_pk_mul_f32 v[12:13], v[14:15], v[12:13]
	v_ldexp_f32 v17, v16, 1
	v_fma_f32 v15, v14, s3, -v12
	v_fmamk_f32 v16, v14, 0xb102e308, v15
	v_pk_add_f32 v[14:15], v[12:13], v[16:17]
	v_mov_b32_e32 v44, v12
	v_sub_f32_e32 v17, v15, v17
	v_sub_f32_e32 v17, v13, v17
	v_add_f32_e32 v45, v45, v17
	v_pk_add_f32 v[12:13], v[14:15], v[12:13] neg_lo:[0,1] neg_hi:[0,1]
	v_pk_add_f32 v[46:47], v[14:15], v[44:45]
	v_mov_b32_e32 v17, v14
	v_mov_b32_e32 v13, v47
	v_pk_add_f32 v[48:49], v[16:17], v[12:13] neg_lo:[0,1] neg_hi:[0,1]
	v_pk_add_f32 v[12:13], v[16:17], v[12:13]
	v_mov_b32_e32 v44, v45
	v_pk_add_f32 v[16:17], v[12:13], v[14:15] op_sel:[1,0] op_sel_hi:[0,1] neg_lo:[0,1] neg_hi:[0,1]
	v_pk_add_f32 v[50:51], v[46:47], v[16:17] op_sel_hi:[1,0] neg_lo:[0,1] neg_hi:[0,1]
	v_mov_b32_e32 v46, v47
	v_mov_b32_e32 v47, v13
	v_pk_mov_b32 v[16:17], v[14:15], v[16:17] op_sel:[1,0]
	v_mov_b32_e32 v45, v14
	v_pk_add_f32 v[16:17], v[46:47], v[16:17] neg_lo:[0,1] neg_hi:[0,1]
	v_mov_b32_e32 v50, v48
	v_pk_add_f32 v[14:15], v[44:45], v[16:17] neg_lo:[0,1] neg_hi:[0,1]
	v_mov_b32_e32 v49, v13
	v_pk_add_f32 v[16:17], v[50:51], v[14:15]
	s_mov_b32 s3, 0x33800000
	v_pk_add_f32 v[44:45], v[16:17], v[16:17] op_sel:[0,1] op_sel_hi:[1,0]
	s_nop 0
	v_pk_add_f32 v[12:13], v[12:13], v[44:45] op_sel:[1,0] op_sel_hi:[0,1]
	v_mov_b32_e32 v17, v12
	v_pk_add_f32 v[46:47], v[16:17], v[48:49] neg_lo:[0,1] neg_hi:[0,1]
	v_mov_b32_e32 v15, v44
	v_sub_f32_e32 v13, v16, v46
	v_pk_add_f32 v[14:15], v[14:15], v[46:47] neg_lo:[0,1] neg_hi:[0,1]
	v_sub_f32_e32 v13, v48, v13
	v_add_f32_e32 v13, v14, v13
	v_add_f32_e32 v13, v13, v15
	;; [unrolled: 1-line block ×3, first 2 shown]
	v_cndmask_b32_e64 v12, v52, v12, s[34:35]
	v_cmp_lt_f32_e64 s[34:35], |v11|, s3
	s_nop 1
	v_cndmask_b32_e64 v11, v12, v11, s[34:35]
	v_add_f32_e32 v12, v10, v11
.LBB88_85:
	s_or_b64 exec, exec, s[36:37]
	v_mov_b32_e32 v11, v12
.LBB88_86:
	s_or_b64 exec, exec, s[42:43]
	s_nop 0
	v_mov_b32_dpp v12, v11 row_bcast:31 row_mask:0xf bank_mask:0xf
	v_cmp_lt_u32_e64 s[34:35], 31, v7
	s_and_saveexec_b64 s[42:43], s[34:35]
	s_cbranch_execz .LBB88_90
; %bb.87:
	v_max_f32_e32 v10, v11, v11
	v_max_f32_e32 v14, v12, v12
	v_min_f32_e32 v13, v14, v10
	v_cmp_u_f32_e64 s[34:35], v12, v12
	v_max_f32_e32 v10, v14, v10
	v_cmp_u_f32_e64 s[36:37], v11, v11
	v_cndmask_b32_e64 v13, v13, v12, s[34:35]
	v_cndmask_b32_e64 v10, v10, v12, s[34:35]
	;; [unrolled: 1-line block ×4, first 2 shown]
	s_movk_i32 s3, 0x1f8
	v_cmp_neq_f32_e64 s[34:35], v13, v10
	v_cmp_class_f32_e64 s[36:37], v13, s3
	s_or_b64 s[34:35], s[34:35], s[36:37]
	s_and_saveexec_b64 s[36:37], s[34:35]
	s_cbranch_execz .LBB88_89
; %bb.88:
	v_sub_f32_e32 v11, v13, v10
	s_mov_b32 s3, 0x3fb8aa3b
	v_mul_f32_e32 v12, 0x3fb8aa3b, v11
	v_fma_f32 v13, v11, s3, -v12
	v_rndne_f32_e32 v14, v12
	v_fmamk_f32 v13, v11, 0x32a5705f, v13
	v_sub_f32_e32 v12, v12, v14
	v_add_f32_e32 v12, v12, v13
	v_exp_f32_e32 v12, v12
	v_cvt_i32_f32_e32 v13, v14
	s_mov_b32 s3, 0xc2ce8ed0
	v_cmp_ngt_f32_e64 s[34:35], s3, v11
	s_mov_b32 s3, 0x42b17218
	v_ldexp_f32 v12, v12, v13
	v_cndmask_b32_e64 v12, 0, v12, s[34:35]
	v_mov_b32_e32 v52, 0x7f800000
	v_cmp_nlt_f32_e64 s[34:35], s3, v11
	s_mov_b32 s3, 0x3f2aaaab
	s_mov_b32 s54, 0x7f800000
	v_cndmask_b32_e64 v11, v52, v12, s[34:35]
	v_add_f32_e32 v14, 1.0, v11
	v_add_f32_e32 v12, -1.0, v14
	v_sub_f32_e32 v13, v12, v14
	v_add_f32_e32 v13, 1.0, v13
	v_sub_f32_e32 v12, v11, v12
	v_add_f32_e32 v15, v12, v13
	v_frexp_mant_f32_e32 v16, v14
	v_cvt_f64_f32_e32 v[12:13], v14
	v_frexp_exp_i32_f64_e32 v12, v[12:13]
	v_cmp_gt_f32_e64 s[34:35], s3, v16
	s_mov_b32 s3, 0x3f317218
	s_nop 0
	v_subbrev_co_u32_e64 v46, s[34:35], 0, v12, s[34:35]
	v_sub_u32_e32 v12, 0, v46
	v_ldexp_f32 v13, v14, v12
	v_add_f32_e32 v14, -1.0, v13
	v_add_f32_e32 v16, 1.0, v13
	v_ldexp_f32 v12, v15, v12
	v_add_f32_e32 v15, 1.0, v14
	v_add_f32_e32 v17, -1.0, v16
	v_sub_f32_e32 v15, v13, v15
	v_sub_f32_e32 v13, v13, v17
	v_add_f32_e32 v15, v12, v15
	v_add_f32_e32 v12, v12, v13
	;; [unrolled: 1-line block ×3, first 2 shown]
	v_rcp_f32_e32 v49, v47
	v_sub_f32_e32 v13, v16, v47
	v_add_f32_e32 v48, v12, v13
	v_add_f32_e32 v13, v14, v15
	v_mul_f32_e32 v51, v13, v49
	v_sub_f32_e32 v12, v14, v13
	v_mul_f32_e32 v14, v47, v51
	v_fma_f32 v16, v51, v47, -v14
	v_fmac_f32_e32 v16, v51, v48
	v_add_f32_e32 v50, v15, v12
	v_add_f32_e32 v12, v14, v16
	v_sub_f32_e32 v15, v13, v12
	v_pk_add_f32 v[44:45], v[12:13], v[14:15] neg_lo:[0,1] neg_hi:[0,1]
	v_mov_b32_e32 v17, v12
	v_pk_add_f32 v[12:13], v[44:45], v[16:17] neg_lo:[0,1] neg_hi:[0,1]
	v_cmp_neq_f32_e64 s[34:35], s54, v11
	v_add_f32_e32 v13, v50, v13
	v_add_f32_e32 v12, v12, v13
	;; [unrolled: 1-line block ×3, first 2 shown]
	v_mul_f32_e32 v50, v49, v13
	v_mul_f32_e32 v14, v47, v50
	v_fma_f32 v16, v50, v47, -v14
	v_fmac_f32_e32 v16, v50, v48
	v_sub_f32_e32 v15, v15, v13
	v_add_f32_e32 v47, v12, v15
	v_add_f32_e32 v12, v14, v16
	v_sub_f32_e32 v15, v13, v12
	v_pk_add_f32 v[44:45], v[12:13], v[14:15] neg_lo:[0,1] neg_hi:[0,1]
	v_mov_b32_e32 v17, v12
	v_pk_add_f32 v[12:13], v[44:45], v[16:17] neg_lo:[0,1] neg_hi:[0,1]
	v_cvt_f32_i32_e32 v14, v46
	v_add_f32_e32 v13, v47, v13
	v_add_f32_e32 v12, v12, v13
	;; [unrolled: 1-line block ×4, first 2 shown]
	v_sub_f32_e32 v13, v15, v51
	v_mul_f32_e32 v12, v49, v12
	v_sub_f32_e32 v13, v50, v13
	v_add_f32_e32 v12, v13, v12
	v_add_f32_e32 v16, v15, v12
	v_mul_f32_e32 v44, v16, v16
	v_mov_b32_e32 v13, 0x3ecc95a3
	v_sub_f32_e32 v15, v16, v15
	v_fmac_f32_e32 v13, 0x3e9b6dac, v44
	v_sub_f32_e32 v12, v12, v15
	v_fmaak_f32 v13, v44, v13, 0x3f2aaada
	v_ldexp_f32 v45, v12, 1
	v_mul_f32_e32 v15, v16, v44
	v_mov_b32_e32 v12, 0x3f317218
	v_pk_mul_f32 v[12:13], v[14:15], v[12:13]
	v_ldexp_f32 v17, v16, 1
	v_fma_f32 v15, v14, s3, -v12
	v_fmamk_f32 v16, v14, 0xb102e308, v15
	v_pk_add_f32 v[14:15], v[12:13], v[16:17]
	v_mov_b32_e32 v44, v12
	v_sub_f32_e32 v17, v15, v17
	v_sub_f32_e32 v17, v13, v17
	v_add_f32_e32 v45, v45, v17
	v_pk_add_f32 v[12:13], v[14:15], v[12:13] neg_lo:[0,1] neg_hi:[0,1]
	v_pk_add_f32 v[46:47], v[14:15], v[44:45]
	v_mov_b32_e32 v17, v14
	v_mov_b32_e32 v13, v47
	v_pk_add_f32 v[48:49], v[16:17], v[12:13] neg_lo:[0,1] neg_hi:[0,1]
	v_pk_add_f32 v[12:13], v[16:17], v[12:13]
	v_mov_b32_e32 v44, v45
	v_pk_add_f32 v[16:17], v[12:13], v[14:15] op_sel:[1,0] op_sel_hi:[0,1] neg_lo:[0,1] neg_hi:[0,1]
	v_pk_add_f32 v[50:51], v[46:47], v[16:17] op_sel_hi:[1,0] neg_lo:[0,1] neg_hi:[0,1]
	v_mov_b32_e32 v46, v47
	v_mov_b32_e32 v47, v13
	v_pk_mov_b32 v[16:17], v[14:15], v[16:17] op_sel:[1,0]
	v_mov_b32_e32 v45, v14
	v_pk_add_f32 v[16:17], v[46:47], v[16:17] neg_lo:[0,1] neg_hi:[0,1]
	v_mov_b32_e32 v50, v48
	v_pk_add_f32 v[14:15], v[44:45], v[16:17] neg_lo:[0,1] neg_hi:[0,1]
	v_mov_b32_e32 v49, v13
	v_pk_add_f32 v[16:17], v[50:51], v[14:15]
	s_mov_b32 s3, 0x33800000
	v_pk_add_f32 v[44:45], v[16:17], v[16:17] op_sel:[0,1] op_sel_hi:[1,0]
	s_nop 0
	v_pk_add_f32 v[12:13], v[12:13], v[44:45] op_sel:[1,0] op_sel_hi:[0,1]
	v_mov_b32_e32 v17, v12
	v_pk_add_f32 v[46:47], v[16:17], v[48:49] neg_lo:[0,1] neg_hi:[0,1]
	v_mov_b32_e32 v15, v44
	v_sub_f32_e32 v13, v16, v46
	v_pk_add_f32 v[14:15], v[14:15], v[46:47] neg_lo:[0,1] neg_hi:[0,1]
	v_sub_f32_e32 v13, v48, v13
	v_add_f32_e32 v13, v14, v13
	v_add_f32_e32 v13, v13, v15
	v_add_f32_e32 v12, v12, v13
	v_cndmask_b32_e64 v12, v52, v12, s[34:35]
	v_cmp_lt_f32_e64 s[34:35], |v11|, s3
	s_nop 1
	v_cndmask_b32_e64 v11, v12, v11, s[34:35]
	v_add_f32_e32 v12, v10, v11
.LBB88_89:
	s_or_b64 exec, exec, s[36:37]
	v_mov_b32_e32 v11, v12
.LBB88_90:
	s_or_b64 exec, exec, s[42:43]
	v_add_u32_e32 v10, -1, v7
	v_and_b32_e32 v12, 64, v7
	v_cmp_lt_i32_e64 s[34:35], v10, v12
	s_movk_i32 s3, 0x1f8
	s_nop 0
	v_cndmask_b32_e64 v7, v10, v7, s[34:35]
	v_lshlrev_b32_e32 v7, 2, v7
	ds_bpermute_b32 v7, v7, v11
	s_waitcnt lgkmcnt(0)
	v_max_f32_e32 v10, v7, v7
	v_min_f32_e32 v11, v10, v9
	v_max_f32_e32 v10, v10, v9
	v_cmp_u_f32_e64 s[34:35], v7, v7
	s_nop 1
	v_cndmask_b32_e64 v9, v11, v7, s[34:35]
	v_cndmask_b32_e64 v10, v10, v7, s[34:35]
	;; [unrolled: 1-line block ×4, first 2 shown]
	v_cmp_neq_f32_e64 s[30:31], v9, v6
	v_cmp_class_f32_e64 s[34:35], v9, s3
	s_or_b64 s[30:31], s[30:31], s[34:35]
	s_and_saveexec_b64 s[34:35], s[30:31]
	s_cbranch_execz .LBB88_92
; %bb.91:
	v_sub_f32_e32 v7, v9, v6
	s_mov_b32 s30, 0x3fb8aa3b
	v_mul_f32_e32 v9, 0x3fb8aa3b, v7
	v_fma_f32 v10, v7, s30, -v9
	v_rndne_f32_e32 v11, v9
	v_fmamk_f32 v10, v7, 0x32a5705f, v10
	v_sub_f32_e32 v9, v9, v11
	v_add_f32_e32 v9, v9, v10
	v_exp_f32_e32 v9, v9
	v_cvt_i32_f32_e32 v10, v11
	s_mov_b32 s30, 0xc2ce8ed0
	v_cmp_ngt_f32_e64 s[30:31], s30, v7
	v_mov_b32_e32 v50, 0x7f800000
	v_ldexp_f32 v9, v9, v10
	v_cndmask_b32_e64 v9, 0, v9, s[30:31]
	s_mov_b32 s30, 0x42b17218
	v_cmp_nlt_f32_e64 s[30:31], s30, v7
	s_mov_b32 s36, 0x7f800000
	s_nop 0
	v_cndmask_b32_e64 v7, v50, v9, s[30:31]
	v_add_f32_e32 v9, 1.0, v7
	v_add_f32_e32 v10, -1.0, v9
	v_sub_f32_e32 v11, v10, v9
	v_add_f32_e32 v11, 1.0, v11
	v_sub_f32_e32 v10, v7, v10
	v_add_f32_e32 v12, v10, v11
	v_frexp_mant_f32_e32 v13, v9
	s_mov_b32 s30, 0x3f2aaaab
	v_cvt_f64_f32_e32 v[10:11], v9
	v_frexp_exp_i32_f64_e32 v10, v[10:11]
	v_cmp_gt_f32_e64 s[30:31], s30, v13
	s_nop 1
	v_subbrev_co_u32_e64 v44, s[30:31], 0, v10, s[30:31]
	v_sub_u32_e32 v10, 0, v44
	v_ldexp_f32 v9, v9, v10
	v_ldexp_f32 v10, v12, v10
	v_add_f32_e32 v12, -1.0, v9
	v_add_f32_e32 v11, 1.0, v12
	v_sub_f32_e32 v11, v9, v11
	v_add_f32_e32 v13, v10, v11
	v_add_f32_e32 v11, 1.0, v9
	v_add_f32_e32 v14, -1.0, v11
	v_sub_f32_e32 v9, v9, v14
	v_add_f32_e32 v9, v10, v9
	v_add_f32_e32 v45, v11, v9
	v_rcp_f32_e32 v46, v45
	v_sub_f32_e32 v10, v11, v45
	v_add_f32_e32 v11, v12, v13
	v_add_f32_e32 v9, v9, v10
	v_mul_f32_e32 v48, v11, v46
	v_sub_f32_e32 v10, v12, v11
	v_mul_f32_e32 v12, v45, v48
	v_fma_f32 v14, v48, v45, -v12
	v_fmac_f32_e32 v14, v48, v9
	v_add_f32_e32 v47, v13, v10
	v_add_f32_e32 v10, v12, v14
	v_sub_f32_e32 v13, v11, v10
	v_pk_add_f32 v[16:17], v[10:11], v[12:13] neg_lo:[0,1] neg_hi:[0,1]
	v_mov_b32_e32 v15, v10
	v_pk_add_f32 v[10:11], v[16:17], v[14:15] neg_lo:[0,1] neg_hi:[0,1]
	s_mov_b32 s30, 0x3f317218
	v_add_f32_e32 v11, v47, v11
	v_add_f32_e32 v10, v10, v11
	;; [unrolled: 1-line block ×3, first 2 shown]
	v_mul_f32_e32 v47, v46, v11
	v_mul_f32_e32 v12, v45, v47
	v_fma_f32 v14, v47, v45, -v12
	v_fmac_f32_e32 v14, v47, v9
	v_sub_f32_e32 v9, v13, v11
	v_add_f32_e32 v9, v10, v9
	v_add_f32_e32 v10, v12, v14
	v_sub_f32_e32 v13, v11, v10
	v_pk_add_f32 v[16:17], v[10:11], v[12:13] neg_lo:[0,1] neg_hi:[0,1]
	v_mov_b32_e32 v15, v10
	v_pk_add_f32 v[10:11], v[16:17], v[14:15] neg_lo:[0,1] neg_hi:[0,1]
	v_cvt_f32_i32_e32 v12, v44
	v_add_f32_e32 v9, v9, v11
	v_add_f32_e32 v9, v10, v9
	;; [unrolled: 1-line block ×4, first 2 shown]
	v_sub_f32_e32 v11, v10, v48
	v_mul_f32_e32 v9, v46, v9
	v_sub_f32_e32 v11, v47, v11
	v_add_f32_e32 v9, v11, v9
	v_add_f32_e32 v13, v10, v9
	v_mul_f32_e32 v14, v13, v13
	v_mov_b32_e32 v11, 0x3ecc95a3
	v_fmac_f32_e32 v11, 0x3e9b6dac, v14
	v_sub_f32_e32 v10, v13, v10
	v_fmaak_f32 v11, v14, v11, 0x3f2aaada
	v_sub_f32_e32 v9, v9, v10
	v_ldexp_f32 v15, v13, 1
	v_mul_f32_e32 v13, v13, v14
	v_mov_b32_e32 v10, 0x3f317218
	v_pk_mul_f32 v[10:11], v[12:13], v[10:11]
	v_ldexp_f32 v9, v9, 1
	v_fma_f32 v13, v12, s30, -v10
	v_fmamk_f32 v14, v12, 0xb102e308, v13
	v_pk_add_f32 v[12:13], v[10:11], v[14:15]
	v_mov_b32_e32 v16, v10
	v_sub_f32_e32 v15, v13, v15
	v_sub_f32_e32 v15, v11, v15
	v_add_f32_e32 v17, v9, v15
	v_pk_add_f32 v[10:11], v[12:13], v[10:11] neg_lo:[0,1] neg_hi:[0,1]
	v_pk_add_f32 v[44:45], v[12:13], v[16:17]
	v_mov_b32_e32 v15, v12
	v_mov_b32_e32 v11, v45
	v_pk_add_f32 v[46:47], v[14:15], v[10:11] neg_lo:[0,1] neg_hi:[0,1]
	v_pk_add_f32 v[10:11], v[14:15], v[10:11]
	v_mov_b32_e32 v16, v17
	v_pk_add_f32 v[14:15], v[10:11], v[12:13] op_sel:[1,0] op_sel_hi:[0,1] neg_lo:[0,1] neg_hi:[0,1]
	v_pk_add_f32 v[48:49], v[44:45], v[14:15] op_sel_hi:[1,0] neg_lo:[0,1] neg_hi:[0,1]
	v_mov_b32_e32 v44, v45
	v_mov_b32_e32 v45, v11
	v_pk_mov_b32 v[14:15], v[12:13], v[14:15] op_sel:[1,0]
	v_mov_b32_e32 v17, v12
	v_pk_add_f32 v[14:15], v[44:45], v[14:15] neg_lo:[0,1] neg_hi:[0,1]
	v_mov_b32_e32 v48, v46
	v_pk_add_f32 v[12:13], v[16:17], v[14:15] neg_lo:[0,1] neg_hi:[0,1]
	v_mov_b32_e32 v47, v11
	v_pk_add_f32 v[14:15], v[48:49], v[12:13]
	v_cmp_neq_f32_e64 s[30:31], s36, v7
	v_pk_add_f32 v[16:17], v[14:15], v[14:15] op_sel:[0,1] op_sel_hi:[1,0]
	s_nop 0
	v_pk_add_f32 v[10:11], v[10:11], v[16:17] op_sel:[1,0] op_sel_hi:[0,1]
	v_mov_b32_e32 v15, v10
	v_pk_add_f32 v[44:45], v[14:15], v[46:47] neg_lo:[0,1] neg_hi:[0,1]
	v_mov_b32_e32 v13, v16
	v_sub_f32_e32 v9, v14, v44
	v_pk_add_f32 v[12:13], v[12:13], v[44:45] neg_lo:[0,1] neg_hi:[0,1]
	v_sub_f32_e32 v9, v46, v9
	v_add_f32_e32 v9, v12, v9
	v_add_f32_e32 v9, v9, v13
	v_add_f32_e32 v9, v10, v9
	v_cndmask_b32_e64 v9, v50, v9, s[30:31]
	s_mov_b32 s30, 0x33800000
	v_cmp_lt_f32_e64 s[30:31], |v7|, s30
	s_nop 1
	v_cndmask_b32_e64 v7, v9, v7, s[30:31]
	v_add_f32_e32 v7, v6, v7
.LBB88_92:
	s_or_b64 exec, exec, s[34:35]
	v_cmp_eq_u32_e64 s[30:31], 0, v0
	; wave barrier
	s_nop 1
	v_cndmask_b32_e64 v7, v7, v43, s[30:31]
	ds_write_b32 v8, v7
	; wave barrier
	ds_read_b32 v6, v8 offset:4
	v_max_f32_e32 v10, v7, v7
	v_cmp_u_f32_e64 s[30:31], v7, v7
	s_waitcnt lgkmcnt(0)
	v_max_f32_e32 v11, v6, v6
	v_min_f32_e32 v9, v10, v11
	v_max_f32_e32 v10, v10, v11
	v_cndmask_b32_e64 v9, v9, v7, s[30:31]
	v_cmp_u_f32_e64 s[34:35], v6, v6
	v_cndmask_b32_e64 v10, v10, v7, s[30:31]
	s_nop 0
	v_cndmask_b32_e64 v9, v9, v6, s[34:35]
	v_cndmask_b32_e64 v6, v10, v6, s[34:35]
	v_cmp_neq_f32_e64 s[30:31], v9, v6
	v_cmp_class_f32_e64 s[34:35], v9, s3
	s_or_b64 s[30:31], s[30:31], s[34:35]
	s_and_saveexec_b64 s[34:35], s[30:31]
	s_cbranch_execz .LBB88_94
; %bb.93:
	v_sub_f32_e32 v7, v9, v6
	s_mov_b32 s3, 0x3fb8aa3b
	v_mul_f32_e32 v9, 0x3fb8aa3b, v7
	v_fma_f32 v10, v7, s3, -v9
	v_rndne_f32_e32 v11, v9
	v_fmamk_f32 v10, v7, 0x32a5705f, v10
	v_sub_f32_e32 v9, v9, v11
	v_add_f32_e32 v9, v9, v10
	v_exp_f32_e32 v9, v9
	v_cvt_i32_f32_e32 v10, v11
	s_mov_b32 s3, 0xc2ce8ed0
	v_cmp_ngt_f32_e64 s[30:31], s3, v7
	s_mov_b32 s3, 0x42b17218
	v_ldexp_f32 v9, v9, v10
	v_cndmask_b32_e64 v9, 0, v9, s[30:31]
	v_mov_b32_e32 v50, 0x7f800000
	v_cmp_nlt_f32_e64 s[30:31], s3, v7
	s_mov_b32 s3, 0x3f2aaaab
	s_mov_b32 s36, 0x7f800000
	v_cndmask_b32_e64 v7, v50, v9, s[30:31]
	v_add_f32_e32 v9, 1.0, v7
	v_add_f32_e32 v10, -1.0, v9
	v_sub_f32_e32 v11, v10, v9
	v_add_f32_e32 v11, 1.0, v11
	v_sub_f32_e32 v10, v7, v10
	v_add_f32_e32 v12, v10, v11
	v_frexp_mant_f32_e32 v13, v9
	v_cvt_f64_f32_e32 v[10:11], v9
	v_frexp_exp_i32_f64_e32 v10, v[10:11]
	v_cmp_gt_f32_e64 s[30:31], s3, v13
	s_mov_b32 s3, 0x3f317218
	s_nop 0
	v_subbrev_co_u32_e64 v44, s[30:31], 0, v10, s[30:31]
	v_sub_u32_e32 v10, 0, v44
	v_ldexp_f32 v9, v9, v10
	v_ldexp_f32 v10, v12, v10
	v_add_f32_e32 v12, -1.0, v9
	v_add_f32_e32 v11, 1.0, v12
	v_sub_f32_e32 v11, v9, v11
	v_add_f32_e32 v13, v10, v11
	v_add_f32_e32 v11, 1.0, v9
	v_add_f32_e32 v14, -1.0, v11
	v_sub_f32_e32 v9, v9, v14
	v_add_f32_e32 v9, v10, v9
	v_add_f32_e32 v45, v11, v9
	v_rcp_f32_e32 v46, v45
	v_sub_f32_e32 v10, v11, v45
	v_add_f32_e32 v11, v12, v13
	v_add_f32_e32 v9, v9, v10
	v_mul_f32_e32 v48, v11, v46
	v_sub_f32_e32 v10, v12, v11
	v_mul_f32_e32 v12, v45, v48
	v_fma_f32 v14, v48, v45, -v12
	v_fmac_f32_e32 v14, v48, v9
	v_add_f32_e32 v47, v13, v10
	v_add_f32_e32 v10, v12, v14
	v_sub_f32_e32 v13, v11, v10
	v_pk_add_f32 v[16:17], v[10:11], v[12:13] neg_lo:[0,1] neg_hi:[0,1]
	v_mov_b32_e32 v15, v10
	v_pk_add_f32 v[10:11], v[16:17], v[14:15] neg_lo:[0,1] neg_hi:[0,1]
	v_cmp_neq_f32_e64 s[30:31], s36, v7
	v_add_f32_e32 v11, v47, v11
	v_add_f32_e32 v10, v10, v11
	;; [unrolled: 1-line block ×3, first 2 shown]
	v_mul_f32_e32 v47, v46, v11
	v_mul_f32_e32 v12, v45, v47
	v_fma_f32 v14, v47, v45, -v12
	v_fmac_f32_e32 v14, v47, v9
	v_sub_f32_e32 v9, v13, v11
	v_add_f32_e32 v9, v10, v9
	v_add_f32_e32 v10, v12, v14
	v_sub_f32_e32 v13, v11, v10
	v_pk_add_f32 v[16:17], v[10:11], v[12:13] neg_lo:[0,1] neg_hi:[0,1]
	v_mov_b32_e32 v15, v10
	v_pk_add_f32 v[10:11], v[16:17], v[14:15] neg_lo:[0,1] neg_hi:[0,1]
	v_cvt_f32_i32_e32 v12, v44
	v_add_f32_e32 v9, v9, v11
	v_add_f32_e32 v9, v10, v9
	;; [unrolled: 1-line block ×4, first 2 shown]
	v_sub_f32_e32 v11, v10, v48
	v_mul_f32_e32 v9, v46, v9
	v_sub_f32_e32 v11, v47, v11
	v_add_f32_e32 v9, v11, v9
	v_add_f32_e32 v13, v10, v9
	v_mul_f32_e32 v14, v13, v13
	v_mov_b32_e32 v11, 0x3ecc95a3
	v_fmac_f32_e32 v11, 0x3e9b6dac, v14
	v_sub_f32_e32 v10, v13, v10
	v_fmaak_f32 v11, v14, v11, 0x3f2aaada
	v_sub_f32_e32 v9, v9, v10
	v_ldexp_f32 v15, v13, 1
	v_mul_f32_e32 v13, v13, v14
	v_mov_b32_e32 v10, 0x3f317218
	v_pk_mul_f32 v[10:11], v[12:13], v[10:11]
	v_ldexp_f32 v9, v9, 1
	v_fma_f32 v13, v12, s3, -v10
	v_fmamk_f32 v14, v12, 0xb102e308, v13
	v_pk_add_f32 v[12:13], v[10:11], v[14:15]
	v_mov_b32_e32 v16, v10
	v_sub_f32_e32 v15, v13, v15
	v_sub_f32_e32 v15, v11, v15
	v_add_f32_e32 v17, v9, v15
	v_pk_add_f32 v[10:11], v[12:13], v[10:11] neg_lo:[0,1] neg_hi:[0,1]
	v_pk_add_f32 v[44:45], v[12:13], v[16:17]
	v_mov_b32_e32 v15, v12
	v_mov_b32_e32 v11, v45
	v_pk_add_f32 v[46:47], v[14:15], v[10:11] neg_lo:[0,1] neg_hi:[0,1]
	v_pk_add_f32 v[10:11], v[14:15], v[10:11]
	v_mov_b32_e32 v16, v17
	v_pk_add_f32 v[14:15], v[10:11], v[12:13] op_sel:[1,0] op_sel_hi:[0,1] neg_lo:[0,1] neg_hi:[0,1]
	v_pk_add_f32 v[48:49], v[44:45], v[14:15] op_sel_hi:[1,0] neg_lo:[0,1] neg_hi:[0,1]
	v_mov_b32_e32 v44, v45
	v_mov_b32_e32 v45, v11
	v_pk_mov_b32 v[14:15], v[12:13], v[14:15] op_sel:[1,0]
	v_mov_b32_e32 v17, v12
	v_pk_add_f32 v[14:15], v[44:45], v[14:15] neg_lo:[0,1] neg_hi:[0,1]
	v_mov_b32_e32 v48, v46
	v_pk_add_f32 v[12:13], v[16:17], v[14:15] neg_lo:[0,1] neg_hi:[0,1]
	v_mov_b32_e32 v47, v11
	v_pk_add_f32 v[14:15], v[48:49], v[12:13]
	s_mov_b32 s3, 0x33800000
	v_pk_add_f32 v[16:17], v[14:15], v[14:15] op_sel:[0,1] op_sel_hi:[1,0]
	s_nop 0
	v_pk_add_f32 v[10:11], v[10:11], v[16:17] op_sel:[1,0] op_sel_hi:[0,1]
	v_mov_b32_e32 v15, v10
	v_pk_add_f32 v[44:45], v[14:15], v[46:47] neg_lo:[0,1] neg_hi:[0,1]
	v_mov_b32_e32 v13, v16
	v_sub_f32_e32 v9, v14, v44
	v_pk_add_f32 v[12:13], v[12:13], v[44:45] neg_lo:[0,1] neg_hi:[0,1]
	v_sub_f32_e32 v9, v46, v9
	v_add_f32_e32 v9, v12, v9
	v_add_f32_e32 v9, v9, v13
	;; [unrolled: 1-line block ×3, first 2 shown]
	v_cndmask_b32_e64 v9, v50, v9, s[30:31]
	v_cmp_lt_f32_e64 s[30:31], |v7|, s3
	s_nop 1
	v_cndmask_b32_e64 v7, v9, v7, s[30:31]
	v_add_f32_e32 v7, v6, v7
.LBB88_94:
	s_or_b64 exec, exec, s[34:35]
	ds_read_b32 v6, v8 offset:8
	v_max_f32_e32 v10, v7, v7
	v_cmp_u_f32_e64 s[30:31], v7, v7
	s_movk_i32 s3, 0x1f8
	ds_write_b32 v8, v7 offset:4
	s_waitcnt lgkmcnt(1)
	v_max_f32_e32 v11, v6, v6
	v_min_f32_e32 v9, v10, v11
	v_max_f32_e32 v10, v10, v11
	v_cndmask_b32_e64 v9, v9, v7, s[30:31]
	v_cmp_u_f32_e64 s[34:35], v6, v6
	v_cndmask_b32_e64 v10, v10, v7, s[30:31]
	s_nop 0
	v_cndmask_b32_e64 v9, v9, v6, s[34:35]
	v_cndmask_b32_e64 v6, v10, v6, s[34:35]
	v_cmp_neq_f32_e64 s[30:31], v9, v6
	v_cmp_class_f32_e64 s[34:35], v9, s3
	s_or_b64 s[30:31], s[30:31], s[34:35]
	s_and_saveexec_b64 s[34:35], s[30:31]
	s_cbranch_execz .LBB88_96
; %bb.95:
	v_sub_f32_e32 v7, v9, v6
	s_mov_b32 s30, 0x3fb8aa3b
	v_mul_f32_e32 v9, 0x3fb8aa3b, v7
	v_fma_f32 v10, v7, s30, -v9
	v_rndne_f32_e32 v11, v9
	v_fmamk_f32 v10, v7, 0x32a5705f, v10
	v_sub_f32_e32 v9, v9, v11
	v_add_f32_e32 v9, v9, v10
	v_exp_f32_e32 v9, v9
	v_cvt_i32_f32_e32 v10, v11
	s_mov_b32 s30, 0xc2ce8ed0
	v_cmp_ngt_f32_e64 s[30:31], s30, v7
	v_mov_b32_e32 v50, 0x7f800000
	v_ldexp_f32 v9, v9, v10
	v_cndmask_b32_e64 v9, 0, v9, s[30:31]
	s_mov_b32 s30, 0x42b17218
	v_cmp_nlt_f32_e64 s[30:31], s30, v7
	s_mov_b32 s36, 0x7f800000
	s_nop 0
	v_cndmask_b32_e64 v7, v50, v9, s[30:31]
	v_add_f32_e32 v9, 1.0, v7
	v_add_f32_e32 v10, -1.0, v9
	v_sub_f32_e32 v11, v10, v9
	v_add_f32_e32 v11, 1.0, v11
	v_sub_f32_e32 v10, v7, v10
	v_add_f32_e32 v12, v10, v11
	v_frexp_mant_f32_e32 v13, v9
	s_mov_b32 s30, 0x3f2aaaab
	v_cvt_f64_f32_e32 v[10:11], v9
	v_frexp_exp_i32_f64_e32 v10, v[10:11]
	v_cmp_gt_f32_e64 s[30:31], s30, v13
	s_nop 1
	v_subbrev_co_u32_e64 v44, s[30:31], 0, v10, s[30:31]
	v_sub_u32_e32 v10, 0, v44
	v_ldexp_f32 v9, v9, v10
	v_ldexp_f32 v10, v12, v10
	v_add_f32_e32 v12, -1.0, v9
	v_add_f32_e32 v11, 1.0, v12
	v_sub_f32_e32 v11, v9, v11
	v_add_f32_e32 v13, v10, v11
	v_add_f32_e32 v11, 1.0, v9
	v_add_f32_e32 v14, -1.0, v11
	v_sub_f32_e32 v9, v9, v14
	v_add_f32_e32 v9, v10, v9
	v_add_f32_e32 v45, v11, v9
	v_rcp_f32_e32 v46, v45
	v_sub_f32_e32 v10, v11, v45
	v_add_f32_e32 v11, v12, v13
	v_add_f32_e32 v9, v9, v10
	v_mul_f32_e32 v48, v11, v46
	v_sub_f32_e32 v10, v12, v11
	v_mul_f32_e32 v12, v45, v48
	v_fma_f32 v14, v48, v45, -v12
	v_fmac_f32_e32 v14, v48, v9
	v_add_f32_e32 v47, v13, v10
	v_add_f32_e32 v10, v12, v14
	v_sub_f32_e32 v13, v11, v10
	v_pk_add_f32 v[16:17], v[10:11], v[12:13] neg_lo:[0,1] neg_hi:[0,1]
	v_mov_b32_e32 v15, v10
	v_pk_add_f32 v[10:11], v[16:17], v[14:15] neg_lo:[0,1] neg_hi:[0,1]
	s_mov_b32 s30, 0x3f317218
	v_add_f32_e32 v11, v47, v11
	v_add_f32_e32 v10, v10, v11
	;; [unrolled: 1-line block ×3, first 2 shown]
	v_mul_f32_e32 v47, v46, v11
	v_mul_f32_e32 v12, v45, v47
	v_fma_f32 v14, v47, v45, -v12
	v_fmac_f32_e32 v14, v47, v9
	v_sub_f32_e32 v9, v13, v11
	v_add_f32_e32 v9, v10, v9
	v_add_f32_e32 v10, v12, v14
	v_sub_f32_e32 v13, v11, v10
	v_pk_add_f32 v[16:17], v[10:11], v[12:13] neg_lo:[0,1] neg_hi:[0,1]
	v_mov_b32_e32 v15, v10
	v_pk_add_f32 v[10:11], v[16:17], v[14:15] neg_lo:[0,1] neg_hi:[0,1]
	v_cvt_f32_i32_e32 v12, v44
	v_add_f32_e32 v9, v9, v11
	v_add_f32_e32 v9, v10, v9
	;; [unrolled: 1-line block ×4, first 2 shown]
	v_sub_f32_e32 v11, v10, v48
	v_mul_f32_e32 v9, v46, v9
	v_sub_f32_e32 v11, v47, v11
	v_add_f32_e32 v9, v11, v9
	v_add_f32_e32 v13, v10, v9
	v_mul_f32_e32 v14, v13, v13
	v_mov_b32_e32 v11, 0x3ecc95a3
	v_fmac_f32_e32 v11, 0x3e9b6dac, v14
	v_sub_f32_e32 v10, v13, v10
	v_fmaak_f32 v11, v14, v11, 0x3f2aaada
	v_sub_f32_e32 v9, v9, v10
	v_ldexp_f32 v15, v13, 1
	v_mul_f32_e32 v13, v13, v14
	v_mov_b32_e32 v10, 0x3f317218
	v_pk_mul_f32 v[10:11], v[12:13], v[10:11]
	v_ldexp_f32 v9, v9, 1
	v_fma_f32 v13, v12, s30, -v10
	v_fmamk_f32 v14, v12, 0xb102e308, v13
	v_pk_add_f32 v[12:13], v[10:11], v[14:15]
	v_mov_b32_e32 v16, v10
	v_sub_f32_e32 v15, v13, v15
	v_sub_f32_e32 v15, v11, v15
	v_add_f32_e32 v17, v9, v15
	v_pk_add_f32 v[10:11], v[12:13], v[10:11] neg_lo:[0,1] neg_hi:[0,1]
	v_pk_add_f32 v[44:45], v[12:13], v[16:17]
	v_mov_b32_e32 v15, v12
	v_mov_b32_e32 v11, v45
	v_pk_add_f32 v[46:47], v[14:15], v[10:11] neg_lo:[0,1] neg_hi:[0,1]
	v_pk_add_f32 v[10:11], v[14:15], v[10:11]
	v_mov_b32_e32 v16, v17
	v_pk_add_f32 v[14:15], v[10:11], v[12:13] op_sel:[1,0] op_sel_hi:[0,1] neg_lo:[0,1] neg_hi:[0,1]
	v_pk_add_f32 v[48:49], v[44:45], v[14:15] op_sel_hi:[1,0] neg_lo:[0,1] neg_hi:[0,1]
	v_mov_b32_e32 v44, v45
	v_mov_b32_e32 v45, v11
	v_pk_mov_b32 v[14:15], v[12:13], v[14:15] op_sel:[1,0]
	v_mov_b32_e32 v17, v12
	v_pk_add_f32 v[14:15], v[44:45], v[14:15] neg_lo:[0,1] neg_hi:[0,1]
	v_mov_b32_e32 v48, v46
	v_pk_add_f32 v[12:13], v[16:17], v[14:15] neg_lo:[0,1] neg_hi:[0,1]
	v_mov_b32_e32 v47, v11
	v_pk_add_f32 v[14:15], v[48:49], v[12:13]
	v_cmp_neq_f32_e64 s[30:31], s36, v7
	v_pk_add_f32 v[16:17], v[14:15], v[14:15] op_sel:[0,1] op_sel_hi:[1,0]
	s_nop 0
	v_pk_add_f32 v[10:11], v[10:11], v[16:17] op_sel:[1,0] op_sel_hi:[0,1]
	v_mov_b32_e32 v15, v10
	v_pk_add_f32 v[44:45], v[14:15], v[46:47] neg_lo:[0,1] neg_hi:[0,1]
	v_mov_b32_e32 v13, v16
	v_sub_f32_e32 v9, v14, v44
	v_pk_add_f32 v[12:13], v[12:13], v[44:45] neg_lo:[0,1] neg_hi:[0,1]
	v_sub_f32_e32 v9, v46, v9
	v_add_f32_e32 v9, v12, v9
	v_add_f32_e32 v9, v9, v13
	;; [unrolled: 1-line block ×3, first 2 shown]
	v_cndmask_b32_e64 v9, v50, v9, s[30:31]
	s_mov_b32 s30, 0x33800000
	v_cmp_lt_f32_e64 s[30:31], |v7|, s30
	s_nop 1
	v_cndmask_b32_e64 v7, v9, v7, s[30:31]
	v_add_f32_e32 v7, v6, v7
.LBB88_96:
	s_or_b64 exec, exec, s[34:35]
	ds_read_b32 v6, v8 offset:12
	v_max_f32_e32 v10, v7, v7
	v_cmp_u_f32_e64 s[30:31], v7, v7
	ds_write_b32 v8, v7 offset:8
	s_waitcnt lgkmcnt(1)
	v_max_f32_e32 v11, v6, v6
	v_min_f32_e32 v9, v10, v11
	v_max_f32_e32 v10, v10, v11
	v_cndmask_b32_e64 v9, v9, v7, s[30:31]
	v_cmp_u_f32_e64 s[34:35], v6, v6
	v_cndmask_b32_e64 v10, v10, v7, s[30:31]
	s_nop 0
	v_cndmask_b32_e64 v9, v9, v6, s[34:35]
	v_cndmask_b32_e64 v6, v10, v6, s[34:35]
	v_cmp_neq_f32_e64 s[30:31], v9, v6
	v_cmp_class_f32_e64 s[34:35], v9, s3
	s_or_b64 s[30:31], s[30:31], s[34:35]
	s_and_saveexec_b64 s[34:35], s[30:31]
	s_cbranch_execz .LBB88_98
; %bb.97:
	v_sub_f32_e32 v7, v9, v6
	s_mov_b32 s3, 0x3fb8aa3b
	v_mul_f32_e32 v9, 0x3fb8aa3b, v7
	v_fma_f32 v10, v7, s3, -v9
	v_rndne_f32_e32 v11, v9
	v_fmamk_f32 v10, v7, 0x32a5705f, v10
	v_sub_f32_e32 v9, v9, v11
	v_add_f32_e32 v9, v9, v10
	v_exp_f32_e32 v9, v9
	v_cvt_i32_f32_e32 v10, v11
	s_mov_b32 s3, 0xc2ce8ed0
	v_cmp_ngt_f32_e64 s[30:31], s3, v7
	s_mov_b32 s3, 0x42b17218
	v_ldexp_f32 v9, v9, v10
	v_cndmask_b32_e64 v9, 0, v9, s[30:31]
	v_mov_b32_e32 v50, 0x7f800000
	v_cmp_nlt_f32_e64 s[30:31], s3, v7
	s_mov_b32 s3, 0x3f2aaaab
	s_mov_b32 s36, 0x7f800000
	v_cndmask_b32_e64 v7, v50, v9, s[30:31]
	v_add_f32_e32 v9, 1.0, v7
	v_add_f32_e32 v10, -1.0, v9
	v_sub_f32_e32 v11, v10, v9
	v_add_f32_e32 v11, 1.0, v11
	v_sub_f32_e32 v10, v7, v10
	v_add_f32_e32 v12, v10, v11
	v_frexp_mant_f32_e32 v13, v9
	v_cvt_f64_f32_e32 v[10:11], v9
	v_frexp_exp_i32_f64_e32 v10, v[10:11]
	v_cmp_gt_f32_e64 s[30:31], s3, v13
	s_mov_b32 s3, 0x3f317218
	s_nop 0
	v_subbrev_co_u32_e64 v44, s[30:31], 0, v10, s[30:31]
	v_sub_u32_e32 v10, 0, v44
	v_ldexp_f32 v9, v9, v10
	v_ldexp_f32 v10, v12, v10
	v_add_f32_e32 v12, -1.0, v9
	v_add_f32_e32 v11, 1.0, v12
	v_sub_f32_e32 v11, v9, v11
	v_add_f32_e32 v13, v10, v11
	v_add_f32_e32 v11, 1.0, v9
	v_add_f32_e32 v14, -1.0, v11
	v_sub_f32_e32 v9, v9, v14
	v_add_f32_e32 v9, v10, v9
	v_add_f32_e32 v45, v11, v9
	v_rcp_f32_e32 v46, v45
	v_sub_f32_e32 v10, v11, v45
	v_add_f32_e32 v11, v12, v13
	v_add_f32_e32 v9, v9, v10
	v_mul_f32_e32 v48, v11, v46
	v_sub_f32_e32 v10, v12, v11
	v_mul_f32_e32 v12, v45, v48
	v_fma_f32 v14, v48, v45, -v12
	v_fmac_f32_e32 v14, v48, v9
	v_add_f32_e32 v47, v13, v10
	v_add_f32_e32 v10, v12, v14
	v_sub_f32_e32 v13, v11, v10
	v_pk_add_f32 v[16:17], v[10:11], v[12:13] neg_lo:[0,1] neg_hi:[0,1]
	v_mov_b32_e32 v15, v10
	v_pk_add_f32 v[10:11], v[16:17], v[14:15] neg_lo:[0,1] neg_hi:[0,1]
	v_cmp_neq_f32_e64 s[30:31], s36, v7
	v_add_f32_e32 v11, v47, v11
	v_add_f32_e32 v10, v10, v11
	;; [unrolled: 1-line block ×3, first 2 shown]
	v_mul_f32_e32 v47, v46, v11
	v_mul_f32_e32 v12, v45, v47
	v_fma_f32 v14, v47, v45, -v12
	v_fmac_f32_e32 v14, v47, v9
	v_sub_f32_e32 v9, v13, v11
	v_add_f32_e32 v9, v10, v9
	v_add_f32_e32 v10, v12, v14
	v_sub_f32_e32 v13, v11, v10
	v_pk_add_f32 v[16:17], v[10:11], v[12:13] neg_lo:[0,1] neg_hi:[0,1]
	v_mov_b32_e32 v15, v10
	v_pk_add_f32 v[10:11], v[16:17], v[14:15] neg_lo:[0,1] neg_hi:[0,1]
	v_cvt_f32_i32_e32 v12, v44
	v_add_f32_e32 v9, v9, v11
	v_add_f32_e32 v9, v10, v9
	v_add_f32_e32 v10, v48, v47
	v_add_f32_e32 v9, v13, v9
	v_sub_f32_e32 v11, v10, v48
	v_mul_f32_e32 v9, v46, v9
	v_sub_f32_e32 v11, v47, v11
	v_add_f32_e32 v9, v11, v9
	v_add_f32_e32 v13, v10, v9
	v_mul_f32_e32 v14, v13, v13
	v_mov_b32_e32 v11, 0x3ecc95a3
	v_fmac_f32_e32 v11, 0x3e9b6dac, v14
	v_sub_f32_e32 v10, v13, v10
	v_fmaak_f32 v11, v14, v11, 0x3f2aaada
	v_sub_f32_e32 v9, v9, v10
	v_ldexp_f32 v15, v13, 1
	v_mul_f32_e32 v13, v13, v14
	v_mov_b32_e32 v10, 0x3f317218
	v_pk_mul_f32 v[10:11], v[12:13], v[10:11]
	v_ldexp_f32 v9, v9, 1
	v_fma_f32 v13, v12, s3, -v10
	v_fmamk_f32 v14, v12, 0xb102e308, v13
	v_pk_add_f32 v[12:13], v[10:11], v[14:15]
	v_mov_b32_e32 v16, v10
	v_sub_f32_e32 v15, v13, v15
	v_sub_f32_e32 v15, v11, v15
	v_add_f32_e32 v17, v9, v15
	v_pk_add_f32 v[10:11], v[12:13], v[10:11] neg_lo:[0,1] neg_hi:[0,1]
	v_pk_add_f32 v[44:45], v[12:13], v[16:17]
	v_mov_b32_e32 v15, v12
	v_mov_b32_e32 v11, v45
	v_pk_add_f32 v[46:47], v[14:15], v[10:11] neg_lo:[0,1] neg_hi:[0,1]
	v_pk_add_f32 v[10:11], v[14:15], v[10:11]
	v_mov_b32_e32 v16, v17
	v_pk_add_f32 v[14:15], v[10:11], v[12:13] op_sel:[1,0] op_sel_hi:[0,1] neg_lo:[0,1] neg_hi:[0,1]
	v_pk_add_f32 v[48:49], v[44:45], v[14:15] op_sel_hi:[1,0] neg_lo:[0,1] neg_hi:[0,1]
	v_mov_b32_e32 v44, v45
	v_mov_b32_e32 v45, v11
	v_pk_mov_b32 v[14:15], v[12:13], v[14:15] op_sel:[1,0]
	v_mov_b32_e32 v17, v12
	v_pk_add_f32 v[14:15], v[44:45], v[14:15] neg_lo:[0,1] neg_hi:[0,1]
	v_mov_b32_e32 v48, v46
	v_pk_add_f32 v[12:13], v[16:17], v[14:15] neg_lo:[0,1] neg_hi:[0,1]
	v_mov_b32_e32 v47, v11
	v_pk_add_f32 v[14:15], v[48:49], v[12:13]
	s_mov_b32 s3, 0x33800000
	v_pk_add_f32 v[16:17], v[14:15], v[14:15] op_sel:[0,1] op_sel_hi:[1,0]
	s_nop 0
	v_pk_add_f32 v[10:11], v[10:11], v[16:17] op_sel:[1,0] op_sel_hi:[0,1]
	v_mov_b32_e32 v15, v10
	v_pk_add_f32 v[44:45], v[14:15], v[46:47] neg_lo:[0,1] neg_hi:[0,1]
	v_mov_b32_e32 v13, v16
	v_sub_f32_e32 v9, v14, v44
	v_pk_add_f32 v[12:13], v[12:13], v[44:45] neg_lo:[0,1] neg_hi:[0,1]
	v_sub_f32_e32 v9, v46, v9
	v_add_f32_e32 v9, v12, v9
	v_add_f32_e32 v9, v9, v13
	;; [unrolled: 1-line block ×3, first 2 shown]
	v_cndmask_b32_e64 v9, v50, v9, s[30:31]
	v_cmp_lt_f32_e64 s[30:31], |v7|, s3
	s_nop 1
	v_cndmask_b32_e64 v7, v9, v7, s[30:31]
	v_add_f32_e32 v7, v6, v7
.LBB88_98:
	s_or_b64 exec, exec, s[34:35]
	ds_write_b32 v8, v7 offset:12
.LBB88_99:
	s_or_b64 exec, exec, s[40:41]
	v_cmp_eq_u32_e64 s[34:35], 0, v0
	v_cmp_ne_u32_e64 s[30:31], 0, v0
	s_waitcnt lgkmcnt(0)
	s_barrier
	s_and_saveexec_b64 s[36:37], s[30:31]
; %bb.100:
	v_add_u32_e32 v6, -1, v0
	v_lshrrev_b32_e32 v7, 3, v6
	v_and_b32_e32 v7, 0x1ffffffc, v7
	v_lshl_add_u32 v6, v6, 2, v7
	ds_read_b32 v43, v6
; %bb.101:
	s_or_b64 exec, exec, s[36:37]
	s_and_saveexec_b64 s[42:43], vcc
	s_cbranch_execz .LBB88_173
; %bb.102:
	v_mov_b32_e32 v13, 0
	ds_read_b32 v6, v13 offset:1048
	v_mbcnt_lo_u32_b32 v7, -1, 0
	v_mbcnt_hi_u32_b32 v9, -1, v7
	s_mov_b32 s55, 0
	v_cmp_eq_u32_e64 s[36:37], 0, v9
	s_and_saveexec_b64 s[40:41], s[36:37]
	s_cbranch_execz .LBB88_104
; %bb.103:
	s_add_i32 s54, s2, 64
	s_lshl_b64 s[54:55], s[54:55], 3
	s_add_u32 s54, s52, s54
	s_addc_u32 s55, s53, s55
	v_mov_b32_e32 v7, 1
	s_waitcnt lgkmcnt(0)
	global_store_dwordx2 v13, v[6:7], s[54:55] sc1
.LBB88_104:
	s_or_b64 exec, exec, s[40:41]
	v_xad_u32 v8, v9, -1, s2
	v_add_u32_e32 v12, 64, v8
	v_lshl_add_u64 v[14:15], v[12:13], 3, s[52:53]
	global_load_dwordx2 v[10:11], v[14:15], off sc1
	s_waitcnt vmcnt(0)
	v_cmp_eq_u16_sdwa s[54:55], v11, v13 src0_sel:BYTE_0 src1_sel:DWORD
	s_and_saveexec_b64 s[40:41], s[54:55]
	s_cbranch_execz .LBB88_108
; %bb.105:
	s_mov_b64 s[54:55], 0
	v_mov_b32_e32 v7, 0
.LBB88_106:                             ; =>This Inner Loop Header: Depth=1
	global_load_dwordx2 v[10:11], v[14:15], off sc1
	s_waitcnt vmcnt(0)
	v_cmp_ne_u16_sdwa s[58:59], v11, v7 src0_sel:BYTE_0 src1_sel:DWORD
	s_or_b64 s[54:55], s[58:59], s[54:55]
	s_andn2_b64 exec, exec, s[54:55]
	s_cbranch_execnz .LBB88_106
; %bb.107:
	s_or_b64 exec, exec, s[54:55]
.LBB88_108:
	s_or_b64 exec, exec, s[40:41]
	v_mov_b32_e32 v7, 2
	v_cmp_eq_u16_sdwa s[40:41], v11, v7 src0_sel:BYTE_0 src1_sel:DWORD
	v_lshlrev_b64 v[12:13], v9, -1
	s_nop 0
	v_and_b32_e32 v7, s41, v13
	v_or_b32_e32 v7, 0x80000000, v7
	v_ffbl_b32_e32 v7, v7
	v_add_u32_e32 v15, 32, v7
	v_and_b32_e32 v7, 63, v9
	v_cmp_ne_u32_e32 vcc, 63, v7
	v_and_b32_e32 v14, s40, v12
	v_ffbl_b32_e32 v14, v14
	v_addc_co_u32_e32 v16, vcc, 0, v9, vcc
	v_lshlrev_b32_e32 v44, 2, v16
	ds_bpermute_b32 v16, v44, v10
	v_min_u32_e32 v14, v14, v15
	v_cmp_lt_u32_e32 vcc, v7, v14
	v_mov_b32_e32 v15, v10
	s_and_saveexec_b64 s[54:55], vcc
	s_cbranch_execz .LBB88_112
; %bb.109:
	v_max_f32_e32 v17, v10, v10
	s_waitcnt lgkmcnt(0)
	v_max_f32_e32 v45, v16, v16
	v_min_f32_e32 v15, v45, v17
	v_cmp_u_f32_e32 vcc, v16, v16
	v_max_f32_e32 v17, v45, v17
	v_cmp_u_f32_e64 s[40:41], v10, v10
	v_cndmask_b32_e32 v15, v15, v16, vcc
	v_cndmask_b32_e32 v17, v17, v16, vcc
	v_cndmask_b32_e64 v15, v15, v10, s[40:41]
	v_cndmask_b32_e64 v10, v17, v10, s[40:41]
	s_movk_i32 s3, 0x1f8
	v_cmp_neq_f32_e32 vcc, v15, v10
	v_cmp_class_f32_e64 s[40:41], v15, s3
	s_or_b64 s[58:59], vcc, s[40:41]
	s_and_saveexec_b64 s[40:41], s[58:59]
	s_cbranch_execz .LBB88_111
; %bb.110:
	v_sub_f32_e32 v15, v15, v10
	s_mov_b32 s3, 0x3fb8aa3b
	v_mul_f32_e32 v16, 0x3fb8aa3b, v15
	v_fma_f32 v17, v15, s3, -v16
	v_rndne_f32_e32 v45, v16
	v_fmamk_f32 v17, v15, 0x32a5705f, v17
	v_sub_f32_e32 v16, v16, v45
	v_add_f32_e32 v16, v16, v17
	v_exp_f32_e32 v16, v16
	v_cvt_i32_f32_e32 v17, v45
	s_mov_b32 s3, 0xc2ce8ed0
	v_cmp_ngt_f32_e32 vcc, s3, v15
	s_mov_b32 s3, 0x42b17218
	v_ldexp_f32 v16, v16, v17
	v_cndmask_b32_e32 v16, 0, v16, vcc
	v_mov_b32_e32 v45, 0x7f800000
	v_cmp_nlt_f32_e32 vcc, s3, v15
	s_mov_b32 s3, 0x3f2aaaab
	s_mov_b32 s57, 0x7f800000
	v_cndmask_b32_e32 v15, v45, v16, vcc
	v_add_f32_e32 v46, 1.0, v15
	v_add_f32_e32 v16, -1.0, v46
	v_sub_f32_e32 v17, v16, v46
	v_add_f32_e32 v17, 1.0, v17
	v_sub_f32_e32 v16, v15, v16
	v_add_f32_e32 v47, v16, v17
	v_frexp_mant_f32_e32 v48, v46
	v_cvt_f64_f32_e32 v[16:17], v46
	v_frexp_exp_i32_f64_e32 v16, v[16:17]
	v_cmp_gt_f32_e32 vcc, s3, v48
	s_mov_b32 s3, 0x3f317218
	s_nop 0
	v_subbrev_co_u32_e32 v52, vcc, 0, v16, vcc
	v_sub_u32_e32 v16, 0, v52
	v_ldexp_f32 v17, v46, v16
	v_add_f32_e32 v46, -1.0, v17
	v_add_f32_e32 v48, 1.0, v17
	v_ldexp_f32 v16, v47, v16
	v_add_f32_e32 v47, 1.0, v46
	v_add_f32_e32 v49, -1.0, v48
	v_sub_f32_e32 v47, v17, v47
	v_sub_f32_e32 v17, v17, v49
	v_add_f32_e32 v47, v16, v47
	v_add_f32_e32 v16, v16, v17
	;; [unrolled: 1-line block ×3, first 2 shown]
	v_rcp_f32_e32 v55, v53
	v_sub_f32_e32 v17, v48, v53
	v_add_f32_e32 v54, v16, v17
	v_add_f32_e32 v17, v46, v47
	v_mul_f32_e32 v57, v17, v55
	v_sub_f32_e32 v16, v46, v17
	v_mul_f32_e32 v46, v53, v57
	v_fma_f32 v48, v57, v53, -v46
	v_fmac_f32_e32 v48, v57, v54
	v_add_f32_e32 v56, v47, v16
	v_add_f32_e32 v16, v46, v48
	v_sub_f32_e32 v47, v17, v16
	v_pk_add_f32 v[50:51], v[16:17], v[46:47] neg_lo:[0,1] neg_hi:[0,1]
	v_mov_b32_e32 v49, v16
	v_pk_add_f32 v[16:17], v[50:51], v[48:49] neg_lo:[0,1] neg_hi:[0,1]
	v_cmp_neq_f32_e32 vcc, s57, v15
	v_add_f32_e32 v17, v56, v17
	v_add_f32_e32 v16, v16, v17
	;; [unrolled: 1-line block ×3, first 2 shown]
	v_mul_f32_e32 v56, v55, v17
	v_mul_f32_e32 v46, v53, v56
	v_fma_f32 v48, v56, v53, -v46
	v_fmac_f32_e32 v48, v56, v54
	v_sub_f32_e32 v47, v47, v17
	v_add_f32_e32 v53, v16, v47
	v_add_f32_e32 v16, v46, v48
	v_sub_f32_e32 v47, v17, v16
	v_pk_add_f32 v[50:51], v[16:17], v[46:47] neg_lo:[0,1] neg_hi:[0,1]
	v_mov_b32_e32 v49, v16
	v_pk_add_f32 v[16:17], v[50:51], v[48:49] neg_lo:[0,1] neg_hi:[0,1]
	v_cvt_f32_i32_e32 v46, v52
	v_add_f32_e32 v17, v53, v17
	v_add_f32_e32 v16, v16, v17
	;; [unrolled: 1-line block ×4, first 2 shown]
	v_sub_f32_e32 v17, v47, v57
	v_mul_f32_e32 v16, v55, v16
	v_sub_f32_e32 v17, v56, v17
	v_add_f32_e32 v16, v17, v16
	v_add_f32_e32 v48, v47, v16
	v_mul_f32_e32 v50, v48, v48
	v_mov_b32_e32 v17, 0x3ecc95a3
	v_sub_f32_e32 v47, v48, v47
	v_fmac_f32_e32 v17, 0x3e9b6dac, v50
	v_sub_f32_e32 v16, v16, v47
	v_fmaak_f32 v17, v50, v17, 0x3f2aaada
	v_ldexp_f32 v51, v16, 1
	v_mul_f32_e32 v47, v48, v50
	v_mov_b32_e32 v16, 0x3f317218
	v_pk_mul_f32 v[16:17], v[46:47], v[16:17]
	v_ldexp_f32 v49, v48, 1
	v_fma_f32 v47, v46, s3, -v16
	v_fmamk_f32 v48, v46, 0xb102e308, v47
	v_pk_add_f32 v[46:47], v[16:17], v[48:49]
	v_mov_b32_e32 v50, v16
	v_sub_f32_e32 v49, v47, v49
	v_sub_f32_e32 v49, v17, v49
	v_add_f32_e32 v51, v51, v49
	v_pk_add_f32 v[16:17], v[46:47], v[16:17] neg_lo:[0,1] neg_hi:[0,1]
	v_pk_add_f32 v[52:53], v[46:47], v[50:51]
	v_mov_b32_e32 v49, v46
	v_mov_b32_e32 v17, v53
	v_pk_add_f32 v[54:55], v[48:49], v[16:17] neg_lo:[0,1] neg_hi:[0,1]
	v_pk_add_f32 v[16:17], v[48:49], v[16:17]
	v_mov_b32_e32 v50, v51
	v_pk_add_f32 v[48:49], v[16:17], v[46:47] op_sel:[1,0] op_sel_hi:[0,1] neg_lo:[0,1] neg_hi:[0,1]
	v_pk_add_f32 v[56:57], v[52:53], v[48:49] op_sel_hi:[1,0] neg_lo:[0,1] neg_hi:[0,1]
	v_mov_b32_e32 v52, v53
	v_mov_b32_e32 v53, v17
	v_pk_mov_b32 v[48:49], v[46:47], v[48:49] op_sel:[1,0]
	v_mov_b32_e32 v51, v46
	v_pk_add_f32 v[48:49], v[52:53], v[48:49] neg_lo:[0,1] neg_hi:[0,1]
	v_mov_b32_e32 v56, v54
	v_pk_add_f32 v[46:47], v[50:51], v[48:49] neg_lo:[0,1] neg_hi:[0,1]
	v_mov_b32_e32 v55, v17
	v_pk_add_f32 v[48:49], v[56:57], v[46:47]
	s_mov_b32 s3, 0x33800000
	v_pk_add_f32 v[50:51], v[48:49], v[48:49] op_sel:[0,1] op_sel_hi:[1,0]
	s_nop 0
	v_pk_add_f32 v[16:17], v[16:17], v[50:51] op_sel:[1,0] op_sel_hi:[0,1]
	v_mov_b32_e32 v49, v16
	v_pk_add_f32 v[52:53], v[48:49], v[54:55] neg_lo:[0,1] neg_hi:[0,1]
	v_mov_b32_e32 v47, v50
	v_sub_f32_e32 v17, v48, v52
	v_pk_add_f32 v[46:47], v[46:47], v[52:53] neg_lo:[0,1] neg_hi:[0,1]
	v_sub_f32_e32 v17, v54, v17
	v_add_f32_e32 v17, v46, v17
	v_add_f32_e32 v17, v17, v47
	;; [unrolled: 1-line block ×3, first 2 shown]
	v_cndmask_b32_e32 v16, v45, v16, vcc
	v_cmp_lt_f32_e64 vcc, |v15|, s3
	s_nop 1
	v_cndmask_b32_e32 v15, v16, v15, vcc
	v_add_f32_e32 v16, v10, v15
.LBB88_111:
	s_or_b64 exec, exec, s[40:41]
	v_mov_b32_e32 v10, v16
	v_mov_b32_e32 v15, v16
.LBB88_112:
	s_or_b64 exec, exec, s[54:55]
	v_cmp_gt_u32_e32 vcc, 62, v7
	v_add_u32_e32 v46, 2, v7
	s_waitcnt lgkmcnt(0)
	v_cndmask_b32_e64 v16, 0, 2, vcc
	v_add_lshl_u32 v45, v16, v9, 2
	ds_bpermute_b32 v16, v45, v10
	v_cmp_le_u32_e32 vcc, v46, v14
	s_and_saveexec_b64 s[54:55], vcc
	s_cbranch_execz .LBB88_116
; %bb.113:
	v_max_f32_e32 v10, v15, v15
	s_waitcnt lgkmcnt(0)
	v_max_f32_e32 v47, v16, v16
	v_min_f32_e32 v17, v47, v10
	v_cmp_u_f32_e32 vcc, v16, v16
	v_max_f32_e32 v10, v47, v10
	v_cmp_u_f32_e64 s[40:41], v15, v15
	v_cndmask_b32_e32 v17, v17, v16, vcc
	v_cndmask_b32_e32 v10, v10, v16, vcc
	v_cndmask_b32_e64 v17, v17, v15, s[40:41]
	v_cndmask_b32_e64 v10, v10, v15, s[40:41]
	s_movk_i32 s3, 0x1f8
	v_cmp_neq_f32_e32 vcc, v17, v10
	v_cmp_class_f32_e64 s[40:41], v17, s3
	s_or_b64 s[58:59], vcc, s[40:41]
	s_and_saveexec_b64 s[40:41], s[58:59]
	s_cbranch_execz .LBB88_115
; %bb.114:
	v_sub_f32_e32 v15, v17, v10
	s_mov_b32 s3, 0x3fb8aa3b
	v_mul_f32_e32 v16, 0x3fb8aa3b, v15
	v_fma_f32 v17, v15, s3, -v16
	v_rndne_f32_e32 v47, v16
	v_fmamk_f32 v17, v15, 0x32a5705f, v17
	v_sub_f32_e32 v16, v16, v47
	v_add_f32_e32 v16, v16, v17
	v_exp_f32_e32 v16, v16
	v_cvt_i32_f32_e32 v17, v47
	s_mov_b32 s3, 0xc2ce8ed0
	v_cmp_ngt_f32_e32 vcc, s3, v15
	s_mov_b32 s3, 0x42b17218
	v_ldexp_f32 v16, v16, v17
	v_cndmask_b32_e32 v16, 0, v16, vcc
	v_mov_b32_e32 v47, 0x7f800000
	v_cmp_nlt_f32_e32 vcc, s3, v15
	s_mov_b32 s3, 0x3f2aaaab
	s_mov_b32 s57, 0x7f800000
	v_cndmask_b32_e32 v15, v47, v16, vcc
	v_add_f32_e32 v48, 1.0, v15
	v_add_f32_e32 v16, -1.0, v48
	v_sub_f32_e32 v17, v16, v48
	v_add_f32_e32 v17, 1.0, v17
	v_sub_f32_e32 v16, v15, v16
	v_add_f32_e32 v49, v16, v17
	v_frexp_mant_f32_e32 v50, v48
	v_cvt_f64_f32_e32 v[16:17], v48
	v_frexp_exp_i32_f64_e32 v16, v[16:17]
	v_cmp_gt_f32_e32 vcc, s3, v50
	s_mov_b32 s3, 0x3f317218
	s_nop 0
	v_subbrev_co_u32_e32 v54, vcc, 0, v16, vcc
	v_sub_u32_e32 v16, 0, v54
	v_ldexp_f32 v17, v48, v16
	v_add_f32_e32 v48, -1.0, v17
	v_add_f32_e32 v50, 1.0, v17
	v_ldexp_f32 v16, v49, v16
	v_add_f32_e32 v49, 1.0, v48
	v_add_f32_e32 v51, -1.0, v50
	v_sub_f32_e32 v49, v17, v49
	v_sub_f32_e32 v17, v17, v51
	v_add_f32_e32 v49, v16, v49
	v_add_f32_e32 v16, v16, v17
	;; [unrolled: 1-line block ×3, first 2 shown]
	v_rcp_f32_e32 v57, v55
	v_sub_f32_e32 v17, v50, v55
	v_add_f32_e32 v56, v16, v17
	v_add_f32_e32 v17, v48, v49
	v_mul_f32_e32 v59, v17, v57
	v_sub_f32_e32 v16, v48, v17
	v_mul_f32_e32 v48, v55, v59
	v_fma_f32 v50, v59, v55, -v48
	v_fmac_f32_e32 v50, v59, v56
	v_add_f32_e32 v58, v49, v16
	v_add_f32_e32 v16, v48, v50
	v_sub_f32_e32 v49, v17, v16
	v_pk_add_f32 v[52:53], v[16:17], v[48:49] neg_lo:[0,1] neg_hi:[0,1]
	v_mov_b32_e32 v51, v16
	v_pk_add_f32 v[16:17], v[52:53], v[50:51] neg_lo:[0,1] neg_hi:[0,1]
	v_cmp_neq_f32_e32 vcc, s57, v15
	v_add_f32_e32 v17, v58, v17
	v_add_f32_e32 v16, v16, v17
	;; [unrolled: 1-line block ×3, first 2 shown]
	v_mul_f32_e32 v58, v57, v17
	v_mul_f32_e32 v48, v55, v58
	v_fma_f32 v50, v58, v55, -v48
	v_fmac_f32_e32 v50, v58, v56
	v_sub_f32_e32 v49, v49, v17
	v_add_f32_e32 v55, v16, v49
	v_add_f32_e32 v16, v48, v50
	v_sub_f32_e32 v49, v17, v16
	v_pk_add_f32 v[52:53], v[16:17], v[48:49] neg_lo:[0,1] neg_hi:[0,1]
	v_mov_b32_e32 v51, v16
	v_pk_add_f32 v[16:17], v[52:53], v[50:51] neg_lo:[0,1] neg_hi:[0,1]
	v_cvt_f32_i32_e32 v48, v54
	v_add_f32_e32 v17, v55, v17
	v_add_f32_e32 v16, v16, v17
	;; [unrolled: 1-line block ×4, first 2 shown]
	v_sub_f32_e32 v17, v49, v59
	v_mul_f32_e32 v16, v57, v16
	v_sub_f32_e32 v17, v58, v17
	v_add_f32_e32 v16, v17, v16
	v_add_f32_e32 v50, v49, v16
	v_mul_f32_e32 v52, v50, v50
	v_mov_b32_e32 v17, 0x3ecc95a3
	v_sub_f32_e32 v49, v50, v49
	v_fmac_f32_e32 v17, 0x3e9b6dac, v52
	v_sub_f32_e32 v16, v16, v49
	v_fmaak_f32 v17, v52, v17, 0x3f2aaada
	v_ldexp_f32 v53, v16, 1
	v_mul_f32_e32 v49, v50, v52
	v_mov_b32_e32 v16, 0x3f317218
	v_pk_mul_f32 v[16:17], v[48:49], v[16:17]
	v_ldexp_f32 v51, v50, 1
	v_fma_f32 v49, v48, s3, -v16
	v_fmamk_f32 v50, v48, 0xb102e308, v49
	v_pk_add_f32 v[48:49], v[16:17], v[50:51]
	v_mov_b32_e32 v52, v16
	v_sub_f32_e32 v51, v49, v51
	v_sub_f32_e32 v51, v17, v51
	v_add_f32_e32 v53, v53, v51
	v_pk_add_f32 v[16:17], v[48:49], v[16:17] neg_lo:[0,1] neg_hi:[0,1]
	v_pk_add_f32 v[54:55], v[48:49], v[52:53]
	v_mov_b32_e32 v51, v48
	v_mov_b32_e32 v17, v55
	v_pk_add_f32 v[56:57], v[50:51], v[16:17] neg_lo:[0,1] neg_hi:[0,1]
	v_pk_add_f32 v[16:17], v[50:51], v[16:17]
	v_mov_b32_e32 v52, v53
	v_pk_add_f32 v[50:51], v[16:17], v[48:49] op_sel:[1,0] op_sel_hi:[0,1] neg_lo:[0,1] neg_hi:[0,1]
	v_pk_add_f32 v[58:59], v[54:55], v[50:51] op_sel_hi:[1,0] neg_lo:[0,1] neg_hi:[0,1]
	v_mov_b32_e32 v54, v55
	v_mov_b32_e32 v55, v17
	v_pk_mov_b32 v[50:51], v[48:49], v[50:51] op_sel:[1,0]
	v_mov_b32_e32 v53, v48
	v_pk_add_f32 v[50:51], v[54:55], v[50:51] neg_lo:[0,1] neg_hi:[0,1]
	v_mov_b32_e32 v58, v56
	v_pk_add_f32 v[48:49], v[52:53], v[50:51] neg_lo:[0,1] neg_hi:[0,1]
	v_mov_b32_e32 v57, v17
	v_pk_add_f32 v[50:51], v[58:59], v[48:49]
	s_mov_b32 s3, 0x33800000
	v_pk_add_f32 v[52:53], v[50:51], v[50:51] op_sel:[0,1] op_sel_hi:[1,0]
	s_nop 0
	v_pk_add_f32 v[16:17], v[16:17], v[52:53] op_sel:[1,0] op_sel_hi:[0,1]
	v_mov_b32_e32 v51, v16
	v_pk_add_f32 v[54:55], v[50:51], v[56:57] neg_lo:[0,1] neg_hi:[0,1]
	v_mov_b32_e32 v49, v52
	v_sub_f32_e32 v17, v50, v54
	v_pk_add_f32 v[48:49], v[48:49], v[54:55] neg_lo:[0,1] neg_hi:[0,1]
	v_sub_f32_e32 v17, v56, v17
	v_add_f32_e32 v17, v48, v17
	v_add_f32_e32 v17, v17, v49
	;; [unrolled: 1-line block ×3, first 2 shown]
	v_cndmask_b32_e32 v16, v47, v16, vcc
	v_cmp_lt_f32_e64 vcc, |v15|, s3
	s_nop 1
	v_cndmask_b32_e32 v15, v16, v15, vcc
	v_add_f32_e32 v16, v10, v15
.LBB88_115:
	s_or_b64 exec, exec, s[40:41]
	v_mov_b32_e32 v10, v16
	v_mov_b32_e32 v15, v16
.LBB88_116:
	s_or_b64 exec, exec, s[54:55]
	v_cmp_gt_u32_e32 vcc, 60, v7
	v_add_u32_e32 v48, 4, v7
	s_waitcnt lgkmcnt(0)
	v_cndmask_b32_e64 v16, 0, 4, vcc
	v_add_lshl_u32 v47, v16, v9, 2
	ds_bpermute_b32 v16, v47, v10
	v_cmp_le_u32_e32 vcc, v48, v14
	s_and_saveexec_b64 s[54:55], vcc
	s_cbranch_execz .LBB88_120
; %bb.117:
	v_max_f32_e32 v10, v15, v15
	s_waitcnt lgkmcnt(0)
	v_max_f32_e32 v49, v16, v16
	v_min_f32_e32 v17, v49, v10
	v_cmp_u_f32_e32 vcc, v16, v16
	v_max_f32_e32 v10, v49, v10
	v_cmp_u_f32_e64 s[40:41], v15, v15
	v_cndmask_b32_e32 v17, v17, v16, vcc
	v_cndmask_b32_e32 v10, v10, v16, vcc
	v_cndmask_b32_e64 v17, v17, v15, s[40:41]
	v_cndmask_b32_e64 v10, v10, v15, s[40:41]
	s_movk_i32 s3, 0x1f8
	v_cmp_neq_f32_e32 vcc, v17, v10
	v_cmp_class_f32_e64 s[40:41], v17, s3
	s_or_b64 s[58:59], vcc, s[40:41]
	s_and_saveexec_b64 s[40:41], s[58:59]
	s_cbranch_execz .LBB88_119
; %bb.118:
	v_sub_f32_e32 v15, v17, v10
	s_mov_b32 s3, 0x3fb8aa3b
	v_mul_f32_e32 v16, 0x3fb8aa3b, v15
	v_fma_f32 v17, v15, s3, -v16
	v_rndne_f32_e32 v49, v16
	v_fmamk_f32 v17, v15, 0x32a5705f, v17
	v_sub_f32_e32 v16, v16, v49
	v_add_f32_e32 v16, v16, v17
	v_exp_f32_e32 v16, v16
	v_cvt_i32_f32_e32 v17, v49
	s_mov_b32 s3, 0xc2ce8ed0
	v_cmp_ngt_f32_e32 vcc, s3, v15
	s_mov_b32 s3, 0x42b17218
	v_ldexp_f32 v16, v16, v17
	v_cndmask_b32_e32 v16, 0, v16, vcc
	v_mov_b32_e32 v49, 0x7f800000
	v_cmp_nlt_f32_e32 vcc, s3, v15
	s_mov_b32 s3, 0x3f2aaaab
	s_mov_b32 s57, 0x7f800000
	v_cndmask_b32_e32 v15, v49, v16, vcc
	v_add_f32_e32 v50, 1.0, v15
	v_add_f32_e32 v16, -1.0, v50
	v_sub_f32_e32 v17, v16, v50
	v_add_f32_e32 v17, 1.0, v17
	v_sub_f32_e32 v16, v15, v16
	v_add_f32_e32 v51, v16, v17
	v_frexp_mant_f32_e32 v52, v50
	v_cvt_f64_f32_e32 v[16:17], v50
	v_frexp_exp_i32_f64_e32 v16, v[16:17]
	v_cmp_gt_f32_e32 vcc, s3, v52
	s_mov_b32 s3, 0x3f317218
	s_nop 0
	v_subbrev_co_u32_e32 v56, vcc, 0, v16, vcc
	v_sub_u32_e32 v16, 0, v56
	v_ldexp_f32 v17, v50, v16
	v_add_f32_e32 v50, -1.0, v17
	v_add_f32_e32 v52, 1.0, v17
	v_ldexp_f32 v16, v51, v16
	v_add_f32_e32 v51, 1.0, v50
	v_add_f32_e32 v53, -1.0, v52
	v_sub_f32_e32 v51, v17, v51
	v_sub_f32_e32 v17, v17, v53
	v_add_f32_e32 v51, v16, v51
	v_add_f32_e32 v16, v16, v17
	;; [unrolled: 1-line block ×3, first 2 shown]
	v_rcp_f32_e32 v59, v57
	v_sub_f32_e32 v17, v52, v57
	v_add_f32_e32 v58, v16, v17
	v_add_f32_e32 v17, v50, v51
	v_mul_f32_e32 v61, v17, v59
	v_sub_f32_e32 v16, v50, v17
	v_mul_f32_e32 v50, v57, v61
	v_fma_f32 v52, v61, v57, -v50
	v_fmac_f32_e32 v52, v61, v58
	v_add_f32_e32 v60, v51, v16
	v_add_f32_e32 v16, v50, v52
	v_sub_f32_e32 v51, v17, v16
	v_pk_add_f32 v[54:55], v[16:17], v[50:51] neg_lo:[0,1] neg_hi:[0,1]
	v_mov_b32_e32 v53, v16
	v_pk_add_f32 v[16:17], v[54:55], v[52:53] neg_lo:[0,1] neg_hi:[0,1]
	v_cmp_neq_f32_e32 vcc, s57, v15
	v_add_f32_e32 v17, v60, v17
	v_add_f32_e32 v16, v16, v17
	;; [unrolled: 1-line block ×3, first 2 shown]
	v_mul_f32_e32 v60, v59, v17
	v_mul_f32_e32 v50, v57, v60
	v_fma_f32 v52, v60, v57, -v50
	v_fmac_f32_e32 v52, v60, v58
	v_sub_f32_e32 v51, v51, v17
	v_add_f32_e32 v57, v16, v51
	v_add_f32_e32 v16, v50, v52
	v_sub_f32_e32 v51, v17, v16
	v_pk_add_f32 v[54:55], v[16:17], v[50:51] neg_lo:[0,1] neg_hi:[0,1]
	v_mov_b32_e32 v53, v16
	v_pk_add_f32 v[16:17], v[54:55], v[52:53] neg_lo:[0,1] neg_hi:[0,1]
	v_cvt_f32_i32_e32 v50, v56
	v_add_f32_e32 v17, v57, v17
	v_add_f32_e32 v16, v16, v17
	;; [unrolled: 1-line block ×4, first 2 shown]
	v_sub_f32_e32 v17, v51, v61
	v_mul_f32_e32 v16, v59, v16
	v_sub_f32_e32 v17, v60, v17
	v_add_f32_e32 v16, v17, v16
	v_add_f32_e32 v52, v51, v16
	v_mul_f32_e32 v54, v52, v52
	v_mov_b32_e32 v17, 0x3ecc95a3
	v_sub_f32_e32 v51, v52, v51
	v_fmac_f32_e32 v17, 0x3e9b6dac, v54
	v_sub_f32_e32 v16, v16, v51
	v_fmaak_f32 v17, v54, v17, 0x3f2aaada
	v_ldexp_f32 v55, v16, 1
	v_mul_f32_e32 v51, v52, v54
	v_mov_b32_e32 v16, 0x3f317218
	v_pk_mul_f32 v[16:17], v[50:51], v[16:17]
	v_ldexp_f32 v53, v52, 1
	v_fma_f32 v51, v50, s3, -v16
	v_fmamk_f32 v52, v50, 0xb102e308, v51
	v_pk_add_f32 v[50:51], v[16:17], v[52:53]
	v_mov_b32_e32 v54, v16
	v_sub_f32_e32 v53, v51, v53
	v_sub_f32_e32 v53, v17, v53
	v_add_f32_e32 v55, v55, v53
	v_pk_add_f32 v[16:17], v[50:51], v[16:17] neg_lo:[0,1] neg_hi:[0,1]
	v_pk_add_f32 v[56:57], v[50:51], v[54:55]
	v_mov_b32_e32 v53, v50
	v_mov_b32_e32 v17, v57
	v_pk_add_f32 v[58:59], v[52:53], v[16:17] neg_lo:[0,1] neg_hi:[0,1]
	v_pk_add_f32 v[16:17], v[52:53], v[16:17]
	v_mov_b32_e32 v54, v55
	v_pk_add_f32 v[52:53], v[16:17], v[50:51] op_sel:[1,0] op_sel_hi:[0,1] neg_lo:[0,1] neg_hi:[0,1]
	v_pk_add_f32 v[60:61], v[56:57], v[52:53] op_sel_hi:[1,0] neg_lo:[0,1] neg_hi:[0,1]
	v_mov_b32_e32 v56, v57
	v_mov_b32_e32 v57, v17
	v_pk_mov_b32 v[52:53], v[50:51], v[52:53] op_sel:[1,0]
	v_mov_b32_e32 v55, v50
	v_pk_add_f32 v[52:53], v[56:57], v[52:53] neg_lo:[0,1] neg_hi:[0,1]
	v_mov_b32_e32 v60, v58
	v_pk_add_f32 v[50:51], v[54:55], v[52:53] neg_lo:[0,1] neg_hi:[0,1]
	v_mov_b32_e32 v59, v17
	v_pk_add_f32 v[52:53], v[60:61], v[50:51]
	s_mov_b32 s3, 0x33800000
	v_pk_add_f32 v[54:55], v[52:53], v[52:53] op_sel:[0,1] op_sel_hi:[1,0]
	s_nop 0
	v_pk_add_f32 v[16:17], v[16:17], v[54:55] op_sel:[1,0] op_sel_hi:[0,1]
	v_mov_b32_e32 v53, v16
	v_pk_add_f32 v[56:57], v[52:53], v[58:59] neg_lo:[0,1] neg_hi:[0,1]
	v_mov_b32_e32 v51, v54
	v_sub_f32_e32 v17, v52, v56
	v_pk_add_f32 v[50:51], v[50:51], v[56:57] neg_lo:[0,1] neg_hi:[0,1]
	v_sub_f32_e32 v17, v58, v17
	v_add_f32_e32 v17, v50, v17
	v_add_f32_e32 v17, v17, v51
	;; [unrolled: 1-line block ×3, first 2 shown]
	v_cndmask_b32_e32 v16, v49, v16, vcc
	v_cmp_lt_f32_e64 vcc, |v15|, s3
	s_nop 1
	v_cndmask_b32_e32 v15, v16, v15, vcc
	v_add_f32_e32 v16, v10, v15
.LBB88_119:
	s_or_b64 exec, exec, s[40:41]
	v_mov_b32_e32 v10, v16
	v_mov_b32_e32 v15, v16
.LBB88_120:
	s_or_b64 exec, exec, s[54:55]
	v_cmp_gt_u32_e32 vcc, 56, v7
	v_add_u32_e32 v50, 8, v7
	s_waitcnt lgkmcnt(0)
	v_cndmask_b32_e64 v16, 0, 8, vcc
	v_add_lshl_u32 v49, v16, v9, 2
	ds_bpermute_b32 v16, v49, v10
	v_cmp_le_u32_e32 vcc, v50, v14
	s_and_saveexec_b64 s[54:55], vcc
	s_cbranch_execz .LBB88_124
; %bb.121:
	v_max_f32_e32 v10, v15, v15
	s_waitcnt lgkmcnt(0)
	v_max_f32_e32 v51, v16, v16
	v_min_f32_e32 v17, v51, v10
	v_cmp_u_f32_e32 vcc, v16, v16
	v_max_f32_e32 v10, v51, v10
	v_cmp_u_f32_e64 s[40:41], v15, v15
	v_cndmask_b32_e32 v17, v17, v16, vcc
	v_cndmask_b32_e32 v10, v10, v16, vcc
	v_cndmask_b32_e64 v17, v17, v15, s[40:41]
	v_cndmask_b32_e64 v10, v10, v15, s[40:41]
	s_movk_i32 s3, 0x1f8
	v_cmp_neq_f32_e32 vcc, v17, v10
	v_cmp_class_f32_e64 s[40:41], v17, s3
	s_or_b64 s[58:59], vcc, s[40:41]
	s_and_saveexec_b64 s[40:41], s[58:59]
	s_cbranch_execz .LBB88_123
; %bb.122:
	v_sub_f32_e32 v15, v17, v10
	s_mov_b32 s3, 0x3fb8aa3b
	v_mul_f32_e32 v16, 0x3fb8aa3b, v15
	v_fma_f32 v17, v15, s3, -v16
	v_rndne_f32_e32 v51, v16
	v_fmamk_f32 v17, v15, 0x32a5705f, v17
	v_sub_f32_e32 v16, v16, v51
	v_add_f32_e32 v16, v16, v17
	v_exp_f32_e32 v16, v16
	v_cvt_i32_f32_e32 v17, v51
	s_mov_b32 s3, 0xc2ce8ed0
	v_cmp_ngt_f32_e32 vcc, s3, v15
	s_mov_b32 s3, 0x42b17218
	v_ldexp_f32 v16, v16, v17
	v_cndmask_b32_e32 v16, 0, v16, vcc
	v_mov_b32_e32 v51, 0x7f800000
	v_cmp_nlt_f32_e32 vcc, s3, v15
	s_mov_b32 s3, 0x3f2aaaab
	s_mov_b32 s57, 0x7f800000
	v_cndmask_b32_e32 v15, v51, v16, vcc
	v_add_f32_e32 v52, 1.0, v15
	v_add_f32_e32 v16, -1.0, v52
	v_sub_f32_e32 v17, v16, v52
	v_add_f32_e32 v17, 1.0, v17
	v_sub_f32_e32 v16, v15, v16
	v_add_f32_e32 v53, v16, v17
	v_frexp_mant_f32_e32 v54, v52
	v_cvt_f64_f32_e32 v[16:17], v52
	v_frexp_exp_i32_f64_e32 v16, v[16:17]
	v_cmp_gt_f32_e32 vcc, s3, v54
	s_mov_b32 s3, 0x3f317218
	s_nop 0
	v_subbrev_co_u32_e32 v58, vcc, 0, v16, vcc
	v_sub_u32_e32 v16, 0, v58
	v_ldexp_f32 v17, v52, v16
	v_add_f32_e32 v52, -1.0, v17
	v_add_f32_e32 v54, 1.0, v17
	v_ldexp_f32 v16, v53, v16
	v_add_f32_e32 v53, 1.0, v52
	v_add_f32_e32 v55, -1.0, v54
	v_sub_f32_e32 v53, v17, v53
	v_sub_f32_e32 v17, v17, v55
	v_add_f32_e32 v53, v16, v53
	v_add_f32_e32 v16, v16, v17
	;; [unrolled: 1-line block ×3, first 2 shown]
	v_rcp_f32_e32 v61, v59
	v_sub_f32_e32 v17, v54, v59
	v_add_f32_e32 v60, v16, v17
	v_add_f32_e32 v17, v52, v53
	v_mul_f32_e32 v63, v17, v61
	v_sub_f32_e32 v16, v52, v17
	v_mul_f32_e32 v52, v59, v63
	v_fma_f32 v54, v63, v59, -v52
	v_fmac_f32_e32 v54, v63, v60
	v_add_f32_e32 v62, v53, v16
	v_add_f32_e32 v16, v52, v54
	v_sub_f32_e32 v53, v17, v16
	v_pk_add_f32 v[56:57], v[16:17], v[52:53] neg_lo:[0,1] neg_hi:[0,1]
	v_mov_b32_e32 v55, v16
	v_pk_add_f32 v[16:17], v[56:57], v[54:55] neg_lo:[0,1] neg_hi:[0,1]
	v_cmp_neq_f32_e32 vcc, s57, v15
	v_add_f32_e32 v17, v62, v17
	v_add_f32_e32 v16, v16, v17
	;; [unrolled: 1-line block ×3, first 2 shown]
	v_mul_f32_e32 v62, v61, v17
	v_mul_f32_e32 v52, v59, v62
	v_fma_f32 v54, v62, v59, -v52
	v_fmac_f32_e32 v54, v62, v60
	v_sub_f32_e32 v53, v53, v17
	v_add_f32_e32 v59, v16, v53
	v_add_f32_e32 v16, v52, v54
	v_sub_f32_e32 v53, v17, v16
	v_pk_add_f32 v[56:57], v[16:17], v[52:53] neg_lo:[0,1] neg_hi:[0,1]
	v_mov_b32_e32 v55, v16
	v_pk_add_f32 v[16:17], v[56:57], v[54:55] neg_lo:[0,1] neg_hi:[0,1]
	v_cvt_f32_i32_e32 v52, v58
	v_add_f32_e32 v17, v59, v17
	v_add_f32_e32 v16, v16, v17
	;; [unrolled: 1-line block ×4, first 2 shown]
	v_sub_f32_e32 v17, v53, v63
	v_mul_f32_e32 v16, v61, v16
	v_sub_f32_e32 v17, v62, v17
	v_add_f32_e32 v16, v17, v16
	v_add_f32_e32 v54, v53, v16
	v_mul_f32_e32 v56, v54, v54
	v_mov_b32_e32 v17, 0x3ecc95a3
	v_sub_f32_e32 v53, v54, v53
	v_fmac_f32_e32 v17, 0x3e9b6dac, v56
	v_sub_f32_e32 v16, v16, v53
	v_fmaak_f32 v17, v56, v17, 0x3f2aaada
	v_ldexp_f32 v57, v16, 1
	v_mul_f32_e32 v53, v54, v56
	v_mov_b32_e32 v16, 0x3f317218
	v_pk_mul_f32 v[16:17], v[52:53], v[16:17]
	v_ldexp_f32 v55, v54, 1
	v_fma_f32 v53, v52, s3, -v16
	v_fmamk_f32 v54, v52, 0xb102e308, v53
	v_pk_add_f32 v[52:53], v[16:17], v[54:55]
	v_mov_b32_e32 v56, v16
	v_sub_f32_e32 v55, v53, v55
	v_sub_f32_e32 v55, v17, v55
	v_add_f32_e32 v57, v57, v55
	v_pk_add_f32 v[16:17], v[52:53], v[16:17] neg_lo:[0,1] neg_hi:[0,1]
	v_pk_add_f32 v[58:59], v[52:53], v[56:57]
	v_mov_b32_e32 v55, v52
	v_mov_b32_e32 v17, v59
	v_pk_add_f32 v[60:61], v[54:55], v[16:17] neg_lo:[0,1] neg_hi:[0,1]
	v_pk_add_f32 v[16:17], v[54:55], v[16:17]
	v_mov_b32_e32 v56, v57
	v_pk_add_f32 v[54:55], v[16:17], v[52:53] op_sel:[1,0] op_sel_hi:[0,1] neg_lo:[0,1] neg_hi:[0,1]
	v_pk_add_f32 v[62:63], v[58:59], v[54:55] op_sel_hi:[1,0] neg_lo:[0,1] neg_hi:[0,1]
	v_mov_b32_e32 v58, v59
	v_mov_b32_e32 v59, v17
	v_pk_mov_b32 v[54:55], v[52:53], v[54:55] op_sel:[1,0]
	v_mov_b32_e32 v57, v52
	v_pk_add_f32 v[54:55], v[58:59], v[54:55] neg_lo:[0,1] neg_hi:[0,1]
	v_mov_b32_e32 v62, v60
	v_pk_add_f32 v[52:53], v[56:57], v[54:55] neg_lo:[0,1] neg_hi:[0,1]
	v_mov_b32_e32 v61, v17
	v_pk_add_f32 v[54:55], v[62:63], v[52:53]
	s_mov_b32 s3, 0x33800000
	v_pk_add_f32 v[56:57], v[54:55], v[54:55] op_sel:[0,1] op_sel_hi:[1,0]
	s_nop 0
	v_pk_add_f32 v[16:17], v[16:17], v[56:57] op_sel:[1,0] op_sel_hi:[0,1]
	v_mov_b32_e32 v55, v16
	v_pk_add_f32 v[58:59], v[54:55], v[60:61] neg_lo:[0,1] neg_hi:[0,1]
	v_mov_b32_e32 v53, v56
	v_sub_f32_e32 v17, v54, v58
	v_pk_add_f32 v[52:53], v[52:53], v[58:59] neg_lo:[0,1] neg_hi:[0,1]
	v_sub_f32_e32 v17, v60, v17
	v_add_f32_e32 v17, v52, v17
	v_add_f32_e32 v17, v17, v53
	;; [unrolled: 1-line block ×3, first 2 shown]
	v_cndmask_b32_e32 v16, v51, v16, vcc
	v_cmp_lt_f32_e64 vcc, |v15|, s3
	s_nop 1
	v_cndmask_b32_e32 v15, v16, v15, vcc
	v_add_f32_e32 v16, v10, v15
.LBB88_123:
	s_or_b64 exec, exec, s[40:41]
	v_mov_b32_e32 v10, v16
	v_mov_b32_e32 v15, v16
.LBB88_124:
	s_or_b64 exec, exec, s[54:55]
	v_cmp_gt_u32_e32 vcc, 48, v7
	v_add_u32_e32 v52, 16, v7
	s_waitcnt lgkmcnt(0)
	v_cndmask_b32_e64 v16, 0, 16, vcc
	v_add_lshl_u32 v51, v16, v9, 2
	ds_bpermute_b32 v16, v51, v10
	v_cmp_le_u32_e32 vcc, v52, v14
	s_and_saveexec_b64 s[54:55], vcc
	s_cbranch_execz .LBB88_128
; %bb.125:
	v_max_f32_e32 v10, v15, v15
	s_waitcnt lgkmcnt(0)
	v_max_f32_e32 v53, v16, v16
	v_min_f32_e32 v17, v53, v10
	v_cmp_u_f32_e32 vcc, v16, v16
	v_max_f32_e32 v10, v53, v10
	v_cmp_u_f32_e64 s[40:41], v15, v15
	v_cndmask_b32_e32 v17, v17, v16, vcc
	v_cndmask_b32_e32 v10, v10, v16, vcc
	v_cndmask_b32_e64 v17, v17, v15, s[40:41]
	v_cndmask_b32_e64 v10, v10, v15, s[40:41]
	s_movk_i32 s3, 0x1f8
	v_cmp_neq_f32_e32 vcc, v17, v10
	v_cmp_class_f32_e64 s[40:41], v17, s3
	s_or_b64 s[58:59], vcc, s[40:41]
	s_and_saveexec_b64 s[40:41], s[58:59]
	s_cbranch_execz .LBB88_127
; %bb.126:
	v_sub_f32_e32 v15, v17, v10
	s_mov_b32 s3, 0x3fb8aa3b
	v_mul_f32_e32 v16, 0x3fb8aa3b, v15
	v_fma_f32 v17, v15, s3, -v16
	v_rndne_f32_e32 v53, v16
	v_fmamk_f32 v17, v15, 0x32a5705f, v17
	v_sub_f32_e32 v16, v16, v53
	v_add_f32_e32 v16, v16, v17
	v_exp_f32_e32 v16, v16
	v_cvt_i32_f32_e32 v17, v53
	s_mov_b32 s3, 0xc2ce8ed0
	v_cmp_ngt_f32_e32 vcc, s3, v15
	s_mov_b32 s3, 0x42b17218
	v_ldexp_f32 v16, v16, v17
	v_cndmask_b32_e32 v16, 0, v16, vcc
	v_mov_b32_e32 v53, 0x7f800000
	v_cmp_nlt_f32_e32 vcc, s3, v15
	s_mov_b32 s3, 0x3f2aaaab
	s_mov_b32 s57, 0x7f800000
	v_cndmask_b32_e32 v15, v53, v16, vcc
	v_add_f32_e32 v54, 1.0, v15
	v_add_f32_e32 v16, -1.0, v54
	v_sub_f32_e32 v17, v16, v54
	v_add_f32_e32 v17, 1.0, v17
	v_sub_f32_e32 v16, v15, v16
	v_add_f32_e32 v55, v16, v17
	v_frexp_mant_f32_e32 v56, v54
	v_cvt_f64_f32_e32 v[16:17], v54
	v_frexp_exp_i32_f64_e32 v16, v[16:17]
	v_cmp_gt_f32_e32 vcc, s3, v56
	s_mov_b32 s3, 0x3f317218
	s_nop 0
	v_subbrev_co_u32_e32 v60, vcc, 0, v16, vcc
	v_sub_u32_e32 v16, 0, v60
	v_ldexp_f32 v17, v54, v16
	v_add_f32_e32 v54, -1.0, v17
	v_add_f32_e32 v56, 1.0, v17
	v_ldexp_f32 v16, v55, v16
	v_add_f32_e32 v55, 1.0, v54
	v_add_f32_e32 v57, -1.0, v56
	v_sub_f32_e32 v55, v17, v55
	v_sub_f32_e32 v17, v17, v57
	v_add_f32_e32 v55, v16, v55
	v_add_f32_e32 v16, v16, v17
	;; [unrolled: 1-line block ×3, first 2 shown]
	v_rcp_f32_e32 v63, v61
	v_sub_f32_e32 v17, v56, v61
	v_add_f32_e32 v62, v16, v17
	v_add_f32_e32 v17, v54, v55
	v_mul_f32_e32 v65, v17, v63
	v_sub_f32_e32 v16, v54, v17
	v_mul_f32_e32 v54, v61, v65
	v_fma_f32 v56, v65, v61, -v54
	v_fmac_f32_e32 v56, v65, v62
	v_add_f32_e32 v64, v55, v16
	v_add_f32_e32 v16, v54, v56
	v_sub_f32_e32 v55, v17, v16
	v_pk_add_f32 v[58:59], v[16:17], v[54:55] neg_lo:[0,1] neg_hi:[0,1]
	v_mov_b32_e32 v57, v16
	v_pk_add_f32 v[16:17], v[58:59], v[56:57] neg_lo:[0,1] neg_hi:[0,1]
	v_cmp_neq_f32_e32 vcc, s57, v15
	v_add_f32_e32 v17, v64, v17
	v_add_f32_e32 v16, v16, v17
	;; [unrolled: 1-line block ×3, first 2 shown]
	v_mul_f32_e32 v64, v63, v17
	v_mul_f32_e32 v54, v61, v64
	v_fma_f32 v56, v64, v61, -v54
	v_fmac_f32_e32 v56, v64, v62
	v_sub_f32_e32 v55, v55, v17
	v_add_f32_e32 v61, v16, v55
	v_add_f32_e32 v16, v54, v56
	v_sub_f32_e32 v55, v17, v16
	v_pk_add_f32 v[58:59], v[16:17], v[54:55] neg_lo:[0,1] neg_hi:[0,1]
	v_mov_b32_e32 v57, v16
	v_pk_add_f32 v[16:17], v[58:59], v[56:57] neg_lo:[0,1] neg_hi:[0,1]
	v_cvt_f32_i32_e32 v54, v60
	v_add_f32_e32 v17, v61, v17
	v_add_f32_e32 v16, v16, v17
	;; [unrolled: 1-line block ×4, first 2 shown]
	v_sub_f32_e32 v17, v55, v65
	v_mul_f32_e32 v16, v63, v16
	v_sub_f32_e32 v17, v64, v17
	v_add_f32_e32 v16, v17, v16
	v_add_f32_e32 v56, v55, v16
	v_mul_f32_e32 v58, v56, v56
	v_mov_b32_e32 v17, 0x3ecc95a3
	v_sub_f32_e32 v55, v56, v55
	v_fmac_f32_e32 v17, 0x3e9b6dac, v58
	v_sub_f32_e32 v16, v16, v55
	v_fmaak_f32 v17, v58, v17, 0x3f2aaada
	v_ldexp_f32 v59, v16, 1
	v_mul_f32_e32 v55, v56, v58
	v_mov_b32_e32 v16, 0x3f317218
	v_pk_mul_f32 v[16:17], v[54:55], v[16:17]
	v_ldexp_f32 v57, v56, 1
	v_fma_f32 v55, v54, s3, -v16
	v_fmamk_f32 v56, v54, 0xb102e308, v55
	v_pk_add_f32 v[54:55], v[16:17], v[56:57]
	v_mov_b32_e32 v58, v16
	v_sub_f32_e32 v57, v55, v57
	v_sub_f32_e32 v57, v17, v57
	v_add_f32_e32 v59, v59, v57
	v_pk_add_f32 v[16:17], v[54:55], v[16:17] neg_lo:[0,1] neg_hi:[0,1]
	v_pk_add_f32 v[60:61], v[54:55], v[58:59]
	v_mov_b32_e32 v57, v54
	v_mov_b32_e32 v17, v61
	v_pk_add_f32 v[62:63], v[56:57], v[16:17] neg_lo:[0,1] neg_hi:[0,1]
	v_pk_add_f32 v[16:17], v[56:57], v[16:17]
	v_mov_b32_e32 v58, v59
	v_pk_add_f32 v[56:57], v[16:17], v[54:55] op_sel:[1,0] op_sel_hi:[0,1] neg_lo:[0,1] neg_hi:[0,1]
	v_pk_add_f32 v[64:65], v[60:61], v[56:57] op_sel_hi:[1,0] neg_lo:[0,1] neg_hi:[0,1]
	v_mov_b32_e32 v60, v61
	v_mov_b32_e32 v61, v17
	v_pk_mov_b32 v[56:57], v[54:55], v[56:57] op_sel:[1,0]
	v_mov_b32_e32 v59, v54
	v_pk_add_f32 v[56:57], v[60:61], v[56:57] neg_lo:[0,1] neg_hi:[0,1]
	v_mov_b32_e32 v64, v62
	v_pk_add_f32 v[54:55], v[58:59], v[56:57] neg_lo:[0,1] neg_hi:[0,1]
	v_mov_b32_e32 v63, v17
	v_pk_add_f32 v[56:57], v[64:65], v[54:55]
	s_mov_b32 s3, 0x33800000
	v_pk_add_f32 v[58:59], v[56:57], v[56:57] op_sel:[0,1] op_sel_hi:[1,0]
	s_nop 0
	v_pk_add_f32 v[16:17], v[16:17], v[58:59] op_sel:[1,0] op_sel_hi:[0,1]
	v_mov_b32_e32 v57, v16
	v_pk_add_f32 v[60:61], v[56:57], v[62:63] neg_lo:[0,1] neg_hi:[0,1]
	v_mov_b32_e32 v55, v58
	v_sub_f32_e32 v17, v56, v60
	v_pk_add_f32 v[54:55], v[54:55], v[60:61] neg_lo:[0,1] neg_hi:[0,1]
	v_sub_f32_e32 v17, v62, v17
	v_add_f32_e32 v17, v54, v17
	v_add_f32_e32 v17, v17, v55
	;; [unrolled: 1-line block ×3, first 2 shown]
	v_cndmask_b32_e32 v16, v53, v16, vcc
	v_cmp_lt_f32_e64 vcc, |v15|, s3
	s_nop 1
	v_cndmask_b32_e32 v15, v16, v15, vcc
	v_add_f32_e32 v16, v10, v15
.LBB88_127:
	s_or_b64 exec, exec, s[40:41]
	v_mov_b32_e32 v10, v16
	v_mov_b32_e32 v15, v16
.LBB88_128:
	s_or_b64 exec, exec, s[54:55]
	s_waitcnt lgkmcnt(0)
	v_mov_b32_e32 v16, 0x80
	v_lshl_or_b32 v53, v9, 2, v16
	ds_bpermute_b32 v10, v53, v10
	v_add_u32_e32 v55, 32, v7
	v_cmp_le_u32_e32 vcc, v55, v14
	s_and_saveexec_b64 s[54:55], vcc
	s_cbranch_execz .LBB88_132
; %bb.129:
	v_max_f32_e32 v9, v15, v15
	s_waitcnt lgkmcnt(0)
	v_max_f32_e32 v16, v10, v10
	v_min_f32_e32 v14, v16, v9
	v_cmp_u_f32_e32 vcc, v10, v10
	v_max_f32_e32 v9, v16, v9
	v_cmp_u_f32_e64 s[40:41], v15, v15
	v_cndmask_b32_e32 v14, v14, v10, vcc
	v_cndmask_b32_e32 v9, v9, v10, vcc
	v_cndmask_b32_e64 v14, v14, v15, s[40:41]
	v_cndmask_b32_e64 v9, v9, v15, s[40:41]
	s_movk_i32 s3, 0x1f8
	v_cmp_neq_f32_e32 vcc, v14, v9
	v_cmp_class_f32_e64 s[40:41], v14, s3
	s_or_b64 s[58:59], vcc, s[40:41]
	s_and_saveexec_b64 s[40:41], s[58:59]
	s_cbranch_execz .LBB88_131
; %bb.130:
	v_sub_f32_e32 v10, v14, v9
	s_mov_b32 s3, 0x3fb8aa3b
	v_mul_f32_e32 v14, 0x3fb8aa3b, v10
	v_fma_f32 v15, v10, s3, -v14
	v_rndne_f32_e32 v16, v14
	v_fmamk_f32 v15, v10, 0x32a5705f, v15
	v_sub_f32_e32 v14, v14, v16
	v_add_f32_e32 v14, v14, v15
	v_exp_f32_e32 v14, v14
	v_cvt_i32_f32_e32 v15, v16
	s_mov_b32 s3, 0xc2ce8ed0
	v_cmp_ngt_f32_e32 vcc, s3, v10
	s_mov_b32 s3, 0x42b17218
	v_ldexp_f32 v14, v14, v15
	v_cndmask_b32_e32 v14, 0, v14, vcc
	v_mov_b32_e32 v54, 0x7f800000
	v_cmp_nlt_f32_e32 vcc, s3, v10
	s_mov_b32 s3, 0x3f2aaaab
	s_mov_b32 s57, 0x7f800000
	v_cndmask_b32_e32 v10, v54, v14, vcc
	v_add_f32_e32 v16, 1.0, v10
	v_add_f32_e32 v14, -1.0, v16
	v_sub_f32_e32 v15, v14, v16
	v_add_f32_e32 v15, 1.0, v15
	v_sub_f32_e32 v14, v10, v14
	v_add_f32_e32 v17, v14, v15
	v_frexp_mant_f32_e32 v56, v16
	v_cvt_f64_f32_e32 v[14:15], v16
	v_frexp_exp_i32_f64_e32 v14, v[14:15]
	v_cmp_gt_f32_e32 vcc, s3, v56
	s_mov_b32 s3, 0x3f317218
	s_nop 0
	v_subbrev_co_u32_e32 v60, vcc, 0, v14, vcc
	v_sub_u32_e32 v14, 0, v60
	v_ldexp_f32 v15, v16, v14
	v_add_f32_e32 v16, -1.0, v15
	v_add_f32_e32 v56, 1.0, v15
	v_ldexp_f32 v14, v17, v14
	v_add_f32_e32 v17, 1.0, v16
	v_add_f32_e32 v57, -1.0, v56
	v_sub_f32_e32 v17, v15, v17
	v_sub_f32_e32 v15, v15, v57
	v_add_f32_e32 v17, v14, v17
	v_add_f32_e32 v14, v14, v15
	;; [unrolled: 1-line block ×3, first 2 shown]
	v_rcp_f32_e32 v63, v61
	v_sub_f32_e32 v15, v56, v61
	v_add_f32_e32 v62, v14, v15
	v_add_f32_e32 v15, v16, v17
	v_mul_f32_e32 v65, v15, v63
	v_sub_f32_e32 v14, v16, v15
	v_mul_f32_e32 v16, v61, v65
	v_fma_f32 v56, v65, v61, -v16
	v_fmac_f32_e32 v56, v65, v62
	v_add_f32_e32 v64, v17, v14
	v_add_f32_e32 v14, v16, v56
	v_sub_f32_e32 v17, v15, v14
	v_pk_add_f32 v[58:59], v[14:15], v[16:17] neg_lo:[0,1] neg_hi:[0,1]
	v_mov_b32_e32 v57, v14
	v_pk_add_f32 v[14:15], v[58:59], v[56:57] neg_lo:[0,1] neg_hi:[0,1]
	v_cmp_neq_f32_e32 vcc, s57, v10
	v_add_f32_e32 v15, v64, v15
	v_add_f32_e32 v14, v14, v15
	;; [unrolled: 1-line block ×3, first 2 shown]
	v_mul_f32_e32 v64, v63, v15
	v_mul_f32_e32 v16, v61, v64
	v_fma_f32 v56, v64, v61, -v16
	v_fmac_f32_e32 v56, v64, v62
	v_sub_f32_e32 v17, v17, v15
	v_add_f32_e32 v61, v14, v17
	v_add_f32_e32 v14, v16, v56
	v_sub_f32_e32 v17, v15, v14
	v_pk_add_f32 v[58:59], v[14:15], v[16:17] neg_lo:[0,1] neg_hi:[0,1]
	v_mov_b32_e32 v57, v14
	v_pk_add_f32 v[14:15], v[58:59], v[56:57] neg_lo:[0,1] neg_hi:[0,1]
	v_cvt_f32_i32_e32 v16, v60
	v_add_f32_e32 v15, v61, v15
	v_add_f32_e32 v14, v14, v15
	;; [unrolled: 1-line block ×4, first 2 shown]
	v_sub_f32_e32 v15, v17, v65
	v_mul_f32_e32 v14, v63, v14
	v_sub_f32_e32 v15, v64, v15
	v_add_f32_e32 v14, v15, v14
	v_add_f32_e32 v56, v17, v14
	v_mul_f32_e32 v58, v56, v56
	v_mov_b32_e32 v15, 0x3ecc95a3
	v_sub_f32_e32 v17, v56, v17
	v_fmac_f32_e32 v15, 0x3e9b6dac, v58
	v_sub_f32_e32 v14, v14, v17
	v_fmaak_f32 v15, v58, v15, 0x3f2aaada
	v_ldexp_f32 v59, v14, 1
	v_mul_f32_e32 v17, v56, v58
	v_mov_b32_e32 v14, 0x3f317218
	v_pk_mul_f32 v[14:15], v[16:17], v[14:15]
	v_ldexp_f32 v57, v56, 1
	v_fma_f32 v17, v16, s3, -v14
	v_fmamk_f32 v56, v16, 0xb102e308, v17
	v_pk_add_f32 v[16:17], v[14:15], v[56:57]
	v_mov_b32_e32 v58, v14
	v_sub_f32_e32 v57, v17, v57
	v_sub_f32_e32 v57, v15, v57
	v_add_f32_e32 v59, v59, v57
	v_pk_add_f32 v[14:15], v[16:17], v[14:15] neg_lo:[0,1] neg_hi:[0,1]
	v_pk_add_f32 v[60:61], v[16:17], v[58:59]
	v_mov_b32_e32 v57, v16
	v_mov_b32_e32 v15, v61
	v_pk_add_f32 v[62:63], v[56:57], v[14:15] neg_lo:[0,1] neg_hi:[0,1]
	v_pk_add_f32 v[14:15], v[56:57], v[14:15]
	v_mov_b32_e32 v58, v59
	v_pk_add_f32 v[56:57], v[14:15], v[16:17] op_sel:[1,0] op_sel_hi:[0,1] neg_lo:[0,1] neg_hi:[0,1]
	v_pk_add_f32 v[64:65], v[60:61], v[56:57] op_sel_hi:[1,0] neg_lo:[0,1] neg_hi:[0,1]
	v_mov_b32_e32 v60, v61
	v_mov_b32_e32 v61, v15
	v_pk_mov_b32 v[56:57], v[16:17], v[56:57] op_sel:[1,0]
	v_mov_b32_e32 v59, v16
	v_pk_add_f32 v[56:57], v[60:61], v[56:57] neg_lo:[0,1] neg_hi:[0,1]
	v_mov_b32_e32 v64, v62
	v_pk_add_f32 v[16:17], v[58:59], v[56:57] neg_lo:[0,1] neg_hi:[0,1]
	v_mov_b32_e32 v63, v15
	v_pk_add_f32 v[56:57], v[64:65], v[16:17]
	s_mov_b32 s3, 0x33800000
	v_pk_add_f32 v[58:59], v[56:57], v[56:57] op_sel:[0,1] op_sel_hi:[1,0]
	s_nop 0
	v_pk_add_f32 v[14:15], v[14:15], v[58:59] op_sel:[1,0] op_sel_hi:[0,1]
	v_mov_b32_e32 v57, v14
	v_pk_add_f32 v[60:61], v[56:57], v[62:63] neg_lo:[0,1] neg_hi:[0,1]
	v_mov_b32_e32 v17, v58
	v_sub_f32_e32 v15, v56, v60
	v_pk_add_f32 v[16:17], v[16:17], v[60:61] neg_lo:[0,1] neg_hi:[0,1]
	v_sub_f32_e32 v15, v62, v15
	v_add_f32_e32 v15, v16, v15
	v_add_f32_e32 v15, v15, v17
	;; [unrolled: 1-line block ×3, first 2 shown]
	v_cndmask_b32_e32 v14, v54, v14, vcc
	v_cmp_lt_f32_e64 vcc, |v10|, s3
	s_nop 1
	v_cndmask_b32_e32 v10, v14, v10, vcc
	v_add_f32_e32 v10, v9, v10
.LBB88_131:
	s_or_b64 exec, exec, s[40:41]
	v_mov_b32_e32 v15, v10
.LBB88_132:
	s_or_b64 exec, exec, s[54:55]
	v_mov_b32_e32 v9, 0
	s_movk_i32 s3, 0x1f8
	s_mov_b32 s57, 0x3fb8aa3b
	s_mov_b32 s58, 0xc2ce8ed0
	;; [unrolled: 1-line block ×5, first 2 shown]
	v_mov_b32_e32 v56, 0x3ecc95a3
	s_mov_b32 s62, 0x3f317218
	s_mov_b32 s63, 0x33800000
	v_mov_b32_e32 v57, 2
	v_mov_b32_e32 v58, 0x7f800000
	;; [unrolled: 1-line block ×3, first 2 shown]
                                        ; implicit-def: $vgpr10
	s_branch .LBB88_135
.LBB88_133:                             ;   in Loop: Header=BB88_135 Depth=1
	s_or_b64 exec, exec, s[40:41]
	v_subrev_u32_e32 v8, 64, v8
	s_mov_b64 s[40:41], 0
.LBB88_134:                             ;   in Loop: Header=BB88_135 Depth=1
	s_and_b64 vcc, exec, s[40:41]
	s_cbranch_vccnz .LBB88_167
.LBB88_135:                             ; =>This Loop Header: Depth=1
                                        ;     Child Loop BB88_138 Depth 2
	v_cmp_ne_u16_sdwa s[40:41], v11, v57 src0_sel:BYTE_0 src1_sel:DWORD
	v_mov_b32_e32 v54, v15
	s_cmp_lg_u64 s[40:41], exec
	s_mov_b64 s[40:41], -1
                                        ; implicit-def: $vgpr15
                                        ; implicit-def: $vgpr11
	s_cbranch_scc1 .LBB88_134
; %bb.136:                              ;   in Loop: Header=BB88_135 Depth=1
	v_lshl_add_u64 v[16:17], v[8:9], 3, s[52:53]
	s_waitcnt lgkmcnt(0)
	global_load_dwordx2 v[10:11], v[16:17], off sc1
	s_waitcnt vmcnt(0)
	v_cmp_eq_u16_sdwa s[54:55], v11, v9 src0_sel:BYTE_0 src1_sel:DWORD
	s_and_saveexec_b64 s[40:41], s[54:55]
	s_cbranch_execz .LBB88_140
; %bb.137:                              ;   in Loop: Header=BB88_135 Depth=1
	s_mov_b64 s[54:55], 0
.LBB88_138:                             ;   Parent Loop BB88_135 Depth=1
                                        ; =>  This Inner Loop Header: Depth=2
	global_load_dwordx2 v[10:11], v[16:17], off sc1
	s_waitcnt vmcnt(0)
	v_cmp_ne_u16_sdwa s[64:65], v11, v9 src0_sel:BYTE_0 src1_sel:DWORD
	s_or_b64 s[54:55], s[64:65], s[54:55]
	s_andn2_b64 exec, exec, s[54:55]
	s_cbranch_execnz .LBB88_138
; %bb.139:                              ;   in Loop: Header=BB88_135 Depth=1
	s_or_b64 exec, exec, s[54:55]
.LBB88_140:                             ;   in Loop: Header=BB88_135 Depth=1
	s_or_b64 exec, exec, s[40:41]
	v_cmp_eq_u16_sdwa s[40:41], v11, v57 src0_sel:BYTE_0 src1_sel:DWORD
	ds_bpermute_b32 v17, v44, v10
	s_nop 0
	v_and_b32_e32 v15, s41, v13
	v_or_b32_e32 v15, 0x80000000, v15
	v_and_b32_e32 v16, s40, v12
	v_ffbl_b32_e32 v15, v15
	v_add_u32_e32 v15, 32, v15
	v_ffbl_b32_e32 v16, v16
	v_min_u32_e32 v16, v16, v15
	v_cmp_lt_u32_e32 vcc, v7, v16
	v_mov_b32_e32 v15, v10
	s_and_saveexec_b64 s[54:55], vcc
	s_cbranch_execz .LBB88_144
; %bb.141:                              ;   in Loop: Header=BB88_135 Depth=1
	v_max_f32_e32 v59, v10, v10
	s_waitcnt lgkmcnt(0)
	v_max_f32_e32 v60, v17, v17
	v_min_f32_e32 v15, v60, v59
	v_cmp_u_f32_e32 vcc, v17, v17
	v_max_f32_e32 v59, v60, v59
	v_cmp_u_f32_e64 s[40:41], v10, v10
	v_cndmask_b32_e32 v15, v15, v17, vcc
	v_cndmask_b32_e32 v59, v59, v17, vcc
	v_cndmask_b32_e64 v15, v15, v10, s[40:41]
	v_cndmask_b32_e64 v10, v59, v10, s[40:41]
	v_cmp_neq_f32_e32 vcc, v15, v10
	v_cmp_class_f32_e64 s[40:41], v15, s3
	s_or_b64 s[64:65], vcc, s[40:41]
	s_and_saveexec_b64 s[40:41], s[64:65]
	s_cbranch_execz .LBB88_143
; %bb.142:                              ;   in Loop: Header=BB88_135 Depth=1
	v_sub_f32_e32 v15, v15, v10
	v_mul_f32_e32 v17, 0x3fb8aa3b, v15
	v_fma_f32 v59, v15, s57, -v17
	v_rndne_f32_e32 v60, v17
	v_fmac_f32_e32 v59, 0x32a5705f, v15
	v_sub_f32_e32 v17, v17, v60
	v_add_f32_e32 v17, v17, v59
	v_cvt_i32_f32_e32 v59, v60
	v_exp_f32_e32 v17, v17
	v_cmp_ngt_f32_e32 vcc, s58, v15
	v_ldexp_f32 v17, v17, v59
	s_nop 0
	v_cndmask_b32_e32 v17, 0, v17, vcc
	v_cmp_nlt_f32_e32 vcc, s59, v15
	s_nop 1
	v_cndmask_b32_e32 v17, v58, v17, vcc
	v_add_f32_e32 v15, 1.0, v17
	v_add_f32_e32 v59, -1.0, v15
	v_sub_f32_e32 v60, v59, v15
	v_add_f32_e32 v60, 1.0, v60
	v_sub_f32_e32 v59, v17, v59
	v_add_f32_e32 v59, v59, v60
	v_frexp_mant_f32_e32 v62, v15
	v_cvt_f64_f32_e32 v[60:61], v15
	v_frexp_exp_i32_f64_e32 v60, v[60:61]
	v_cmp_gt_f32_e32 vcc, s61, v62
	s_nop 1
	v_subbrev_co_u32_e32 v68, vcc, 0, v60, vcc
	v_sub_u32_e32 v60, 0, v68
	v_ldexp_f32 v15, v15, v60
	v_ldexp_f32 v59, v59, v60
	v_add_f32_e32 v60, -1.0, v15
	v_add_f32_e32 v61, 1.0, v60
	v_sub_f32_e32 v61, v15, v61
	v_add_f32_e32 v62, v59, v61
	v_add_f32_e32 v61, 1.0, v15
	v_add_f32_e32 v63, -1.0, v61
	v_sub_f32_e32 v15, v15, v63
	v_add_f32_e32 v15, v59, v15
	v_add_f32_e32 v59, v61, v15
	v_rcp_f32_e32 v69, v59
	v_sub_f32_e32 v61, v61, v59
	v_add_f32_e32 v15, v15, v61
	v_add_f32_e32 v61, v60, v62
	v_sub_f32_e32 v60, v60, v61
	v_mul_f32_e32 v71, v61, v69
	v_add_f32_e32 v70, v62, v60
	v_mul_f32_e32 v62, v59, v71
	v_fma_f32 v64, v71, v59, -v62
	v_fmac_f32_e32 v64, v71, v15
	v_add_f32_e32 v60, v62, v64
	v_sub_f32_e32 v63, v61, v60
	v_pk_add_f32 v[66:67], v[60:61], v[62:63] neg_lo:[0,1] neg_hi:[0,1]
	v_mov_b32_e32 v65, v60
	v_pk_add_f32 v[60:61], v[66:67], v[64:65] neg_lo:[0,1] neg_hi:[0,1]
	v_cmp_neq_f32_e32 vcc, s60, v17
	v_add_f32_e32 v61, v70, v61
	v_add_f32_e32 v60, v60, v61
	;; [unrolled: 1-line block ×3, first 2 shown]
	v_mul_f32_e32 v70, v69, v61
	v_mul_f32_e32 v62, v59, v70
	v_fma_f32 v64, v70, v59, -v62
	v_fmac_f32_e32 v64, v70, v15
	v_sub_f32_e32 v15, v63, v61
	v_add_f32_e32 v15, v60, v15
	v_add_f32_e32 v60, v62, v64
	v_sub_f32_e32 v63, v61, v60
	v_pk_add_f32 v[66:67], v[60:61], v[62:63] neg_lo:[0,1] neg_hi:[0,1]
	v_mov_b32_e32 v65, v60
	v_pk_add_f32 v[60:61], v[66:67], v[64:65] neg_lo:[0,1] neg_hi:[0,1]
	v_add_f32_e32 v59, v71, v70
	v_add_f32_e32 v15, v15, v61
	;; [unrolled: 1-line block ×4, first 2 shown]
	v_sub_f32_e32 v60, v59, v71
	v_mul_f32_e32 v15, v69, v15
	v_sub_f32_e32 v60, v70, v60
	v_add_f32_e32 v61, v60, v15
	v_add_f32_e32 v62, v59, v61
	v_cvt_f32_i32_e32 v60, v68
	v_mul_f32_e32 v64, v62, v62
	v_fmamk_f32 v15, v64, 0x3e9b6dac, v56
	v_sub_f32_e32 v59, v62, v59
	v_fmaak_f32 v15, v64, v15, 0x3f2aaada
	v_sub_f32_e32 v59, v61, v59
	v_mul_f32_e32 v61, v62, v64
	v_pk_mul_f32 v[64:65], v[60:61], v[14:15]
	v_ldexp_f32 v63, v62, 1
	v_fma_f32 v62, v60, s62, -v64
	v_fmac_f32_e32 v62, 0xb102e308, v60
	v_pk_add_f32 v[60:61], v[64:65], v[62:63]
	v_ldexp_f32 v59, v59, 1
	v_sub_f32_e32 v15, v61, v63
	v_sub_f32_e32 v15, v65, v15
	v_add_f32_e32 v67, v59, v15
	v_mov_b32_e32 v66, v64
	v_pk_add_f32 v[64:65], v[60:61], v[64:65] neg_lo:[0,1] neg_hi:[0,1]
	v_pk_add_f32 v[68:69], v[60:61], v[66:67]
	v_mov_b32_e32 v63, v60
	v_mov_b32_e32 v65, v69
	v_pk_add_f32 v[70:71], v[62:63], v[64:65] neg_lo:[0,1] neg_hi:[0,1]
	v_pk_add_f32 v[62:63], v[62:63], v[64:65]
	v_mov_b32_e32 v66, v67
	v_pk_add_f32 v[64:65], v[62:63], v[60:61] op_sel:[1,0] op_sel_hi:[0,1] neg_lo:[0,1] neg_hi:[0,1]
	v_pk_add_f32 v[72:73], v[68:69], v[64:65] op_sel_hi:[1,0] neg_lo:[0,1] neg_hi:[0,1]
	v_mov_b32_e32 v68, v69
	v_mov_b32_e32 v69, v63
	v_pk_mov_b32 v[64:65], v[60:61], v[64:65] op_sel:[1,0]
	v_mov_b32_e32 v67, v60
	v_pk_add_f32 v[64:65], v[68:69], v[64:65] neg_lo:[0,1] neg_hi:[0,1]
	v_mov_b32_e32 v72, v70
	v_pk_add_f32 v[60:61], v[66:67], v[64:65] neg_lo:[0,1] neg_hi:[0,1]
	v_mov_b32_e32 v71, v63
	v_pk_add_f32 v[64:65], v[72:73], v[60:61]
	s_nop 0
	v_pk_add_f32 v[66:67], v[64:65], v[64:65] op_sel:[0,1] op_sel_hi:[1,0]
	s_nop 0
	v_pk_add_f32 v[62:63], v[62:63], v[66:67] op_sel:[1,0] op_sel_hi:[0,1]
	v_mov_b32_e32 v65, v62
	v_pk_add_f32 v[68:69], v[64:65], v[70:71] neg_lo:[0,1] neg_hi:[0,1]
	v_mov_b32_e32 v61, v66
	v_sub_f32_e32 v15, v64, v68
	v_pk_add_f32 v[60:61], v[60:61], v[68:69] neg_lo:[0,1] neg_hi:[0,1]
	v_sub_f32_e32 v15, v70, v15
	v_add_f32_e32 v15, v60, v15
	v_add_f32_e32 v15, v15, v61
	;; [unrolled: 1-line block ×3, first 2 shown]
	v_cndmask_b32_e32 v15, v58, v15, vcc
	v_cmp_lt_f32_e64 vcc, |v17|, s63
	s_nop 1
	v_cndmask_b32_e32 v15, v15, v17, vcc
	v_add_f32_e32 v17, v10, v15
.LBB88_143:                             ;   in Loop: Header=BB88_135 Depth=1
	s_or_b64 exec, exec, s[40:41]
	v_mov_b32_e32 v10, v17
	v_mov_b32_e32 v15, v17
.LBB88_144:                             ;   in Loop: Header=BB88_135 Depth=1
	s_or_b64 exec, exec, s[54:55]
	s_waitcnt lgkmcnt(0)
	ds_bpermute_b32 v17, v45, v10
	v_cmp_le_u32_e32 vcc, v46, v16
	s_and_saveexec_b64 s[54:55], vcc
	s_cbranch_execz .LBB88_148
; %bb.145:                              ;   in Loop: Header=BB88_135 Depth=1
	v_max_f32_e32 v10, v15, v15
	s_waitcnt lgkmcnt(0)
	v_max_f32_e32 v60, v17, v17
	v_min_f32_e32 v59, v60, v10
	v_cmp_u_f32_e32 vcc, v17, v17
	v_max_f32_e32 v10, v60, v10
	v_cmp_u_f32_e64 s[40:41], v15, v15
	v_cndmask_b32_e32 v59, v59, v17, vcc
	v_cndmask_b32_e32 v10, v10, v17, vcc
	v_cndmask_b32_e64 v59, v59, v15, s[40:41]
	v_cndmask_b32_e64 v10, v10, v15, s[40:41]
	v_cmp_neq_f32_e32 vcc, v59, v10
	v_cmp_class_f32_e64 s[40:41], v59, s3
	s_or_b64 s[64:65], vcc, s[40:41]
	s_and_saveexec_b64 s[40:41], s[64:65]
	s_cbranch_execz .LBB88_147
; %bb.146:                              ;   in Loop: Header=BB88_135 Depth=1
	v_sub_f32_e32 v15, v59, v10
	v_mul_f32_e32 v17, 0x3fb8aa3b, v15
	v_fma_f32 v59, v15, s57, -v17
	v_rndne_f32_e32 v60, v17
	v_fmac_f32_e32 v59, 0x32a5705f, v15
	v_sub_f32_e32 v17, v17, v60
	v_add_f32_e32 v17, v17, v59
	v_cvt_i32_f32_e32 v59, v60
	v_exp_f32_e32 v17, v17
	v_cmp_ngt_f32_e32 vcc, s58, v15
	v_ldexp_f32 v17, v17, v59
	s_nop 0
	v_cndmask_b32_e32 v17, 0, v17, vcc
	v_cmp_nlt_f32_e32 vcc, s59, v15
	s_nop 1
	v_cndmask_b32_e32 v17, v58, v17, vcc
	v_add_f32_e32 v15, 1.0, v17
	v_add_f32_e32 v59, -1.0, v15
	v_sub_f32_e32 v60, v59, v15
	v_add_f32_e32 v60, 1.0, v60
	v_sub_f32_e32 v59, v17, v59
	v_add_f32_e32 v59, v59, v60
	v_frexp_mant_f32_e32 v62, v15
	v_cvt_f64_f32_e32 v[60:61], v15
	v_frexp_exp_i32_f64_e32 v60, v[60:61]
	v_cmp_gt_f32_e32 vcc, s61, v62
	s_nop 1
	v_subbrev_co_u32_e32 v68, vcc, 0, v60, vcc
	v_sub_u32_e32 v60, 0, v68
	v_ldexp_f32 v15, v15, v60
	v_ldexp_f32 v59, v59, v60
	v_add_f32_e32 v60, -1.0, v15
	v_add_f32_e32 v61, 1.0, v60
	v_sub_f32_e32 v61, v15, v61
	v_add_f32_e32 v62, v59, v61
	v_add_f32_e32 v61, 1.0, v15
	v_add_f32_e32 v63, -1.0, v61
	v_sub_f32_e32 v15, v15, v63
	v_add_f32_e32 v15, v59, v15
	v_add_f32_e32 v59, v61, v15
	v_rcp_f32_e32 v69, v59
	v_sub_f32_e32 v61, v61, v59
	v_add_f32_e32 v15, v15, v61
	v_add_f32_e32 v61, v60, v62
	v_sub_f32_e32 v60, v60, v61
	v_mul_f32_e32 v71, v61, v69
	v_add_f32_e32 v70, v62, v60
	v_mul_f32_e32 v62, v59, v71
	v_fma_f32 v64, v71, v59, -v62
	v_fmac_f32_e32 v64, v71, v15
	v_add_f32_e32 v60, v62, v64
	v_sub_f32_e32 v63, v61, v60
	v_pk_add_f32 v[66:67], v[60:61], v[62:63] neg_lo:[0,1] neg_hi:[0,1]
	v_mov_b32_e32 v65, v60
	v_pk_add_f32 v[60:61], v[66:67], v[64:65] neg_lo:[0,1] neg_hi:[0,1]
	v_cmp_neq_f32_e32 vcc, s60, v17
	v_add_f32_e32 v61, v70, v61
	v_add_f32_e32 v60, v60, v61
	v_add_f32_e32 v61, v63, v60
	v_mul_f32_e32 v70, v69, v61
	v_mul_f32_e32 v62, v59, v70
	v_fma_f32 v64, v70, v59, -v62
	v_fmac_f32_e32 v64, v70, v15
	v_sub_f32_e32 v15, v63, v61
	v_add_f32_e32 v15, v60, v15
	v_add_f32_e32 v60, v62, v64
	v_sub_f32_e32 v63, v61, v60
	v_pk_add_f32 v[66:67], v[60:61], v[62:63] neg_lo:[0,1] neg_hi:[0,1]
	v_mov_b32_e32 v65, v60
	v_pk_add_f32 v[60:61], v[66:67], v[64:65] neg_lo:[0,1] neg_hi:[0,1]
	v_add_f32_e32 v59, v71, v70
	v_add_f32_e32 v15, v15, v61
	;; [unrolled: 1-line block ×4, first 2 shown]
	v_sub_f32_e32 v60, v59, v71
	v_mul_f32_e32 v15, v69, v15
	v_sub_f32_e32 v60, v70, v60
	v_add_f32_e32 v61, v60, v15
	v_add_f32_e32 v62, v59, v61
	v_cvt_f32_i32_e32 v60, v68
	v_mul_f32_e32 v64, v62, v62
	v_fmamk_f32 v15, v64, 0x3e9b6dac, v56
	v_sub_f32_e32 v59, v62, v59
	v_fmaak_f32 v15, v64, v15, 0x3f2aaada
	v_sub_f32_e32 v59, v61, v59
	v_mul_f32_e32 v61, v62, v64
	v_pk_mul_f32 v[64:65], v[60:61], v[14:15]
	v_ldexp_f32 v63, v62, 1
	v_fma_f32 v62, v60, s62, -v64
	v_fmac_f32_e32 v62, 0xb102e308, v60
	v_pk_add_f32 v[60:61], v[64:65], v[62:63]
	v_ldexp_f32 v59, v59, 1
	v_sub_f32_e32 v15, v61, v63
	v_sub_f32_e32 v15, v65, v15
	v_add_f32_e32 v67, v59, v15
	v_mov_b32_e32 v66, v64
	v_pk_add_f32 v[64:65], v[60:61], v[64:65] neg_lo:[0,1] neg_hi:[0,1]
	v_pk_add_f32 v[68:69], v[60:61], v[66:67]
	v_mov_b32_e32 v63, v60
	v_mov_b32_e32 v65, v69
	v_pk_add_f32 v[70:71], v[62:63], v[64:65] neg_lo:[0,1] neg_hi:[0,1]
	v_pk_add_f32 v[62:63], v[62:63], v[64:65]
	v_mov_b32_e32 v66, v67
	v_pk_add_f32 v[64:65], v[62:63], v[60:61] op_sel:[1,0] op_sel_hi:[0,1] neg_lo:[0,1] neg_hi:[0,1]
	v_pk_add_f32 v[72:73], v[68:69], v[64:65] op_sel_hi:[1,0] neg_lo:[0,1] neg_hi:[0,1]
	v_mov_b32_e32 v68, v69
	v_mov_b32_e32 v69, v63
	v_pk_mov_b32 v[64:65], v[60:61], v[64:65] op_sel:[1,0]
	v_mov_b32_e32 v67, v60
	v_pk_add_f32 v[64:65], v[68:69], v[64:65] neg_lo:[0,1] neg_hi:[0,1]
	v_mov_b32_e32 v72, v70
	v_pk_add_f32 v[60:61], v[66:67], v[64:65] neg_lo:[0,1] neg_hi:[0,1]
	v_mov_b32_e32 v71, v63
	v_pk_add_f32 v[64:65], v[72:73], v[60:61]
	s_nop 0
	v_pk_add_f32 v[66:67], v[64:65], v[64:65] op_sel:[0,1] op_sel_hi:[1,0]
	s_nop 0
	v_pk_add_f32 v[62:63], v[62:63], v[66:67] op_sel:[1,0] op_sel_hi:[0,1]
	v_mov_b32_e32 v65, v62
	v_pk_add_f32 v[68:69], v[64:65], v[70:71] neg_lo:[0,1] neg_hi:[0,1]
	v_mov_b32_e32 v61, v66
	v_sub_f32_e32 v15, v64, v68
	v_pk_add_f32 v[60:61], v[60:61], v[68:69] neg_lo:[0,1] neg_hi:[0,1]
	v_sub_f32_e32 v15, v70, v15
	v_add_f32_e32 v15, v60, v15
	v_add_f32_e32 v15, v15, v61
	;; [unrolled: 1-line block ×3, first 2 shown]
	v_cndmask_b32_e32 v15, v58, v15, vcc
	v_cmp_lt_f32_e64 vcc, |v17|, s63
	s_nop 1
	v_cndmask_b32_e32 v15, v15, v17, vcc
	v_add_f32_e32 v17, v10, v15
.LBB88_147:                             ;   in Loop: Header=BB88_135 Depth=1
	s_or_b64 exec, exec, s[40:41]
	v_mov_b32_e32 v10, v17
	v_mov_b32_e32 v15, v17
.LBB88_148:                             ;   in Loop: Header=BB88_135 Depth=1
	s_or_b64 exec, exec, s[54:55]
	s_waitcnt lgkmcnt(0)
	ds_bpermute_b32 v17, v47, v10
	v_cmp_le_u32_e32 vcc, v48, v16
	s_and_saveexec_b64 s[54:55], vcc
	s_cbranch_execz .LBB88_152
; %bb.149:                              ;   in Loop: Header=BB88_135 Depth=1
	v_max_f32_e32 v10, v15, v15
	s_waitcnt lgkmcnt(0)
	v_max_f32_e32 v60, v17, v17
	v_min_f32_e32 v59, v60, v10
	v_cmp_u_f32_e32 vcc, v17, v17
	v_max_f32_e32 v10, v60, v10
	v_cmp_u_f32_e64 s[40:41], v15, v15
	v_cndmask_b32_e32 v59, v59, v17, vcc
	v_cndmask_b32_e32 v10, v10, v17, vcc
	v_cndmask_b32_e64 v59, v59, v15, s[40:41]
	v_cndmask_b32_e64 v10, v10, v15, s[40:41]
	v_cmp_neq_f32_e32 vcc, v59, v10
	v_cmp_class_f32_e64 s[40:41], v59, s3
	s_or_b64 s[64:65], vcc, s[40:41]
	s_and_saveexec_b64 s[40:41], s[64:65]
	s_cbranch_execz .LBB88_151
; %bb.150:                              ;   in Loop: Header=BB88_135 Depth=1
	v_sub_f32_e32 v15, v59, v10
	v_mul_f32_e32 v17, 0x3fb8aa3b, v15
	v_fma_f32 v59, v15, s57, -v17
	v_rndne_f32_e32 v60, v17
	v_fmac_f32_e32 v59, 0x32a5705f, v15
	v_sub_f32_e32 v17, v17, v60
	v_add_f32_e32 v17, v17, v59
	v_cvt_i32_f32_e32 v59, v60
	v_exp_f32_e32 v17, v17
	v_cmp_ngt_f32_e32 vcc, s58, v15
	v_ldexp_f32 v17, v17, v59
	s_nop 0
	v_cndmask_b32_e32 v17, 0, v17, vcc
	v_cmp_nlt_f32_e32 vcc, s59, v15
	s_nop 1
	v_cndmask_b32_e32 v17, v58, v17, vcc
	v_add_f32_e32 v15, 1.0, v17
	v_add_f32_e32 v59, -1.0, v15
	v_sub_f32_e32 v60, v59, v15
	v_add_f32_e32 v60, 1.0, v60
	v_sub_f32_e32 v59, v17, v59
	v_add_f32_e32 v59, v59, v60
	v_frexp_mant_f32_e32 v62, v15
	v_cvt_f64_f32_e32 v[60:61], v15
	v_frexp_exp_i32_f64_e32 v60, v[60:61]
	v_cmp_gt_f32_e32 vcc, s61, v62
	s_nop 1
	v_subbrev_co_u32_e32 v68, vcc, 0, v60, vcc
	v_sub_u32_e32 v60, 0, v68
	v_ldexp_f32 v15, v15, v60
	v_ldexp_f32 v59, v59, v60
	v_add_f32_e32 v60, -1.0, v15
	v_add_f32_e32 v61, 1.0, v60
	v_sub_f32_e32 v61, v15, v61
	v_add_f32_e32 v62, v59, v61
	v_add_f32_e32 v61, 1.0, v15
	v_add_f32_e32 v63, -1.0, v61
	v_sub_f32_e32 v15, v15, v63
	v_add_f32_e32 v15, v59, v15
	v_add_f32_e32 v59, v61, v15
	v_rcp_f32_e32 v69, v59
	v_sub_f32_e32 v61, v61, v59
	v_add_f32_e32 v15, v15, v61
	v_add_f32_e32 v61, v60, v62
	v_sub_f32_e32 v60, v60, v61
	v_mul_f32_e32 v71, v61, v69
	v_add_f32_e32 v70, v62, v60
	v_mul_f32_e32 v62, v59, v71
	v_fma_f32 v64, v71, v59, -v62
	v_fmac_f32_e32 v64, v71, v15
	v_add_f32_e32 v60, v62, v64
	v_sub_f32_e32 v63, v61, v60
	v_pk_add_f32 v[66:67], v[60:61], v[62:63] neg_lo:[0,1] neg_hi:[0,1]
	v_mov_b32_e32 v65, v60
	v_pk_add_f32 v[60:61], v[66:67], v[64:65] neg_lo:[0,1] neg_hi:[0,1]
	v_cmp_neq_f32_e32 vcc, s60, v17
	v_add_f32_e32 v61, v70, v61
	v_add_f32_e32 v60, v60, v61
	;; [unrolled: 1-line block ×3, first 2 shown]
	v_mul_f32_e32 v70, v69, v61
	v_mul_f32_e32 v62, v59, v70
	v_fma_f32 v64, v70, v59, -v62
	v_fmac_f32_e32 v64, v70, v15
	v_sub_f32_e32 v15, v63, v61
	v_add_f32_e32 v15, v60, v15
	v_add_f32_e32 v60, v62, v64
	v_sub_f32_e32 v63, v61, v60
	v_pk_add_f32 v[66:67], v[60:61], v[62:63] neg_lo:[0,1] neg_hi:[0,1]
	v_mov_b32_e32 v65, v60
	v_pk_add_f32 v[60:61], v[66:67], v[64:65] neg_lo:[0,1] neg_hi:[0,1]
	v_add_f32_e32 v59, v71, v70
	v_add_f32_e32 v15, v15, v61
	;; [unrolled: 1-line block ×4, first 2 shown]
	v_sub_f32_e32 v60, v59, v71
	v_mul_f32_e32 v15, v69, v15
	v_sub_f32_e32 v60, v70, v60
	v_add_f32_e32 v61, v60, v15
	v_add_f32_e32 v62, v59, v61
	v_cvt_f32_i32_e32 v60, v68
	v_mul_f32_e32 v64, v62, v62
	v_fmamk_f32 v15, v64, 0x3e9b6dac, v56
	v_sub_f32_e32 v59, v62, v59
	v_fmaak_f32 v15, v64, v15, 0x3f2aaada
	v_sub_f32_e32 v59, v61, v59
	v_mul_f32_e32 v61, v62, v64
	v_pk_mul_f32 v[64:65], v[60:61], v[14:15]
	v_ldexp_f32 v63, v62, 1
	v_fma_f32 v62, v60, s62, -v64
	v_fmac_f32_e32 v62, 0xb102e308, v60
	v_pk_add_f32 v[60:61], v[64:65], v[62:63]
	v_ldexp_f32 v59, v59, 1
	v_sub_f32_e32 v15, v61, v63
	v_sub_f32_e32 v15, v65, v15
	v_add_f32_e32 v67, v59, v15
	v_mov_b32_e32 v66, v64
	v_pk_add_f32 v[64:65], v[60:61], v[64:65] neg_lo:[0,1] neg_hi:[0,1]
	v_pk_add_f32 v[68:69], v[60:61], v[66:67]
	v_mov_b32_e32 v63, v60
	v_mov_b32_e32 v65, v69
	v_pk_add_f32 v[70:71], v[62:63], v[64:65] neg_lo:[0,1] neg_hi:[0,1]
	v_pk_add_f32 v[62:63], v[62:63], v[64:65]
	v_mov_b32_e32 v66, v67
	v_pk_add_f32 v[64:65], v[62:63], v[60:61] op_sel:[1,0] op_sel_hi:[0,1] neg_lo:[0,1] neg_hi:[0,1]
	v_pk_add_f32 v[72:73], v[68:69], v[64:65] op_sel_hi:[1,0] neg_lo:[0,1] neg_hi:[0,1]
	v_mov_b32_e32 v68, v69
	v_mov_b32_e32 v69, v63
	v_pk_mov_b32 v[64:65], v[60:61], v[64:65] op_sel:[1,0]
	v_mov_b32_e32 v67, v60
	v_pk_add_f32 v[64:65], v[68:69], v[64:65] neg_lo:[0,1] neg_hi:[0,1]
	v_mov_b32_e32 v72, v70
	v_pk_add_f32 v[60:61], v[66:67], v[64:65] neg_lo:[0,1] neg_hi:[0,1]
	v_mov_b32_e32 v71, v63
	v_pk_add_f32 v[64:65], v[72:73], v[60:61]
	s_nop 0
	v_pk_add_f32 v[66:67], v[64:65], v[64:65] op_sel:[0,1] op_sel_hi:[1,0]
	s_nop 0
	v_pk_add_f32 v[62:63], v[62:63], v[66:67] op_sel:[1,0] op_sel_hi:[0,1]
	v_mov_b32_e32 v65, v62
	v_pk_add_f32 v[68:69], v[64:65], v[70:71] neg_lo:[0,1] neg_hi:[0,1]
	v_mov_b32_e32 v61, v66
	v_sub_f32_e32 v15, v64, v68
	v_pk_add_f32 v[60:61], v[60:61], v[68:69] neg_lo:[0,1] neg_hi:[0,1]
	v_sub_f32_e32 v15, v70, v15
	v_add_f32_e32 v15, v60, v15
	v_add_f32_e32 v15, v15, v61
	;; [unrolled: 1-line block ×3, first 2 shown]
	v_cndmask_b32_e32 v15, v58, v15, vcc
	v_cmp_lt_f32_e64 vcc, |v17|, s63
	s_nop 1
	v_cndmask_b32_e32 v15, v15, v17, vcc
	v_add_f32_e32 v17, v10, v15
.LBB88_151:                             ;   in Loop: Header=BB88_135 Depth=1
	s_or_b64 exec, exec, s[40:41]
	v_mov_b32_e32 v10, v17
	v_mov_b32_e32 v15, v17
.LBB88_152:                             ;   in Loop: Header=BB88_135 Depth=1
	s_or_b64 exec, exec, s[54:55]
	s_waitcnt lgkmcnt(0)
	ds_bpermute_b32 v17, v49, v10
	v_cmp_le_u32_e32 vcc, v50, v16
	s_and_saveexec_b64 s[54:55], vcc
	s_cbranch_execz .LBB88_156
; %bb.153:                              ;   in Loop: Header=BB88_135 Depth=1
	v_max_f32_e32 v10, v15, v15
	s_waitcnt lgkmcnt(0)
	v_max_f32_e32 v60, v17, v17
	v_min_f32_e32 v59, v60, v10
	v_cmp_u_f32_e32 vcc, v17, v17
	v_max_f32_e32 v10, v60, v10
	v_cmp_u_f32_e64 s[40:41], v15, v15
	v_cndmask_b32_e32 v59, v59, v17, vcc
	v_cndmask_b32_e32 v10, v10, v17, vcc
	v_cndmask_b32_e64 v59, v59, v15, s[40:41]
	v_cndmask_b32_e64 v10, v10, v15, s[40:41]
	v_cmp_neq_f32_e32 vcc, v59, v10
	v_cmp_class_f32_e64 s[40:41], v59, s3
	s_or_b64 s[64:65], vcc, s[40:41]
	s_and_saveexec_b64 s[40:41], s[64:65]
	s_cbranch_execz .LBB88_155
; %bb.154:                              ;   in Loop: Header=BB88_135 Depth=1
	v_sub_f32_e32 v15, v59, v10
	v_mul_f32_e32 v17, 0x3fb8aa3b, v15
	v_fma_f32 v59, v15, s57, -v17
	v_rndne_f32_e32 v60, v17
	v_fmac_f32_e32 v59, 0x32a5705f, v15
	v_sub_f32_e32 v17, v17, v60
	v_add_f32_e32 v17, v17, v59
	v_cvt_i32_f32_e32 v59, v60
	v_exp_f32_e32 v17, v17
	v_cmp_ngt_f32_e32 vcc, s58, v15
	v_ldexp_f32 v17, v17, v59
	s_nop 0
	v_cndmask_b32_e32 v17, 0, v17, vcc
	v_cmp_nlt_f32_e32 vcc, s59, v15
	s_nop 1
	v_cndmask_b32_e32 v17, v58, v17, vcc
	v_add_f32_e32 v15, 1.0, v17
	v_add_f32_e32 v59, -1.0, v15
	v_sub_f32_e32 v60, v59, v15
	v_add_f32_e32 v60, 1.0, v60
	v_sub_f32_e32 v59, v17, v59
	v_add_f32_e32 v59, v59, v60
	v_frexp_mant_f32_e32 v62, v15
	v_cvt_f64_f32_e32 v[60:61], v15
	v_frexp_exp_i32_f64_e32 v60, v[60:61]
	v_cmp_gt_f32_e32 vcc, s61, v62
	s_nop 1
	v_subbrev_co_u32_e32 v68, vcc, 0, v60, vcc
	v_sub_u32_e32 v60, 0, v68
	v_ldexp_f32 v15, v15, v60
	v_ldexp_f32 v59, v59, v60
	v_add_f32_e32 v60, -1.0, v15
	v_add_f32_e32 v61, 1.0, v60
	v_sub_f32_e32 v61, v15, v61
	v_add_f32_e32 v62, v59, v61
	v_add_f32_e32 v61, 1.0, v15
	v_add_f32_e32 v63, -1.0, v61
	v_sub_f32_e32 v15, v15, v63
	v_add_f32_e32 v15, v59, v15
	v_add_f32_e32 v59, v61, v15
	v_rcp_f32_e32 v69, v59
	v_sub_f32_e32 v61, v61, v59
	v_add_f32_e32 v15, v15, v61
	v_add_f32_e32 v61, v60, v62
	v_sub_f32_e32 v60, v60, v61
	v_mul_f32_e32 v71, v61, v69
	v_add_f32_e32 v70, v62, v60
	v_mul_f32_e32 v62, v59, v71
	v_fma_f32 v64, v71, v59, -v62
	v_fmac_f32_e32 v64, v71, v15
	v_add_f32_e32 v60, v62, v64
	v_sub_f32_e32 v63, v61, v60
	v_pk_add_f32 v[66:67], v[60:61], v[62:63] neg_lo:[0,1] neg_hi:[0,1]
	v_mov_b32_e32 v65, v60
	v_pk_add_f32 v[60:61], v[66:67], v[64:65] neg_lo:[0,1] neg_hi:[0,1]
	v_cmp_neq_f32_e32 vcc, s60, v17
	v_add_f32_e32 v61, v70, v61
	v_add_f32_e32 v60, v60, v61
	;; [unrolled: 1-line block ×3, first 2 shown]
	v_mul_f32_e32 v70, v69, v61
	v_mul_f32_e32 v62, v59, v70
	v_fma_f32 v64, v70, v59, -v62
	v_fmac_f32_e32 v64, v70, v15
	v_sub_f32_e32 v15, v63, v61
	v_add_f32_e32 v15, v60, v15
	v_add_f32_e32 v60, v62, v64
	v_sub_f32_e32 v63, v61, v60
	v_pk_add_f32 v[66:67], v[60:61], v[62:63] neg_lo:[0,1] neg_hi:[0,1]
	v_mov_b32_e32 v65, v60
	v_pk_add_f32 v[60:61], v[66:67], v[64:65] neg_lo:[0,1] neg_hi:[0,1]
	v_add_f32_e32 v59, v71, v70
	v_add_f32_e32 v15, v15, v61
	;; [unrolled: 1-line block ×4, first 2 shown]
	v_sub_f32_e32 v60, v59, v71
	v_mul_f32_e32 v15, v69, v15
	v_sub_f32_e32 v60, v70, v60
	v_add_f32_e32 v61, v60, v15
	v_add_f32_e32 v62, v59, v61
	v_cvt_f32_i32_e32 v60, v68
	v_mul_f32_e32 v64, v62, v62
	v_fmamk_f32 v15, v64, 0x3e9b6dac, v56
	v_sub_f32_e32 v59, v62, v59
	v_fmaak_f32 v15, v64, v15, 0x3f2aaada
	v_sub_f32_e32 v59, v61, v59
	v_mul_f32_e32 v61, v62, v64
	v_pk_mul_f32 v[64:65], v[60:61], v[14:15]
	v_ldexp_f32 v63, v62, 1
	v_fma_f32 v62, v60, s62, -v64
	v_fmac_f32_e32 v62, 0xb102e308, v60
	v_pk_add_f32 v[60:61], v[64:65], v[62:63]
	v_ldexp_f32 v59, v59, 1
	v_sub_f32_e32 v15, v61, v63
	v_sub_f32_e32 v15, v65, v15
	v_add_f32_e32 v67, v59, v15
	v_mov_b32_e32 v66, v64
	v_pk_add_f32 v[64:65], v[60:61], v[64:65] neg_lo:[0,1] neg_hi:[0,1]
	v_pk_add_f32 v[68:69], v[60:61], v[66:67]
	v_mov_b32_e32 v63, v60
	v_mov_b32_e32 v65, v69
	v_pk_add_f32 v[70:71], v[62:63], v[64:65] neg_lo:[0,1] neg_hi:[0,1]
	v_pk_add_f32 v[62:63], v[62:63], v[64:65]
	v_mov_b32_e32 v66, v67
	v_pk_add_f32 v[64:65], v[62:63], v[60:61] op_sel:[1,0] op_sel_hi:[0,1] neg_lo:[0,1] neg_hi:[0,1]
	v_pk_add_f32 v[72:73], v[68:69], v[64:65] op_sel_hi:[1,0] neg_lo:[0,1] neg_hi:[0,1]
	v_mov_b32_e32 v68, v69
	v_mov_b32_e32 v69, v63
	v_pk_mov_b32 v[64:65], v[60:61], v[64:65] op_sel:[1,0]
	v_mov_b32_e32 v67, v60
	v_pk_add_f32 v[64:65], v[68:69], v[64:65] neg_lo:[0,1] neg_hi:[0,1]
	v_mov_b32_e32 v72, v70
	v_pk_add_f32 v[60:61], v[66:67], v[64:65] neg_lo:[0,1] neg_hi:[0,1]
	v_mov_b32_e32 v71, v63
	v_pk_add_f32 v[64:65], v[72:73], v[60:61]
	s_nop 0
	v_pk_add_f32 v[66:67], v[64:65], v[64:65] op_sel:[0,1] op_sel_hi:[1,0]
	s_nop 0
	v_pk_add_f32 v[62:63], v[62:63], v[66:67] op_sel:[1,0] op_sel_hi:[0,1]
	v_mov_b32_e32 v65, v62
	v_pk_add_f32 v[68:69], v[64:65], v[70:71] neg_lo:[0,1] neg_hi:[0,1]
	v_mov_b32_e32 v61, v66
	v_sub_f32_e32 v15, v64, v68
	v_pk_add_f32 v[60:61], v[60:61], v[68:69] neg_lo:[0,1] neg_hi:[0,1]
	v_sub_f32_e32 v15, v70, v15
	v_add_f32_e32 v15, v60, v15
	v_add_f32_e32 v15, v15, v61
	;; [unrolled: 1-line block ×3, first 2 shown]
	v_cndmask_b32_e32 v15, v58, v15, vcc
	v_cmp_lt_f32_e64 vcc, |v17|, s63
	s_nop 1
	v_cndmask_b32_e32 v15, v15, v17, vcc
	v_add_f32_e32 v17, v10, v15
.LBB88_155:                             ;   in Loop: Header=BB88_135 Depth=1
	s_or_b64 exec, exec, s[40:41]
	v_mov_b32_e32 v10, v17
	v_mov_b32_e32 v15, v17
.LBB88_156:                             ;   in Loop: Header=BB88_135 Depth=1
	s_or_b64 exec, exec, s[54:55]
	s_waitcnt lgkmcnt(0)
	ds_bpermute_b32 v17, v51, v10
	v_cmp_le_u32_e32 vcc, v52, v16
	s_and_saveexec_b64 s[54:55], vcc
	s_cbranch_execz .LBB88_160
; %bb.157:                              ;   in Loop: Header=BB88_135 Depth=1
	v_max_f32_e32 v10, v15, v15
	s_waitcnt lgkmcnt(0)
	v_max_f32_e32 v60, v17, v17
	v_min_f32_e32 v59, v60, v10
	v_cmp_u_f32_e32 vcc, v17, v17
	v_max_f32_e32 v10, v60, v10
	v_cmp_u_f32_e64 s[40:41], v15, v15
	v_cndmask_b32_e32 v59, v59, v17, vcc
	v_cndmask_b32_e32 v10, v10, v17, vcc
	v_cndmask_b32_e64 v59, v59, v15, s[40:41]
	v_cndmask_b32_e64 v10, v10, v15, s[40:41]
	v_cmp_neq_f32_e32 vcc, v59, v10
	v_cmp_class_f32_e64 s[40:41], v59, s3
	s_or_b64 s[64:65], vcc, s[40:41]
	s_and_saveexec_b64 s[40:41], s[64:65]
	s_cbranch_execz .LBB88_159
; %bb.158:                              ;   in Loop: Header=BB88_135 Depth=1
	v_sub_f32_e32 v15, v59, v10
	v_mul_f32_e32 v17, 0x3fb8aa3b, v15
	v_fma_f32 v59, v15, s57, -v17
	v_rndne_f32_e32 v60, v17
	v_fmac_f32_e32 v59, 0x32a5705f, v15
	v_sub_f32_e32 v17, v17, v60
	v_add_f32_e32 v17, v17, v59
	v_cvt_i32_f32_e32 v59, v60
	v_exp_f32_e32 v17, v17
	v_cmp_ngt_f32_e32 vcc, s58, v15
	v_ldexp_f32 v17, v17, v59
	s_nop 0
	v_cndmask_b32_e32 v17, 0, v17, vcc
	v_cmp_nlt_f32_e32 vcc, s59, v15
	s_nop 1
	v_cndmask_b32_e32 v17, v58, v17, vcc
	v_add_f32_e32 v15, 1.0, v17
	v_add_f32_e32 v59, -1.0, v15
	v_sub_f32_e32 v60, v59, v15
	v_add_f32_e32 v60, 1.0, v60
	v_sub_f32_e32 v59, v17, v59
	v_add_f32_e32 v59, v59, v60
	v_frexp_mant_f32_e32 v62, v15
	v_cvt_f64_f32_e32 v[60:61], v15
	v_frexp_exp_i32_f64_e32 v60, v[60:61]
	v_cmp_gt_f32_e32 vcc, s61, v62
	s_nop 1
	v_subbrev_co_u32_e32 v68, vcc, 0, v60, vcc
	v_sub_u32_e32 v60, 0, v68
	v_ldexp_f32 v15, v15, v60
	v_ldexp_f32 v59, v59, v60
	v_add_f32_e32 v60, -1.0, v15
	v_add_f32_e32 v61, 1.0, v60
	v_sub_f32_e32 v61, v15, v61
	v_add_f32_e32 v62, v59, v61
	v_add_f32_e32 v61, 1.0, v15
	v_add_f32_e32 v63, -1.0, v61
	v_sub_f32_e32 v15, v15, v63
	v_add_f32_e32 v15, v59, v15
	v_add_f32_e32 v59, v61, v15
	v_rcp_f32_e32 v69, v59
	v_sub_f32_e32 v61, v61, v59
	v_add_f32_e32 v15, v15, v61
	v_add_f32_e32 v61, v60, v62
	v_sub_f32_e32 v60, v60, v61
	v_mul_f32_e32 v71, v61, v69
	v_add_f32_e32 v70, v62, v60
	v_mul_f32_e32 v62, v59, v71
	v_fma_f32 v64, v71, v59, -v62
	v_fmac_f32_e32 v64, v71, v15
	v_add_f32_e32 v60, v62, v64
	v_sub_f32_e32 v63, v61, v60
	v_pk_add_f32 v[66:67], v[60:61], v[62:63] neg_lo:[0,1] neg_hi:[0,1]
	v_mov_b32_e32 v65, v60
	v_pk_add_f32 v[60:61], v[66:67], v[64:65] neg_lo:[0,1] neg_hi:[0,1]
	v_cmp_neq_f32_e32 vcc, s60, v17
	v_add_f32_e32 v61, v70, v61
	v_add_f32_e32 v60, v60, v61
	v_add_f32_e32 v61, v63, v60
	v_mul_f32_e32 v70, v69, v61
	v_mul_f32_e32 v62, v59, v70
	v_fma_f32 v64, v70, v59, -v62
	v_fmac_f32_e32 v64, v70, v15
	v_sub_f32_e32 v15, v63, v61
	v_add_f32_e32 v15, v60, v15
	v_add_f32_e32 v60, v62, v64
	v_sub_f32_e32 v63, v61, v60
	v_pk_add_f32 v[66:67], v[60:61], v[62:63] neg_lo:[0,1] neg_hi:[0,1]
	v_mov_b32_e32 v65, v60
	v_pk_add_f32 v[60:61], v[66:67], v[64:65] neg_lo:[0,1] neg_hi:[0,1]
	v_add_f32_e32 v59, v71, v70
	v_add_f32_e32 v15, v15, v61
	;; [unrolled: 1-line block ×4, first 2 shown]
	v_sub_f32_e32 v60, v59, v71
	v_mul_f32_e32 v15, v69, v15
	v_sub_f32_e32 v60, v70, v60
	v_add_f32_e32 v61, v60, v15
	v_add_f32_e32 v62, v59, v61
	v_cvt_f32_i32_e32 v60, v68
	v_mul_f32_e32 v64, v62, v62
	v_fmamk_f32 v15, v64, 0x3e9b6dac, v56
	v_sub_f32_e32 v59, v62, v59
	v_fmaak_f32 v15, v64, v15, 0x3f2aaada
	v_sub_f32_e32 v59, v61, v59
	v_mul_f32_e32 v61, v62, v64
	v_pk_mul_f32 v[64:65], v[60:61], v[14:15]
	v_ldexp_f32 v63, v62, 1
	v_fma_f32 v62, v60, s62, -v64
	v_fmac_f32_e32 v62, 0xb102e308, v60
	v_pk_add_f32 v[60:61], v[64:65], v[62:63]
	v_ldexp_f32 v59, v59, 1
	v_sub_f32_e32 v15, v61, v63
	v_sub_f32_e32 v15, v65, v15
	v_add_f32_e32 v67, v59, v15
	v_mov_b32_e32 v66, v64
	v_pk_add_f32 v[64:65], v[60:61], v[64:65] neg_lo:[0,1] neg_hi:[0,1]
	v_pk_add_f32 v[68:69], v[60:61], v[66:67]
	v_mov_b32_e32 v63, v60
	v_mov_b32_e32 v65, v69
	v_pk_add_f32 v[70:71], v[62:63], v[64:65] neg_lo:[0,1] neg_hi:[0,1]
	v_pk_add_f32 v[62:63], v[62:63], v[64:65]
	v_mov_b32_e32 v66, v67
	v_pk_add_f32 v[64:65], v[62:63], v[60:61] op_sel:[1,0] op_sel_hi:[0,1] neg_lo:[0,1] neg_hi:[0,1]
	v_pk_add_f32 v[72:73], v[68:69], v[64:65] op_sel_hi:[1,0] neg_lo:[0,1] neg_hi:[0,1]
	v_mov_b32_e32 v68, v69
	v_mov_b32_e32 v69, v63
	v_pk_mov_b32 v[64:65], v[60:61], v[64:65] op_sel:[1,0]
	v_mov_b32_e32 v67, v60
	v_pk_add_f32 v[64:65], v[68:69], v[64:65] neg_lo:[0,1] neg_hi:[0,1]
	v_mov_b32_e32 v72, v70
	v_pk_add_f32 v[60:61], v[66:67], v[64:65] neg_lo:[0,1] neg_hi:[0,1]
	v_mov_b32_e32 v71, v63
	v_pk_add_f32 v[64:65], v[72:73], v[60:61]
	s_nop 0
	v_pk_add_f32 v[66:67], v[64:65], v[64:65] op_sel:[0,1] op_sel_hi:[1,0]
	s_nop 0
	v_pk_add_f32 v[62:63], v[62:63], v[66:67] op_sel:[1,0] op_sel_hi:[0,1]
	v_mov_b32_e32 v65, v62
	v_pk_add_f32 v[68:69], v[64:65], v[70:71] neg_lo:[0,1] neg_hi:[0,1]
	v_mov_b32_e32 v61, v66
	v_sub_f32_e32 v15, v64, v68
	v_pk_add_f32 v[60:61], v[60:61], v[68:69] neg_lo:[0,1] neg_hi:[0,1]
	v_sub_f32_e32 v15, v70, v15
	v_add_f32_e32 v15, v60, v15
	v_add_f32_e32 v15, v15, v61
	v_add_f32_e32 v15, v62, v15
	v_cndmask_b32_e32 v15, v58, v15, vcc
	v_cmp_lt_f32_e64 vcc, |v17|, s63
	s_nop 1
	v_cndmask_b32_e32 v15, v15, v17, vcc
	v_add_f32_e32 v17, v10, v15
.LBB88_159:                             ;   in Loop: Header=BB88_135 Depth=1
	s_or_b64 exec, exec, s[40:41]
	v_mov_b32_e32 v10, v17
	v_mov_b32_e32 v15, v17
.LBB88_160:                             ;   in Loop: Header=BB88_135 Depth=1
	s_or_b64 exec, exec, s[54:55]
	s_waitcnt lgkmcnt(0)
	ds_bpermute_b32 v17, v53, v10
	v_cmp_le_u32_e32 vcc, v55, v16
	s_and_saveexec_b64 s[54:55], vcc
	s_cbranch_execz .LBB88_164
; %bb.161:                              ;   in Loop: Header=BB88_135 Depth=1
	v_max_f32_e32 v10, v15, v15
	s_waitcnt lgkmcnt(0)
	v_max_f32_e32 v59, v17, v17
	v_min_f32_e32 v16, v59, v10
	v_cmp_u_f32_e32 vcc, v17, v17
	v_max_f32_e32 v10, v59, v10
	v_cmp_u_f32_e64 s[40:41], v15, v15
	v_cndmask_b32_e32 v16, v16, v17, vcc
	v_cndmask_b32_e32 v10, v10, v17, vcc
	v_cndmask_b32_e64 v16, v16, v15, s[40:41]
	v_cndmask_b32_e64 v10, v10, v15, s[40:41]
	v_cmp_neq_f32_e32 vcc, v16, v10
	v_cmp_class_f32_e64 s[40:41], v16, s3
	s_or_b64 s[64:65], vcc, s[40:41]
	s_and_saveexec_b64 s[40:41], s[64:65]
	s_cbranch_execz .LBB88_163
; %bb.162:                              ;   in Loop: Header=BB88_135 Depth=1
	v_sub_f32_e32 v15, v16, v10
	v_mul_f32_e32 v16, 0x3fb8aa3b, v15
	v_fma_f32 v17, v15, s57, -v16
	v_rndne_f32_e32 v59, v16
	v_fmac_f32_e32 v17, 0x32a5705f, v15
	v_sub_f32_e32 v16, v16, v59
	v_add_f32_e32 v16, v16, v17
	v_cvt_i32_f32_e32 v17, v59
	v_exp_f32_e32 v16, v16
	v_cmp_ngt_f32_e32 vcc, s58, v15
	v_ldexp_f32 v16, v16, v17
	s_nop 0
	v_cndmask_b32_e32 v16, 0, v16, vcc
	v_cmp_nlt_f32_e32 vcc, s59, v15
	s_nop 1
	v_cndmask_b32_e32 v59, v58, v16, vcc
	v_add_f32_e32 v15, 1.0, v59
	v_add_f32_e32 v16, -1.0, v15
	v_sub_f32_e32 v17, v16, v15
	v_add_f32_e32 v17, 1.0, v17
	v_sub_f32_e32 v16, v59, v16
	v_add_f32_e32 v60, v16, v17
	v_frexp_mant_f32_e32 v61, v15
	v_cvt_f64_f32_e32 v[16:17], v15
	v_frexp_exp_i32_f64_e32 v16, v[16:17]
	v_cmp_gt_f32_e32 vcc, s61, v61
	s_nop 1
	v_subbrev_co_u32_e32 v66, vcc, 0, v16, vcc
	v_sub_u32_e32 v16, 0, v66
	v_ldexp_f32 v15, v15, v16
	v_ldexp_f32 v16, v60, v16
	v_add_f32_e32 v60, -1.0, v15
	v_add_f32_e32 v17, 1.0, v60
	v_sub_f32_e32 v17, v15, v17
	v_add_f32_e32 v61, v16, v17
	v_add_f32_e32 v17, 1.0, v15
	v_add_f32_e32 v62, -1.0, v17
	v_sub_f32_e32 v15, v15, v62
	v_add_f32_e32 v15, v16, v15
	v_add_f32_e32 v67, v17, v15
	v_rcp_f32_e32 v68, v67
	v_sub_f32_e32 v16, v17, v67
	v_add_f32_e32 v17, v60, v61
	v_add_f32_e32 v15, v15, v16
	v_mul_f32_e32 v70, v17, v68
	v_sub_f32_e32 v16, v60, v17
	v_mul_f32_e32 v60, v67, v70
	v_fma_f32 v62, v70, v67, -v60
	v_fmac_f32_e32 v62, v70, v15
	v_add_f32_e32 v69, v61, v16
	v_add_f32_e32 v16, v60, v62
	v_sub_f32_e32 v61, v17, v16
	v_pk_add_f32 v[64:65], v[16:17], v[60:61] neg_lo:[0,1] neg_hi:[0,1]
	v_mov_b32_e32 v63, v16
	v_pk_add_f32 v[16:17], v[64:65], v[62:63] neg_lo:[0,1] neg_hi:[0,1]
	v_cmp_neq_f32_e32 vcc, s60, v59
	v_add_f32_e32 v17, v69, v17
	v_add_f32_e32 v16, v16, v17
	;; [unrolled: 1-line block ×3, first 2 shown]
	v_mul_f32_e32 v69, v68, v17
	v_mul_f32_e32 v60, v67, v69
	v_fma_f32 v62, v69, v67, -v60
	v_fmac_f32_e32 v62, v69, v15
	v_sub_f32_e32 v15, v61, v17
	v_add_f32_e32 v15, v16, v15
	v_add_f32_e32 v16, v60, v62
	v_sub_f32_e32 v61, v17, v16
	v_pk_add_f32 v[64:65], v[16:17], v[60:61] neg_lo:[0,1] neg_hi:[0,1]
	v_mov_b32_e32 v63, v16
	v_pk_add_f32 v[16:17], v[64:65], v[62:63] neg_lo:[0,1] neg_hi:[0,1]
	s_nop 0
	v_add_f32_e32 v15, v15, v17
	v_add_f32_e32 v15, v16, v15
	;; [unrolled: 1-line block ×4, first 2 shown]
	v_sub_f32_e32 v16, v17, v70
	v_mul_f32_e32 v15, v68, v15
	v_sub_f32_e32 v16, v69, v16
	v_add_f32_e32 v60, v16, v15
	v_add_f32_e32 v62, v17, v60
	v_cvt_f32_i32_e32 v16, v66
	v_mul_f32_e32 v63, v62, v62
	v_sub_f32_e32 v17, v62, v17
	v_fmamk_f32 v15, v63, 0x3e9b6dac, v56
	v_sub_f32_e32 v17, v60, v17
	v_fmaak_f32 v15, v63, v15, 0x3f2aaada
	v_ldexp_f32 v64, v17, 1
	v_mul_f32_e32 v17, v62, v63
	v_ldexp_f32 v61, v62, 1
	v_pk_mul_f32 v[62:63], v[16:17], v[14:15]
	s_nop 0
	v_fma_f32 v60, v16, s62, -v62
	v_fmac_f32_e32 v60, 0xb102e308, v16
	v_pk_add_f32 v[16:17], v[62:63], v[60:61]
	s_nop 0
	v_sub_f32_e32 v15, v17, v61
	v_sub_f32_e32 v15, v63, v15
	v_add_f32_e32 v65, v64, v15
	v_mov_b32_e32 v64, v62
	v_pk_add_f32 v[62:63], v[16:17], v[62:63] neg_lo:[0,1] neg_hi:[0,1]
	v_pk_add_f32 v[66:67], v[16:17], v[64:65]
	v_mov_b32_e32 v61, v16
	v_mov_b32_e32 v63, v67
	v_pk_add_f32 v[68:69], v[60:61], v[62:63] neg_lo:[0,1] neg_hi:[0,1]
	v_pk_add_f32 v[60:61], v[60:61], v[62:63]
	v_mov_b32_e32 v64, v65
	v_pk_add_f32 v[62:63], v[60:61], v[16:17] op_sel:[1,0] op_sel_hi:[0,1] neg_lo:[0,1] neg_hi:[0,1]
	v_pk_add_f32 v[70:71], v[66:67], v[62:63] op_sel_hi:[1,0] neg_lo:[0,1] neg_hi:[0,1]
	v_mov_b32_e32 v66, v67
	v_mov_b32_e32 v67, v61
	v_pk_mov_b32 v[62:63], v[16:17], v[62:63] op_sel:[1,0]
	v_mov_b32_e32 v65, v16
	v_pk_add_f32 v[62:63], v[66:67], v[62:63] neg_lo:[0,1] neg_hi:[0,1]
	v_mov_b32_e32 v70, v68
	v_pk_add_f32 v[16:17], v[64:65], v[62:63] neg_lo:[0,1] neg_hi:[0,1]
	v_mov_b32_e32 v69, v61
	v_pk_add_f32 v[62:63], v[70:71], v[16:17]
	s_nop 0
	v_pk_add_f32 v[64:65], v[62:63], v[62:63] op_sel:[0,1] op_sel_hi:[1,0]
	s_nop 0
	v_pk_add_f32 v[60:61], v[60:61], v[64:65] op_sel:[1,0] op_sel_hi:[0,1]
	v_mov_b32_e32 v63, v60
	v_pk_add_f32 v[66:67], v[62:63], v[68:69] neg_lo:[0,1] neg_hi:[0,1]
	v_mov_b32_e32 v17, v64
	v_sub_f32_e32 v15, v62, v66
	v_pk_add_f32 v[16:17], v[16:17], v[66:67] neg_lo:[0,1] neg_hi:[0,1]
	v_sub_f32_e32 v15, v68, v15
	v_add_f32_e32 v15, v16, v15
	v_add_f32_e32 v15, v15, v17
	v_add_f32_e32 v15, v60, v15
	v_cndmask_b32_e32 v15, v58, v15, vcc
	v_cmp_lt_f32_e64 vcc, |v59|, s63
	s_nop 1
	v_cndmask_b32_e32 v15, v15, v59, vcc
	v_add_f32_e32 v17, v10, v15
.LBB88_163:                             ;   in Loop: Header=BB88_135 Depth=1
	s_or_b64 exec, exec, s[40:41]
	v_mov_b32_e32 v15, v17
.LBB88_164:                             ;   in Loop: Header=BB88_135 Depth=1
	s_or_b64 exec, exec, s[54:55]
	v_max_f32_e32 v10, v54, v54
	s_waitcnt lgkmcnt(0)
	v_max_f32_e32 v17, v15, v15
	v_min_f32_e32 v16, v17, v10
	v_cmp_u_f32_e32 vcc, v15, v15
	v_max_f32_e32 v10, v17, v10
	v_cmp_u_f32_e64 s[40:41], v54, v54
	v_cndmask_b32_e32 v16, v16, v15, vcc
	v_cndmask_b32_e32 v10, v10, v15, vcc
	v_cndmask_b32_e64 v16, v16, v54, s[40:41]
	v_cndmask_b32_e64 v10, v10, v54, s[40:41]
	v_cmp_neq_f32_e32 vcc, v16, v10
	v_cmp_class_f32_e64 s[40:41], v16, s3
	s_or_b64 s[40:41], vcc, s[40:41]
	s_and_saveexec_b64 s[54:55], s[40:41]
	s_xor_b64 s[40:41], exec, s[54:55]
	s_cbranch_execz .LBB88_133
; %bb.165:                              ;   in Loop: Header=BB88_135 Depth=1
	v_sub_f32_e32 v15, v16, v10
	v_mul_f32_e32 v16, 0x3fb8aa3b, v15
	v_fma_f32 v17, v15, s57, -v16
	v_rndne_f32_e32 v59, v16
	v_fmac_f32_e32 v17, 0x32a5705f, v15
	v_sub_f32_e32 v16, v16, v59
	v_add_f32_e32 v16, v16, v17
	v_cvt_i32_f32_e32 v17, v59
	v_exp_f32_e32 v16, v16
	v_cmp_ngt_f32_e32 vcc, s58, v15
	v_ldexp_f32 v16, v16, v17
	s_nop 0
	v_cndmask_b32_e32 v16, 0, v16, vcc
	v_cmp_nlt_f32_e32 vcc, s59, v15
	s_nop 1
	v_cndmask_b32_e32 v59, v58, v16, vcc
	v_add_f32_e32 v15, 1.0, v59
	v_add_f32_e32 v16, -1.0, v15
	v_sub_f32_e32 v17, v16, v15
	v_add_f32_e32 v17, 1.0, v17
	v_sub_f32_e32 v16, v59, v16
	v_add_f32_e32 v60, v16, v17
	v_frexp_mant_f32_e32 v61, v15
	v_cvt_f64_f32_e32 v[16:17], v15
	v_frexp_exp_i32_f64_e32 v16, v[16:17]
	v_cmp_gt_f32_e32 vcc, s61, v61
	s_nop 1
	v_subbrev_co_u32_e32 v16, vcc, 0, v16, vcc
	v_sub_u32_e32 v17, 0, v16
	v_ldexp_f32 v15, v15, v17
	v_ldexp_f32 v17, v60, v17
	v_add_f32_e32 v60, -1.0, v15
	v_add_f32_e32 v63, 1.0, v15
	v_add_f32_e32 v61, 1.0, v60
	v_add_f32_e32 v64, -1.0, v63
	v_sub_f32_e32 v61, v15, v61
	v_sub_f32_e32 v15, v15, v64
	v_add_f32_e32 v15, v17, v15
	v_add_f32_e32 v61, v17, v61
	;; [unrolled: 1-line block ×3, first 2 shown]
	v_rcp_f32_e32 v64, v17
	v_add_f32_e32 v62, v60, v61
	v_sub_f32_e32 v60, v60, v62
	v_add_f32_e32 v60, v61, v60
	v_sub_f32_e32 v61, v63, v17
	v_add_f32_e32 v15, v15, v61
	v_mul_f32_e32 v61, v62, v64
	v_mul_f32_e32 v63, v17, v61
	v_fma_f32 v65, v61, v17, -v63
	v_fmac_f32_e32 v65, v61, v15
	v_add_f32_e32 v66, v63, v65
	v_sub_f32_e32 v67, v62, v66
	v_sub_f32_e32 v62, v62, v67
	;; [unrolled: 1-line block ×4, first 2 shown]
	v_add_f32_e32 v60, v60, v62
	v_sub_f32_e32 v62, v63, v65
	v_add_f32_e32 v60, v62, v60
	v_add_f32_e32 v62, v67, v60
	v_mul_f32_e32 v63, v64, v62
	v_mul_f32_e32 v65, v17, v63
	v_fma_f32 v17, v63, v17, -v65
	v_fmac_f32_e32 v17, v63, v15
	v_sub_f32_e32 v15, v67, v62
	v_add_f32_e32 v15, v60, v15
	v_add_f32_e32 v60, v65, v17
	v_sub_f32_e32 v66, v62, v60
	v_sub_f32_e32 v62, v62, v66
	;; [unrolled: 1-line block ×4, first 2 shown]
	v_add_f32_e32 v15, v15, v60
	v_sub_f32_e32 v17, v65, v17
	v_add_f32_e32 v15, v17, v15
	v_add_f32_e32 v17, v61, v63
	;; [unrolled: 1-line block ×3, first 2 shown]
	v_sub_f32_e32 v60, v17, v61
	v_mul_f32_e32 v15, v64, v15
	v_sub_f32_e32 v60, v63, v60
	v_add_f32_e32 v60, v60, v15
	v_add_f32_e32 v62, v17, v60
	v_cvt_f32_i32_e32 v16, v16
	v_mul_f32_e32 v63, v62, v62
	v_sub_f32_e32 v17, v62, v17
	v_fmamk_f32 v15, v63, 0x3e9b6dac, v56
	v_sub_f32_e32 v17, v60, v17
	v_fmaak_f32 v15, v63, v15, 0x3f2aaada
	v_ldexp_f32 v64, v17, 1
	v_mul_f32_e32 v17, v62, v63
	v_ldexp_f32 v61, v62, 1
	v_pk_mul_f32 v[62:63], v[16:17], v[14:15]
	v_cmp_neq_f32_e32 vcc, s60, v59
	v_fma_f32 v60, v16, s62, -v62
	v_fmac_f32_e32 v60, 0xb102e308, v16
	v_pk_add_f32 v[16:17], v[62:63], v[60:61]
	s_nop 0
	v_sub_f32_e32 v15, v17, v61
	v_sub_f32_e32 v15, v63, v15
	v_add_f32_e32 v65, v64, v15
	v_mov_b32_e32 v64, v62
	v_pk_add_f32 v[62:63], v[16:17], v[62:63] neg_lo:[0,1] neg_hi:[0,1]
	v_pk_add_f32 v[66:67], v[16:17], v[64:65]
	v_mov_b32_e32 v61, v16
	v_mov_b32_e32 v63, v67
	v_pk_add_f32 v[68:69], v[60:61], v[62:63] neg_lo:[0,1] neg_hi:[0,1]
	v_pk_add_f32 v[60:61], v[60:61], v[62:63]
	v_mov_b32_e32 v64, v65
	v_pk_add_f32 v[62:63], v[60:61], v[16:17] op_sel:[1,0] op_sel_hi:[0,1] neg_lo:[0,1] neg_hi:[0,1]
	v_pk_add_f32 v[70:71], v[66:67], v[62:63] op_sel_hi:[1,0] neg_lo:[0,1] neg_hi:[0,1]
	v_mov_b32_e32 v66, v67
	v_mov_b32_e32 v67, v61
	v_pk_mov_b32 v[62:63], v[16:17], v[62:63] op_sel:[1,0]
	v_mov_b32_e32 v65, v16
	v_pk_add_f32 v[62:63], v[66:67], v[62:63] neg_lo:[0,1] neg_hi:[0,1]
	v_mov_b32_e32 v70, v68
	v_pk_add_f32 v[16:17], v[64:65], v[62:63] neg_lo:[0,1] neg_hi:[0,1]
	v_mov_b32_e32 v69, v61
	v_pk_add_f32 v[62:63], v[70:71], v[16:17]
	s_nop 0
	v_pk_add_f32 v[64:65], v[62:63], v[62:63] op_sel:[0,1] op_sel_hi:[1,0]
	s_nop 0
	v_pk_add_f32 v[60:61], v[60:61], v[64:65] op_sel:[1,0] op_sel_hi:[0,1]
	v_mov_b32_e32 v63, v60
	v_pk_add_f32 v[66:67], v[62:63], v[68:69] neg_lo:[0,1] neg_hi:[0,1]
	v_mov_b32_e32 v17, v64
	v_sub_f32_e32 v15, v62, v66
	v_pk_add_f32 v[16:17], v[16:17], v[66:67] neg_lo:[0,1] neg_hi:[0,1]
	v_sub_f32_e32 v15, v68, v15
	v_add_f32_e32 v15, v16, v15
	v_add_f32_e32 v15, v15, v17
	;; [unrolled: 1-line block ×3, first 2 shown]
	v_cndmask_b32_e32 v15, v58, v15, vcc
	v_cmp_lt_f32_e64 vcc, |v59|, s63
	s_nop 1
	v_cndmask_b32_e32 v15, v15, v59, vcc
	v_add_f32_e32 v15, v10, v15
	s_branch .LBB88_133
.LBB88_166:
                                        ; implicit-def: $vgpr6_vgpr7_vgpr8_vgpr9_vgpr10_vgpr11_vgpr12_vgpr13_vgpr14_vgpr15_vgpr16_vgpr17_vgpr18_vgpr19_vgpr20_vgpr21
	s_load_dwordx8 s[36:43], s[0:1], 0x38
	s_cbranch_execnz .LBB88_206
	s_branch .LBB88_309
.LBB88_167:
	s_and_saveexec_b64 s[40:41], s[36:37]
	s_cbranch_execz .LBB88_171
; %bb.168:
	v_max_f32_e32 v7, v6, v6
	v_max_f32_e32 v9, v54, v54
	v_min_f32_e32 v8, v9, v7
	v_cmp_u_f32_e32 vcc, v54, v54
	v_max_f32_e32 v7, v9, v7
	v_cmp_u_f32_e64 s[36:37], v6, v6
	v_cndmask_b32_e32 v8, v8, v54, vcc
	v_cndmask_b32_e32 v7, v7, v54, vcc
	v_cndmask_b32_e64 v8, v8, v6, s[36:37]
	v_cndmask_b32_e64 v7, v7, v6, s[36:37]
	s_movk_i32 s3, 0x1f8
	v_cmp_neq_f32_e32 vcc, v8, v7
	v_cmp_class_f32_e64 s[36:37], v8, s3
	s_or_b64 s[54:55], vcc, s[36:37]
	v_mov_b32_e32 v6, v54
	s_and_saveexec_b64 s[36:37], s[54:55]
	s_cbranch_execz .LBB88_170
; %bb.169:
	v_sub_f32_e32 v6, v8, v7
	s_mov_b32 s3, 0x3fb8aa3b
	v_mul_f32_e32 v8, 0x3fb8aa3b, v6
	v_fma_f32 v9, v6, s3, -v8
	s_waitcnt lgkmcnt(0)
	v_rndne_f32_e32 v10, v8
	v_fmamk_f32 v9, v6, 0x32a5705f, v9
	v_sub_f32_e32 v8, v8, v10
	v_add_f32_e32 v8, v8, v9
	v_exp_f32_e32 v8, v8
	v_cvt_i32_f32_e32 v9, v10
	s_mov_b32 s3, 0xc2ce8ed0
	v_cmp_ngt_f32_e32 vcc, s3, v6
	s_mov_b32 s3, 0x42b17218
	v_ldexp_f32 v8, v8, v9
	v_cndmask_b32_e32 v8, 0, v8, vcc
	v_mov_b32_e32 v48, 0x7f800000
	v_cmp_nlt_f32_e32 vcc, s3, v6
	s_mov_b32 s3, 0x3f2aaaab
	s_mov_b32 s54, 0x7f800000
	v_cndmask_b32_e32 v6, v48, v8, vcc
	v_add_f32_e32 v10, 1.0, v6
	v_add_f32_e32 v8, -1.0, v10
	v_sub_f32_e32 v9, v8, v10
	v_add_f32_e32 v9, 1.0, v9
	v_sub_f32_e32 v8, v6, v8
	v_add_f32_e32 v11, v8, v9
	v_frexp_mant_f32_e32 v12, v10
	v_cvt_f64_f32_e32 v[8:9], v10
	v_frexp_exp_i32_f64_e32 v8, v[8:9]
	v_cmp_gt_f32_e32 vcc, s3, v12
	s_mov_b32 s3, 0x3f317218
	s_nop 0
	v_subbrev_co_u32_e32 v16, vcc, 0, v8, vcc
	v_sub_u32_e32 v8, 0, v16
	v_ldexp_f32 v9, v10, v8
	v_add_f32_e32 v10, -1.0, v9
	v_add_f32_e32 v12, 1.0, v9
	v_ldexp_f32 v8, v11, v8
	v_add_f32_e32 v11, 1.0, v10
	v_add_f32_e32 v13, -1.0, v12
	v_sub_f32_e32 v11, v9, v11
	v_sub_f32_e32 v9, v9, v13
	v_add_f32_e32 v11, v8, v11
	v_add_f32_e32 v8, v8, v9
	;; [unrolled: 1-line block ×3, first 2 shown]
	v_rcp_f32_e32 v45, v17
	v_sub_f32_e32 v9, v12, v17
	v_add_f32_e32 v44, v8, v9
	v_add_f32_e32 v9, v10, v11
	v_mul_f32_e32 v47, v9, v45
	v_sub_f32_e32 v8, v10, v9
	v_mul_f32_e32 v10, v17, v47
	v_fma_f32 v12, v47, v17, -v10
	v_fmac_f32_e32 v12, v47, v44
	v_add_f32_e32 v46, v11, v8
	v_add_f32_e32 v8, v10, v12
	v_sub_f32_e32 v11, v9, v8
	v_pk_add_f32 v[14:15], v[8:9], v[10:11] neg_lo:[0,1] neg_hi:[0,1]
	v_mov_b32_e32 v13, v8
	v_pk_add_f32 v[8:9], v[14:15], v[12:13] neg_lo:[0,1] neg_hi:[0,1]
	v_cmp_neq_f32_e32 vcc, s54, v6
	v_add_f32_e32 v9, v46, v9
	v_add_f32_e32 v8, v8, v9
	;; [unrolled: 1-line block ×3, first 2 shown]
	v_mul_f32_e32 v46, v45, v9
	v_mul_f32_e32 v10, v17, v46
	v_fma_f32 v12, v46, v17, -v10
	v_fmac_f32_e32 v12, v46, v44
	v_sub_f32_e32 v11, v11, v9
	v_add_f32_e32 v17, v8, v11
	v_add_f32_e32 v8, v10, v12
	v_sub_f32_e32 v11, v9, v8
	v_pk_add_f32 v[14:15], v[8:9], v[10:11] neg_lo:[0,1] neg_hi:[0,1]
	v_mov_b32_e32 v13, v8
	v_pk_add_f32 v[8:9], v[14:15], v[12:13] neg_lo:[0,1] neg_hi:[0,1]
	v_cvt_f32_i32_e32 v10, v16
	v_add_f32_e32 v9, v17, v9
	v_add_f32_e32 v8, v8, v9
	;; [unrolled: 1-line block ×4, first 2 shown]
	v_sub_f32_e32 v9, v11, v47
	v_mul_f32_e32 v8, v45, v8
	v_sub_f32_e32 v9, v46, v9
	v_add_f32_e32 v8, v9, v8
	v_add_f32_e32 v12, v11, v8
	v_mul_f32_e32 v14, v12, v12
	v_mov_b32_e32 v9, 0x3ecc95a3
	v_sub_f32_e32 v11, v12, v11
	v_fmac_f32_e32 v9, 0x3e9b6dac, v14
	v_sub_f32_e32 v8, v8, v11
	v_fmaak_f32 v9, v14, v9, 0x3f2aaada
	v_ldexp_f32 v15, v8, 1
	v_mul_f32_e32 v11, v12, v14
	v_mov_b32_e32 v8, 0x3f317218
	v_pk_mul_f32 v[8:9], v[10:11], v[8:9]
	v_ldexp_f32 v13, v12, 1
	v_fma_f32 v11, v10, s3, -v8
	v_fmamk_f32 v12, v10, 0xb102e308, v11
	v_pk_add_f32 v[10:11], v[8:9], v[12:13]
	v_mov_b32_e32 v14, v8
	v_sub_f32_e32 v13, v11, v13
	v_sub_f32_e32 v13, v9, v13
	v_add_f32_e32 v15, v15, v13
	v_pk_add_f32 v[8:9], v[10:11], v[8:9] neg_lo:[0,1] neg_hi:[0,1]
	v_pk_add_f32 v[16:17], v[10:11], v[14:15]
	v_mov_b32_e32 v13, v10
	v_mov_b32_e32 v9, v17
	v_pk_add_f32 v[44:45], v[12:13], v[8:9] neg_lo:[0,1] neg_hi:[0,1]
	v_pk_add_f32 v[8:9], v[12:13], v[8:9]
	v_mov_b32_e32 v14, v15
	v_pk_add_f32 v[12:13], v[8:9], v[10:11] op_sel:[1,0] op_sel_hi:[0,1] neg_lo:[0,1] neg_hi:[0,1]
	v_pk_add_f32 v[46:47], v[16:17], v[12:13] op_sel_hi:[1,0] neg_lo:[0,1] neg_hi:[0,1]
	v_mov_b32_e32 v16, v17
	v_mov_b32_e32 v17, v9
	v_pk_mov_b32 v[12:13], v[10:11], v[12:13] op_sel:[1,0]
	v_mov_b32_e32 v15, v10
	v_pk_add_f32 v[12:13], v[16:17], v[12:13] neg_lo:[0,1] neg_hi:[0,1]
	v_mov_b32_e32 v46, v44
	v_pk_add_f32 v[10:11], v[14:15], v[12:13] neg_lo:[0,1] neg_hi:[0,1]
	v_mov_b32_e32 v45, v9
	v_pk_add_f32 v[12:13], v[46:47], v[10:11]
	s_mov_b32 s3, 0x33800000
	v_pk_add_f32 v[14:15], v[12:13], v[12:13] op_sel:[0,1] op_sel_hi:[1,0]
	s_nop 0
	v_pk_add_f32 v[8:9], v[8:9], v[14:15] op_sel:[1,0] op_sel_hi:[0,1]
	v_mov_b32_e32 v13, v8
	v_pk_add_f32 v[16:17], v[12:13], v[44:45] neg_lo:[0,1] neg_hi:[0,1]
	v_mov_b32_e32 v11, v14
	v_sub_f32_e32 v9, v12, v16
	v_pk_add_f32 v[10:11], v[10:11], v[16:17] neg_lo:[0,1] neg_hi:[0,1]
	v_sub_f32_e32 v9, v44, v9
	v_add_f32_e32 v9, v10, v9
	v_add_f32_e32 v9, v9, v11
	;; [unrolled: 1-line block ×3, first 2 shown]
	v_cndmask_b32_e32 v8, v48, v8, vcc
	v_cmp_lt_f32_e64 vcc, |v6|, s3
	s_nop 1
	v_cndmask_b32_e32 v6, v8, v6, vcc
	v_add_f32_e32 v6, v7, v6
.LBB88_170:
	s_or_b64 exec, exec, s[36:37]
	s_add_i32 s2, s2, 64
	s_mov_b32 s3, 0
	s_lshl_b64 s[2:3], s[2:3], 3
	s_add_u32 s2, s52, s2
	s_addc_u32 s3, s53, s3
	v_mov_b32_e32 v8, 0
	v_mov_b32_e32 v7, 2
	global_store_dwordx2 v8, v[6:7], s[2:3] sc1
.LBB88_171:
	s_or_b64 exec, exec, s[40:41]
	s_and_b64 exec, exec, s[34:35]
; %bb.172:
	v_mov_b32_e32 v6, 0
	ds_write_b32 v6, v54
.LBB88_173:
	s_or_b64 exec, exec, s[42:43]
	v_mov_b32_e32 v6, 0
	s_waitcnt lgkmcnt(0)
	s_barrier
	ds_read_b32 v6, v6
	v_mov_b32_e32 v7, v2
	s_and_saveexec_b64 s[2:3], s[30:31]
	s_cbranch_execz .LBB88_177
; %bb.174:
	v_max_f32_e32 v7, v43, v43
	v_min_f32_e32 v8, v7, v42
	v_cmp_u_f32_e32 vcc, v43, v43
	v_max_f32_e32 v7, v7, v42
	s_nop 0
	v_cndmask_b32_e32 v8, v8, v43, vcc
	v_cndmask_b32_e32 v7, v7, v43, vcc
	v_cndmask_b32_e64 v8, v8, v2, s[28:29]
	v_cndmask_b32_e64 v7, v7, v2, s[28:29]
	s_movk_i32 s28, 0x1f8
	v_cmp_neq_f32_e32 vcc, v8, v7
	v_cmp_class_f32_e64 s[28:29], v8, s28
	s_or_b64 s[30:31], vcc, s[28:29]
	s_and_saveexec_b64 s[28:29], s[30:31]
	s_cbranch_execz .LBB88_176
; %bb.175:
	v_sub_f32_e32 v8, v8, v7
	s_mov_b32 s30, 0x3fb8aa3b
	v_mul_f32_e32 v9, 0x3fb8aa3b, v8
	v_fma_f32 v10, v8, s30, -v9
	v_rndne_f32_e32 v11, v9
	v_fmamk_f32 v10, v8, 0x32a5705f, v10
	v_sub_f32_e32 v9, v9, v11
	v_add_f32_e32 v9, v9, v10
	v_exp_f32_e32 v9, v9
	v_cvt_i32_f32_e32 v10, v11
	s_mov_b32 s30, 0xc2ce8ed0
	v_cmp_ngt_f32_e32 vcc, s30, v8
	s_mov_b32 s30, 0x42b17218
	v_ldexp_f32 v9, v9, v10
	v_cndmask_b32_e32 v9, 0, v9, vcc
	v_mov_b32_e32 v46, 0x7f800000
	v_cmp_nlt_f32_e32 vcc, s30, v8
	s_mov_b32 s30, 0x3f2aaaab
	s_mov_b32 s31, 0x7f800000
	v_cndmask_b32_e32 v47, v46, v9, vcc
	v_add_f32_e32 v10, 1.0, v47
	v_add_f32_e32 v8, -1.0, v10
	v_sub_f32_e32 v9, v8, v10
	v_add_f32_e32 v9, 1.0, v9
	v_sub_f32_e32 v8, v47, v8
	v_add_f32_e32 v11, v8, v9
	v_frexp_mant_f32_e32 v12, v10
	v_cvt_f64_f32_e32 v[8:9], v10
	v_frexp_exp_i32_f64_e32 v8, v[8:9]
	v_cmp_gt_f32_e32 vcc, s30, v12
	s_mov_b32 s30, 0x3f317218
	s_nop 0
	v_subbrev_co_u32_e32 v16, vcc, 0, v8, vcc
	v_sub_u32_e32 v8, 0, v16
	v_ldexp_f32 v9, v10, v8
	v_add_f32_e32 v10, -1.0, v9
	v_add_f32_e32 v12, 1.0, v9
	v_ldexp_f32 v8, v11, v8
	v_add_f32_e32 v11, 1.0, v10
	v_add_f32_e32 v13, -1.0, v12
	v_sub_f32_e32 v11, v9, v11
	v_sub_f32_e32 v9, v9, v13
	v_add_f32_e32 v11, v8, v11
	v_add_f32_e32 v8, v8, v9
	;; [unrolled: 1-line block ×3, first 2 shown]
	v_rcp_f32_e32 v43, v17
	v_sub_f32_e32 v9, v12, v17
	v_add_f32_e32 v42, v8, v9
	v_add_f32_e32 v9, v10, v11
	v_mul_f32_e32 v45, v9, v43
	v_sub_f32_e32 v8, v10, v9
	v_mul_f32_e32 v10, v17, v45
	v_fma_f32 v12, v45, v17, -v10
	v_fmac_f32_e32 v12, v45, v42
	v_add_f32_e32 v44, v11, v8
	v_add_f32_e32 v8, v10, v12
	v_sub_f32_e32 v11, v9, v8
	v_pk_add_f32 v[14:15], v[8:9], v[10:11] neg_lo:[0,1] neg_hi:[0,1]
	v_mov_b32_e32 v13, v8
	v_pk_add_f32 v[8:9], v[14:15], v[12:13] neg_lo:[0,1] neg_hi:[0,1]
	v_cmp_neq_f32_e32 vcc, s31, v47
	v_add_f32_e32 v9, v44, v9
	v_add_f32_e32 v8, v8, v9
	;; [unrolled: 1-line block ×3, first 2 shown]
	v_mul_f32_e32 v44, v43, v9
	v_mul_f32_e32 v10, v17, v44
	v_fma_f32 v12, v44, v17, -v10
	v_fmac_f32_e32 v12, v44, v42
	v_sub_f32_e32 v11, v11, v9
	v_add_f32_e32 v17, v8, v11
	v_add_f32_e32 v8, v10, v12
	v_sub_f32_e32 v11, v9, v8
	v_pk_add_f32 v[14:15], v[8:9], v[10:11] neg_lo:[0,1] neg_hi:[0,1]
	v_mov_b32_e32 v13, v8
	v_pk_add_f32 v[8:9], v[14:15], v[12:13] neg_lo:[0,1] neg_hi:[0,1]
	v_cvt_f32_i32_e32 v10, v16
	v_add_f32_e32 v9, v17, v9
	v_add_f32_e32 v8, v8, v9
	;; [unrolled: 1-line block ×4, first 2 shown]
	v_sub_f32_e32 v9, v11, v45
	v_mul_f32_e32 v8, v43, v8
	v_sub_f32_e32 v9, v44, v9
	v_add_f32_e32 v8, v9, v8
	v_add_f32_e32 v12, v11, v8
	v_mul_f32_e32 v14, v12, v12
	v_mov_b32_e32 v9, 0x3ecc95a3
	v_sub_f32_e32 v11, v12, v11
	v_fmac_f32_e32 v9, 0x3e9b6dac, v14
	v_sub_f32_e32 v8, v8, v11
	v_fmaak_f32 v9, v14, v9, 0x3f2aaada
	v_ldexp_f32 v15, v8, 1
	v_mul_f32_e32 v11, v12, v14
	v_mov_b32_e32 v8, 0x3f317218
	v_pk_mul_f32 v[8:9], v[10:11], v[8:9]
	v_ldexp_f32 v13, v12, 1
	v_fma_f32 v11, v10, s30, -v8
	v_fmamk_f32 v12, v10, 0xb102e308, v11
	v_pk_add_f32 v[10:11], v[8:9], v[12:13]
	v_mov_b32_e32 v14, v8
	v_sub_f32_e32 v13, v11, v13
	v_sub_f32_e32 v13, v9, v13
	v_add_f32_e32 v15, v15, v13
	v_pk_add_f32 v[8:9], v[10:11], v[8:9] neg_lo:[0,1] neg_hi:[0,1]
	v_pk_add_f32 v[16:17], v[10:11], v[14:15]
	v_mov_b32_e32 v13, v10
	v_mov_b32_e32 v9, v17
	v_pk_add_f32 v[42:43], v[12:13], v[8:9] neg_lo:[0,1] neg_hi:[0,1]
	v_pk_add_f32 v[8:9], v[12:13], v[8:9]
	v_mov_b32_e32 v14, v15
	v_pk_add_f32 v[12:13], v[8:9], v[10:11] op_sel:[1,0] op_sel_hi:[0,1] neg_lo:[0,1] neg_hi:[0,1]
	v_pk_add_f32 v[44:45], v[16:17], v[12:13] op_sel_hi:[1,0] neg_lo:[0,1] neg_hi:[0,1]
	v_mov_b32_e32 v16, v17
	v_mov_b32_e32 v17, v9
	v_pk_mov_b32 v[12:13], v[10:11], v[12:13] op_sel:[1,0]
	v_mov_b32_e32 v15, v10
	v_pk_add_f32 v[12:13], v[16:17], v[12:13] neg_lo:[0,1] neg_hi:[0,1]
	v_mov_b32_e32 v44, v42
	v_pk_add_f32 v[10:11], v[14:15], v[12:13] neg_lo:[0,1] neg_hi:[0,1]
	v_mov_b32_e32 v43, v9
	v_pk_add_f32 v[12:13], v[44:45], v[10:11]
	s_mov_b32 s30, 0x33800000
	v_pk_add_f32 v[14:15], v[12:13], v[12:13] op_sel:[0,1] op_sel_hi:[1,0]
	s_nop 0
	v_pk_add_f32 v[8:9], v[8:9], v[14:15] op_sel:[1,0] op_sel_hi:[0,1]
	v_mov_b32_e32 v13, v8
	v_pk_add_f32 v[16:17], v[12:13], v[42:43] neg_lo:[0,1] neg_hi:[0,1]
	v_mov_b32_e32 v11, v14
	v_sub_f32_e32 v9, v12, v16
	v_pk_add_f32 v[10:11], v[10:11], v[16:17] neg_lo:[0,1] neg_hi:[0,1]
	v_sub_f32_e32 v9, v42, v9
	v_add_f32_e32 v9, v10, v9
	v_add_f32_e32 v9, v9, v11
	;; [unrolled: 1-line block ×3, first 2 shown]
	v_cndmask_b32_e32 v8, v46, v8, vcc
	v_cmp_lt_f32_e64 vcc, |v47|, s30
	s_nop 1
	v_cndmask_b32_e32 v8, v8, v47, vcc
	v_add_f32_e32 v43, v7, v8
.LBB88_176:
	s_or_b64 exec, exec, s[28:29]
	v_mov_b32_e32 v7, v43
.LBB88_177:
	s_or_b64 exec, exec, s[2:3]
	v_max_f32_e32 v9, v7, v7
	s_waitcnt lgkmcnt(0)
	v_max_f32_e32 v10, v6, v6
	v_min_f32_e32 v8, v10, v9
	v_cmp_u_f32_e32 vcc, v6, v6
	v_max_f32_e32 v9, v10, v9
	v_cmp_u_f32_e64 s[2:3], v7, v7
	v_cndmask_b32_e32 v8, v8, v6, vcc
	v_cndmask_b32_e32 v9, v9, v6, vcc
	v_cndmask_b32_e64 v8, v8, v7, s[2:3]
	v_cndmask_b32_e64 v7, v9, v7, s[2:3]
	s_movk_i32 s28, 0x1f8
	v_cmp_neq_f32_e32 vcc, v8, v7
	v_cmp_class_f32_e64 s[2:3], v8, s28
	s_or_b64 s[30:31], vcc, s[2:3]
	s_and_saveexec_b64 s[2:3], s[30:31]
	s_cbranch_execz .LBB88_179
; %bb.178:
	v_sub_f32_e32 v6, v8, v7
	s_mov_b32 s29, 0x3fb8aa3b
	v_mul_f32_e32 v8, 0x3fb8aa3b, v6
	v_fma_f32 v9, v6, s29, -v8
	v_rndne_f32_e32 v10, v8
	v_fmamk_f32 v9, v6, 0x32a5705f, v9
	v_sub_f32_e32 v8, v8, v10
	v_add_f32_e32 v8, v8, v9
	v_exp_f32_e32 v8, v8
	v_cvt_i32_f32_e32 v9, v10
	s_mov_b32 s29, 0xc2ce8ed0
	v_cmp_ngt_f32_e32 vcc, s29, v6
	s_mov_b32 s29, 0x42b17218
	v_ldexp_f32 v8, v8, v9
	v_cndmask_b32_e32 v8, 0, v8, vcc
	v_mov_b32_e32 v46, 0x7f800000
	v_cmp_nlt_f32_e32 vcc, s29, v6
	s_mov_b32 s29, 0x3f2aaaab
	s_mov_b32 s30, 0x7f800000
	v_cndmask_b32_e32 v6, v46, v8, vcc
	v_add_f32_e32 v10, 1.0, v6
	v_add_f32_e32 v8, -1.0, v10
	v_sub_f32_e32 v9, v8, v10
	v_add_f32_e32 v9, 1.0, v9
	v_sub_f32_e32 v8, v6, v8
	v_add_f32_e32 v11, v8, v9
	v_frexp_mant_f32_e32 v12, v10
	v_cvt_f64_f32_e32 v[8:9], v10
	v_frexp_exp_i32_f64_e32 v8, v[8:9]
	v_cmp_gt_f32_e32 vcc, s29, v12
	s_mov_b32 s29, 0x3f317218
	s_nop 0
	v_subbrev_co_u32_e32 v16, vcc, 0, v8, vcc
	v_sub_u32_e32 v8, 0, v16
	v_ldexp_f32 v9, v10, v8
	v_add_f32_e32 v10, -1.0, v9
	v_add_f32_e32 v12, 1.0, v9
	v_ldexp_f32 v8, v11, v8
	v_add_f32_e32 v11, 1.0, v10
	v_add_f32_e32 v13, -1.0, v12
	v_sub_f32_e32 v11, v9, v11
	v_sub_f32_e32 v9, v9, v13
	v_add_f32_e32 v11, v8, v11
	v_add_f32_e32 v8, v8, v9
	;; [unrolled: 1-line block ×3, first 2 shown]
	v_rcp_f32_e32 v43, v17
	v_sub_f32_e32 v9, v12, v17
	v_add_f32_e32 v42, v8, v9
	v_add_f32_e32 v9, v10, v11
	v_mul_f32_e32 v45, v9, v43
	v_sub_f32_e32 v8, v10, v9
	v_mul_f32_e32 v10, v17, v45
	v_fma_f32 v12, v45, v17, -v10
	v_fmac_f32_e32 v12, v45, v42
	v_add_f32_e32 v44, v11, v8
	v_add_f32_e32 v8, v10, v12
	v_sub_f32_e32 v11, v9, v8
	v_pk_add_f32 v[14:15], v[8:9], v[10:11] neg_lo:[0,1] neg_hi:[0,1]
	v_mov_b32_e32 v13, v8
	v_pk_add_f32 v[8:9], v[14:15], v[12:13] neg_lo:[0,1] neg_hi:[0,1]
	v_cmp_neq_f32_e32 vcc, s30, v6
	v_add_f32_e32 v9, v44, v9
	v_add_f32_e32 v8, v8, v9
	;; [unrolled: 1-line block ×3, first 2 shown]
	v_mul_f32_e32 v44, v43, v9
	v_mul_f32_e32 v10, v17, v44
	v_fma_f32 v12, v44, v17, -v10
	v_fmac_f32_e32 v12, v44, v42
	v_sub_f32_e32 v11, v11, v9
	v_add_f32_e32 v17, v8, v11
	v_add_f32_e32 v8, v10, v12
	v_sub_f32_e32 v11, v9, v8
	v_pk_add_f32 v[14:15], v[8:9], v[10:11] neg_lo:[0,1] neg_hi:[0,1]
	v_mov_b32_e32 v13, v8
	v_pk_add_f32 v[8:9], v[14:15], v[12:13] neg_lo:[0,1] neg_hi:[0,1]
	v_cvt_f32_i32_e32 v10, v16
	v_add_f32_e32 v9, v17, v9
	v_add_f32_e32 v8, v8, v9
	;; [unrolled: 1-line block ×4, first 2 shown]
	v_sub_f32_e32 v9, v11, v45
	v_mul_f32_e32 v8, v43, v8
	v_sub_f32_e32 v9, v44, v9
	v_add_f32_e32 v8, v9, v8
	v_add_f32_e32 v12, v11, v8
	v_mul_f32_e32 v14, v12, v12
	v_mov_b32_e32 v9, 0x3ecc95a3
	v_sub_f32_e32 v11, v12, v11
	v_fmac_f32_e32 v9, 0x3e9b6dac, v14
	v_sub_f32_e32 v8, v8, v11
	v_fmaak_f32 v9, v14, v9, 0x3f2aaada
	v_ldexp_f32 v15, v8, 1
	v_mul_f32_e32 v11, v12, v14
	v_mov_b32_e32 v8, 0x3f317218
	v_pk_mul_f32 v[8:9], v[10:11], v[8:9]
	v_ldexp_f32 v13, v12, 1
	v_fma_f32 v11, v10, s29, -v8
	v_fmamk_f32 v12, v10, 0xb102e308, v11
	v_pk_add_f32 v[10:11], v[8:9], v[12:13]
	v_mov_b32_e32 v14, v8
	v_sub_f32_e32 v13, v11, v13
	v_sub_f32_e32 v13, v9, v13
	v_add_f32_e32 v15, v15, v13
	v_pk_add_f32 v[8:9], v[10:11], v[8:9] neg_lo:[0,1] neg_hi:[0,1]
	v_pk_add_f32 v[16:17], v[10:11], v[14:15]
	v_mov_b32_e32 v13, v10
	v_mov_b32_e32 v9, v17
	v_pk_add_f32 v[42:43], v[12:13], v[8:9] neg_lo:[0,1] neg_hi:[0,1]
	v_pk_add_f32 v[8:9], v[12:13], v[8:9]
	v_mov_b32_e32 v14, v15
	v_pk_add_f32 v[12:13], v[8:9], v[10:11] op_sel:[1,0] op_sel_hi:[0,1] neg_lo:[0,1] neg_hi:[0,1]
	v_pk_add_f32 v[44:45], v[16:17], v[12:13] op_sel_hi:[1,0] neg_lo:[0,1] neg_hi:[0,1]
	v_mov_b32_e32 v16, v17
	v_mov_b32_e32 v17, v9
	v_pk_mov_b32 v[12:13], v[10:11], v[12:13] op_sel:[1,0]
	v_mov_b32_e32 v15, v10
	v_pk_add_f32 v[12:13], v[16:17], v[12:13] neg_lo:[0,1] neg_hi:[0,1]
	v_mov_b32_e32 v44, v42
	v_pk_add_f32 v[10:11], v[14:15], v[12:13] neg_lo:[0,1] neg_hi:[0,1]
	v_mov_b32_e32 v43, v9
	v_pk_add_f32 v[12:13], v[44:45], v[10:11]
	s_mov_b32 s29, 0x33800000
	v_pk_add_f32 v[14:15], v[12:13], v[12:13] op_sel:[0,1] op_sel_hi:[1,0]
	s_nop 0
	v_pk_add_f32 v[8:9], v[8:9], v[14:15] op_sel:[1,0] op_sel_hi:[0,1]
	v_mov_b32_e32 v13, v8
	v_pk_add_f32 v[16:17], v[12:13], v[42:43] neg_lo:[0,1] neg_hi:[0,1]
	v_mov_b32_e32 v11, v14
	v_sub_f32_e32 v9, v12, v16
	v_pk_add_f32 v[10:11], v[10:11], v[16:17] neg_lo:[0,1] neg_hi:[0,1]
	v_sub_f32_e32 v9, v42, v9
	v_add_f32_e32 v9, v10, v9
	v_add_f32_e32 v9, v9, v11
	;; [unrolled: 1-line block ×3, first 2 shown]
	v_cndmask_b32_e32 v8, v46, v8, vcc
	v_cmp_lt_f32_e64 vcc, |v6|, s29
	s_nop 1
	v_cndmask_b32_e32 v6, v8, v6, vcc
	v_add_f32_e32 v6, v7, v6
.LBB88_179:
	s_or_b64 exec, exec, s[2:3]
	v_max_f32_e32 v7, v6, v6
	v_min_f32_e32 v8, v7, v18
	v_cmp_u_f32_e32 vcc, v6, v6
	v_max_f32_e32 v7, v7, v18
	s_nop 0
	v_cndmask_b32_e32 v8, v8, v6, vcc
	v_cndmask_b32_e32 v7, v7, v6, vcc
	v_cndmask_b32_e64 v9, v8, v3, s[38:39]
	v_cndmask_b32_e64 v8, v7, v3, s[38:39]
	v_cmp_neq_f32_e32 vcc, v9, v8
	v_cmp_class_f32_e64 s[2:3], v9, s28
	s_or_b64 s[28:29], vcc, s[2:3]
	v_mov_b32_e32 v7, v6
	s_and_saveexec_b64 s[2:3], s[28:29]
	s_cbranch_execz .LBB88_181
; %bb.180:
	v_sub_f32_e32 v7, v9, v8
	s_mov_b32 s28, 0x3fb8aa3b
	v_mul_f32_e32 v9, 0x3fb8aa3b, v7
	v_fma_f32 v10, v7, s28, -v9
	v_rndne_f32_e32 v11, v9
	v_fmamk_f32 v10, v7, 0x32a5705f, v10
	v_sub_f32_e32 v9, v9, v11
	v_add_f32_e32 v9, v9, v10
	v_exp_f32_e32 v9, v9
	v_cvt_i32_f32_e32 v10, v11
	s_mov_b32 s28, 0xc2ce8ed0
	v_cmp_ngt_f32_e32 vcc, s28, v7
	s_mov_b32 s28, 0x42b17218
	v_ldexp_f32 v9, v9, v10
	v_cndmask_b32_e32 v9, 0, v9, vcc
	v_mov_b32_e32 v18, 0x7f800000
	v_cmp_nlt_f32_e32 vcc, s28, v7
	s_mov_b32 s28, 0x3f2aaaab
	s_mov_b32 s29, 0x7f800000
	v_cndmask_b32_e32 v7, v18, v9, vcc
	v_add_f32_e32 v9, 1.0, v7
	v_add_f32_e32 v10, -1.0, v9
	v_sub_f32_e32 v11, v10, v9
	v_add_f32_e32 v11, 1.0, v11
	v_sub_f32_e32 v10, v7, v10
	v_add_f32_e32 v12, v10, v11
	v_frexp_mant_f32_e32 v13, v9
	v_cvt_f64_f32_e32 v[10:11], v9
	v_frexp_exp_i32_f64_e32 v10, v[10:11]
	v_cmp_gt_f32_e32 vcc, s28, v13
	s_mov_b32 s28, 0x3f317218
	s_nop 0
	v_subbrev_co_u32_e32 v42, vcc, 0, v10, vcc
	v_sub_u32_e32 v10, 0, v42
	v_ldexp_f32 v9, v9, v10
	v_ldexp_f32 v10, v12, v10
	v_add_f32_e32 v12, -1.0, v9
	v_add_f32_e32 v11, 1.0, v12
	v_sub_f32_e32 v11, v9, v11
	v_add_f32_e32 v13, v10, v11
	v_add_f32_e32 v11, 1.0, v9
	v_add_f32_e32 v14, -1.0, v11
	v_sub_f32_e32 v9, v9, v14
	v_add_f32_e32 v9, v10, v9
	v_add_f32_e32 v43, v11, v9
	v_rcp_f32_e32 v44, v43
	v_sub_f32_e32 v10, v11, v43
	v_add_f32_e32 v11, v12, v13
	v_add_f32_e32 v9, v9, v10
	v_mul_f32_e32 v46, v11, v44
	v_sub_f32_e32 v10, v12, v11
	v_mul_f32_e32 v12, v43, v46
	v_fma_f32 v14, v46, v43, -v12
	v_fmac_f32_e32 v14, v46, v9
	v_add_f32_e32 v45, v13, v10
	v_add_f32_e32 v10, v12, v14
	v_sub_f32_e32 v13, v11, v10
	v_pk_add_f32 v[16:17], v[10:11], v[12:13] neg_lo:[0,1] neg_hi:[0,1]
	v_mov_b32_e32 v15, v10
	v_pk_add_f32 v[10:11], v[16:17], v[14:15] neg_lo:[0,1] neg_hi:[0,1]
	v_cmp_neq_f32_e32 vcc, s29, v7
	v_add_f32_e32 v11, v45, v11
	v_add_f32_e32 v10, v10, v11
	v_add_f32_e32 v11, v13, v10
	v_mul_f32_e32 v45, v44, v11
	v_mul_f32_e32 v12, v43, v45
	v_fma_f32 v14, v45, v43, -v12
	v_fmac_f32_e32 v14, v45, v9
	v_sub_f32_e32 v9, v13, v11
	v_add_f32_e32 v9, v10, v9
	v_add_f32_e32 v10, v12, v14
	v_sub_f32_e32 v13, v11, v10
	v_pk_add_f32 v[16:17], v[10:11], v[12:13] neg_lo:[0,1] neg_hi:[0,1]
	v_mov_b32_e32 v15, v10
	v_pk_add_f32 v[10:11], v[16:17], v[14:15] neg_lo:[0,1] neg_hi:[0,1]
	v_cvt_f32_i32_e32 v12, v42
	v_add_f32_e32 v9, v9, v11
	v_add_f32_e32 v9, v10, v9
	;; [unrolled: 1-line block ×4, first 2 shown]
	v_sub_f32_e32 v11, v10, v46
	v_mul_f32_e32 v9, v44, v9
	v_sub_f32_e32 v11, v45, v11
	v_add_f32_e32 v9, v11, v9
	v_add_f32_e32 v13, v10, v9
	v_mul_f32_e32 v14, v13, v13
	v_mov_b32_e32 v11, 0x3ecc95a3
	v_fmac_f32_e32 v11, 0x3e9b6dac, v14
	v_sub_f32_e32 v10, v13, v10
	v_fmaak_f32 v11, v14, v11, 0x3f2aaada
	v_sub_f32_e32 v9, v9, v10
	v_ldexp_f32 v15, v13, 1
	v_mul_f32_e32 v13, v13, v14
	v_mov_b32_e32 v10, 0x3f317218
	v_pk_mul_f32 v[10:11], v[12:13], v[10:11]
	v_ldexp_f32 v9, v9, 1
	v_fma_f32 v13, v12, s28, -v10
	v_fmamk_f32 v14, v12, 0xb102e308, v13
	v_pk_add_f32 v[12:13], v[10:11], v[14:15]
	v_mov_b32_e32 v16, v10
	v_sub_f32_e32 v15, v13, v15
	v_sub_f32_e32 v15, v11, v15
	v_add_f32_e32 v17, v9, v15
	v_pk_add_f32 v[10:11], v[12:13], v[10:11] neg_lo:[0,1] neg_hi:[0,1]
	v_pk_add_f32 v[42:43], v[12:13], v[16:17]
	v_mov_b32_e32 v15, v12
	v_mov_b32_e32 v11, v43
	v_pk_add_f32 v[44:45], v[14:15], v[10:11] neg_lo:[0,1] neg_hi:[0,1]
	v_pk_add_f32 v[10:11], v[14:15], v[10:11]
	v_mov_b32_e32 v16, v17
	v_pk_add_f32 v[14:15], v[10:11], v[12:13] op_sel:[1,0] op_sel_hi:[0,1] neg_lo:[0,1] neg_hi:[0,1]
	v_pk_add_f32 v[46:47], v[42:43], v[14:15] op_sel_hi:[1,0] neg_lo:[0,1] neg_hi:[0,1]
	v_mov_b32_e32 v42, v43
	v_mov_b32_e32 v43, v11
	v_pk_mov_b32 v[14:15], v[12:13], v[14:15] op_sel:[1,0]
	v_mov_b32_e32 v17, v12
	v_pk_add_f32 v[14:15], v[42:43], v[14:15] neg_lo:[0,1] neg_hi:[0,1]
	v_mov_b32_e32 v46, v44
	v_pk_add_f32 v[12:13], v[16:17], v[14:15] neg_lo:[0,1] neg_hi:[0,1]
	v_mov_b32_e32 v45, v11
	v_pk_add_f32 v[14:15], v[46:47], v[12:13]
	s_mov_b32 s28, 0x33800000
	v_pk_add_f32 v[16:17], v[14:15], v[14:15] op_sel:[0,1] op_sel_hi:[1,0]
	s_nop 0
	v_pk_add_f32 v[10:11], v[10:11], v[16:17] op_sel:[1,0] op_sel_hi:[0,1]
	v_mov_b32_e32 v15, v10
	v_pk_add_f32 v[42:43], v[14:15], v[44:45] neg_lo:[0,1] neg_hi:[0,1]
	v_mov_b32_e32 v13, v16
	v_sub_f32_e32 v9, v14, v42
	v_pk_add_f32 v[12:13], v[12:13], v[42:43] neg_lo:[0,1] neg_hi:[0,1]
	v_sub_f32_e32 v9, v44, v9
	v_add_f32_e32 v9, v12, v9
	v_add_f32_e32 v9, v9, v13
	;; [unrolled: 1-line block ×3, first 2 shown]
	v_cndmask_b32_e32 v9, v18, v9, vcc
	v_cmp_lt_f32_e64 vcc, |v7|, s28
	s_nop 1
	v_cndmask_b32_e32 v7, v9, v7, vcc
	v_add_f32_e32 v7, v8, v7
.LBB88_181:
	s_or_b64 exec, exec, s[2:3]
	v_max_f32_e32 v8, v7, v7
	v_min_f32_e32 v9, v8, v19
	v_cmp_u_f32_e32 vcc, v7, v7
	v_max_f32_e32 v8, v8, v19
	s_nop 0
	v_cndmask_b32_e32 v9, v9, v7, vcc
	v_cndmask_b32_e32 v8, v8, v7, vcc
	v_cndmask_b32_e64 v10, v9, v4, s[4:5]
	v_cndmask_b32_e64 v9, v8, v4, s[4:5]
	s_movk_i32 s4, 0x1f8
	v_cmp_neq_f32_e32 vcc, v10, v9
	v_cmp_class_f32_e64 s[2:3], v10, s4
	s_or_b64 s[28:29], vcc, s[2:3]
	v_mov_b32_e32 v8, v7
	s_and_saveexec_b64 s[2:3], s[28:29]
	s_cbranch_execz .LBB88_183
; %bb.182:
	v_sub_f32_e32 v8, v10, v9
	s_mov_b32 s5, 0x3fb8aa3b
	v_mul_f32_e32 v10, 0x3fb8aa3b, v8
	v_fma_f32 v11, v8, s5, -v10
	v_rndne_f32_e32 v12, v10
	v_fmamk_f32 v11, v8, 0x32a5705f, v11
	v_sub_f32_e32 v10, v10, v12
	v_add_f32_e32 v10, v10, v11
	v_exp_f32_e32 v10, v10
	v_cvt_i32_f32_e32 v11, v12
	s_mov_b32 s5, 0xc2ce8ed0
	v_cmp_ngt_f32_e32 vcc, s5, v8
	s_mov_b32 s5, 0x42b17218
	v_ldexp_f32 v10, v10, v11
	v_cndmask_b32_e32 v10, 0, v10, vcc
	v_mov_b32_e32 v46, 0x7f800000
	v_cmp_nlt_f32_e32 vcc, s5, v8
	s_mov_b32 s5, 0x3f2aaaab
	s_mov_b32 s28, 0x7f800000
	v_cndmask_b32_e32 v8, v46, v10, vcc
	v_add_f32_e32 v12, 1.0, v8
	v_add_f32_e32 v10, -1.0, v12
	v_sub_f32_e32 v11, v10, v12
	v_add_f32_e32 v11, 1.0, v11
	v_sub_f32_e32 v10, v8, v10
	v_add_f32_e32 v13, v10, v11
	v_frexp_mant_f32_e32 v14, v12
	v_cvt_f64_f32_e32 v[10:11], v12
	v_frexp_exp_i32_f64_e32 v10, v[10:11]
	v_cmp_gt_f32_e32 vcc, s5, v14
	s_mov_b32 s5, 0x3f317218
	s_nop 0
	v_subbrev_co_u32_e32 v18, vcc, 0, v10, vcc
	v_sub_u32_e32 v10, 0, v18
	v_ldexp_f32 v11, v12, v10
	v_add_f32_e32 v12, -1.0, v11
	v_add_f32_e32 v14, 1.0, v11
	v_ldexp_f32 v10, v13, v10
	v_add_f32_e32 v13, 1.0, v12
	v_add_f32_e32 v15, -1.0, v14
	v_sub_f32_e32 v13, v11, v13
	v_sub_f32_e32 v11, v11, v15
	v_add_f32_e32 v13, v10, v13
	v_add_f32_e32 v10, v10, v11
	;; [unrolled: 1-line block ×3, first 2 shown]
	v_rcp_f32_e32 v43, v19
	v_sub_f32_e32 v11, v14, v19
	v_add_f32_e32 v42, v10, v11
	v_add_f32_e32 v11, v12, v13
	v_mul_f32_e32 v45, v11, v43
	v_sub_f32_e32 v10, v12, v11
	v_mul_f32_e32 v12, v19, v45
	v_fma_f32 v14, v45, v19, -v12
	v_fmac_f32_e32 v14, v45, v42
	v_add_f32_e32 v44, v13, v10
	v_add_f32_e32 v10, v12, v14
	v_sub_f32_e32 v13, v11, v10
	v_pk_add_f32 v[16:17], v[10:11], v[12:13] neg_lo:[0,1] neg_hi:[0,1]
	v_mov_b32_e32 v15, v10
	v_pk_add_f32 v[10:11], v[16:17], v[14:15] neg_lo:[0,1] neg_hi:[0,1]
	v_cmp_neq_f32_e32 vcc, s28, v8
	v_add_f32_e32 v11, v44, v11
	v_add_f32_e32 v10, v10, v11
	;; [unrolled: 1-line block ×3, first 2 shown]
	v_mul_f32_e32 v44, v43, v11
	v_mul_f32_e32 v12, v19, v44
	v_fma_f32 v14, v44, v19, -v12
	v_fmac_f32_e32 v14, v44, v42
	v_sub_f32_e32 v13, v13, v11
	v_add_f32_e32 v19, v10, v13
	v_add_f32_e32 v10, v12, v14
	v_sub_f32_e32 v13, v11, v10
	v_pk_add_f32 v[16:17], v[10:11], v[12:13] neg_lo:[0,1] neg_hi:[0,1]
	v_mov_b32_e32 v15, v10
	v_pk_add_f32 v[10:11], v[16:17], v[14:15] neg_lo:[0,1] neg_hi:[0,1]
	v_cvt_f32_i32_e32 v12, v18
	v_add_f32_e32 v11, v19, v11
	v_add_f32_e32 v10, v10, v11
	;; [unrolled: 1-line block ×4, first 2 shown]
	v_sub_f32_e32 v11, v13, v45
	v_mul_f32_e32 v10, v43, v10
	v_sub_f32_e32 v11, v44, v11
	v_add_f32_e32 v10, v11, v10
	v_add_f32_e32 v14, v13, v10
	v_mul_f32_e32 v16, v14, v14
	v_mov_b32_e32 v11, 0x3ecc95a3
	v_sub_f32_e32 v13, v14, v13
	v_fmac_f32_e32 v11, 0x3e9b6dac, v16
	v_sub_f32_e32 v10, v10, v13
	v_fmaak_f32 v11, v16, v11, 0x3f2aaada
	v_ldexp_f32 v17, v10, 1
	v_mul_f32_e32 v13, v14, v16
	v_mov_b32_e32 v10, 0x3f317218
	v_pk_mul_f32 v[10:11], v[12:13], v[10:11]
	v_ldexp_f32 v15, v14, 1
	v_fma_f32 v13, v12, s5, -v10
	v_fmamk_f32 v14, v12, 0xb102e308, v13
	v_pk_add_f32 v[12:13], v[10:11], v[14:15]
	v_mov_b32_e32 v16, v10
	v_sub_f32_e32 v15, v13, v15
	v_sub_f32_e32 v15, v11, v15
	v_add_f32_e32 v17, v17, v15
	v_pk_add_f32 v[10:11], v[12:13], v[10:11] neg_lo:[0,1] neg_hi:[0,1]
	v_pk_add_f32 v[18:19], v[12:13], v[16:17]
	v_mov_b32_e32 v15, v12
	v_mov_b32_e32 v11, v19
	v_pk_add_f32 v[42:43], v[14:15], v[10:11] neg_lo:[0,1] neg_hi:[0,1]
	v_pk_add_f32 v[10:11], v[14:15], v[10:11]
	v_mov_b32_e32 v16, v17
	v_pk_add_f32 v[14:15], v[10:11], v[12:13] op_sel:[1,0] op_sel_hi:[0,1] neg_lo:[0,1] neg_hi:[0,1]
	v_pk_add_f32 v[44:45], v[18:19], v[14:15] op_sel_hi:[1,0] neg_lo:[0,1] neg_hi:[0,1]
	v_mov_b32_e32 v18, v19
	v_mov_b32_e32 v19, v11
	v_pk_mov_b32 v[14:15], v[12:13], v[14:15] op_sel:[1,0]
	v_mov_b32_e32 v17, v12
	v_pk_add_f32 v[14:15], v[18:19], v[14:15] neg_lo:[0,1] neg_hi:[0,1]
	v_mov_b32_e32 v44, v42
	v_pk_add_f32 v[12:13], v[16:17], v[14:15] neg_lo:[0,1] neg_hi:[0,1]
	v_mov_b32_e32 v43, v11
	v_pk_add_f32 v[14:15], v[44:45], v[12:13]
	s_mov_b32 s5, 0x33800000
	v_pk_add_f32 v[16:17], v[14:15], v[14:15] op_sel:[0,1] op_sel_hi:[1,0]
	s_nop 0
	v_pk_add_f32 v[10:11], v[10:11], v[16:17] op_sel:[1,0] op_sel_hi:[0,1]
	v_mov_b32_e32 v15, v10
	v_pk_add_f32 v[18:19], v[14:15], v[42:43] neg_lo:[0,1] neg_hi:[0,1]
	v_mov_b32_e32 v13, v16
	v_sub_f32_e32 v11, v14, v18
	v_pk_add_f32 v[12:13], v[12:13], v[18:19] neg_lo:[0,1] neg_hi:[0,1]
	v_sub_f32_e32 v11, v42, v11
	v_add_f32_e32 v11, v12, v11
	v_add_f32_e32 v11, v11, v13
	;; [unrolled: 1-line block ×3, first 2 shown]
	v_cndmask_b32_e32 v10, v46, v10, vcc
	v_cmp_lt_f32_e64 vcc, |v8|, s5
	s_nop 1
	v_cndmask_b32_e32 v8, v10, v8, vcc
	v_add_f32_e32 v8, v9, v8
.LBB88_183:
	s_or_b64 exec, exec, s[2:3]
	v_max_f32_e32 v9, v8, v8
	v_min_f32_e32 v10, v9, v20
	v_cmp_u_f32_e32 vcc, v8, v8
	v_max_f32_e32 v9, v9, v20
	s_nop 0
	v_cndmask_b32_e32 v10, v10, v8, vcc
	v_cndmask_b32_e32 v9, v9, v8, vcc
	v_cndmask_b32_e64 v11, v10, v5, s[6:7]
	v_cndmask_b32_e64 v10, v9, v5, s[6:7]
	v_cmp_neq_f32_e32 vcc, v11, v10
	v_cmp_class_f32_e64 s[2:3], v11, s4
	s_or_b64 s[4:5], vcc, s[2:3]
	v_mov_b32_e32 v9, v8
	s_and_saveexec_b64 s[2:3], s[4:5]
	s_cbranch_execz .LBB88_185
; %bb.184:
	v_sub_f32_e32 v9, v11, v10
	s_mov_b32 s4, 0x3fb8aa3b
	v_mul_f32_e32 v11, 0x3fb8aa3b, v9
	v_fma_f32 v12, v9, s4, -v11
	v_rndne_f32_e32 v13, v11
	v_fmamk_f32 v12, v9, 0x32a5705f, v12
	v_sub_f32_e32 v11, v11, v13
	v_add_f32_e32 v11, v11, v12
	v_exp_f32_e32 v11, v11
	v_cvt_i32_f32_e32 v12, v13
	s_mov_b32 s4, 0xc2ce8ed0
	v_cmp_ngt_f32_e32 vcc, s4, v9
	s_mov_b32 s4, 0x42b17218
	v_ldexp_f32 v11, v11, v12
	v_cndmask_b32_e32 v11, 0, v11, vcc
	v_mov_b32_e32 v20, 0x7f800000
	v_cmp_nlt_f32_e32 vcc, s4, v9
	s_mov_b32 s4, 0x3f2aaaab
	s_mov_b32 s5, 0x7f800000
	v_cndmask_b32_e32 v9, v20, v11, vcc
	v_add_f32_e32 v11, 1.0, v9
	v_add_f32_e32 v12, -1.0, v11
	v_sub_f32_e32 v13, v12, v11
	v_add_f32_e32 v13, 1.0, v13
	v_sub_f32_e32 v12, v9, v12
	v_add_f32_e32 v14, v12, v13
	v_frexp_mant_f32_e32 v15, v11
	v_cvt_f64_f32_e32 v[12:13], v11
	v_frexp_exp_i32_f64_e32 v12, v[12:13]
	v_cmp_gt_f32_e32 vcc, s4, v15
	s_mov_b32 s4, 0x3f317218
	s_nop 0
	v_subbrev_co_u32_e32 v42, vcc, 0, v12, vcc
	v_sub_u32_e32 v12, 0, v42
	v_ldexp_f32 v11, v11, v12
	v_ldexp_f32 v12, v14, v12
	v_add_f32_e32 v14, -1.0, v11
	v_add_f32_e32 v13, 1.0, v14
	v_sub_f32_e32 v13, v11, v13
	v_add_f32_e32 v15, v12, v13
	v_add_f32_e32 v13, 1.0, v11
	v_add_f32_e32 v16, -1.0, v13
	v_sub_f32_e32 v11, v11, v16
	v_add_f32_e32 v11, v12, v11
	v_add_f32_e32 v43, v13, v11
	v_rcp_f32_e32 v44, v43
	v_sub_f32_e32 v12, v13, v43
	v_add_f32_e32 v13, v14, v15
	v_add_f32_e32 v11, v11, v12
	v_mul_f32_e32 v46, v13, v44
	v_sub_f32_e32 v12, v14, v13
	v_mul_f32_e32 v14, v43, v46
	v_fma_f32 v16, v46, v43, -v14
	v_fmac_f32_e32 v16, v46, v11
	v_add_f32_e32 v45, v15, v12
	v_add_f32_e32 v12, v14, v16
	v_sub_f32_e32 v15, v13, v12
	v_pk_add_f32 v[18:19], v[12:13], v[14:15] neg_lo:[0,1] neg_hi:[0,1]
	v_mov_b32_e32 v17, v12
	v_pk_add_f32 v[12:13], v[18:19], v[16:17] neg_lo:[0,1] neg_hi:[0,1]
	v_cmp_neq_f32_e32 vcc, s5, v9
	v_add_f32_e32 v13, v45, v13
	v_add_f32_e32 v12, v12, v13
	v_add_f32_e32 v13, v15, v12
	v_mul_f32_e32 v45, v44, v13
	v_mul_f32_e32 v14, v43, v45
	v_fma_f32 v16, v45, v43, -v14
	v_fmac_f32_e32 v16, v45, v11
	v_sub_f32_e32 v11, v15, v13
	v_add_f32_e32 v11, v12, v11
	v_add_f32_e32 v12, v14, v16
	v_sub_f32_e32 v15, v13, v12
	v_pk_add_f32 v[18:19], v[12:13], v[14:15] neg_lo:[0,1] neg_hi:[0,1]
	v_mov_b32_e32 v17, v12
	v_pk_add_f32 v[12:13], v[18:19], v[16:17] neg_lo:[0,1] neg_hi:[0,1]
	v_cvt_f32_i32_e32 v14, v42
	v_add_f32_e32 v11, v11, v13
	v_add_f32_e32 v11, v12, v11
	;; [unrolled: 1-line block ×4, first 2 shown]
	v_sub_f32_e32 v13, v12, v46
	v_mul_f32_e32 v11, v44, v11
	v_sub_f32_e32 v13, v45, v13
	v_add_f32_e32 v11, v13, v11
	v_add_f32_e32 v15, v12, v11
	v_mul_f32_e32 v16, v15, v15
	v_mov_b32_e32 v13, 0x3ecc95a3
	v_fmac_f32_e32 v13, 0x3e9b6dac, v16
	v_sub_f32_e32 v12, v15, v12
	v_fmaak_f32 v13, v16, v13, 0x3f2aaada
	v_sub_f32_e32 v11, v11, v12
	v_ldexp_f32 v17, v15, 1
	v_mul_f32_e32 v15, v15, v16
	v_mov_b32_e32 v12, 0x3f317218
	v_pk_mul_f32 v[12:13], v[14:15], v[12:13]
	v_ldexp_f32 v11, v11, 1
	v_fma_f32 v15, v14, s4, -v12
	v_fmamk_f32 v16, v14, 0xb102e308, v15
	v_pk_add_f32 v[14:15], v[12:13], v[16:17]
	v_mov_b32_e32 v18, v12
	v_sub_f32_e32 v17, v15, v17
	v_sub_f32_e32 v17, v13, v17
	v_add_f32_e32 v19, v11, v17
	v_pk_add_f32 v[12:13], v[14:15], v[12:13] neg_lo:[0,1] neg_hi:[0,1]
	v_pk_add_f32 v[42:43], v[14:15], v[18:19]
	v_mov_b32_e32 v17, v14
	v_mov_b32_e32 v13, v43
	v_pk_add_f32 v[44:45], v[16:17], v[12:13] neg_lo:[0,1] neg_hi:[0,1]
	v_pk_add_f32 v[12:13], v[16:17], v[12:13]
	v_mov_b32_e32 v18, v19
	v_pk_add_f32 v[16:17], v[12:13], v[14:15] op_sel:[1,0] op_sel_hi:[0,1] neg_lo:[0,1] neg_hi:[0,1]
	v_pk_add_f32 v[46:47], v[42:43], v[16:17] op_sel_hi:[1,0] neg_lo:[0,1] neg_hi:[0,1]
	v_mov_b32_e32 v42, v43
	v_mov_b32_e32 v43, v13
	v_pk_mov_b32 v[16:17], v[14:15], v[16:17] op_sel:[1,0]
	v_mov_b32_e32 v19, v14
	v_pk_add_f32 v[16:17], v[42:43], v[16:17] neg_lo:[0,1] neg_hi:[0,1]
	v_mov_b32_e32 v46, v44
	v_pk_add_f32 v[14:15], v[18:19], v[16:17] neg_lo:[0,1] neg_hi:[0,1]
	v_mov_b32_e32 v45, v13
	v_pk_add_f32 v[16:17], v[46:47], v[14:15]
	s_mov_b32 s4, 0x33800000
	v_pk_add_f32 v[18:19], v[16:17], v[16:17] op_sel:[0,1] op_sel_hi:[1,0]
	s_nop 0
	v_pk_add_f32 v[12:13], v[12:13], v[18:19] op_sel:[1,0] op_sel_hi:[0,1]
	v_mov_b32_e32 v17, v12
	v_pk_add_f32 v[42:43], v[16:17], v[44:45] neg_lo:[0,1] neg_hi:[0,1]
	v_mov_b32_e32 v15, v18
	v_sub_f32_e32 v11, v16, v42
	v_pk_add_f32 v[14:15], v[14:15], v[42:43] neg_lo:[0,1] neg_hi:[0,1]
	v_sub_f32_e32 v11, v44, v11
	v_add_f32_e32 v11, v14, v11
	v_add_f32_e32 v11, v11, v15
	;; [unrolled: 1-line block ×3, first 2 shown]
	v_cndmask_b32_e32 v11, v20, v11, vcc
	v_cmp_lt_f32_e64 vcc, |v9|, s4
	s_nop 1
	v_cndmask_b32_e32 v9, v11, v9, vcc
	v_add_f32_e32 v9, v10, v9
.LBB88_185:
	s_or_b64 exec, exec, s[2:3]
	v_max_f32_e32 v10, v9, v9
	v_min_f32_e32 v11, v10, v21
	v_cmp_u_f32_e32 vcc, v9, v9
	v_max_f32_e32 v10, v10, v21
	s_movk_i32 s4, 0x1f8
	v_cndmask_b32_e32 v11, v11, v9, vcc
	v_cndmask_b32_e32 v10, v10, v9, vcc
	v_cndmask_b32_e64 v12, v11, v26, s[8:9]
	v_cndmask_b32_e64 v11, v10, v26, s[8:9]
	v_cmp_neq_f32_e32 vcc, v12, v11
	v_cmp_class_f32_e64 s[2:3], v12, s4
	s_or_b64 s[6:7], vcc, s[2:3]
	v_mov_b32_e32 v10, v9
	s_and_saveexec_b64 s[2:3], s[6:7]
	s_cbranch_execz .LBB88_187
; %bb.186:
	v_sub_f32_e32 v10, v12, v11
	s_mov_b32 s5, 0x3fb8aa3b
	v_mul_f32_e32 v12, 0x3fb8aa3b, v10
	v_fma_f32 v13, v10, s5, -v12
	v_rndne_f32_e32 v14, v12
	v_fmamk_f32 v13, v10, 0x32a5705f, v13
	v_sub_f32_e32 v12, v12, v14
	v_add_f32_e32 v12, v12, v13
	v_exp_f32_e32 v12, v12
	v_cvt_i32_f32_e32 v13, v14
	s_mov_b32 s5, 0xc2ce8ed0
	v_cmp_ngt_f32_e32 vcc, s5, v10
	s_mov_b32 s5, 0x42b17218
	v_ldexp_f32 v12, v12, v13
	v_cndmask_b32_e32 v12, 0, v12, vcc
	v_mov_b32_e32 v46, 0x7f800000
	v_cmp_nlt_f32_e32 vcc, s5, v10
	s_mov_b32 s5, 0x3f2aaaab
	s_mov_b32 s6, 0x7f800000
	v_cndmask_b32_e32 v10, v46, v12, vcc
	v_add_f32_e32 v14, 1.0, v10
	v_add_f32_e32 v12, -1.0, v14
	v_sub_f32_e32 v13, v12, v14
	v_add_f32_e32 v13, 1.0, v13
	v_sub_f32_e32 v12, v10, v12
	v_add_f32_e32 v15, v12, v13
	v_frexp_mant_f32_e32 v16, v14
	v_cvt_f64_f32_e32 v[12:13], v14
	v_frexp_exp_i32_f64_e32 v12, v[12:13]
	v_cmp_gt_f32_e32 vcc, s5, v16
	s_mov_b32 s5, 0x3f317218
	s_nop 0
	v_subbrev_co_u32_e32 v20, vcc, 0, v12, vcc
	v_sub_u32_e32 v12, 0, v20
	v_ldexp_f32 v13, v14, v12
	v_add_f32_e32 v14, -1.0, v13
	v_add_f32_e32 v16, 1.0, v13
	v_ldexp_f32 v12, v15, v12
	v_add_f32_e32 v15, 1.0, v14
	v_add_f32_e32 v17, -1.0, v16
	v_sub_f32_e32 v15, v13, v15
	v_sub_f32_e32 v13, v13, v17
	v_add_f32_e32 v15, v12, v15
	v_add_f32_e32 v12, v12, v13
	;; [unrolled: 1-line block ×3, first 2 shown]
	v_rcp_f32_e32 v43, v21
	v_sub_f32_e32 v13, v16, v21
	v_add_f32_e32 v42, v12, v13
	v_add_f32_e32 v13, v14, v15
	v_mul_f32_e32 v45, v13, v43
	v_sub_f32_e32 v12, v14, v13
	v_mul_f32_e32 v14, v21, v45
	v_fma_f32 v16, v45, v21, -v14
	v_fmac_f32_e32 v16, v45, v42
	v_add_f32_e32 v44, v15, v12
	v_add_f32_e32 v12, v14, v16
	v_sub_f32_e32 v15, v13, v12
	v_pk_add_f32 v[18:19], v[12:13], v[14:15] neg_lo:[0,1] neg_hi:[0,1]
	v_mov_b32_e32 v17, v12
	v_pk_add_f32 v[12:13], v[18:19], v[16:17] neg_lo:[0,1] neg_hi:[0,1]
	v_cmp_neq_f32_e32 vcc, s6, v10
	v_add_f32_e32 v13, v44, v13
	v_add_f32_e32 v12, v12, v13
	;; [unrolled: 1-line block ×3, first 2 shown]
	v_mul_f32_e32 v44, v43, v13
	v_mul_f32_e32 v14, v21, v44
	v_fma_f32 v16, v44, v21, -v14
	v_fmac_f32_e32 v16, v44, v42
	v_sub_f32_e32 v15, v15, v13
	v_add_f32_e32 v21, v12, v15
	v_add_f32_e32 v12, v14, v16
	v_sub_f32_e32 v15, v13, v12
	v_pk_add_f32 v[18:19], v[12:13], v[14:15] neg_lo:[0,1] neg_hi:[0,1]
	v_mov_b32_e32 v17, v12
	v_pk_add_f32 v[12:13], v[18:19], v[16:17] neg_lo:[0,1] neg_hi:[0,1]
	v_cvt_f32_i32_e32 v14, v20
	v_add_f32_e32 v13, v21, v13
	v_add_f32_e32 v12, v12, v13
	;; [unrolled: 1-line block ×4, first 2 shown]
	v_sub_f32_e32 v13, v15, v45
	v_mul_f32_e32 v12, v43, v12
	v_sub_f32_e32 v13, v44, v13
	v_add_f32_e32 v12, v13, v12
	v_add_f32_e32 v16, v15, v12
	v_mul_f32_e32 v18, v16, v16
	v_mov_b32_e32 v13, 0x3ecc95a3
	v_sub_f32_e32 v15, v16, v15
	v_fmac_f32_e32 v13, 0x3e9b6dac, v18
	v_sub_f32_e32 v12, v12, v15
	v_fmaak_f32 v13, v18, v13, 0x3f2aaada
	v_ldexp_f32 v19, v12, 1
	v_mul_f32_e32 v15, v16, v18
	v_mov_b32_e32 v12, 0x3f317218
	v_pk_mul_f32 v[12:13], v[14:15], v[12:13]
	v_ldexp_f32 v17, v16, 1
	v_fma_f32 v15, v14, s5, -v12
	v_fmamk_f32 v16, v14, 0xb102e308, v15
	v_pk_add_f32 v[14:15], v[12:13], v[16:17]
	v_mov_b32_e32 v18, v12
	v_sub_f32_e32 v17, v15, v17
	v_sub_f32_e32 v17, v13, v17
	v_add_f32_e32 v19, v19, v17
	v_pk_add_f32 v[12:13], v[14:15], v[12:13] neg_lo:[0,1] neg_hi:[0,1]
	v_pk_add_f32 v[20:21], v[14:15], v[18:19]
	v_mov_b32_e32 v17, v14
	v_mov_b32_e32 v13, v21
	v_pk_add_f32 v[42:43], v[16:17], v[12:13] neg_lo:[0,1] neg_hi:[0,1]
	v_pk_add_f32 v[12:13], v[16:17], v[12:13]
	v_mov_b32_e32 v18, v19
	v_pk_add_f32 v[16:17], v[12:13], v[14:15] op_sel:[1,0] op_sel_hi:[0,1] neg_lo:[0,1] neg_hi:[0,1]
	v_pk_add_f32 v[44:45], v[20:21], v[16:17] op_sel_hi:[1,0] neg_lo:[0,1] neg_hi:[0,1]
	v_mov_b32_e32 v20, v21
	v_mov_b32_e32 v21, v13
	v_pk_mov_b32 v[16:17], v[14:15], v[16:17] op_sel:[1,0]
	v_mov_b32_e32 v19, v14
	v_pk_add_f32 v[16:17], v[20:21], v[16:17] neg_lo:[0,1] neg_hi:[0,1]
	v_mov_b32_e32 v44, v42
	v_pk_add_f32 v[14:15], v[18:19], v[16:17] neg_lo:[0,1] neg_hi:[0,1]
	v_mov_b32_e32 v43, v13
	v_pk_add_f32 v[16:17], v[44:45], v[14:15]
	s_mov_b32 s5, 0x33800000
	v_pk_add_f32 v[18:19], v[16:17], v[16:17] op_sel:[0,1] op_sel_hi:[1,0]
	s_nop 0
	v_pk_add_f32 v[12:13], v[12:13], v[18:19] op_sel:[1,0] op_sel_hi:[0,1]
	v_mov_b32_e32 v17, v12
	v_pk_add_f32 v[20:21], v[16:17], v[42:43] neg_lo:[0,1] neg_hi:[0,1]
	v_mov_b32_e32 v15, v18
	v_sub_f32_e32 v13, v16, v20
	v_pk_add_f32 v[14:15], v[14:15], v[20:21] neg_lo:[0,1] neg_hi:[0,1]
	v_sub_f32_e32 v13, v42, v13
	v_add_f32_e32 v13, v14, v13
	v_add_f32_e32 v13, v13, v15
	;; [unrolled: 1-line block ×3, first 2 shown]
	v_cndmask_b32_e32 v12, v46, v12, vcc
	v_cmp_lt_f32_e64 vcc, |v10|, s5
	s_nop 1
	v_cndmask_b32_e32 v10, v12, v10, vcc
	v_add_f32_e32 v10, v11, v10
.LBB88_187:
	s_or_b64 exec, exec, s[2:3]
	v_max_f32_e32 v11, v10, v10
	v_min_f32_e32 v12, v11, v31
	v_cmp_u_f32_e32 vcc, v10, v10
	v_max_f32_e32 v11, v11, v31
	s_nop 0
	v_cndmask_b32_e32 v12, v12, v10, vcc
	v_cndmask_b32_e32 v11, v11, v10, vcc
	v_cndmask_b32_e64 v13, v12, v27, s[10:11]
	v_cndmask_b32_e64 v12, v11, v27, s[10:11]
	v_cmp_neq_f32_e32 vcc, v13, v12
	v_cmp_class_f32_e64 s[2:3], v13, s4
	s_or_b64 s[4:5], vcc, s[2:3]
	v_mov_b32_e32 v11, v10
	s_and_saveexec_b64 s[2:3], s[4:5]
	s_cbranch_execz .LBB88_189
; %bb.188:
	v_sub_f32_e32 v11, v13, v12
	s_mov_b32 s4, 0x3fb8aa3b
	v_mul_f32_e32 v13, 0x3fb8aa3b, v11
	v_fma_f32 v14, v11, s4, -v13
	v_rndne_f32_e32 v15, v13
	v_fmamk_f32 v14, v11, 0x32a5705f, v14
	v_sub_f32_e32 v13, v13, v15
	v_add_f32_e32 v13, v13, v14
	v_exp_f32_e32 v13, v13
	v_cvt_i32_f32_e32 v14, v15
	s_mov_b32 s4, 0xc2ce8ed0
	v_cmp_ngt_f32_e32 vcc, s4, v11
	s_mov_b32 s4, 0x42b17218
	v_ldexp_f32 v13, v13, v14
	v_cndmask_b32_e32 v13, 0, v13, vcc
	v_mov_b32_e32 v31, 0x7f800000
	v_cmp_nlt_f32_e32 vcc, s4, v11
	s_mov_b32 s4, 0x3f2aaaab
	s_mov_b32 s5, 0x7f800000
	v_cndmask_b32_e32 v11, v31, v13, vcc
	v_add_f32_e32 v13, 1.0, v11
	v_add_f32_e32 v14, -1.0, v13
	v_sub_f32_e32 v15, v14, v13
	v_add_f32_e32 v15, 1.0, v15
	v_sub_f32_e32 v14, v11, v14
	v_add_f32_e32 v16, v14, v15
	v_frexp_mant_f32_e32 v17, v13
	v_cvt_f64_f32_e32 v[14:15], v13
	v_frexp_exp_i32_f64_e32 v14, v[14:15]
	v_cmp_gt_f32_e32 vcc, s4, v17
	s_mov_b32 s4, 0x3f317218
	s_nop 0
	v_subbrev_co_u32_e32 v42, vcc, 0, v14, vcc
	v_sub_u32_e32 v14, 0, v42
	v_ldexp_f32 v13, v13, v14
	v_ldexp_f32 v14, v16, v14
	v_add_f32_e32 v16, -1.0, v13
	v_add_f32_e32 v15, 1.0, v16
	v_sub_f32_e32 v15, v13, v15
	v_add_f32_e32 v17, v14, v15
	v_add_f32_e32 v15, 1.0, v13
	v_add_f32_e32 v18, -1.0, v15
	v_sub_f32_e32 v13, v13, v18
	v_add_f32_e32 v13, v14, v13
	v_add_f32_e32 v43, v15, v13
	v_rcp_f32_e32 v44, v43
	v_sub_f32_e32 v14, v15, v43
	v_add_f32_e32 v15, v16, v17
	v_add_f32_e32 v13, v13, v14
	v_mul_f32_e32 v46, v15, v44
	v_sub_f32_e32 v14, v16, v15
	v_mul_f32_e32 v16, v43, v46
	v_fma_f32 v18, v46, v43, -v16
	v_fmac_f32_e32 v18, v46, v13
	v_add_f32_e32 v45, v17, v14
	v_add_f32_e32 v14, v16, v18
	v_sub_f32_e32 v17, v15, v14
	v_pk_add_f32 v[20:21], v[14:15], v[16:17] neg_lo:[0,1] neg_hi:[0,1]
	v_mov_b32_e32 v19, v14
	v_pk_add_f32 v[14:15], v[20:21], v[18:19] neg_lo:[0,1] neg_hi:[0,1]
	v_cmp_neq_f32_e32 vcc, s5, v11
	v_add_f32_e32 v15, v45, v15
	v_add_f32_e32 v14, v14, v15
	;; [unrolled: 1-line block ×3, first 2 shown]
	v_mul_f32_e32 v45, v44, v15
	v_mul_f32_e32 v16, v43, v45
	v_fma_f32 v18, v45, v43, -v16
	v_fmac_f32_e32 v18, v45, v13
	v_sub_f32_e32 v13, v17, v15
	v_add_f32_e32 v13, v14, v13
	v_add_f32_e32 v14, v16, v18
	v_sub_f32_e32 v17, v15, v14
	v_pk_add_f32 v[20:21], v[14:15], v[16:17] neg_lo:[0,1] neg_hi:[0,1]
	v_mov_b32_e32 v19, v14
	v_pk_add_f32 v[14:15], v[20:21], v[18:19] neg_lo:[0,1] neg_hi:[0,1]
	v_cvt_f32_i32_e32 v16, v42
	v_add_f32_e32 v13, v13, v15
	v_add_f32_e32 v13, v14, v13
	;; [unrolled: 1-line block ×4, first 2 shown]
	v_sub_f32_e32 v15, v14, v46
	v_mul_f32_e32 v13, v44, v13
	v_sub_f32_e32 v15, v45, v15
	v_add_f32_e32 v13, v15, v13
	v_add_f32_e32 v17, v14, v13
	v_mul_f32_e32 v18, v17, v17
	v_mov_b32_e32 v15, 0x3ecc95a3
	v_fmac_f32_e32 v15, 0x3e9b6dac, v18
	v_sub_f32_e32 v14, v17, v14
	v_fmaak_f32 v15, v18, v15, 0x3f2aaada
	v_sub_f32_e32 v13, v13, v14
	v_ldexp_f32 v19, v17, 1
	v_mul_f32_e32 v17, v17, v18
	v_mov_b32_e32 v14, 0x3f317218
	v_pk_mul_f32 v[14:15], v[16:17], v[14:15]
	v_ldexp_f32 v13, v13, 1
	v_fma_f32 v17, v16, s4, -v14
	v_fmamk_f32 v18, v16, 0xb102e308, v17
	v_pk_add_f32 v[16:17], v[14:15], v[18:19]
	v_mov_b32_e32 v20, v14
	v_sub_f32_e32 v19, v17, v19
	v_sub_f32_e32 v19, v15, v19
	v_add_f32_e32 v21, v13, v19
	v_pk_add_f32 v[14:15], v[16:17], v[14:15] neg_lo:[0,1] neg_hi:[0,1]
	v_pk_add_f32 v[42:43], v[16:17], v[20:21]
	v_mov_b32_e32 v19, v16
	v_mov_b32_e32 v15, v43
	v_pk_add_f32 v[44:45], v[18:19], v[14:15] neg_lo:[0,1] neg_hi:[0,1]
	v_pk_add_f32 v[14:15], v[18:19], v[14:15]
	v_mov_b32_e32 v20, v21
	v_pk_add_f32 v[18:19], v[14:15], v[16:17] op_sel:[1,0] op_sel_hi:[0,1] neg_lo:[0,1] neg_hi:[0,1]
	v_pk_add_f32 v[46:47], v[42:43], v[18:19] op_sel_hi:[1,0] neg_lo:[0,1] neg_hi:[0,1]
	v_mov_b32_e32 v42, v43
	v_mov_b32_e32 v43, v15
	v_pk_mov_b32 v[18:19], v[16:17], v[18:19] op_sel:[1,0]
	v_mov_b32_e32 v21, v16
	v_pk_add_f32 v[18:19], v[42:43], v[18:19] neg_lo:[0,1] neg_hi:[0,1]
	v_mov_b32_e32 v46, v44
	v_pk_add_f32 v[16:17], v[20:21], v[18:19] neg_lo:[0,1] neg_hi:[0,1]
	v_mov_b32_e32 v45, v15
	v_pk_add_f32 v[18:19], v[46:47], v[16:17]
	s_mov_b32 s4, 0x33800000
	v_pk_add_f32 v[20:21], v[18:19], v[18:19] op_sel:[0,1] op_sel_hi:[1,0]
	s_nop 0
	v_pk_add_f32 v[14:15], v[14:15], v[20:21] op_sel:[1,0] op_sel_hi:[0,1]
	v_mov_b32_e32 v19, v14
	v_pk_add_f32 v[42:43], v[18:19], v[44:45] neg_lo:[0,1] neg_hi:[0,1]
	v_mov_b32_e32 v17, v20
	v_sub_f32_e32 v13, v18, v42
	v_pk_add_f32 v[16:17], v[16:17], v[42:43] neg_lo:[0,1] neg_hi:[0,1]
	v_sub_f32_e32 v13, v44, v13
	v_add_f32_e32 v13, v16, v13
	v_add_f32_e32 v13, v13, v17
	;; [unrolled: 1-line block ×3, first 2 shown]
	v_cndmask_b32_e32 v13, v31, v13, vcc
	v_cmp_lt_f32_e64 vcc, |v11|, s4
	s_nop 1
	v_cndmask_b32_e32 v11, v13, v11, vcc
	v_add_f32_e32 v11, v12, v11
.LBB88_189:
	s_or_b64 exec, exec, s[2:3]
	v_max_f32_e32 v12, v11, v11
	v_min_f32_e32 v13, v12, v34
	v_cmp_u_f32_e32 vcc, v11, v11
	v_max_f32_e32 v12, v12, v34
	s_movk_i32 s4, 0x1f8
	v_cndmask_b32_e32 v13, v13, v11, vcc
	v_cndmask_b32_e32 v12, v12, v11, vcc
	v_cndmask_b32_e64 v14, v13, v28, s[12:13]
	v_cndmask_b32_e64 v13, v12, v28, s[12:13]
	v_cmp_neq_f32_e32 vcc, v14, v13
	v_cmp_class_f32_e64 s[2:3], v14, s4
	s_or_b64 s[6:7], vcc, s[2:3]
	v_mov_b32_e32 v12, v11
	s_and_saveexec_b64 s[2:3], s[6:7]
	s_cbranch_execz .LBB88_191
; %bb.190:
	v_sub_f32_e32 v12, v14, v13
	s_mov_b32 s5, 0x3fb8aa3b
	v_mul_f32_e32 v14, 0x3fb8aa3b, v12
	v_fma_f32 v15, v12, s5, -v14
	v_rndne_f32_e32 v16, v14
	v_fmamk_f32 v15, v12, 0x32a5705f, v15
	v_sub_f32_e32 v14, v14, v16
	v_add_f32_e32 v14, v14, v15
	v_exp_f32_e32 v14, v14
	v_cvt_i32_f32_e32 v15, v16
	s_mov_b32 s5, 0xc2ce8ed0
	v_cmp_ngt_f32_e32 vcc, s5, v12
	s_mov_b32 s5, 0x42b17218
	v_ldexp_f32 v14, v14, v15
	v_cndmask_b32_e32 v14, 0, v14, vcc
	v_mov_b32_e32 v31, 0x7f800000
	v_cmp_nlt_f32_e32 vcc, s5, v12
	s_mov_b32 s5, 0x3f2aaaab
	s_mov_b32 s6, 0x7f800000
	v_cndmask_b32_e32 v12, v31, v14, vcc
	v_add_f32_e32 v16, 1.0, v12
	v_add_f32_e32 v14, -1.0, v16
	v_sub_f32_e32 v15, v14, v16
	v_add_f32_e32 v15, 1.0, v15
	v_sub_f32_e32 v14, v12, v14
	v_add_f32_e32 v17, v14, v15
	v_frexp_mant_f32_e32 v18, v16
	v_cvt_f64_f32_e32 v[14:15], v16
	v_frexp_exp_i32_f64_e32 v14, v[14:15]
	v_cmp_gt_f32_e32 vcc, s5, v18
	s_mov_b32 s5, 0x3f317218
	s_nop 0
	v_subbrev_co_u32_e32 v34, vcc, 0, v14, vcc
	v_sub_u32_e32 v14, 0, v34
	v_ldexp_f32 v15, v16, v14
	v_add_f32_e32 v16, -1.0, v15
	v_add_f32_e32 v18, 1.0, v15
	v_ldexp_f32 v14, v17, v14
	v_add_f32_e32 v17, 1.0, v16
	v_add_f32_e32 v19, -1.0, v18
	v_sub_f32_e32 v17, v15, v17
	v_sub_f32_e32 v15, v15, v19
	v_add_f32_e32 v17, v14, v17
	v_add_f32_e32 v14, v14, v15
	;; [unrolled: 1-line block ×3, first 2 shown]
	v_rcp_f32_e32 v44, v42
	v_sub_f32_e32 v15, v18, v42
	v_add_f32_e32 v43, v14, v15
	v_add_f32_e32 v15, v16, v17
	v_mul_f32_e32 v46, v15, v44
	v_sub_f32_e32 v14, v16, v15
	v_mul_f32_e32 v16, v42, v46
	v_fma_f32 v18, v46, v42, -v16
	v_fmac_f32_e32 v18, v46, v43
	v_add_f32_e32 v45, v17, v14
	v_add_f32_e32 v14, v16, v18
	v_sub_f32_e32 v17, v15, v14
	v_pk_add_f32 v[20:21], v[14:15], v[16:17] neg_lo:[0,1] neg_hi:[0,1]
	v_mov_b32_e32 v19, v14
	v_pk_add_f32 v[14:15], v[20:21], v[18:19] neg_lo:[0,1] neg_hi:[0,1]
	v_cmp_neq_f32_e32 vcc, s6, v12
	v_add_f32_e32 v15, v45, v15
	v_add_f32_e32 v14, v14, v15
	;; [unrolled: 1-line block ×3, first 2 shown]
	v_mul_f32_e32 v45, v44, v15
	v_mul_f32_e32 v16, v42, v45
	v_fma_f32 v18, v45, v42, -v16
	v_fmac_f32_e32 v18, v45, v43
	v_sub_f32_e32 v17, v17, v15
	v_add_f32_e32 v42, v14, v17
	v_add_f32_e32 v14, v16, v18
	v_sub_f32_e32 v17, v15, v14
	v_pk_add_f32 v[20:21], v[14:15], v[16:17] neg_lo:[0,1] neg_hi:[0,1]
	v_mov_b32_e32 v19, v14
	v_pk_add_f32 v[14:15], v[20:21], v[18:19] neg_lo:[0,1] neg_hi:[0,1]
	v_cvt_f32_i32_e32 v16, v34
	v_add_f32_e32 v15, v42, v15
	v_add_f32_e32 v14, v14, v15
	;; [unrolled: 1-line block ×4, first 2 shown]
	v_sub_f32_e32 v15, v17, v46
	v_mul_f32_e32 v14, v44, v14
	v_sub_f32_e32 v15, v45, v15
	v_add_f32_e32 v14, v15, v14
	v_add_f32_e32 v18, v17, v14
	v_mul_f32_e32 v20, v18, v18
	v_mov_b32_e32 v15, 0x3ecc95a3
	v_sub_f32_e32 v17, v18, v17
	v_fmac_f32_e32 v15, 0x3e9b6dac, v20
	v_sub_f32_e32 v14, v14, v17
	v_fmaak_f32 v15, v20, v15, 0x3f2aaada
	v_ldexp_f32 v21, v14, 1
	v_mul_f32_e32 v17, v18, v20
	v_mov_b32_e32 v14, 0x3f317218
	v_pk_mul_f32 v[14:15], v[16:17], v[14:15]
	v_ldexp_f32 v19, v18, 1
	v_fma_f32 v17, v16, s5, -v14
	v_fmamk_f32 v18, v16, 0xb102e308, v17
	v_pk_add_f32 v[16:17], v[14:15], v[18:19]
	v_mov_b32_e32 v20, v14
	v_sub_f32_e32 v19, v17, v19
	v_sub_f32_e32 v19, v15, v19
	v_add_f32_e32 v21, v21, v19
	v_pk_add_f32 v[14:15], v[16:17], v[14:15] neg_lo:[0,1] neg_hi:[0,1]
	v_pk_add_f32 v[42:43], v[16:17], v[20:21]
	v_mov_b32_e32 v19, v16
	v_mov_b32_e32 v15, v43
	v_pk_add_f32 v[44:45], v[18:19], v[14:15] neg_lo:[0,1] neg_hi:[0,1]
	v_pk_add_f32 v[14:15], v[18:19], v[14:15]
	v_mov_b32_e32 v20, v21
	v_pk_add_f32 v[18:19], v[14:15], v[16:17] op_sel:[1,0] op_sel_hi:[0,1] neg_lo:[0,1] neg_hi:[0,1]
	v_pk_add_f32 v[46:47], v[42:43], v[18:19] op_sel_hi:[1,0] neg_lo:[0,1] neg_hi:[0,1]
	v_mov_b32_e32 v42, v43
	v_mov_b32_e32 v43, v15
	v_pk_mov_b32 v[18:19], v[16:17], v[18:19] op_sel:[1,0]
	v_mov_b32_e32 v21, v16
	v_pk_add_f32 v[18:19], v[42:43], v[18:19] neg_lo:[0,1] neg_hi:[0,1]
	v_mov_b32_e32 v46, v44
	v_pk_add_f32 v[16:17], v[20:21], v[18:19] neg_lo:[0,1] neg_hi:[0,1]
	v_mov_b32_e32 v45, v15
	v_pk_add_f32 v[18:19], v[46:47], v[16:17]
	s_mov_b32 s5, 0x33800000
	v_pk_add_f32 v[20:21], v[18:19], v[18:19] op_sel:[0,1] op_sel_hi:[1,0]
	s_nop 0
	v_pk_add_f32 v[14:15], v[14:15], v[20:21] op_sel:[1,0] op_sel_hi:[0,1]
	v_mov_b32_e32 v19, v14
	v_pk_add_f32 v[42:43], v[18:19], v[44:45] neg_lo:[0,1] neg_hi:[0,1]
	v_mov_b32_e32 v17, v20
	v_sub_f32_e32 v15, v18, v42
	v_pk_add_f32 v[16:17], v[16:17], v[42:43] neg_lo:[0,1] neg_hi:[0,1]
	v_sub_f32_e32 v15, v44, v15
	v_add_f32_e32 v15, v16, v15
	v_add_f32_e32 v15, v15, v17
	;; [unrolled: 1-line block ×3, first 2 shown]
	v_cndmask_b32_e32 v14, v31, v14, vcc
	v_cmp_lt_f32_e64 vcc, |v12|, s5
	s_nop 1
	v_cndmask_b32_e32 v12, v14, v12, vcc
	v_add_f32_e32 v12, v13, v12
.LBB88_191:
	s_or_b64 exec, exec, s[2:3]
	v_max_f32_e32 v13, v12, v12
	v_min_f32_e32 v14, v13, v35
	v_cmp_u_f32_e32 vcc, v12, v12
	v_max_f32_e32 v13, v13, v35
	s_nop 0
	v_cndmask_b32_e32 v14, v14, v12, vcc
	v_cndmask_b32_e32 v13, v13, v12, vcc
	v_cndmask_b32_e64 v15, v14, v29, s[14:15]
	v_cndmask_b32_e64 v14, v13, v29, s[14:15]
	v_cmp_neq_f32_e32 vcc, v15, v14
	v_cmp_class_f32_e64 s[2:3], v15, s4
	s_or_b64 s[4:5], vcc, s[2:3]
	v_mov_b32_e32 v13, v12
	s_and_saveexec_b64 s[2:3], s[4:5]
	s_cbranch_execz .LBB88_193
; %bb.192:
	v_sub_f32_e32 v13, v15, v14
	s_mov_b32 s4, 0x3fb8aa3b
	v_mul_f32_e32 v15, 0x3fb8aa3b, v13
	v_fma_f32 v16, v13, s4, -v15
	v_rndne_f32_e32 v17, v15
	v_fmamk_f32 v16, v13, 0x32a5705f, v16
	v_sub_f32_e32 v15, v15, v17
	v_add_f32_e32 v15, v15, v16
	v_exp_f32_e32 v15, v15
	v_cvt_i32_f32_e32 v16, v17
	s_mov_b32 s4, 0xc2ce8ed0
	v_cmp_ngt_f32_e32 vcc, s4, v13
	s_mov_b32 s4, 0x42b17218
	v_ldexp_f32 v15, v15, v16
	v_cndmask_b32_e32 v15, 0, v15, vcc
	v_mov_b32_e32 v31, 0x7f800000
	v_cmp_nlt_f32_e32 vcc, s4, v13
	s_mov_b32 s4, 0x3f2aaaab
	s_mov_b32 s5, 0x7f800000
	v_cndmask_b32_e32 v13, v31, v15, vcc
	v_add_f32_e32 v15, 1.0, v13
	v_add_f32_e32 v16, -1.0, v15
	v_sub_f32_e32 v17, v16, v15
	v_add_f32_e32 v17, 1.0, v17
	v_sub_f32_e32 v16, v13, v16
	v_add_f32_e32 v18, v16, v17
	v_frexp_mant_f32_e32 v19, v15
	v_cvt_f64_f32_e32 v[16:17], v15
	v_frexp_exp_i32_f64_e32 v16, v[16:17]
	v_cmp_gt_f32_e32 vcc, s4, v19
	s_mov_b32 s4, 0x3f317218
	s_nop 0
	v_subbrev_co_u32_e32 v42, vcc, 0, v16, vcc
	v_sub_u32_e32 v16, 0, v42
	v_ldexp_f32 v15, v15, v16
	v_ldexp_f32 v16, v18, v16
	v_add_f32_e32 v18, -1.0, v15
	v_add_f32_e32 v17, 1.0, v18
	v_sub_f32_e32 v17, v15, v17
	v_add_f32_e32 v19, v16, v17
	v_add_f32_e32 v17, 1.0, v15
	v_add_f32_e32 v20, -1.0, v17
	v_sub_f32_e32 v15, v15, v20
	v_add_f32_e32 v15, v16, v15
	v_add_f32_e32 v43, v17, v15
	v_rcp_f32_e32 v44, v43
	v_sub_f32_e32 v16, v17, v43
	v_add_f32_e32 v17, v18, v19
	v_add_f32_e32 v15, v15, v16
	v_mul_f32_e32 v46, v17, v44
	v_sub_f32_e32 v16, v18, v17
	v_mul_f32_e32 v18, v43, v46
	v_fma_f32 v20, v46, v43, -v18
	v_fmac_f32_e32 v20, v46, v15
	v_add_f32_e32 v45, v19, v16
	v_add_f32_e32 v16, v18, v20
	v_sub_f32_e32 v19, v17, v16
	v_pk_add_f32 v[34:35], v[16:17], v[18:19] neg_lo:[0,1] neg_hi:[0,1]
	v_mov_b32_e32 v21, v16
	v_pk_add_f32 v[16:17], v[34:35], v[20:21] neg_lo:[0,1] neg_hi:[0,1]
	v_cmp_neq_f32_e32 vcc, s5, v13
	v_add_f32_e32 v17, v45, v17
	v_add_f32_e32 v16, v16, v17
	;; [unrolled: 1-line block ×3, first 2 shown]
	v_mul_f32_e32 v45, v44, v17
	v_mul_f32_e32 v18, v43, v45
	v_fma_f32 v20, v45, v43, -v18
	v_fmac_f32_e32 v20, v45, v15
	v_sub_f32_e32 v15, v19, v17
	v_add_f32_e32 v15, v16, v15
	v_add_f32_e32 v16, v18, v20
	v_sub_f32_e32 v19, v17, v16
	v_pk_add_f32 v[34:35], v[16:17], v[18:19] neg_lo:[0,1] neg_hi:[0,1]
	v_mov_b32_e32 v21, v16
	v_pk_add_f32 v[16:17], v[34:35], v[20:21] neg_lo:[0,1] neg_hi:[0,1]
	v_cvt_f32_i32_e32 v18, v42
	v_add_f32_e32 v15, v15, v17
	v_add_f32_e32 v15, v16, v15
	;; [unrolled: 1-line block ×4, first 2 shown]
	v_sub_f32_e32 v17, v16, v46
	v_mul_f32_e32 v15, v44, v15
	v_sub_f32_e32 v17, v45, v17
	v_add_f32_e32 v15, v17, v15
	v_add_f32_e32 v19, v16, v15
	v_mul_f32_e32 v20, v19, v19
	v_mov_b32_e32 v17, 0x3ecc95a3
	v_fmac_f32_e32 v17, 0x3e9b6dac, v20
	v_sub_f32_e32 v16, v19, v16
	v_fmaak_f32 v17, v20, v17, 0x3f2aaada
	v_sub_f32_e32 v15, v15, v16
	v_ldexp_f32 v21, v19, 1
	v_mul_f32_e32 v19, v19, v20
	v_mov_b32_e32 v16, 0x3f317218
	v_pk_mul_f32 v[16:17], v[18:19], v[16:17]
	v_ldexp_f32 v15, v15, 1
	v_fma_f32 v19, v18, s4, -v16
	v_fmamk_f32 v20, v18, 0xb102e308, v19
	v_pk_add_f32 v[18:19], v[16:17], v[20:21]
	v_mov_b32_e32 v34, v16
	v_sub_f32_e32 v21, v19, v21
	v_sub_f32_e32 v21, v17, v21
	v_add_f32_e32 v35, v15, v21
	v_pk_add_f32 v[16:17], v[18:19], v[16:17] neg_lo:[0,1] neg_hi:[0,1]
	v_pk_add_f32 v[42:43], v[18:19], v[34:35]
	v_mov_b32_e32 v21, v18
	v_mov_b32_e32 v17, v43
	v_pk_add_f32 v[44:45], v[20:21], v[16:17] neg_lo:[0,1] neg_hi:[0,1]
	v_pk_add_f32 v[16:17], v[20:21], v[16:17]
	v_mov_b32_e32 v34, v35
	v_pk_add_f32 v[20:21], v[16:17], v[18:19] op_sel:[1,0] op_sel_hi:[0,1] neg_lo:[0,1] neg_hi:[0,1]
	v_pk_add_f32 v[46:47], v[42:43], v[20:21] op_sel_hi:[1,0] neg_lo:[0,1] neg_hi:[0,1]
	v_mov_b32_e32 v42, v43
	v_mov_b32_e32 v43, v17
	v_pk_mov_b32 v[20:21], v[18:19], v[20:21] op_sel:[1,0]
	v_mov_b32_e32 v35, v18
	v_pk_add_f32 v[20:21], v[42:43], v[20:21] neg_lo:[0,1] neg_hi:[0,1]
	v_mov_b32_e32 v46, v44
	v_pk_add_f32 v[18:19], v[34:35], v[20:21] neg_lo:[0,1] neg_hi:[0,1]
	v_mov_b32_e32 v45, v17
	v_pk_add_f32 v[20:21], v[46:47], v[18:19]
	s_mov_b32 s4, 0x33800000
	v_pk_add_f32 v[34:35], v[20:21], v[20:21] op_sel:[0,1] op_sel_hi:[1,0]
	s_nop 0
	v_pk_add_f32 v[16:17], v[16:17], v[34:35] op_sel:[1,0] op_sel_hi:[0,1]
	v_mov_b32_e32 v21, v16
	v_pk_add_f32 v[42:43], v[20:21], v[44:45] neg_lo:[0,1] neg_hi:[0,1]
	v_mov_b32_e32 v19, v34
	v_sub_f32_e32 v15, v20, v42
	v_pk_add_f32 v[18:19], v[18:19], v[42:43] neg_lo:[0,1] neg_hi:[0,1]
	v_sub_f32_e32 v15, v44, v15
	v_add_f32_e32 v15, v18, v15
	v_add_f32_e32 v15, v15, v19
	;; [unrolled: 1-line block ×3, first 2 shown]
	v_cndmask_b32_e32 v15, v31, v15, vcc
	v_cmp_lt_f32_e64 vcc, |v13|, s4
	s_nop 1
	v_cndmask_b32_e32 v13, v15, v13, vcc
	v_add_f32_e32 v13, v14, v13
.LBB88_193:
	s_or_b64 exec, exec, s[2:3]
	v_max_f32_e32 v14, v13, v13
	v_min_f32_e32 v15, v14, v36
	v_cmp_u_f32_e32 vcc, v13, v13
	v_max_f32_e32 v14, v14, v36
	s_movk_i32 s4, 0x1f8
	v_cndmask_b32_e32 v15, v15, v13, vcc
	v_cndmask_b32_e32 v14, v14, v13, vcc
	v_cndmask_b32_e64 v16, v15, v22, s[16:17]
	v_cndmask_b32_e64 v15, v14, v22, s[16:17]
	v_cmp_neq_f32_e32 vcc, v16, v15
	v_cmp_class_f32_e64 s[2:3], v16, s4
	s_or_b64 s[6:7], vcc, s[2:3]
	v_mov_b32_e32 v14, v13
	s_and_saveexec_b64 s[2:3], s[6:7]
	s_cbranch_execz .LBB88_195
; %bb.194:
	v_sub_f32_e32 v14, v16, v15
	s_mov_b32 s5, 0x3fb8aa3b
	v_mul_f32_e32 v16, 0x3fb8aa3b, v14
	v_fma_f32 v17, v14, s5, -v16
	v_rndne_f32_e32 v18, v16
	v_fmamk_f32 v17, v14, 0x32a5705f, v17
	v_sub_f32_e32 v16, v16, v18
	v_add_f32_e32 v16, v16, v17
	v_exp_f32_e32 v16, v16
	v_cvt_i32_f32_e32 v17, v18
	s_mov_b32 s5, 0xc2ce8ed0
	v_cmp_ngt_f32_e32 vcc, s5, v14
	s_mov_b32 s5, 0x42b17218
	v_ldexp_f32 v16, v16, v17
	v_cndmask_b32_e32 v16, 0, v16, vcc
	v_mov_b32_e32 v31, 0x7f800000
	v_cmp_nlt_f32_e32 vcc, s5, v14
	s_mov_b32 s5, 0x3f2aaaab
	s_mov_b32 s6, 0x7f800000
	v_cndmask_b32_e32 v14, v31, v16, vcc
	v_add_f32_e32 v18, 1.0, v14
	v_add_f32_e32 v16, -1.0, v18
	v_sub_f32_e32 v17, v16, v18
	v_add_f32_e32 v17, 1.0, v17
	v_sub_f32_e32 v16, v14, v16
	v_add_f32_e32 v19, v16, v17
	v_frexp_mant_f32_e32 v20, v18
	v_cvt_f64_f32_e32 v[16:17], v18
	v_frexp_exp_i32_f64_e32 v16, v[16:17]
	v_cmp_gt_f32_e32 vcc, s5, v20
	s_mov_b32 s5, 0x3f317218
	s_nop 0
	v_subbrev_co_u32_e32 v36, vcc, 0, v16, vcc
	v_sub_u32_e32 v16, 0, v36
	v_ldexp_f32 v17, v18, v16
	v_add_f32_e32 v18, -1.0, v17
	v_add_f32_e32 v20, 1.0, v17
	v_ldexp_f32 v16, v19, v16
	v_add_f32_e32 v19, 1.0, v18
	v_add_f32_e32 v21, -1.0, v20
	v_sub_f32_e32 v19, v17, v19
	v_sub_f32_e32 v17, v17, v21
	v_add_f32_e32 v19, v16, v19
	v_add_f32_e32 v16, v16, v17
	;; [unrolled: 1-line block ×3, first 2 shown]
	v_rcp_f32_e32 v44, v42
	v_sub_f32_e32 v17, v20, v42
	v_add_f32_e32 v43, v16, v17
	v_add_f32_e32 v17, v18, v19
	v_mul_f32_e32 v46, v17, v44
	v_sub_f32_e32 v16, v18, v17
	v_mul_f32_e32 v18, v42, v46
	v_fma_f32 v20, v46, v42, -v18
	v_fmac_f32_e32 v20, v46, v43
	v_add_f32_e32 v45, v19, v16
	v_add_f32_e32 v16, v18, v20
	v_sub_f32_e32 v19, v17, v16
	v_pk_add_f32 v[34:35], v[16:17], v[18:19] neg_lo:[0,1] neg_hi:[0,1]
	v_mov_b32_e32 v21, v16
	v_pk_add_f32 v[16:17], v[34:35], v[20:21] neg_lo:[0,1] neg_hi:[0,1]
	v_cmp_neq_f32_e32 vcc, s6, v14
	v_add_f32_e32 v17, v45, v17
	v_add_f32_e32 v16, v16, v17
	;; [unrolled: 1-line block ×3, first 2 shown]
	v_mul_f32_e32 v45, v44, v17
	v_mul_f32_e32 v18, v42, v45
	v_fma_f32 v20, v45, v42, -v18
	v_fmac_f32_e32 v20, v45, v43
	v_sub_f32_e32 v19, v19, v17
	v_add_f32_e32 v42, v16, v19
	v_add_f32_e32 v16, v18, v20
	v_sub_f32_e32 v19, v17, v16
	v_pk_add_f32 v[34:35], v[16:17], v[18:19] neg_lo:[0,1] neg_hi:[0,1]
	v_mov_b32_e32 v21, v16
	v_pk_add_f32 v[16:17], v[34:35], v[20:21] neg_lo:[0,1] neg_hi:[0,1]
	v_cvt_f32_i32_e32 v18, v36
	v_add_f32_e32 v17, v42, v17
	v_add_f32_e32 v16, v16, v17
	;; [unrolled: 1-line block ×4, first 2 shown]
	v_sub_f32_e32 v17, v19, v46
	v_mul_f32_e32 v16, v44, v16
	v_sub_f32_e32 v17, v45, v17
	v_add_f32_e32 v16, v17, v16
	v_add_f32_e32 v20, v19, v16
	v_mul_f32_e32 v34, v20, v20
	v_mov_b32_e32 v17, 0x3ecc95a3
	v_sub_f32_e32 v19, v20, v19
	v_fmac_f32_e32 v17, 0x3e9b6dac, v34
	v_sub_f32_e32 v16, v16, v19
	v_fmaak_f32 v17, v34, v17, 0x3f2aaada
	v_ldexp_f32 v35, v16, 1
	v_mul_f32_e32 v19, v20, v34
	v_mov_b32_e32 v16, 0x3f317218
	v_pk_mul_f32 v[16:17], v[18:19], v[16:17]
	v_ldexp_f32 v21, v20, 1
	v_fma_f32 v19, v18, s5, -v16
	v_fmamk_f32 v20, v18, 0xb102e308, v19
	v_pk_add_f32 v[18:19], v[16:17], v[20:21]
	v_mov_b32_e32 v34, v16
	v_sub_f32_e32 v21, v19, v21
	v_sub_f32_e32 v21, v17, v21
	v_add_f32_e32 v35, v35, v21
	v_pk_add_f32 v[16:17], v[18:19], v[16:17] neg_lo:[0,1] neg_hi:[0,1]
	v_pk_add_f32 v[42:43], v[18:19], v[34:35]
	v_mov_b32_e32 v21, v18
	v_mov_b32_e32 v17, v43
	v_pk_add_f32 v[44:45], v[20:21], v[16:17] neg_lo:[0,1] neg_hi:[0,1]
	v_pk_add_f32 v[16:17], v[20:21], v[16:17]
	v_mov_b32_e32 v34, v35
	v_pk_add_f32 v[20:21], v[16:17], v[18:19] op_sel:[1,0] op_sel_hi:[0,1] neg_lo:[0,1] neg_hi:[0,1]
	v_pk_add_f32 v[46:47], v[42:43], v[20:21] op_sel_hi:[1,0] neg_lo:[0,1] neg_hi:[0,1]
	v_mov_b32_e32 v42, v43
	v_mov_b32_e32 v43, v17
	v_pk_mov_b32 v[20:21], v[18:19], v[20:21] op_sel:[1,0]
	v_mov_b32_e32 v35, v18
	v_pk_add_f32 v[20:21], v[42:43], v[20:21] neg_lo:[0,1] neg_hi:[0,1]
	v_mov_b32_e32 v46, v44
	v_pk_add_f32 v[18:19], v[34:35], v[20:21] neg_lo:[0,1] neg_hi:[0,1]
	v_mov_b32_e32 v45, v17
	v_pk_add_f32 v[20:21], v[46:47], v[18:19]
	s_mov_b32 s5, 0x33800000
	v_pk_add_f32 v[34:35], v[20:21], v[20:21] op_sel:[0,1] op_sel_hi:[1,0]
	s_nop 0
	v_pk_add_f32 v[16:17], v[16:17], v[34:35] op_sel:[1,0] op_sel_hi:[0,1]
	v_mov_b32_e32 v21, v16
	v_pk_add_f32 v[42:43], v[20:21], v[44:45] neg_lo:[0,1] neg_hi:[0,1]
	v_mov_b32_e32 v19, v34
	v_sub_f32_e32 v17, v20, v42
	v_pk_add_f32 v[18:19], v[18:19], v[42:43] neg_lo:[0,1] neg_hi:[0,1]
	v_sub_f32_e32 v17, v44, v17
	v_add_f32_e32 v17, v18, v17
	v_add_f32_e32 v17, v17, v19
	v_add_f32_e32 v16, v16, v17
	v_cndmask_b32_e32 v16, v31, v16, vcc
	v_cmp_lt_f32_e64 vcc, |v14|, s5
	s_nop 1
	v_cndmask_b32_e32 v14, v16, v14, vcc
	v_add_f32_e32 v14, v15, v14
.LBB88_195:
	s_or_b64 exec, exec, s[2:3]
	v_max_f32_e32 v15, v14, v14
	v_min_f32_e32 v16, v15, v37
	v_cmp_u_f32_e32 vcc, v14, v14
	v_max_f32_e32 v15, v15, v37
	s_nop 0
	v_cndmask_b32_e32 v16, v16, v14, vcc
	v_cndmask_b32_e32 v15, v15, v14, vcc
	v_cndmask_b32_e64 v17, v16, v23, s[18:19]
	v_cndmask_b32_e64 v16, v15, v23, s[18:19]
	v_cmp_neq_f32_e32 vcc, v17, v16
	v_cmp_class_f32_e64 s[2:3], v17, s4
	s_or_b64 s[4:5], vcc, s[2:3]
	v_mov_b32_e32 v15, v14
	s_and_saveexec_b64 s[2:3], s[4:5]
	s_cbranch_execz .LBB88_197
; %bb.196:
	v_sub_f32_e32 v15, v17, v16
	s_mov_b32 s4, 0x3fb8aa3b
	v_mul_f32_e32 v17, 0x3fb8aa3b, v15
	v_fma_f32 v18, v15, s4, -v17
	v_rndne_f32_e32 v19, v17
	v_fmamk_f32 v18, v15, 0x32a5705f, v18
	v_sub_f32_e32 v17, v17, v19
	v_add_f32_e32 v17, v17, v18
	v_exp_f32_e32 v17, v17
	v_cvt_i32_f32_e32 v18, v19
	s_mov_b32 s4, 0xc2ce8ed0
	v_cmp_ngt_f32_e32 vcc, s4, v15
	s_mov_b32 s4, 0x42b17218
	v_ldexp_f32 v17, v17, v18
	v_cndmask_b32_e32 v17, 0, v17, vcc
	v_mov_b32_e32 v31, 0x7f800000
	v_cmp_nlt_f32_e32 vcc, s4, v15
	s_mov_b32 s4, 0x3f2aaaab
	s_mov_b32 s5, 0x7f800000
	v_cndmask_b32_e32 v15, v31, v17, vcc
	v_add_f32_e32 v17, 1.0, v15
	v_add_f32_e32 v18, -1.0, v17
	v_sub_f32_e32 v19, v18, v17
	v_add_f32_e32 v19, 1.0, v19
	v_sub_f32_e32 v18, v15, v18
	v_add_f32_e32 v20, v18, v19
	v_frexp_mant_f32_e32 v21, v17
	v_cvt_f64_f32_e32 v[18:19], v17
	v_frexp_exp_i32_f64_e32 v18, v[18:19]
	v_cmp_gt_f32_e32 vcc, s4, v21
	s_mov_b32 s4, 0x3f317218
	s_nop 0
	v_subbrev_co_u32_e32 v42, vcc, 0, v18, vcc
	v_sub_u32_e32 v18, 0, v42
	v_ldexp_f32 v17, v17, v18
	v_ldexp_f32 v18, v20, v18
	v_add_f32_e32 v20, -1.0, v17
	v_add_f32_e32 v19, 1.0, v20
	v_sub_f32_e32 v19, v17, v19
	v_add_f32_e32 v21, v18, v19
	v_add_f32_e32 v19, 1.0, v17
	v_add_f32_e32 v34, -1.0, v19
	v_sub_f32_e32 v17, v17, v34
	v_add_f32_e32 v17, v18, v17
	v_add_f32_e32 v43, v19, v17
	v_rcp_f32_e32 v44, v43
	v_sub_f32_e32 v18, v19, v43
	v_add_f32_e32 v19, v20, v21
	v_add_f32_e32 v17, v17, v18
	v_mul_f32_e32 v46, v19, v44
	v_sub_f32_e32 v18, v20, v19
	v_mul_f32_e32 v20, v43, v46
	v_fma_f32 v34, v46, v43, -v20
	v_fmac_f32_e32 v34, v46, v17
	v_add_f32_e32 v45, v21, v18
	v_add_f32_e32 v18, v20, v34
	v_sub_f32_e32 v21, v19, v18
	v_pk_add_f32 v[36:37], v[18:19], v[20:21] neg_lo:[0,1] neg_hi:[0,1]
	v_mov_b32_e32 v35, v18
	v_pk_add_f32 v[18:19], v[36:37], v[34:35] neg_lo:[0,1] neg_hi:[0,1]
	v_cmp_neq_f32_e32 vcc, s5, v15
	v_add_f32_e32 v19, v45, v19
	v_add_f32_e32 v18, v18, v19
	;; [unrolled: 1-line block ×3, first 2 shown]
	v_mul_f32_e32 v45, v44, v19
	v_mul_f32_e32 v20, v43, v45
	v_fma_f32 v34, v45, v43, -v20
	v_fmac_f32_e32 v34, v45, v17
	v_sub_f32_e32 v17, v21, v19
	v_add_f32_e32 v17, v18, v17
	v_add_f32_e32 v18, v20, v34
	v_sub_f32_e32 v21, v19, v18
	v_pk_add_f32 v[36:37], v[18:19], v[20:21] neg_lo:[0,1] neg_hi:[0,1]
	v_mov_b32_e32 v35, v18
	v_pk_add_f32 v[18:19], v[36:37], v[34:35] neg_lo:[0,1] neg_hi:[0,1]
	v_cvt_f32_i32_e32 v20, v42
	v_add_f32_e32 v17, v17, v19
	v_add_f32_e32 v17, v18, v17
	;; [unrolled: 1-line block ×4, first 2 shown]
	v_sub_f32_e32 v19, v18, v46
	v_mul_f32_e32 v17, v44, v17
	v_sub_f32_e32 v19, v45, v19
	v_add_f32_e32 v17, v19, v17
	v_add_f32_e32 v21, v18, v17
	v_mul_f32_e32 v34, v21, v21
	v_mov_b32_e32 v19, 0x3ecc95a3
	v_fmac_f32_e32 v19, 0x3e9b6dac, v34
	v_sub_f32_e32 v18, v21, v18
	v_fmaak_f32 v19, v34, v19, 0x3f2aaada
	v_sub_f32_e32 v17, v17, v18
	v_ldexp_f32 v35, v21, 1
	v_mul_f32_e32 v21, v21, v34
	v_mov_b32_e32 v18, 0x3f317218
	v_pk_mul_f32 v[18:19], v[20:21], v[18:19]
	v_ldexp_f32 v17, v17, 1
	v_fma_f32 v21, v20, s4, -v18
	v_fmamk_f32 v34, v20, 0xb102e308, v21
	v_pk_add_f32 v[20:21], v[18:19], v[34:35]
	v_mov_b32_e32 v36, v18
	v_sub_f32_e32 v35, v21, v35
	v_sub_f32_e32 v35, v19, v35
	v_add_f32_e32 v37, v17, v35
	v_pk_add_f32 v[18:19], v[20:21], v[18:19] neg_lo:[0,1] neg_hi:[0,1]
	v_pk_add_f32 v[42:43], v[20:21], v[36:37]
	v_mov_b32_e32 v35, v20
	v_mov_b32_e32 v19, v43
	v_pk_add_f32 v[44:45], v[34:35], v[18:19] neg_lo:[0,1] neg_hi:[0,1]
	v_pk_add_f32 v[18:19], v[34:35], v[18:19]
	v_mov_b32_e32 v36, v37
	v_pk_add_f32 v[34:35], v[18:19], v[20:21] op_sel:[1,0] op_sel_hi:[0,1] neg_lo:[0,1] neg_hi:[0,1]
	v_pk_add_f32 v[46:47], v[42:43], v[34:35] op_sel_hi:[1,0] neg_lo:[0,1] neg_hi:[0,1]
	v_mov_b32_e32 v42, v43
	v_mov_b32_e32 v43, v19
	v_pk_mov_b32 v[34:35], v[20:21], v[34:35] op_sel:[1,0]
	v_mov_b32_e32 v37, v20
	v_pk_add_f32 v[34:35], v[42:43], v[34:35] neg_lo:[0,1] neg_hi:[0,1]
	v_mov_b32_e32 v46, v44
	v_pk_add_f32 v[20:21], v[36:37], v[34:35] neg_lo:[0,1] neg_hi:[0,1]
	v_mov_b32_e32 v45, v19
	v_pk_add_f32 v[34:35], v[46:47], v[20:21]
	s_mov_b32 s4, 0x33800000
	v_pk_add_f32 v[36:37], v[34:35], v[34:35] op_sel:[0,1] op_sel_hi:[1,0]
	s_nop 0
	v_pk_add_f32 v[18:19], v[18:19], v[36:37] op_sel:[1,0] op_sel_hi:[0,1]
	v_mov_b32_e32 v35, v18
	v_pk_add_f32 v[42:43], v[34:35], v[44:45] neg_lo:[0,1] neg_hi:[0,1]
	v_mov_b32_e32 v21, v36
	v_sub_f32_e32 v17, v34, v42
	v_pk_add_f32 v[20:21], v[20:21], v[42:43] neg_lo:[0,1] neg_hi:[0,1]
	v_sub_f32_e32 v17, v44, v17
	v_add_f32_e32 v17, v20, v17
	v_add_f32_e32 v17, v17, v21
	;; [unrolled: 1-line block ×3, first 2 shown]
	v_cndmask_b32_e32 v17, v31, v17, vcc
	v_cmp_lt_f32_e64 vcc, |v15|, s4
	s_nop 1
	v_cndmask_b32_e32 v15, v17, v15, vcc
	v_add_f32_e32 v15, v16, v15
.LBB88_197:
	s_or_b64 exec, exec, s[2:3]
	v_max_f32_e32 v16, v15, v15
	v_min_f32_e32 v17, v16, v38
	v_cmp_u_f32_e32 vcc, v15, v15
	v_max_f32_e32 v16, v16, v38
	s_movk_i32 s4, 0x1f8
	v_cndmask_b32_e32 v17, v17, v15, vcc
	v_cndmask_b32_e32 v16, v16, v15, vcc
	v_cndmask_b32_e64 v18, v17, v24, s[20:21]
	v_cndmask_b32_e64 v17, v16, v24, s[20:21]
	v_cmp_neq_f32_e32 vcc, v18, v17
	v_cmp_class_f32_e64 s[2:3], v18, s4
	s_or_b64 s[6:7], vcc, s[2:3]
	v_mov_b32_e32 v16, v15
	s_and_saveexec_b64 s[2:3], s[6:7]
	s_cbranch_execz .LBB88_199
; %bb.198:
	v_sub_f32_e32 v16, v18, v17
	s_mov_b32 s5, 0x3fb8aa3b
	v_mul_f32_e32 v18, 0x3fb8aa3b, v16
	v_fma_f32 v19, v16, s5, -v18
	v_rndne_f32_e32 v20, v18
	v_fmamk_f32 v19, v16, 0x32a5705f, v19
	v_sub_f32_e32 v18, v18, v20
	v_add_f32_e32 v18, v18, v19
	v_exp_f32_e32 v18, v18
	v_cvt_i32_f32_e32 v19, v20
	s_mov_b32 s5, 0xc2ce8ed0
	v_cmp_ngt_f32_e32 vcc, s5, v16
	s_mov_b32 s5, 0x42b17218
	v_ldexp_f32 v18, v18, v19
	v_cndmask_b32_e32 v18, 0, v18, vcc
	v_mov_b32_e32 v31, 0x7f800000
	v_cmp_nlt_f32_e32 vcc, s5, v16
	s_mov_b32 s5, 0x3f2aaaab
	s_mov_b32 s6, 0x7f800000
	v_cndmask_b32_e32 v16, v31, v18, vcc
	v_add_f32_e32 v20, 1.0, v16
	v_add_f32_e32 v18, -1.0, v20
	v_sub_f32_e32 v19, v18, v20
	v_add_f32_e32 v19, 1.0, v19
	v_sub_f32_e32 v18, v16, v18
	v_add_f32_e32 v21, v18, v19
	v_frexp_mant_f32_e32 v34, v20
	v_cvt_f64_f32_e32 v[18:19], v20
	v_frexp_exp_i32_f64_e32 v18, v[18:19]
	v_cmp_gt_f32_e32 vcc, s5, v34
	s_mov_b32 s5, 0x3f317218
	s_nop 0
	v_subbrev_co_u32_e32 v38, vcc, 0, v18, vcc
	v_sub_u32_e32 v18, 0, v38
	v_ldexp_f32 v19, v20, v18
	v_add_f32_e32 v20, -1.0, v19
	v_add_f32_e32 v34, 1.0, v19
	v_ldexp_f32 v18, v21, v18
	v_add_f32_e32 v21, 1.0, v20
	v_add_f32_e32 v35, -1.0, v34
	v_sub_f32_e32 v21, v19, v21
	v_sub_f32_e32 v19, v19, v35
	v_add_f32_e32 v21, v18, v21
	v_add_f32_e32 v18, v18, v19
	;; [unrolled: 1-line block ×3, first 2 shown]
	v_rcp_f32_e32 v44, v42
	v_sub_f32_e32 v19, v34, v42
	v_add_f32_e32 v43, v18, v19
	v_add_f32_e32 v19, v20, v21
	v_mul_f32_e32 v46, v19, v44
	v_sub_f32_e32 v18, v20, v19
	v_mul_f32_e32 v20, v42, v46
	v_fma_f32 v34, v46, v42, -v20
	v_fmac_f32_e32 v34, v46, v43
	v_add_f32_e32 v45, v21, v18
	v_add_f32_e32 v18, v20, v34
	v_sub_f32_e32 v21, v19, v18
	v_pk_add_f32 v[36:37], v[18:19], v[20:21] neg_lo:[0,1] neg_hi:[0,1]
	v_mov_b32_e32 v35, v18
	v_pk_add_f32 v[18:19], v[36:37], v[34:35] neg_lo:[0,1] neg_hi:[0,1]
	v_cmp_neq_f32_e32 vcc, s6, v16
	v_add_f32_e32 v19, v45, v19
	v_add_f32_e32 v18, v18, v19
	v_add_f32_e32 v19, v21, v18
	v_mul_f32_e32 v45, v44, v19
	v_mul_f32_e32 v20, v42, v45
	v_fma_f32 v34, v45, v42, -v20
	v_fmac_f32_e32 v34, v45, v43
	v_sub_f32_e32 v21, v21, v19
	v_add_f32_e32 v42, v18, v21
	v_add_f32_e32 v18, v20, v34
	v_sub_f32_e32 v21, v19, v18
	v_pk_add_f32 v[36:37], v[18:19], v[20:21] neg_lo:[0,1] neg_hi:[0,1]
	v_mov_b32_e32 v35, v18
	v_pk_add_f32 v[18:19], v[36:37], v[34:35] neg_lo:[0,1] neg_hi:[0,1]
	v_cvt_f32_i32_e32 v20, v38
	v_add_f32_e32 v19, v42, v19
	v_add_f32_e32 v18, v18, v19
	;; [unrolled: 1-line block ×4, first 2 shown]
	v_sub_f32_e32 v19, v21, v46
	v_mul_f32_e32 v18, v44, v18
	v_sub_f32_e32 v19, v45, v19
	v_add_f32_e32 v18, v19, v18
	v_add_f32_e32 v34, v21, v18
	v_mul_f32_e32 v36, v34, v34
	v_mov_b32_e32 v19, 0x3ecc95a3
	v_sub_f32_e32 v21, v34, v21
	v_fmac_f32_e32 v19, 0x3e9b6dac, v36
	v_sub_f32_e32 v18, v18, v21
	v_fmaak_f32 v19, v36, v19, 0x3f2aaada
	v_ldexp_f32 v37, v18, 1
	v_mul_f32_e32 v21, v34, v36
	v_mov_b32_e32 v18, 0x3f317218
	v_pk_mul_f32 v[18:19], v[20:21], v[18:19]
	v_ldexp_f32 v35, v34, 1
	v_fma_f32 v21, v20, s5, -v18
	v_fmamk_f32 v34, v20, 0xb102e308, v21
	v_pk_add_f32 v[20:21], v[18:19], v[34:35]
	v_mov_b32_e32 v36, v18
	v_sub_f32_e32 v35, v21, v35
	v_sub_f32_e32 v35, v19, v35
	v_add_f32_e32 v37, v37, v35
	v_pk_add_f32 v[18:19], v[20:21], v[18:19] neg_lo:[0,1] neg_hi:[0,1]
	v_pk_add_f32 v[42:43], v[20:21], v[36:37]
	v_mov_b32_e32 v35, v20
	v_mov_b32_e32 v19, v43
	v_pk_add_f32 v[44:45], v[34:35], v[18:19] neg_lo:[0,1] neg_hi:[0,1]
	v_pk_add_f32 v[18:19], v[34:35], v[18:19]
	v_mov_b32_e32 v36, v37
	v_pk_add_f32 v[34:35], v[18:19], v[20:21] op_sel:[1,0] op_sel_hi:[0,1] neg_lo:[0,1] neg_hi:[0,1]
	v_pk_add_f32 v[46:47], v[42:43], v[34:35] op_sel_hi:[1,0] neg_lo:[0,1] neg_hi:[0,1]
	v_mov_b32_e32 v42, v43
	v_mov_b32_e32 v43, v19
	v_pk_mov_b32 v[34:35], v[20:21], v[34:35] op_sel:[1,0]
	v_mov_b32_e32 v37, v20
	v_pk_add_f32 v[34:35], v[42:43], v[34:35] neg_lo:[0,1] neg_hi:[0,1]
	v_mov_b32_e32 v46, v44
	v_pk_add_f32 v[20:21], v[36:37], v[34:35] neg_lo:[0,1] neg_hi:[0,1]
	v_mov_b32_e32 v45, v19
	v_pk_add_f32 v[34:35], v[46:47], v[20:21]
	s_mov_b32 s5, 0x33800000
	v_pk_add_f32 v[36:37], v[34:35], v[34:35] op_sel:[0,1] op_sel_hi:[1,0]
	s_nop 0
	v_pk_add_f32 v[18:19], v[18:19], v[36:37] op_sel:[1,0] op_sel_hi:[0,1]
	v_mov_b32_e32 v35, v18
	v_pk_add_f32 v[42:43], v[34:35], v[44:45] neg_lo:[0,1] neg_hi:[0,1]
	v_mov_b32_e32 v21, v36
	v_sub_f32_e32 v19, v34, v42
	v_pk_add_f32 v[20:21], v[20:21], v[42:43] neg_lo:[0,1] neg_hi:[0,1]
	v_sub_f32_e32 v19, v44, v19
	v_add_f32_e32 v19, v20, v19
	v_add_f32_e32 v19, v19, v21
	;; [unrolled: 1-line block ×3, first 2 shown]
	v_cndmask_b32_e32 v18, v31, v18, vcc
	v_cmp_lt_f32_e64 vcc, |v16|, s5
	s_nop 1
	v_cndmask_b32_e32 v16, v18, v16, vcc
	v_add_f32_e32 v16, v17, v16
.LBB88_199:
	s_or_b64 exec, exec, s[2:3]
	v_max_f32_e32 v17, v16, v16
	v_min_f32_e32 v18, v17, v39
	v_cmp_u_f32_e32 vcc, v16, v16
	v_max_f32_e32 v17, v17, v39
	s_nop 0
	v_cndmask_b32_e32 v18, v18, v16, vcc
	v_cndmask_b32_e32 v17, v17, v16, vcc
	v_cndmask_b32_e64 v19, v18, v25, s[22:23]
	v_cndmask_b32_e64 v18, v17, v25, s[22:23]
	v_cmp_neq_f32_e32 vcc, v19, v18
	v_cmp_class_f32_e64 s[2:3], v19, s4
	s_or_b64 s[4:5], vcc, s[2:3]
	v_mov_b32_e32 v17, v16
	s_and_saveexec_b64 s[2:3], s[4:5]
	s_cbranch_execz .LBB88_201
; %bb.200:
	v_sub_f32_e32 v17, v19, v18
	s_mov_b32 s4, 0x3fb8aa3b
	v_mul_f32_e32 v19, 0x3fb8aa3b, v17
	v_fma_f32 v20, v17, s4, -v19
	v_rndne_f32_e32 v21, v19
	v_fmamk_f32 v20, v17, 0x32a5705f, v20
	v_sub_f32_e32 v19, v19, v21
	v_add_f32_e32 v19, v19, v20
	v_exp_f32_e32 v19, v19
	v_cvt_i32_f32_e32 v20, v21
	s_mov_b32 s4, 0xc2ce8ed0
	v_cmp_ngt_f32_e32 vcc, s4, v17
	s_mov_b32 s4, 0x42b17218
	v_ldexp_f32 v19, v19, v20
	v_cndmask_b32_e32 v19, 0, v19, vcc
	v_mov_b32_e32 v31, 0x7f800000
	v_cmp_nlt_f32_e32 vcc, s4, v17
	s_mov_b32 s4, 0x3f2aaaab
	s_mov_b32 s5, 0x7f800000
	v_cndmask_b32_e32 v17, v31, v19, vcc
	v_add_f32_e32 v19, 1.0, v17
	v_add_f32_e32 v20, -1.0, v19
	v_sub_f32_e32 v21, v20, v19
	v_add_f32_e32 v21, 1.0, v21
	v_sub_f32_e32 v20, v17, v20
	v_add_f32_e32 v34, v20, v21
	v_frexp_mant_f32_e32 v35, v19
	v_cvt_f64_f32_e32 v[20:21], v19
	v_frexp_exp_i32_f64_e32 v20, v[20:21]
	v_cmp_gt_f32_e32 vcc, s4, v35
	s_mov_b32 s4, 0x3f317218
	s_nop 0
	v_subbrev_co_u32_e32 v42, vcc, 0, v20, vcc
	v_sub_u32_e32 v20, 0, v42
	v_ldexp_f32 v19, v19, v20
	v_ldexp_f32 v20, v34, v20
	v_add_f32_e32 v34, -1.0, v19
	v_add_f32_e32 v21, 1.0, v34
	v_sub_f32_e32 v21, v19, v21
	v_add_f32_e32 v35, v20, v21
	v_add_f32_e32 v21, 1.0, v19
	v_add_f32_e32 v36, -1.0, v21
	v_sub_f32_e32 v19, v19, v36
	v_add_f32_e32 v19, v20, v19
	v_add_f32_e32 v43, v21, v19
	v_rcp_f32_e32 v44, v43
	v_sub_f32_e32 v20, v21, v43
	v_add_f32_e32 v21, v34, v35
	v_add_f32_e32 v19, v19, v20
	v_mul_f32_e32 v46, v21, v44
	v_sub_f32_e32 v20, v34, v21
	v_mul_f32_e32 v34, v43, v46
	v_fma_f32 v36, v46, v43, -v34
	v_fmac_f32_e32 v36, v46, v19
	v_add_f32_e32 v45, v35, v20
	v_add_f32_e32 v20, v34, v36
	v_sub_f32_e32 v35, v21, v20
	v_pk_add_f32 v[38:39], v[20:21], v[34:35] neg_lo:[0,1] neg_hi:[0,1]
	v_mov_b32_e32 v37, v20
	v_pk_add_f32 v[20:21], v[38:39], v[36:37] neg_lo:[0,1] neg_hi:[0,1]
	v_cmp_neq_f32_e32 vcc, s5, v17
	v_add_f32_e32 v21, v45, v21
	v_add_f32_e32 v20, v20, v21
	;; [unrolled: 1-line block ×3, first 2 shown]
	v_mul_f32_e32 v45, v44, v21
	v_mul_f32_e32 v34, v43, v45
	v_fma_f32 v36, v45, v43, -v34
	v_fmac_f32_e32 v36, v45, v19
	v_sub_f32_e32 v19, v35, v21
	v_add_f32_e32 v19, v20, v19
	v_add_f32_e32 v20, v34, v36
	v_sub_f32_e32 v35, v21, v20
	v_pk_add_f32 v[38:39], v[20:21], v[34:35] neg_lo:[0,1] neg_hi:[0,1]
	v_mov_b32_e32 v37, v20
	v_pk_add_f32 v[20:21], v[38:39], v[36:37] neg_lo:[0,1] neg_hi:[0,1]
	v_cvt_f32_i32_e32 v34, v42
	v_add_f32_e32 v19, v19, v21
	v_add_f32_e32 v19, v20, v19
	v_add_f32_e32 v20, v46, v45
	v_add_f32_e32 v19, v35, v19
	v_sub_f32_e32 v21, v20, v46
	v_mul_f32_e32 v19, v44, v19
	v_sub_f32_e32 v21, v45, v21
	v_add_f32_e32 v19, v21, v19
	v_add_f32_e32 v35, v20, v19
	v_mul_f32_e32 v36, v35, v35
	v_mov_b32_e32 v21, 0x3ecc95a3
	v_fmac_f32_e32 v21, 0x3e9b6dac, v36
	v_sub_f32_e32 v20, v35, v20
	v_fmaak_f32 v21, v36, v21, 0x3f2aaada
	v_sub_f32_e32 v19, v19, v20
	v_ldexp_f32 v37, v35, 1
	v_mul_f32_e32 v35, v35, v36
	v_mov_b32_e32 v20, 0x3f317218
	v_pk_mul_f32 v[20:21], v[34:35], v[20:21]
	v_ldexp_f32 v19, v19, 1
	v_fma_f32 v35, v34, s4, -v20
	v_fmamk_f32 v36, v34, 0xb102e308, v35
	v_pk_add_f32 v[34:35], v[20:21], v[36:37]
	v_mov_b32_e32 v38, v20
	v_sub_f32_e32 v37, v35, v37
	v_sub_f32_e32 v37, v21, v37
	v_add_f32_e32 v39, v19, v37
	v_pk_add_f32 v[20:21], v[34:35], v[20:21] neg_lo:[0,1] neg_hi:[0,1]
	v_pk_add_f32 v[42:43], v[34:35], v[38:39]
	v_mov_b32_e32 v37, v34
	v_mov_b32_e32 v21, v43
	v_pk_add_f32 v[44:45], v[36:37], v[20:21] neg_lo:[0,1] neg_hi:[0,1]
	v_pk_add_f32 v[20:21], v[36:37], v[20:21]
	v_mov_b32_e32 v38, v39
	v_pk_add_f32 v[36:37], v[20:21], v[34:35] op_sel:[1,0] op_sel_hi:[0,1] neg_lo:[0,1] neg_hi:[0,1]
	v_pk_add_f32 v[46:47], v[42:43], v[36:37] op_sel_hi:[1,0] neg_lo:[0,1] neg_hi:[0,1]
	v_mov_b32_e32 v42, v43
	v_mov_b32_e32 v43, v21
	v_pk_mov_b32 v[36:37], v[34:35], v[36:37] op_sel:[1,0]
	v_mov_b32_e32 v39, v34
	v_pk_add_f32 v[36:37], v[42:43], v[36:37] neg_lo:[0,1] neg_hi:[0,1]
	v_mov_b32_e32 v46, v44
	v_pk_add_f32 v[34:35], v[38:39], v[36:37] neg_lo:[0,1] neg_hi:[0,1]
	v_mov_b32_e32 v45, v21
	v_pk_add_f32 v[36:37], v[46:47], v[34:35]
	s_mov_b32 s4, 0x33800000
	v_pk_add_f32 v[38:39], v[36:37], v[36:37] op_sel:[0,1] op_sel_hi:[1,0]
	s_nop 0
	v_pk_add_f32 v[20:21], v[20:21], v[38:39] op_sel:[1,0] op_sel_hi:[0,1]
	v_mov_b32_e32 v37, v20
	v_pk_add_f32 v[42:43], v[36:37], v[44:45] neg_lo:[0,1] neg_hi:[0,1]
	v_mov_b32_e32 v35, v38
	v_sub_f32_e32 v19, v36, v42
	v_pk_add_f32 v[34:35], v[34:35], v[42:43] neg_lo:[0,1] neg_hi:[0,1]
	v_sub_f32_e32 v19, v44, v19
	v_add_f32_e32 v19, v34, v19
	v_add_f32_e32 v19, v19, v35
	;; [unrolled: 1-line block ×3, first 2 shown]
	v_cndmask_b32_e32 v19, v31, v19, vcc
	v_cmp_lt_f32_e64 vcc, |v17|, s4
	s_nop 1
	v_cndmask_b32_e32 v17, v19, v17, vcc
	v_add_f32_e32 v17, v18, v17
.LBB88_201:
	s_or_b64 exec, exec, s[2:3]
	v_max_f32_e32 v18, v17, v17
	v_min_f32_e32 v19, v18, v40
	v_cmp_u_f32_e32 vcc, v17, v17
	v_max_f32_e32 v18, v18, v40
	s_movk_i32 s4, 0x1f8
	v_cndmask_b32_e32 v19, v19, v17, vcc
	v_cndmask_b32_e32 v18, v18, v17, vcc
	v_cndmask_b32_e64 v20, v19, v32, s[24:25]
	v_cndmask_b32_e64 v19, v18, v32, s[24:25]
	v_cmp_neq_f32_e32 vcc, v20, v19
	v_cmp_class_f32_e64 s[2:3], v20, s4
	s_or_b64 s[6:7], vcc, s[2:3]
	v_mov_b32_e32 v18, v17
	s_and_saveexec_b64 s[2:3], s[6:7]
	s_cbranch_execz .LBB88_203
; %bb.202:
	v_sub_f32_e32 v18, v20, v19
	s_mov_b32 s5, 0x3fb8aa3b
	v_mul_f32_e32 v20, 0x3fb8aa3b, v18
	v_fma_f32 v21, v18, s5, -v20
	v_rndne_f32_e32 v31, v20
	v_fmamk_f32 v21, v18, 0x32a5705f, v21
	v_sub_f32_e32 v20, v20, v31
	v_add_f32_e32 v20, v20, v21
	v_exp_f32_e32 v20, v20
	v_cvt_i32_f32_e32 v21, v31
	s_mov_b32 s5, 0xc2ce8ed0
	v_cmp_ngt_f32_e32 vcc, s5, v18
	s_mov_b32 s5, 0x42b17218
	v_ldexp_f32 v20, v20, v21
	v_cndmask_b32_e32 v20, 0, v20, vcc
	v_mov_b32_e32 v31, 0x7f800000
	v_cmp_nlt_f32_e32 vcc, s5, v18
	s_mov_b32 s5, 0x3f2aaaab
	s_mov_b32 s6, 0x7f800000
	v_cndmask_b32_e32 v18, v31, v20, vcc
	v_add_f32_e32 v34, 1.0, v18
	v_add_f32_e32 v20, -1.0, v34
	v_sub_f32_e32 v21, v20, v34
	v_add_f32_e32 v21, 1.0, v21
	v_sub_f32_e32 v20, v18, v20
	v_add_f32_e32 v35, v20, v21
	v_frexp_mant_f32_e32 v36, v34
	v_cvt_f64_f32_e32 v[20:21], v34
	v_frexp_exp_i32_f64_e32 v20, v[20:21]
	v_cmp_gt_f32_e32 vcc, s5, v36
	s_mov_b32 s5, 0x3f317218
	s_nop 0
	v_subbrev_co_u32_e32 v40, vcc, 0, v20, vcc
	v_sub_u32_e32 v20, 0, v40
	v_ldexp_f32 v21, v34, v20
	v_add_f32_e32 v34, -1.0, v21
	v_add_f32_e32 v36, 1.0, v21
	v_ldexp_f32 v20, v35, v20
	v_add_f32_e32 v35, 1.0, v34
	v_add_f32_e32 v37, -1.0, v36
	v_sub_f32_e32 v35, v21, v35
	v_sub_f32_e32 v21, v21, v37
	v_add_f32_e32 v35, v20, v35
	v_add_f32_e32 v20, v20, v21
	;; [unrolled: 1-line block ×3, first 2 shown]
	v_rcp_f32_e32 v44, v42
	v_sub_f32_e32 v21, v36, v42
	v_add_f32_e32 v43, v20, v21
	v_add_f32_e32 v21, v34, v35
	v_mul_f32_e32 v46, v21, v44
	v_sub_f32_e32 v20, v34, v21
	v_mul_f32_e32 v34, v42, v46
	v_fma_f32 v36, v46, v42, -v34
	v_fmac_f32_e32 v36, v46, v43
	v_add_f32_e32 v45, v35, v20
	v_add_f32_e32 v20, v34, v36
	v_sub_f32_e32 v35, v21, v20
	v_pk_add_f32 v[38:39], v[20:21], v[34:35] neg_lo:[0,1] neg_hi:[0,1]
	v_mov_b32_e32 v37, v20
	v_pk_add_f32 v[20:21], v[38:39], v[36:37] neg_lo:[0,1] neg_hi:[0,1]
	v_cmp_neq_f32_e32 vcc, s6, v18
	v_add_f32_e32 v21, v45, v21
	v_add_f32_e32 v20, v20, v21
	;; [unrolled: 1-line block ×3, first 2 shown]
	v_mul_f32_e32 v45, v44, v21
	v_mul_f32_e32 v34, v42, v45
	v_fma_f32 v36, v45, v42, -v34
	v_fmac_f32_e32 v36, v45, v43
	v_sub_f32_e32 v35, v35, v21
	v_add_f32_e32 v42, v20, v35
	v_add_f32_e32 v20, v34, v36
	v_sub_f32_e32 v35, v21, v20
	v_pk_add_f32 v[38:39], v[20:21], v[34:35] neg_lo:[0,1] neg_hi:[0,1]
	v_mov_b32_e32 v37, v20
	v_pk_add_f32 v[20:21], v[38:39], v[36:37] neg_lo:[0,1] neg_hi:[0,1]
	v_cvt_f32_i32_e32 v34, v40
	v_add_f32_e32 v21, v42, v21
	v_add_f32_e32 v20, v20, v21
	;; [unrolled: 1-line block ×4, first 2 shown]
	v_sub_f32_e32 v21, v35, v46
	v_mul_f32_e32 v20, v44, v20
	v_sub_f32_e32 v21, v45, v21
	v_add_f32_e32 v20, v21, v20
	v_add_f32_e32 v36, v35, v20
	v_mul_f32_e32 v38, v36, v36
	v_mov_b32_e32 v21, 0x3ecc95a3
	v_sub_f32_e32 v35, v36, v35
	v_fmac_f32_e32 v21, 0x3e9b6dac, v38
	v_sub_f32_e32 v20, v20, v35
	v_fmaak_f32 v21, v38, v21, 0x3f2aaada
	v_ldexp_f32 v39, v20, 1
	v_mul_f32_e32 v35, v36, v38
	v_mov_b32_e32 v20, 0x3f317218
	v_pk_mul_f32 v[20:21], v[34:35], v[20:21]
	v_ldexp_f32 v37, v36, 1
	v_fma_f32 v35, v34, s5, -v20
	v_fmamk_f32 v36, v34, 0xb102e308, v35
	v_pk_add_f32 v[34:35], v[20:21], v[36:37]
	v_mov_b32_e32 v38, v20
	v_sub_f32_e32 v37, v35, v37
	v_sub_f32_e32 v37, v21, v37
	v_add_f32_e32 v39, v39, v37
	v_pk_add_f32 v[20:21], v[34:35], v[20:21] neg_lo:[0,1] neg_hi:[0,1]
	v_pk_add_f32 v[42:43], v[34:35], v[38:39]
	v_mov_b32_e32 v37, v34
	v_mov_b32_e32 v21, v43
	v_pk_add_f32 v[44:45], v[36:37], v[20:21] neg_lo:[0,1] neg_hi:[0,1]
	v_pk_add_f32 v[20:21], v[36:37], v[20:21]
	v_mov_b32_e32 v38, v39
	v_pk_add_f32 v[36:37], v[20:21], v[34:35] op_sel:[1,0] op_sel_hi:[0,1] neg_lo:[0,1] neg_hi:[0,1]
	v_pk_add_f32 v[46:47], v[42:43], v[36:37] op_sel_hi:[1,0] neg_lo:[0,1] neg_hi:[0,1]
	v_mov_b32_e32 v42, v43
	v_mov_b32_e32 v43, v21
	v_pk_mov_b32 v[36:37], v[34:35], v[36:37] op_sel:[1,0]
	v_mov_b32_e32 v39, v34
	v_pk_add_f32 v[36:37], v[42:43], v[36:37] neg_lo:[0,1] neg_hi:[0,1]
	v_mov_b32_e32 v46, v44
	v_pk_add_f32 v[34:35], v[38:39], v[36:37] neg_lo:[0,1] neg_hi:[0,1]
	v_mov_b32_e32 v45, v21
	v_pk_add_f32 v[36:37], v[46:47], v[34:35]
	s_mov_b32 s5, 0x33800000
	v_pk_add_f32 v[38:39], v[36:37], v[36:37] op_sel:[0,1] op_sel_hi:[1,0]
	s_nop 0
	v_pk_add_f32 v[20:21], v[20:21], v[38:39] op_sel:[1,0] op_sel_hi:[0,1]
	v_mov_b32_e32 v37, v20
	v_pk_add_f32 v[42:43], v[36:37], v[44:45] neg_lo:[0,1] neg_hi:[0,1]
	v_mov_b32_e32 v35, v38
	v_sub_f32_e32 v21, v36, v42
	v_pk_add_f32 v[34:35], v[34:35], v[42:43] neg_lo:[0,1] neg_hi:[0,1]
	v_sub_f32_e32 v21, v44, v21
	v_add_f32_e32 v21, v34, v21
	v_add_f32_e32 v21, v21, v35
	;; [unrolled: 1-line block ×3, first 2 shown]
	v_cndmask_b32_e32 v20, v31, v20, vcc
	v_cmp_lt_f32_e64 vcc, |v18|, s5
	s_nop 1
	v_cndmask_b32_e32 v18, v20, v18, vcc
	v_add_f32_e32 v18, v19, v18
.LBB88_203:
	s_or_b64 exec, exec, s[2:3]
	v_max_f32_e32 v19, v18, v18
	v_min_f32_e32 v20, v19, v41
	v_cmp_u_f32_e32 vcc, v18, v18
	v_max_f32_e32 v19, v19, v41
	s_nop 0
	v_cndmask_b32_e32 v20, v20, v18, vcc
	v_cndmask_b32_e32 v19, v19, v18, vcc
	v_cndmask_b32_e64 v21, v20, v33, s[26:27]
	v_cndmask_b32_e64 v20, v19, v33, s[26:27]
	v_cmp_neq_f32_e32 vcc, v21, v20
	v_cmp_class_f32_e64 s[2:3], v21, s4
	s_or_b64 s[4:5], vcc, s[2:3]
	v_mov_b32_e32 v19, v18
	s_and_saveexec_b64 s[2:3], s[4:5]
	s_cbranch_execz .LBB88_205
; %bb.204:
	v_sub_f32_e32 v19, v21, v20
	s_mov_b32 s4, 0x3fb8aa3b
	v_mul_f32_e32 v21, 0x3fb8aa3b, v19
	v_fma_f32 v31, v19, s4, -v21
	v_rndne_f32_e32 v34, v21
	v_fmamk_f32 v31, v19, 0x32a5705f, v31
	v_sub_f32_e32 v21, v21, v34
	v_add_f32_e32 v21, v21, v31
	v_exp_f32_e32 v21, v21
	v_cvt_i32_f32_e32 v31, v34
	s_mov_b32 s4, 0xc2ce8ed0
	v_cmp_ngt_f32_e32 vcc, s4, v19
	s_mov_b32 s4, 0x42b17218
	v_ldexp_f32 v21, v21, v31
	v_cndmask_b32_e32 v21, 0, v21, vcc
	v_mov_b32_e32 v31, 0x7f800000
	v_cmp_nlt_f32_e32 vcc, s4, v19
	s_mov_b32 s4, 0x3f2aaaab
	s_mov_b32 s5, 0x7f800000
	v_cndmask_b32_e32 v19, v31, v21, vcc
	v_add_f32_e32 v21, 1.0, v19
	v_add_f32_e32 v34, -1.0, v21
	v_sub_f32_e32 v35, v34, v21
	v_add_f32_e32 v35, 1.0, v35
	v_sub_f32_e32 v34, v19, v34
	v_add_f32_e32 v36, v34, v35
	v_frexp_mant_f32_e32 v37, v21
	v_cvt_f64_f32_e32 v[34:35], v21
	v_frexp_exp_i32_f64_e32 v34, v[34:35]
	v_cmp_gt_f32_e32 vcc, s4, v37
	s_mov_b32 s4, 0x3f317218
	s_nop 0
	v_subbrev_co_u32_e32 v42, vcc, 0, v34, vcc
	v_sub_u32_e32 v34, 0, v42
	v_ldexp_f32 v21, v21, v34
	v_ldexp_f32 v34, v36, v34
	v_add_f32_e32 v36, -1.0, v21
	v_add_f32_e32 v35, 1.0, v36
	v_sub_f32_e32 v35, v21, v35
	v_add_f32_e32 v37, v34, v35
	v_add_f32_e32 v35, 1.0, v21
	v_add_f32_e32 v38, -1.0, v35
	v_sub_f32_e32 v21, v21, v38
	v_add_f32_e32 v21, v34, v21
	v_add_f32_e32 v43, v35, v21
	v_rcp_f32_e32 v44, v43
	v_sub_f32_e32 v34, v35, v43
	v_add_f32_e32 v35, v36, v37
	v_add_f32_e32 v21, v21, v34
	v_mul_f32_e32 v46, v35, v44
	v_sub_f32_e32 v34, v36, v35
	v_mul_f32_e32 v36, v43, v46
	v_fma_f32 v38, v46, v43, -v36
	v_fmac_f32_e32 v38, v46, v21
	v_add_f32_e32 v45, v37, v34
	v_add_f32_e32 v34, v36, v38
	v_sub_f32_e32 v37, v35, v34
	v_pk_add_f32 v[40:41], v[34:35], v[36:37] neg_lo:[0,1] neg_hi:[0,1]
	v_mov_b32_e32 v39, v34
	v_pk_add_f32 v[34:35], v[40:41], v[38:39] neg_lo:[0,1] neg_hi:[0,1]
	v_cmp_neq_f32_e32 vcc, s5, v19
	v_add_f32_e32 v35, v45, v35
	v_add_f32_e32 v34, v34, v35
	;; [unrolled: 1-line block ×3, first 2 shown]
	v_mul_f32_e32 v45, v44, v35
	v_mul_f32_e32 v36, v43, v45
	v_fma_f32 v38, v45, v43, -v36
	v_fmac_f32_e32 v38, v45, v21
	v_sub_f32_e32 v21, v37, v35
	v_add_f32_e32 v21, v34, v21
	v_add_f32_e32 v34, v36, v38
	v_sub_f32_e32 v37, v35, v34
	v_pk_add_f32 v[40:41], v[34:35], v[36:37] neg_lo:[0,1] neg_hi:[0,1]
	v_mov_b32_e32 v39, v34
	v_pk_add_f32 v[34:35], v[40:41], v[38:39] neg_lo:[0,1] neg_hi:[0,1]
	v_cvt_f32_i32_e32 v36, v42
	v_add_f32_e32 v21, v21, v35
	v_add_f32_e32 v21, v34, v21
	;; [unrolled: 1-line block ×4, first 2 shown]
	v_sub_f32_e32 v35, v34, v46
	v_mul_f32_e32 v21, v44, v21
	v_sub_f32_e32 v35, v45, v35
	v_add_f32_e32 v21, v35, v21
	v_add_f32_e32 v37, v34, v21
	v_mul_f32_e32 v38, v37, v37
	v_mov_b32_e32 v35, 0x3ecc95a3
	v_fmac_f32_e32 v35, 0x3e9b6dac, v38
	v_sub_f32_e32 v34, v37, v34
	v_fmaak_f32 v35, v38, v35, 0x3f2aaada
	v_sub_f32_e32 v21, v21, v34
	v_ldexp_f32 v39, v37, 1
	v_mul_f32_e32 v37, v37, v38
	v_mov_b32_e32 v34, 0x3f317218
	v_pk_mul_f32 v[34:35], v[36:37], v[34:35]
	v_ldexp_f32 v21, v21, 1
	v_fma_f32 v37, v36, s4, -v34
	v_fmamk_f32 v38, v36, 0xb102e308, v37
	v_pk_add_f32 v[36:37], v[34:35], v[38:39]
	v_mov_b32_e32 v40, v34
	v_sub_f32_e32 v39, v37, v39
	v_sub_f32_e32 v39, v35, v39
	v_add_f32_e32 v41, v21, v39
	v_pk_add_f32 v[34:35], v[36:37], v[34:35] neg_lo:[0,1] neg_hi:[0,1]
	v_pk_add_f32 v[42:43], v[36:37], v[40:41]
	v_mov_b32_e32 v39, v36
	v_mov_b32_e32 v35, v43
	v_pk_add_f32 v[44:45], v[38:39], v[34:35] neg_lo:[0,1] neg_hi:[0,1]
	v_pk_add_f32 v[34:35], v[38:39], v[34:35]
	v_mov_b32_e32 v40, v41
	v_pk_add_f32 v[38:39], v[34:35], v[36:37] op_sel:[1,0] op_sel_hi:[0,1] neg_lo:[0,1] neg_hi:[0,1]
	v_pk_add_f32 v[46:47], v[42:43], v[38:39] op_sel_hi:[1,0] neg_lo:[0,1] neg_hi:[0,1]
	v_mov_b32_e32 v42, v43
	v_mov_b32_e32 v43, v35
	v_pk_mov_b32 v[38:39], v[36:37], v[38:39] op_sel:[1,0]
	v_mov_b32_e32 v41, v36
	v_pk_add_f32 v[38:39], v[42:43], v[38:39] neg_lo:[0,1] neg_hi:[0,1]
	v_mov_b32_e32 v46, v44
	v_pk_add_f32 v[36:37], v[40:41], v[38:39] neg_lo:[0,1] neg_hi:[0,1]
	v_mov_b32_e32 v45, v35
	v_pk_add_f32 v[38:39], v[46:47], v[36:37]
	s_mov_b32 s4, 0x33800000
	v_pk_add_f32 v[40:41], v[38:39], v[38:39] op_sel:[0,1] op_sel_hi:[1,0]
	s_nop 0
	v_pk_add_f32 v[34:35], v[34:35], v[40:41] op_sel:[1,0] op_sel_hi:[0,1]
	v_mov_b32_e32 v39, v34
	v_pk_add_f32 v[42:43], v[38:39], v[44:45] neg_lo:[0,1] neg_hi:[0,1]
	v_mov_b32_e32 v37, v40
	v_sub_f32_e32 v21, v38, v42
	v_pk_add_f32 v[36:37], v[36:37], v[42:43] neg_lo:[0,1] neg_hi:[0,1]
	v_sub_f32_e32 v21, v44, v21
	v_add_f32_e32 v21, v36, v21
	v_add_f32_e32 v21, v21, v37
	;; [unrolled: 1-line block ×3, first 2 shown]
	v_cndmask_b32_e32 v21, v31, v21, vcc
	v_cmp_lt_f32_e64 vcc, |v19|, s4
	s_nop 1
	v_cndmask_b32_e32 v19, v21, v19, vcc
	v_add_f32_e32 v19, v20, v19
.LBB88_205:
	s_or_b64 exec, exec, s[2:3]
	s_load_dwordx8 s[36:43], s[0:1], 0x38
	s_branch .LBB88_309
.LBB88_206:
	s_waitcnt lgkmcnt(0)
	s_cmp_lg_u64 s[40:41], 0
	s_cselect_b64 s[0:1], -1, 0
	v_cmp_eq_u32_e64 s[28:29], 0, v0
	v_cmp_ne_u32_e32 vcc, 0, v0
	s_and_b64 s[0:1], s[28:29], s[0:1]
	s_and_saveexec_b64 s[2:3], s[0:1]
	s_cbranch_execz .LBB88_210
; %bb.207:
	v_mov_b32_e32 v6, 0
	global_load_dword v6, v6, s[36:37]
	v_max_f32_e32 v7, v2, v2
	s_movk_i32 s4, 0x1f8
	s_waitcnt vmcnt(0)
	v_max_f32_e32 v8, v6, v6
	v_min_f32_e32 v9, v8, v7
	v_max_f32_e32 v7, v8, v7
	v_cmp_u_f32_e64 s[0:1], v6, v6
	s_nop 1
	v_cndmask_b32_e64 v8, v9, v6, s[0:1]
	v_cndmask_b32_e64 v9, v7, v6, s[0:1]
	v_cmp_u_f32_e64 s[0:1], v2, v2
	s_nop 1
	v_cndmask_b32_e64 v7, v8, v2, s[0:1]
	v_cndmask_b32_e64 v2, v9, v2, s[0:1]
	v_cmp_neq_f32_e64 s[0:1], v7, v2
	v_cmp_class_f32_e64 s[4:5], v7, s4
	s_or_b64 s[0:1], s[0:1], s[4:5]
	s_and_saveexec_b64 s[4:5], s[0:1]
	s_cbranch_execz .LBB88_209
; %bb.208:
	v_sub_f32_e32 v6, v7, v2
	s_mov_b32 s0, 0x3fb8aa3b
	v_mul_f32_e32 v7, 0x3fb8aa3b, v6
	v_fma_f32 v8, v6, s0, -v7
	v_rndne_f32_e32 v9, v7
	v_fmamk_f32 v8, v6, 0x32a5705f, v8
	v_sub_f32_e32 v7, v7, v9
	v_add_f32_e32 v7, v7, v8
	v_exp_f32_e32 v7, v7
	v_cvt_i32_f32_e32 v8, v9
	s_mov_b32 s0, 0xc2ce8ed0
	v_cmp_ngt_f32_e64 s[0:1], s0, v6
	v_mov_b32_e32 v20, 0x7f800000
	v_ldexp_f32 v7, v7, v8
	v_cndmask_b32_e64 v7, 0, v7, s[0:1]
	s_mov_b32 s0, 0x42b17218
	v_cmp_nlt_f32_e64 s[0:1], s0, v6
	s_mov_b32 s6, 0x7f800000
	s_nop 0
	v_cndmask_b32_e64 v21, v20, v7, s[0:1]
	v_add_f32_e32 v8, 1.0, v21
	v_add_f32_e32 v6, -1.0, v8
	v_sub_f32_e32 v7, v6, v8
	v_add_f32_e32 v7, 1.0, v7
	v_sub_f32_e32 v6, v21, v6
	v_add_f32_e32 v9, v6, v7
	v_frexp_mant_f32_e32 v10, v8
	s_mov_b32 s0, 0x3f2aaaab
	v_cvt_f64_f32_e32 v[6:7], v8
	v_frexp_exp_i32_f64_e32 v6, v[6:7]
	v_cmp_gt_f32_e64 s[0:1], s0, v10
	s_nop 1
	v_subbrev_co_u32_e64 v14, s[0:1], 0, v6, s[0:1]
	v_sub_u32_e32 v6, 0, v14
	v_ldexp_f32 v7, v8, v6
	v_add_f32_e32 v8, -1.0, v7
	v_add_f32_e32 v10, 1.0, v7
	v_ldexp_f32 v6, v9, v6
	v_add_f32_e32 v9, 1.0, v8
	v_add_f32_e32 v11, -1.0, v10
	v_sub_f32_e32 v9, v7, v9
	v_sub_f32_e32 v7, v7, v11
	v_add_f32_e32 v9, v6, v9
	v_add_f32_e32 v6, v6, v7
	;; [unrolled: 1-line block ×3, first 2 shown]
	v_rcp_f32_e32 v17, v15
	v_sub_f32_e32 v7, v10, v15
	v_add_f32_e32 v16, v6, v7
	v_add_f32_e32 v7, v8, v9
	v_mul_f32_e32 v19, v7, v17
	v_sub_f32_e32 v6, v8, v7
	v_mul_f32_e32 v8, v15, v19
	v_fma_f32 v10, v19, v15, -v8
	v_fmac_f32_e32 v10, v19, v16
	v_add_f32_e32 v18, v9, v6
	v_add_f32_e32 v6, v8, v10
	v_sub_f32_e32 v9, v7, v6
	v_pk_add_f32 v[12:13], v[6:7], v[8:9] neg_lo:[0,1] neg_hi:[0,1]
	v_mov_b32_e32 v11, v6
	v_pk_add_f32 v[6:7], v[12:13], v[10:11] neg_lo:[0,1] neg_hi:[0,1]
	s_mov_b32 s0, 0x3f317218
	v_add_f32_e32 v7, v18, v7
	v_add_f32_e32 v6, v6, v7
	;; [unrolled: 1-line block ×3, first 2 shown]
	v_mul_f32_e32 v18, v17, v7
	v_mul_f32_e32 v8, v15, v18
	v_fma_f32 v10, v18, v15, -v8
	v_fmac_f32_e32 v10, v18, v16
	v_sub_f32_e32 v9, v9, v7
	v_add_f32_e32 v15, v6, v9
	v_add_f32_e32 v6, v8, v10
	v_sub_f32_e32 v9, v7, v6
	v_pk_add_f32 v[12:13], v[6:7], v[8:9] neg_lo:[0,1] neg_hi:[0,1]
	v_mov_b32_e32 v11, v6
	v_pk_add_f32 v[6:7], v[12:13], v[10:11] neg_lo:[0,1] neg_hi:[0,1]
	v_cvt_f32_i32_e32 v8, v14
	v_add_f32_e32 v7, v15, v7
	v_add_f32_e32 v6, v6, v7
	;; [unrolled: 1-line block ×4, first 2 shown]
	v_sub_f32_e32 v7, v9, v19
	v_mul_f32_e32 v6, v17, v6
	v_sub_f32_e32 v7, v18, v7
	v_add_f32_e32 v6, v7, v6
	v_add_f32_e32 v10, v9, v6
	v_mul_f32_e32 v12, v10, v10
	v_mov_b32_e32 v7, 0x3ecc95a3
	v_sub_f32_e32 v9, v10, v9
	v_fmac_f32_e32 v7, 0x3e9b6dac, v12
	v_sub_f32_e32 v6, v6, v9
	v_fmaak_f32 v7, v12, v7, 0x3f2aaada
	v_ldexp_f32 v13, v6, 1
	v_mul_f32_e32 v9, v10, v12
	v_mov_b32_e32 v6, 0x3f317218
	v_pk_mul_f32 v[6:7], v[8:9], v[6:7]
	v_ldexp_f32 v11, v10, 1
	v_fma_f32 v9, v8, s0, -v6
	v_fmamk_f32 v10, v8, 0xb102e308, v9
	v_pk_add_f32 v[8:9], v[6:7], v[10:11]
	v_mov_b32_e32 v12, v6
	v_sub_f32_e32 v11, v9, v11
	v_sub_f32_e32 v11, v7, v11
	v_add_f32_e32 v13, v13, v11
	v_pk_add_f32 v[6:7], v[8:9], v[6:7] neg_lo:[0,1] neg_hi:[0,1]
	v_pk_add_f32 v[14:15], v[8:9], v[12:13]
	v_mov_b32_e32 v11, v8
	v_mov_b32_e32 v7, v15
	v_pk_add_f32 v[16:17], v[10:11], v[6:7] neg_lo:[0,1] neg_hi:[0,1]
	v_pk_add_f32 v[6:7], v[10:11], v[6:7]
	v_mov_b32_e32 v12, v13
	v_pk_add_f32 v[10:11], v[6:7], v[8:9] op_sel:[1,0] op_sel_hi:[0,1] neg_lo:[0,1] neg_hi:[0,1]
	v_pk_add_f32 v[18:19], v[14:15], v[10:11] op_sel_hi:[1,0] neg_lo:[0,1] neg_hi:[0,1]
	v_mov_b32_e32 v14, v15
	v_mov_b32_e32 v15, v7
	v_pk_mov_b32 v[10:11], v[8:9], v[10:11] op_sel:[1,0]
	v_mov_b32_e32 v13, v8
	v_pk_add_f32 v[10:11], v[14:15], v[10:11] neg_lo:[0,1] neg_hi:[0,1]
	v_mov_b32_e32 v18, v16
	v_pk_add_f32 v[8:9], v[12:13], v[10:11] neg_lo:[0,1] neg_hi:[0,1]
	v_mov_b32_e32 v17, v7
	v_pk_add_f32 v[10:11], v[18:19], v[8:9]
	v_cmp_neq_f32_e64 s[0:1], s6, v21
	v_pk_add_f32 v[12:13], v[10:11], v[10:11] op_sel:[0,1] op_sel_hi:[1,0]
	s_nop 0
	v_pk_add_f32 v[6:7], v[6:7], v[12:13] op_sel:[1,0] op_sel_hi:[0,1]
	v_mov_b32_e32 v11, v6
	v_pk_add_f32 v[14:15], v[10:11], v[16:17] neg_lo:[0,1] neg_hi:[0,1]
	v_mov_b32_e32 v9, v12
	v_sub_f32_e32 v7, v10, v14
	v_pk_add_f32 v[8:9], v[8:9], v[14:15] neg_lo:[0,1] neg_hi:[0,1]
	v_sub_f32_e32 v7, v16, v7
	v_add_f32_e32 v7, v8, v7
	v_add_f32_e32 v7, v7, v9
	;; [unrolled: 1-line block ×3, first 2 shown]
	v_cndmask_b32_e64 v6, v20, v6, s[0:1]
	s_mov_b32 s0, 0x33800000
	v_cmp_lt_f32_e64 s[0:1], |v21|, s0
	s_nop 1
	v_cndmask_b32_e64 v6, v6, v21, s[0:1]
	v_add_f32_e32 v6, v2, v6
.LBB88_209:
	s_or_b64 exec, exec, s[4:5]
	v_mov_b32_e32 v2, v6
.LBB88_210:
	s_or_b64 exec, exec, s[2:3]
	v_max_f32_e32 v14, v3, v3
	v_max_f32_e32 v31, v2, v2
	v_min_f32_e32 v21, v31, v14
	v_cmp_u_f32_e64 s[26:27], v2, v2
	v_cmp_u_f32_e64 s[0:1], v3, v3
	v_max_f32_e32 v34, v31, v14
	v_cndmask_b32_e64 v6, v21, v2, s[26:27]
	v_cndmask_b32_e64 v7, v6, v3, s[0:1]
	;; [unrolled: 1-line block ×4, first 2 shown]
	s_movk_i32 s6, 0x1f8
	v_cmp_neq_f32_e64 s[2:3], v7, v6
	v_cmp_class_f32_e64 s[4:5], v7, s6
	s_or_b64 s[2:3], s[2:3], s[4:5]
	v_mov_b32_e32 v36, v2
	s_and_saveexec_b64 s[4:5], s[2:3]
	s_cbranch_execz .LBB88_212
; %bb.211:
	v_sub_f32_e32 v7, v7, v6
	s_mov_b32 s2, 0x3fb8aa3b
	v_mul_f32_e32 v8, 0x3fb8aa3b, v7
	v_fma_f32 v9, v7, s2, -v8
	v_rndne_f32_e32 v10, v8
	v_fmamk_f32 v9, v7, 0x32a5705f, v9
	v_sub_f32_e32 v8, v8, v10
	v_add_f32_e32 v8, v8, v9
	v_exp_f32_e32 v8, v8
	v_cvt_i32_f32_e32 v9, v10
	s_mov_b32 s2, 0xc2ce8ed0
	v_cmp_ngt_f32_e64 s[2:3], s2, v7
	v_mov_b32_e32 v15, 0x7f800000
	v_ldexp_f32 v8, v8, v9
	v_cndmask_b32_e64 v8, 0, v8, s[2:3]
	s_mov_b32 s2, 0x42b17218
	v_cmp_nlt_f32_e64 s[2:3], s2, v7
	s_mov_b32 s7, 0x7f800000
	s_nop 0
	v_cndmask_b32_e64 v7, v15, v8, s[2:3]
	v_add_f32_e32 v10, 1.0, v7
	v_add_f32_e32 v8, -1.0, v10
	v_sub_f32_e32 v9, v8, v10
	v_add_f32_e32 v9, 1.0, v9
	v_sub_f32_e32 v8, v7, v8
	v_add_f32_e32 v11, v8, v9
	v_frexp_mant_f32_e32 v12, v10
	s_mov_b32 s2, 0x3f2aaaab
	v_cvt_f64_f32_e32 v[8:9], v10
	v_frexp_exp_i32_f64_e32 v8, v[8:9]
	v_cmp_gt_f32_e64 s[2:3], s2, v12
	s_nop 1
	v_subbrev_co_u32_e64 v18, s[2:3], 0, v8, s[2:3]
	v_sub_u32_e32 v8, 0, v18
	v_ldexp_f32 v9, v10, v8
	v_add_f32_e32 v10, -1.0, v9
	v_add_f32_e32 v12, 1.0, v9
	v_ldexp_f32 v8, v11, v8
	v_add_f32_e32 v11, 1.0, v10
	v_add_f32_e32 v13, -1.0, v12
	v_sub_f32_e32 v11, v9, v11
	v_sub_f32_e32 v9, v9, v13
	v_add_f32_e32 v11, v8, v11
	v_add_f32_e32 v8, v8, v9
	;; [unrolled: 1-line block ×3, first 2 shown]
	v_rcp_f32_e32 v35, v19
	v_sub_f32_e32 v9, v12, v19
	v_add_f32_e32 v20, v8, v9
	v_add_f32_e32 v9, v10, v11
	v_mul_f32_e32 v37, v9, v35
	v_sub_f32_e32 v8, v10, v9
	v_mul_f32_e32 v10, v19, v37
	v_fma_f32 v12, v37, v19, -v10
	v_fmac_f32_e32 v12, v37, v20
	v_add_f32_e32 v36, v11, v8
	v_add_f32_e32 v8, v10, v12
	v_sub_f32_e32 v11, v9, v8
	v_pk_add_f32 v[16:17], v[8:9], v[10:11] neg_lo:[0,1] neg_hi:[0,1]
	v_mov_b32_e32 v13, v8
	v_pk_add_f32 v[8:9], v[16:17], v[12:13] neg_lo:[0,1] neg_hi:[0,1]
	s_mov_b32 s2, 0x3f317218
	v_add_f32_e32 v9, v36, v9
	v_add_f32_e32 v8, v8, v9
	v_add_f32_e32 v9, v11, v8
	v_mul_f32_e32 v36, v35, v9
	v_mul_f32_e32 v10, v19, v36
	v_fma_f32 v12, v36, v19, -v10
	v_fmac_f32_e32 v12, v36, v20
	v_sub_f32_e32 v11, v11, v9
	v_add_f32_e32 v19, v8, v11
	v_add_f32_e32 v8, v10, v12
	v_sub_f32_e32 v11, v9, v8
	v_pk_add_f32 v[16:17], v[8:9], v[10:11] neg_lo:[0,1] neg_hi:[0,1]
	v_mov_b32_e32 v13, v8
	v_pk_add_f32 v[8:9], v[16:17], v[12:13] neg_lo:[0,1] neg_hi:[0,1]
	v_cvt_f32_i32_e32 v10, v18
	v_add_f32_e32 v9, v19, v9
	v_add_f32_e32 v8, v8, v9
	;; [unrolled: 1-line block ×4, first 2 shown]
	v_sub_f32_e32 v9, v11, v37
	v_mul_f32_e32 v8, v35, v8
	v_sub_f32_e32 v9, v36, v9
	v_add_f32_e32 v8, v9, v8
	v_add_f32_e32 v12, v11, v8
	v_mul_f32_e32 v16, v12, v12
	v_mov_b32_e32 v9, 0x3ecc95a3
	v_sub_f32_e32 v11, v12, v11
	v_fmac_f32_e32 v9, 0x3e9b6dac, v16
	v_sub_f32_e32 v8, v8, v11
	v_fmaak_f32 v9, v16, v9, 0x3f2aaada
	v_ldexp_f32 v17, v8, 1
	v_mul_f32_e32 v11, v12, v16
	v_mov_b32_e32 v8, 0x3f317218
	v_pk_mul_f32 v[8:9], v[10:11], v[8:9]
	v_ldexp_f32 v13, v12, 1
	v_fma_f32 v11, v10, s2, -v8
	v_fmamk_f32 v12, v10, 0xb102e308, v11
	v_pk_add_f32 v[10:11], v[8:9], v[12:13]
	v_mov_b32_e32 v16, v8
	v_sub_f32_e32 v13, v11, v13
	v_sub_f32_e32 v13, v9, v13
	v_add_f32_e32 v17, v17, v13
	v_pk_add_f32 v[8:9], v[10:11], v[8:9] neg_lo:[0,1] neg_hi:[0,1]
	v_pk_add_f32 v[18:19], v[10:11], v[16:17]
	v_mov_b32_e32 v13, v10
	v_mov_b32_e32 v9, v19
	v_pk_add_f32 v[36:37], v[12:13], v[8:9] neg_lo:[0,1] neg_hi:[0,1]
	v_pk_add_f32 v[8:9], v[12:13], v[8:9]
	v_mov_b32_e32 v16, v17
	v_pk_add_f32 v[12:13], v[8:9], v[10:11] op_sel:[1,0] op_sel_hi:[0,1] neg_lo:[0,1] neg_hi:[0,1]
	v_pk_add_f32 v[38:39], v[18:19], v[12:13] op_sel_hi:[1,0] neg_lo:[0,1] neg_hi:[0,1]
	v_mov_b32_e32 v18, v19
	v_mov_b32_e32 v19, v9
	v_pk_mov_b32 v[12:13], v[10:11], v[12:13] op_sel:[1,0]
	v_mov_b32_e32 v17, v10
	v_pk_add_f32 v[12:13], v[18:19], v[12:13] neg_lo:[0,1] neg_hi:[0,1]
	v_mov_b32_e32 v38, v36
	v_pk_add_f32 v[10:11], v[16:17], v[12:13] neg_lo:[0,1] neg_hi:[0,1]
	v_mov_b32_e32 v37, v9
	v_pk_add_f32 v[12:13], v[38:39], v[10:11]
	v_cmp_neq_f32_e64 s[2:3], s7, v7
	v_pk_add_f32 v[16:17], v[12:13], v[12:13] op_sel:[0,1] op_sel_hi:[1,0]
	s_nop 0
	v_pk_add_f32 v[8:9], v[8:9], v[16:17] op_sel:[1,0] op_sel_hi:[0,1]
	v_mov_b32_e32 v13, v8
	v_pk_add_f32 v[18:19], v[12:13], v[36:37] neg_lo:[0,1] neg_hi:[0,1]
	v_mov_b32_e32 v11, v16
	v_sub_f32_e32 v9, v12, v18
	v_pk_add_f32 v[10:11], v[10:11], v[18:19] neg_lo:[0,1] neg_hi:[0,1]
	v_sub_f32_e32 v9, v36, v9
	v_add_f32_e32 v9, v10, v9
	v_add_f32_e32 v9, v9, v11
	;; [unrolled: 1-line block ×3, first 2 shown]
	v_cndmask_b32_e64 v8, v15, v8, s[2:3]
	s_mov_b32 s2, 0x33800000
	v_cmp_lt_f32_e64 s[2:3], |v7|, s2
	s_nop 1
	v_cndmask_b32_e64 v7, v8, v7, s[2:3]
	v_add_f32_e32 v36, v6, v7
.LBB88_212:
	s_or_b64 exec, exec, s[4:5]
	v_max_f32_e32 v8, v4, v4
	v_max_f32_e32 v6, v36, v36
	v_min_f32_e32 v7, v6, v8
	v_cmp_u_f32_e64 s[4:5], v36, v36
	v_max_f32_e32 v6, v6, v8
	v_cmp_u_f32_e64 s[2:3], v4, v4
	v_cndmask_b32_e64 v7, v7, v36, s[4:5]
	v_cndmask_b32_e64 v6, v6, v36, s[4:5]
	;; [unrolled: 1-line block ×4, first 2 shown]
	v_cmp_neq_f32_e64 s[4:5], v7, v6
	v_cmp_class_f32_e64 s[6:7], v7, s6
	s_or_b64 s[4:5], s[4:5], s[6:7]
	s_and_saveexec_b64 s[6:7], s[4:5]
	s_cbranch_execz .LBB88_214
; %bb.213:
	v_sub_f32_e32 v7, v7, v6
	s_mov_b32 s4, 0x3fb8aa3b
	v_mul_f32_e32 v9, 0x3fb8aa3b, v7
	v_fma_f32 v10, v7, s4, -v9
	v_rndne_f32_e32 v11, v9
	v_fmamk_f32 v10, v7, 0x32a5705f, v10
	v_sub_f32_e32 v9, v9, v11
	v_add_f32_e32 v9, v9, v10
	v_exp_f32_e32 v9, v9
	v_cvt_i32_f32_e32 v10, v11
	s_mov_b32 s4, 0xc2ce8ed0
	v_cmp_ngt_f32_e64 s[4:5], s4, v7
	v_mov_b32_e32 v15, 0x7f800000
	v_ldexp_f32 v9, v9, v10
	v_cndmask_b32_e64 v9, 0, v9, s[4:5]
	s_mov_b32 s4, 0x42b17218
	v_cmp_nlt_f32_e64 s[4:5], s4, v7
	s_mov_b32 s8, 0x7f800000
	s_nop 0
	v_cndmask_b32_e64 v7, v15, v9, s[4:5]
	v_add_f32_e32 v9, 1.0, v7
	v_add_f32_e32 v10, -1.0, v9
	v_sub_f32_e32 v11, v10, v9
	v_add_f32_e32 v11, 1.0, v11
	v_sub_f32_e32 v10, v7, v10
	v_add_f32_e32 v12, v10, v11
	v_frexp_mant_f32_e32 v13, v9
	s_mov_b32 s4, 0x3f2aaaab
	v_cvt_f64_f32_e32 v[10:11], v9
	v_frexp_exp_i32_f64_e32 v10, v[10:11]
	v_cmp_gt_f32_e64 s[4:5], s4, v13
	s_nop 1
	v_subbrev_co_u32_e64 v20, s[4:5], 0, v10, s[4:5]
	v_sub_u32_e32 v10, 0, v20
	v_ldexp_f32 v9, v9, v10
	v_ldexp_f32 v10, v12, v10
	v_add_f32_e32 v12, -1.0, v9
	v_add_f32_e32 v11, 1.0, v12
	v_sub_f32_e32 v11, v9, v11
	v_add_f32_e32 v13, v10, v11
	v_add_f32_e32 v11, 1.0, v9
	v_add_f32_e32 v16, -1.0, v11
	v_sub_f32_e32 v9, v9, v16
	v_add_f32_e32 v9, v10, v9
	v_add_f32_e32 v35, v11, v9
	v_rcp_f32_e32 v36, v35
	v_sub_f32_e32 v10, v11, v35
	v_add_f32_e32 v11, v12, v13
	v_add_f32_e32 v9, v9, v10
	v_mul_f32_e32 v38, v11, v36
	v_sub_f32_e32 v10, v12, v11
	v_mul_f32_e32 v12, v35, v38
	v_fma_f32 v16, v38, v35, -v12
	v_fmac_f32_e32 v16, v38, v9
	v_add_f32_e32 v37, v13, v10
	v_add_f32_e32 v10, v12, v16
	v_sub_f32_e32 v13, v11, v10
	v_pk_add_f32 v[18:19], v[10:11], v[12:13] neg_lo:[0,1] neg_hi:[0,1]
	v_mov_b32_e32 v17, v10
	v_pk_add_f32 v[10:11], v[18:19], v[16:17] neg_lo:[0,1] neg_hi:[0,1]
	s_mov_b32 s4, 0x3f317218
	v_add_f32_e32 v11, v37, v11
	v_add_f32_e32 v10, v10, v11
	;; [unrolled: 1-line block ×3, first 2 shown]
	v_mul_f32_e32 v37, v36, v11
	v_mul_f32_e32 v12, v35, v37
	v_fma_f32 v16, v37, v35, -v12
	v_fmac_f32_e32 v16, v37, v9
	v_sub_f32_e32 v9, v13, v11
	v_add_f32_e32 v9, v10, v9
	v_add_f32_e32 v10, v12, v16
	v_sub_f32_e32 v13, v11, v10
	v_pk_add_f32 v[18:19], v[10:11], v[12:13] neg_lo:[0,1] neg_hi:[0,1]
	v_mov_b32_e32 v17, v10
	v_pk_add_f32 v[10:11], v[18:19], v[16:17] neg_lo:[0,1] neg_hi:[0,1]
	v_cvt_f32_i32_e32 v12, v20
	v_add_f32_e32 v9, v9, v11
	v_add_f32_e32 v9, v10, v9
	v_add_f32_e32 v10, v38, v37
	v_add_f32_e32 v9, v13, v9
	v_sub_f32_e32 v11, v10, v38
	v_mul_f32_e32 v9, v36, v9
	v_sub_f32_e32 v11, v37, v11
	v_add_f32_e32 v9, v11, v9
	v_add_f32_e32 v13, v10, v9
	v_mul_f32_e32 v16, v13, v13
	v_mov_b32_e32 v11, 0x3ecc95a3
	v_fmac_f32_e32 v11, 0x3e9b6dac, v16
	v_sub_f32_e32 v10, v13, v10
	v_fmaak_f32 v11, v16, v11, 0x3f2aaada
	v_sub_f32_e32 v9, v9, v10
	v_ldexp_f32 v17, v13, 1
	v_mul_f32_e32 v13, v13, v16
	v_mov_b32_e32 v10, 0x3f317218
	v_pk_mul_f32 v[10:11], v[12:13], v[10:11]
	v_ldexp_f32 v9, v9, 1
	v_fma_f32 v13, v12, s4, -v10
	v_fmamk_f32 v16, v12, 0xb102e308, v13
	v_pk_add_f32 v[12:13], v[10:11], v[16:17]
	v_mov_b32_e32 v18, v10
	v_sub_f32_e32 v17, v13, v17
	v_sub_f32_e32 v17, v11, v17
	v_add_f32_e32 v19, v9, v17
	v_pk_add_f32 v[10:11], v[12:13], v[10:11] neg_lo:[0,1] neg_hi:[0,1]
	v_pk_add_f32 v[36:37], v[12:13], v[18:19]
	v_mov_b32_e32 v17, v12
	v_mov_b32_e32 v11, v37
	v_pk_add_f32 v[38:39], v[16:17], v[10:11] neg_lo:[0,1] neg_hi:[0,1]
	v_pk_add_f32 v[10:11], v[16:17], v[10:11]
	v_mov_b32_e32 v18, v19
	v_pk_add_f32 v[16:17], v[10:11], v[12:13] op_sel:[1,0] op_sel_hi:[0,1] neg_lo:[0,1] neg_hi:[0,1]
	v_pk_add_f32 v[40:41], v[36:37], v[16:17] op_sel_hi:[1,0] neg_lo:[0,1] neg_hi:[0,1]
	v_mov_b32_e32 v36, v37
	v_mov_b32_e32 v37, v11
	v_pk_mov_b32 v[16:17], v[12:13], v[16:17] op_sel:[1,0]
	v_mov_b32_e32 v19, v12
	v_pk_add_f32 v[16:17], v[36:37], v[16:17] neg_lo:[0,1] neg_hi:[0,1]
	v_mov_b32_e32 v40, v38
	v_pk_add_f32 v[12:13], v[18:19], v[16:17] neg_lo:[0,1] neg_hi:[0,1]
	v_mov_b32_e32 v39, v11
	v_pk_add_f32 v[16:17], v[40:41], v[12:13]
	v_cmp_neq_f32_e64 s[4:5], s8, v7
	v_pk_add_f32 v[18:19], v[16:17], v[16:17] op_sel:[0,1] op_sel_hi:[1,0]
	s_nop 0
	v_pk_add_f32 v[10:11], v[10:11], v[18:19] op_sel:[1,0] op_sel_hi:[0,1]
	v_mov_b32_e32 v17, v10
	v_pk_add_f32 v[36:37], v[16:17], v[38:39] neg_lo:[0,1] neg_hi:[0,1]
	v_mov_b32_e32 v13, v18
	v_sub_f32_e32 v9, v16, v36
	v_pk_add_f32 v[12:13], v[12:13], v[36:37] neg_lo:[0,1] neg_hi:[0,1]
	v_sub_f32_e32 v9, v38, v9
	v_add_f32_e32 v9, v12, v9
	v_add_f32_e32 v9, v9, v13
	;; [unrolled: 1-line block ×3, first 2 shown]
	v_cndmask_b32_e64 v9, v15, v9, s[4:5]
	s_mov_b32 s4, 0x33800000
	v_cmp_lt_f32_e64 s[4:5], |v7|, s4
	s_nop 1
	v_cndmask_b32_e64 v7, v9, v7, s[4:5]
	v_add_f32_e32 v36, v6, v7
.LBB88_214:
	s_or_b64 exec, exec, s[6:7]
	v_max_f32_e32 v9, v5, v5
	v_max_f32_e32 v6, v36, v36
	v_min_f32_e32 v7, v6, v9
	v_cmp_u_f32_e64 s[6:7], v36, v36
	v_max_f32_e32 v6, v6, v9
	v_cmp_u_f32_e64 s[4:5], v5, v5
	v_cndmask_b32_e64 v7, v7, v36, s[6:7]
	v_cndmask_b32_e64 v6, v6, v36, s[6:7]
	;; [unrolled: 1-line block ×4, first 2 shown]
	s_movk_i32 s10, 0x1f8
	v_cmp_neq_f32_e64 s[6:7], v7, v6
	v_cmp_class_f32_e64 s[8:9], v7, s10
	s_or_b64 s[6:7], s[6:7], s[8:9]
	s_and_saveexec_b64 s[8:9], s[6:7]
	s_cbranch_execz .LBB88_216
; %bb.215:
	v_sub_f32_e32 v7, v7, v6
	s_mov_b32 s6, 0x3fb8aa3b
	v_mul_f32_e32 v10, 0x3fb8aa3b, v7
	v_fma_f32 v11, v7, s6, -v10
	v_rndne_f32_e32 v12, v10
	v_fmamk_f32 v11, v7, 0x32a5705f, v11
	v_sub_f32_e32 v10, v10, v12
	v_add_f32_e32 v10, v10, v11
	v_exp_f32_e32 v10, v10
	v_cvt_i32_f32_e32 v11, v12
	s_mov_b32 s6, 0xc2ce8ed0
	v_cmp_ngt_f32_e64 s[6:7], s6, v7
	v_mov_b32_e32 v15, 0x7f800000
	v_ldexp_f32 v10, v10, v11
	v_cndmask_b32_e64 v10, 0, v10, s[6:7]
	s_mov_b32 s6, 0x42b17218
	v_cmp_nlt_f32_e64 s[6:7], s6, v7
	s_mov_b32 s11, 0x7f800000
	s_nop 0
	v_cndmask_b32_e64 v7, v15, v10, s[6:7]
	v_add_f32_e32 v12, 1.0, v7
	v_add_f32_e32 v10, -1.0, v12
	v_sub_f32_e32 v11, v10, v12
	v_add_f32_e32 v11, 1.0, v11
	v_sub_f32_e32 v10, v7, v10
	v_add_f32_e32 v13, v10, v11
	v_frexp_mant_f32_e32 v16, v12
	s_mov_b32 s6, 0x3f2aaaab
	v_cvt_f64_f32_e32 v[10:11], v12
	v_frexp_exp_i32_f64_e32 v10, v[10:11]
	v_cmp_gt_f32_e64 s[6:7], s6, v16
	s_nop 1
	v_subbrev_co_u32_e64 v20, s[6:7], 0, v10, s[6:7]
	v_sub_u32_e32 v10, 0, v20
	v_ldexp_f32 v11, v12, v10
	v_add_f32_e32 v12, -1.0, v11
	v_add_f32_e32 v16, 1.0, v11
	v_ldexp_f32 v10, v13, v10
	v_add_f32_e32 v13, 1.0, v12
	v_add_f32_e32 v17, -1.0, v16
	v_sub_f32_e32 v13, v11, v13
	v_sub_f32_e32 v11, v11, v17
	v_add_f32_e32 v13, v10, v13
	v_add_f32_e32 v10, v10, v11
	v_add_f32_e32 v35, v16, v10
	v_rcp_f32_e32 v37, v35
	v_sub_f32_e32 v11, v16, v35
	v_add_f32_e32 v36, v10, v11
	v_add_f32_e32 v11, v12, v13
	v_mul_f32_e32 v39, v11, v37
	v_sub_f32_e32 v10, v12, v11
	v_mul_f32_e32 v12, v35, v39
	v_fma_f32 v16, v39, v35, -v12
	v_fmac_f32_e32 v16, v39, v36
	v_add_f32_e32 v38, v13, v10
	v_add_f32_e32 v10, v12, v16
	v_sub_f32_e32 v13, v11, v10
	v_pk_add_f32 v[18:19], v[10:11], v[12:13] neg_lo:[0,1] neg_hi:[0,1]
	v_mov_b32_e32 v17, v10
	v_pk_add_f32 v[10:11], v[18:19], v[16:17] neg_lo:[0,1] neg_hi:[0,1]
	s_mov_b32 s6, 0x3f317218
	v_add_f32_e32 v11, v38, v11
	v_add_f32_e32 v10, v10, v11
	v_add_f32_e32 v11, v13, v10
	v_mul_f32_e32 v38, v37, v11
	v_mul_f32_e32 v12, v35, v38
	v_fma_f32 v16, v38, v35, -v12
	v_fmac_f32_e32 v16, v38, v36
	v_sub_f32_e32 v13, v13, v11
	v_add_f32_e32 v35, v10, v13
	v_add_f32_e32 v10, v12, v16
	v_sub_f32_e32 v13, v11, v10
	v_pk_add_f32 v[18:19], v[10:11], v[12:13] neg_lo:[0,1] neg_hi:[0,1]
	v_mov_b32_e32 v17, v10
	v_pk_add_f32 v[10:11], v[18:19], v[16:17] neg_lo:[0,1] neg_hi:[0,1]
	v_cvt_f32_i32_e32 v12, v20
	v_add_f32_e32 v11, v35, v11
	v_add_f32_e32 v10, v10, v11
	;; [unrolled: 1-line block ×4, first 2 shown]
	v_sub_f32_e32 v11, v13, v39
	v_mul_f32_e32 v10, v37, v10
	v_sub_f32_e32 v11, v38, v11
	v_add_f32_e32 v10, v11, v10
	v_add_f32_e32 v16, v13, v10
	v_mul_f32_e32 v18, v16, v16
	v_mov_b32_e32 v11, 0x3ecc95a3
	v_sub_f32_e32 v13, v16, v13
	v_fmac_f32_e32 v11, 0x3e9b6dac, v18
	v_sub_f32_e32 v10, v10, v13
	v_fmaak_f32 v11, v18, v11, 0x3f2aaada
	v_ldexp_f32 v19, v10, 1
	v_mul_f32_e32 v13, v16, v18
	v_mov_b32_e32 v10, 0x3f317218
	v_pk_mul_f32 v[10:11], v[12:13], v[10:11]
	v_ldexp_f32 v17, v16, 1
	v_fma_f32 v13, v12, s6, -v10
	v_fmamk_f32 v16, v12, 0xb102e308, v13
	v_pk_add_f32 v[12:13], v[10:11], v[16:17]
	v_mov_b32_e32 v18, v10
	v_sub_f32_e32 v17, v13, v17
	v_sub_f32_e32 v17, v11, v17
	v_add_f32_e32 v19, v19, v17
	v_pk_add_f32 v[10:11], v[12:13], v[10:11] neg_lo:[0,1] neg_hi:[0,1]
	v_pk_add_f32 v[36:37], v[12:13], v[18:19]
	v_mov_b32_e32 v17, v12
	v_mov_b32_e32 v11, v37
	v_pk_add_f32 v[38:39], v[16:17], v[10:11] neg_lo:[0,1] neg_hi:[0,1]
	v_pk_add_f32 v[10:11], v[16:17], v[10:11]
	v_mov_b32_e32 v18, v19
	v_pk_add_f32 v[16:17], v[10:11], v[12:13] op_sel:[1,0] op_sel_hi:[0,1] neg_lo:[0,1] neg_hi:[0,1]
	v_pk_add_f32 v[40:41], v[36:37], v[16:17] op_sel_hi:[1,0] neg_lo:[0,1] neg_hi:[0,1]
	v_mov_b32_e32 v36, v37
	v_mov_b32_e32 v37, v11
	v_pk_mov_b32 v[16:17], v[12:13], v[16:17] op_sel:[1,0]
	v_mov_b32_e32 v19, v12
	v_pk_add_f32 v[16:17], v[36:37], v[16:17] neg_lo:[0,1] neg_hi:[0,1]
	v_mov_b32_e32 v40, v38
	v_pk_add_f32 v[12:13], v[18:19], v[16:17] neg_lo:[0,1] neg_hi:[0,1]
	v_mov_b32_e32 v39, v11
	v_pk_add_f32 v[16:17], v[40:41], v[12:13]
	v_cmp_neq_f32_e64 s[6:7], s11, v7
	v_pk_add_f32 v[18:19], v[16:17], v[16:17] op_sel:[0,1] op_sel_hi:[1,0]
	s_nop 0
	v_pk_add_f32 v[10:11], v[10:11], v[18:19] op_sel:[1,0] op_sel_hi:[0,1]
	v_mov_b32_e32 v17, v10
	v_pk_add_f32 v[36:37], v[16:17], v[38:39] neg_lo:[0,1] neg_hi:[0,1]
	v_mov_b32_e32 v13, v18
	v_sub_f32_e32 v11, v16, v36
	v_pk_add_f32 v[12:13], v[12:13], v[36:37] neg_lo:[0,1] neg_hi:[0,1]
	v_sub_f32_e32 v11, v38, v11
	v_add_f32_e32 v11, v12, v11
	v_add_f32_e32 v11, v11, v13
	;; [unrolled: 1-line block ×3, first 2 shown]
	v_cndmask_b32_e64 v10, v15, v10, s[6:7]
	s_mov_b32 s6, 0x33800000
	v_cmp_lt_f32_e64 s[6:7], |v7|, s6
	s_nop 1
	v_cndmask_b32_e64 v7, v10, v7, s[6:7]
	v_add_f32_e32 v36, v6, v7
.LBB88_216:
	s_or_b64 exec, exec, s[8:9]
	v_max_f32_e32 v10, v26, v26
	v_max_f32_e32 v6, v36, v36
	v_min_f32_e32 v7, v6, v10
	v_cmp_u_f32_e64 s[8:9], v36, v36
	v_max_f32_e32 v6, v6, v10
	v_cmp_u_f32_e64 s[6:7], v26, v26
	v_cndmask_b32_e64 v7, v7, v36, s[8:9]
	v_cndmask_b32_e64 v6, v6, v36, s[8:9]
	;; [unrolled: 1-line block ×4, first 2 shown]
	v_cmp_neq_f32_e64 s[8:9], v7, v6
	v_cmp_class_f32_e64 s[10:11], v7, s10
	s_or_b64 s[8:9], s[8:9], s[10:11]
	s_and_saveexec_b64 s[10:11], s[8:9]
	s_cbranch_execz .LBB88_218
; %bb.217:
	v_sub_f32_e32 v7, v7, v6
	s_mov_b32 s8, 0x3fb8aa3b
	v_mul_f32_e32 v11, 0x3fb8aa3b, v7
	v_fma_f32 v12, v7, s8, -v11
	v_rndne_f32_e32 v13, v11
	v_fmamk_f32 v12, v7, 0x32a5705f, v12
	v_sub_f32_e32 v11, v11, v13
	v_add_f32_e32 v11, v11, v12
	v_exp_f32_e32 v11, v11
	v_cvt_i32_f32_e32 v12, v13
	s_mov_b32 s8, 0xc2ce8ed0
	v_cmp_ngt_f32_e64 s[8:9], s8, v7
	v_mov_b32_e32 v15, 0x7f800000
	v_ldexp_f32 v11, v11, v12
	v_cndmask_b32_e64 v11, 0, v11, s[8:9]
	s_mov_b32 s8, 0x42b17218
	v_cmp_nlt_f32_e64 s[8:9], s8, v7
	s_mov_b32 s12, 0x7f800000
	s_nop 0
	v_cndmask_b32_e64 v7, v15, v11, s[8:9]
	v_add_f32_e32 v11, 1.0, v7
	v_add_f32_e32 v12, -1.0, v11
	v_sub_f32_e32 v13, v12, v11
	v_add_f32_e32 v13, 1.0, v13
	v_sub_f32_e32 v12, v7, v12
	v_add_f32_e32 v16, v12, v13
	v_frexp_mant_f32_e32 v17, v11
	s_mov_b32 s8, 0x3f2aaaab
	v_cvt_f64_f32_e32 v[12:13], v11
	v_frexp_exp_i32_f64_e32 v12, v[12:13]
	v_cmp_gt_f32_e64 s[8:9], s8, v17
	s_nop 1
	v_subbrev_co_u32_e64 v20, s[8:9], 0, v12, s[8:9]
	v_sub_u32_e32 v12, 0, v20
	v_ldexp_f32 v11, v11, v12
	v_ldexp_f32 v12, v16, v12
	v_add_f32_e32 v16, -1.0, v11
	v_add_f32_e32 v13, 1.0, v16
	v_sub_f32_e32 v13, v11, v13
	v_add_f32_e32 v17, v12, v13
	v_add_f32_e32 v13, 1.0, v11
	v_add_f32_e32 v18, -1.0, v13
	v_sub_f32_e32 v11, v11, v18
	v_add_f32_e32 v11, v12, v11
	v_add_f32_e32 v35, v13, v11
	v_rcp_f32_e32 v38, v35
	v_sub_f32_e32 v12, v13, v35
	v_add_f32_e32 v13, v16, v17
	v_add_f32_e32 v11, v11, v12
	v_mul_f32_e32 v40, v13, v38
	v_sub_f32_e32 v12, v16, v13
	v_mul_f32_e32 v16, v35, v40
	v_fma_f32 v18, v40, v35, -v16
	v_fmac_f32_e32 v18, v40, v11
	v_add_f32_e32 v39, v17, v12
	v_add_f32_e32 v12, v16, v18
	v_sub_f32_e32 v17, v13, v12
	v_pk_add_f32 v[36:37], v[12:13], v[16:17] neg_lo:[0,1] neg_hi:[0,1]
	v_mov_b32_e32 v19, v12
	v_pk_add_f32 v[12:13], v[36:37], v[18:19] neg_lo:[0,1] neg_hi:[0,1]
	s_mov_b32 s8, 0x3f317218
	v_add_f32_e32 v13, v39, v13
	v_add_f32_e32 v12, v12, v13
	;; [unrolled: 1-line block ×3, first 2 shown]
	v_mul_f32_e32 v39, v38, v13
	v_mul_f32_e32 v16, v35, v39
	v_fma_f32 v18, v39, v35, -v16
	v_fmac_f32_e32 v18, v39, v11
	v_sub_f32_e32 v11, v17, v13
	v_add_f32_e32 v11, v12, v11
	v_add_f32_e32 v12, v16, v18
	v_sub_f32_e32 v17, v13, v12
	v_pk_add_f32 v[36:37], v[12:13], v[16:17] neg_lo:[0,1] neg_hi:[0,1]
	v_mov_b32_e32 v19, v12
	v_pk_add_f32 v[12:13], v[36:37], v[18:19] neg_lo:[0,1] neg_hi:[0,1]
	v_cvt_f32_i32_e32 v16, v20
	v_add_f32_e32 v11, v11, v13
	v_add_f32_e32 v11, v12, v11
	;; [unrolled: 1-line block ×4, first 2 shown]
	v_sub_f32_e32 v13, v12, v40
	v_mul_f32_e32 v11, v38, v11
	v_sub_f32_e32 v13, v39, v13
	v_add_f32_e32 v11, v13, v11
	v_add_f32_e32 v17, v12, v11
	v_mul_f32_e32 v18, v17, v17
	v_mov_b32_e32 v13, 0x3ecc95a3
	v_fmac_f32_e32 v13, 0x3e9b6dac, v18
	v_sub_f32_e32 v12, v17, v12
	v_fmaak_f32 v13, v18, v13, 0x3f2aaada
	v_sub_f32_e32 v11, v11, v12
	v_ldexp_f32 v19, v17, 1
	v_mul_f32_e32 v17, v17, v18
	v_mov_b32_e32 v12, 0x3f317218
	v_pk_mul_f32 v[12:13], v[16:17], v[12:13]
	v_ldexp_f32 v11, v11, 1
	v_fma_f32 v17, v16, s8, -v12
	v_fmamk_f32 v18, v16, 0xb102e308, v17
	v_pk_add_f32 v[16:17], v[12:13], v[18:19]
	v_mov_b32_e32 v36, v12
	v_sub_f32_e32 v19, v17, v19
	v_sub_f32_e32 v19, v13, v19
	v_add_f32_e32 v37, v11, v19
	v_pk_add_f32 v[12:13], v[16:17], v[12:13] neg_lo:[0,1] neg_hi:[0,1]
	v_pk_add_f32 v[38:39], v[16:17], v[36:37]
	v_mov_b32_e32 v19, v16
	v_mov_b32_e32 v13, v39
	v_pk_add_f32 v[40:41], v[18:19], v[12:13] neg_lo:[0,1] neg_hi:[0,1]
	v_pk_add_f32 v[12:13], v[18:19], v[12:13]
	v_mov_b32_e32 v36, v37
	v_pk_add_f32 v[18:19], v[12:13], v[16:17] op_sel:[1,0] op_sel_hi:[0,1] neg_lo:[0,1] neg_hi:[0,1]
	v_pk_add_f32 v[42:43], v[38:39], v[18:19] op_sel_hi:[1,0] neg_lo:[0,1] neg_hi:[0,1]
	v_mov_b32_e32 v38, v39
	v_mov_b32_e32 v39, v13
	v_pk_mov_b32 v[18:19], v[16:17], v[18:19] op_sel:[1,0]
	v_mov_b32_e32 v37, v16
	v_pk_add_f32 v[18:19], v[38:39], v[18:19] neg_lo:[0,1] neg_hi:[0,1]
	v_mov_b32_e32 v42, v40
	v_pk_add_f32 v[16:17], v[36:37], v[18:19] neg_lo:[0,1] neg_hi:[0,1]
	v_mov_b32_e32 v41, v13
	v_pk_add_f32 v[18:19], v[42:43], v[16:17]
	v_cmp_neq_f32_e64 s[8:9], s12, v7
	v_pk_add_f32 v[36:37], v[18:19], v[18:19] op_sel:[0,1] op_sel_hi:[1,0]
	s_nop 0
	v_pk_add_f32 v[12:13], v[12:13], v[36:37] op_sel:[1,0] op_sel_hi:[0,1]
	v_mov_b32_e32 v19, v12
	v_pk_add_f32 v[38:39], v[18:19], v[40:41] neg_lo:[0,1] neg_hi:[0,1]
	v_mov_b32_e32 v17, v36
	v_sub_f32_e32 v11, v18, v38
	v_pk_add_f32 v[16:17], v[16:17], v[38:39] neg_lo:[0,1] neg_hi:[0,1]
	v_sub_f32_e32 v11, v40, v11
	v_add_f32_e32 v11, v16, v11
	v_add_f32_e32 v11, v11, v17
	;; [unrolled: 1-line block ×3, first 2 shown]
	v_cndmask_b32_e64 v11, v15, v11, s[8:9]
	s_mov_b32 s8, 0x33800000
	v_cmp_lt_f32_e64 s[8:9], |v7|, s8
	s_nop 1
	v_cndmask_b32_e64 v7, v11, v7, s[8:9]
	v_add_f32_e32 v36, v6, v7
.LBB88_218:
	s_or_b64 exec, exec, s[10:11]
	v_max_f32_e32 v11, v27, v27
	v_max_f32_e32 v6, v36, v36
	v_min_f32_e32 v7, v6, v11
	v_cmp_u_f32_e64 s[10:11], v36, v36
	v_max_f32_e32 v6, v6, v11
	v_cmp_u_f32_e64 s[8:9], v27, v27
	v_cndmask_b32_e64 v7, v7, v36, s[10:11]
	v_cndmask_b32_e64 v6, v6, v36, s[10:11]
	;; [unrolled: 1-line block ×4, first 2 shown]
	s_movk_i32 s14, 0x1f8
	v_cmp_neq_f32_e64 s[10:11], v7, v6
	v_cmp_class_f32_e64 s[12:13], v7, s14
	s_or_b64 s[10:11], s[10:11], s[12:13]
	s_and_saveexec_b64 s[12:13], s[10:11]
	s_cbranch_execz .LBB88_220
; %bb.219:
	v_sub_f32_e32 v7, v7, v6
	s_mov_b32 s10, 0x3fb8aa3b
	v_mul_f32_e32 v12, 0x3fb8aa3b, v7
	v_fma_f32 v13, v7, s10, -v12
	v_rndne_f32_e32 v15, v12
	v_fmamk_f32 v13, v7, 0x32a5705f, v13
	v_sub_f32_e32 v12, v12, v15
	v_add_f32_e32 v12, v12, v13
	v_exp_f32_e32 v12, v12
	v_cvt_i32_f32_e32 v13, v15
	s_mov_b32 s10, 0xc2ce8ed0
	v_cmp_ngt_f32_e64 s[10:11], s10, v7
	v_mov_b32_e32 v15, 0x7f800000
	v_ldexp_f32 v12, v12, v13
	v_cndmask_b32_e64 v12, 0, v12, s[10:11]
	s_mov_b32 s10, 0x42b17218
	v_cmp_nlt_f32_e64 s[10:11], s10, v7
	s_mov_b32 s15, 0x7f800000
	s_nop 0
	v_cndmask_b32_e64 v7, v15, v12, s[10:11]
	v_add_f32_e32 v16, 1.0, v7
	v_add_f32_e32 v12, -1.0, v16
	v_sub_f32_e32 v13, v12, v16
	v_add_f32_e32 v13, 1.0, v13
	v_sub_f32_e32 v12, v7, v12
	v_add_f32_e32 v17, v12, v13
	v_frexp_mant_f32_e32 v18, v16
	s_mov_b32 s10, 0x3f2aaaab
	v_cvt_f64_f32_e32 v[12:13], v16
	v_frexp_exp_i32_f64_e32 v12, v[12:13]
	v_cmp_gt_f32_e64 s[10:11], s10, v18
	s_nop 1
	v_subbrev_co_u32_e64 v20, s[10:11], 0, v12, s[10:11]
	v_sub_u32_e32 v12, 0, v20
	v_ldexp_f32 v13, v16, v12
	v_add_f32_e32 v16, -1.0, v13
	v_add_f32_e32 v18, 1.0, v13
	v_ldexp_f32 v12, v17, v12
	v_add_f32_e32 v17, 1.0, v16
	v_add_f32_e32 v19, -1.0, v18
	v_sub_f32_e32 v17, v13, v17
	v_sub_f32_e32 v13, v13, v19
	v_add_f32_e32 v17, v12, v17
	v_add_f32_e32 v12, v12, v13
	;; [unrolled: 1-line block ×3, first 2 shown]
	v_rcp_f32_e32 v39, v35
	v_sub_f32_e32 v13, v18, v35
	v_add_f32_e32 v38, v12, v13
	v_add_f32_e32 v13, v16, v17
	v_mul_f32_e32 v41, v13, v39
	v_sub_f32_e32 v12, v16, v13
	v_mul_f32_e32 v16, v35, v41
	v_fma_f32 v18, v41, v35, -v16
	v_fmac_f32_e32 v18, v41, v38
	v_add_f32_e32 v40, v17, v12
	v_add_f32_e32 v12, v16, v18
	v_sub_f32_e32 v17, v13, v12
	v_pk_add_f32 v[36:37], v[12:13], v[16:17] neg_lo:[0,1] neg_hi:[0,1]
	v_mov_b32_e32 v19, v12
	v_pk_add_f32 v[12:13], v[36:37], v[18:19] neg_lo:[0,1] neg_hi:[0,1]
	s_mov_b32 s10, 0x3f317218
	v_add_f32_e32 v13, v40, v13
	v_add_f32_e32 v12, v12, v13
	v_add_f32_e32 v13, v17, v12
	v_mul_f32_e32 v40, v39, v13
	v_mul_f32_e32 v16, v35, v40
	v_fma_f32 v18, v40, v35, -v16
	v_fmac_f32_e32 v18, v40, v38
	v_sub_f32_e32 v17, v17, v13
	v_add_f32_e32 v35, v12, v17
	v_add_f32_e32 v12, v16, v18
	v_sub_f32_e32 v17, v13, v12
	v_pk_add_f32 v[36:37], v[12:13], v[16:17] neg_lo:[0,1] neg_hi:[0,1]
	v_mov_b32_e32 v19, v12
	v_pk_add_f32 v[12:13], v[36:37], v[18:19] neg_lo:[0,1] neg_hi:[0,1]
	v_cvt_f32_i32_e32 v16, v20
	v_add_f32_e32 v13, v35, v13
	v_add_f32_e32 v12, v12, v13
	;; [unrolled: 1-line block ×4, first 2 shown]
	v_sub_f32_e32 v13, v17, v41
	v_mul_f32_e32 v12, v39, v12
	v_sub_f32_e32 v13, v40, v13
	v_add_f32_e32 v12, v13, v12
	v_add_f32_e32 v18, v17, v12
	v_mul_f32_e32 v35, v18, v18
	v_mov_b32_e32 v13, 0x3ecc95a3
	v_sub_f32_e32 v17, v18, v17
	v_fmac_f32_e32 v13, 0x3e9b6dac, v35
	v_sub_f32_e32 v12, v12, v17
	v_fmaak_f32 v13, v35, v13, 0x3f2aaada
	v_ldexp_f32 v20, v12, 1
	v_mul_f32_e32 v17, v18, v35
	v_mov_b32_e32 v12, 0x3f317218
	v_pk_mul_f32 v[12:13], v[16:17], v[12:13]
	v_ldexp_f32 v19, v18, 1
	v_fma_f32 v17, v16, s10, -v12
	v_fmamk_f32 v18, v16, 0xb102e308, v17
	v_pk_add_f32 v[16:17], v[12:13], v[18:19]
	v_mov_b32_e32 v36, v12
	v_sub_f32_e32 v19, v17, v19
	v_sub_f32_e32 v19, v13, v19
	v_add_f32_e32 v37, v20, v19
	v_pk_add_f32 v[12:13], v[16:17], v[12:13] neg_lo:[0,1] neg_hi:[0,1]
	v_pk_add_f32 v[38:39], v[16:17], v[36:37]
	v_mov_b32_e32 v19, v16
	v_mov_b32_e32 v13, v39
	v_pk_add_f32 v[40:41], v[18:19], v[12:13] neg_lo:[0,1] neg_hi:[0,1]
	v_pk_add_f32 v[12:13], v[18:19], v[12:13]
	v_mov_b32_e32 v36, v37
	v_pk_add_f32 v[18:19], v[12:13], v[16:17] op_sel:[1,0] op_sel_hi:[0,1] neg_lo:[0,1] neg_hi:[0,1]
	v_pk_add_f32 v[42:43], v[38:39], v[18:19] op_sel_hi:[1,0] neg_lo:[0,1] neg_hi:[0,1]
	v_mov_b32_e32 v38, v39
	v_mov_b32_e32 v39, v13
	v_pk_mov_b32 v[18:19], v[16:17], v[18:19] op_sel:[1,0]
	v_mov_b32_e32 v37, v16
	v_pk_add_f32 v[18:19], v[38:39], v[18:19] neg_lo:[0,1] neg_hi:[0,1]
	v_mov_b32_e32 v42, v40
	v_pk_add_f32 v[16:17], v[36:37], v[18:19] neg_lo:[0,1] neg_hi:[0,1]
	v_mov_b32_e32 v41, v13
	v_pk_add_f32 v[18:19], v[42:43], v[16:17]
	v_cmp_neq_f32_e64 s[10:11], s15, v7
	v_pk_add_f32 v[36:37], v[18:19], v[18:19] op_sel:[0,1] op_sel_hi:[1,0]
	s_nop 0
	v_pk_add_f32 v[12:13], v[12:13], v[36:37] op_sel:[1,0] op_sel_hi:[0,1]
	v_mov_b32_e32 v19, v12
	v_pk_add_f32 v[38:39], v[18:19], v[40:41] neg_lo:[0,1] neg_hi:[0,1]
	v_mov_b32_e32 v17, v36
	v_sub_f32_e32 v13, v18, v38
	v_pk_add_f32 v[16:17], v[16:17], v[38:39] neg_lo:[0,1] neg_hi:[0,1]
	v_sub_f32_e32 v13, v40, v13
	v_add_f32_e32 v13, v16, v13
	v_add_f32_e32 v13, v13, v17
	;; [unrolled: 1-line block ×3, first 2 shown]
	v_cndmask_b32_e64 v12, v15, v12, s[10:11]
	s_mov_b32 s10, 0x33800000
	v_cmp_lt_f32_e64 s[10:11], |v7|, s10
	s_nop 1
	v_cndmask_b32_e64 v7, v12, v7, s[10:11]
	v_add_f32_e32 v36, v6, v7
.LBB88_220:
	s_or_b64 exec, exec, s[12:13]
	v_max_f32_e32 v12, v28, v28
	v_max_f32_e32 v6, v36, v36
	v_min_f32_e32 v7, v6, v12
	v_cmp_u_f32_e64 s[12:13], v36, v36
	v_max_f32_e32 v6, v6, v12
	v_cmp_u_f32_e64 s[10:11], v28, v28
	v_cndmask_b32_e64 v7, v7, v36, s[12:13]
	v_cndmask_b32_e64 v6, v6, v36, s[12:13]
	;; [unrolled: 1-line block ×4, first 2 shown]
	v_cmp_neq_f32_e64 s[12:13], v7, v6
	v_cmp_class_f32_e64 s[14:15], v7, s14
	s_or_b64 s[12:13], s[12:13], s[14:15]
	s_and_saveexec_b64 s[14:15], s[12:13]
	s_cbranch_execz .LBB88_222
; %bb.221:
	v_sub_f32_e32 v7, v7, v6
	s_mov_b32 s12, 0x3fb8aa3b
	v_mul_f32_e32 v13, 0x3fb8aa3b, v7
	v_fma_f32 v15, v7, s12, -v13
	v_rndne_f32_e32 v16, v13
	v_fmamk_f32 v15, v7, 0x32a5705f, v15
	v_sub_f32_e32 v13, v13, v16
	v_add_f32_e32 v13, v13, v15
	v_exp_f32_e32 v13, v13
	v_cvt_i32_f32_e32 v15, v16
	s_mov_b32 s12, 0xc2ce8ed0
	v_cmp_ngt_f32_e64 s[12:13], s12, v7
	s_mov_b32 s16, 0x7f800000
	v_ldexp_f32 v13, v13, v15
	v_cndmask_b32_e64 v13, 0, v13, s[12:13]
	s_mov_b32 s12, 0x42b17218
	v_mov_b32_e32 v15, 0x7f800000
	v_cmp_nlt_f32_e64 s[12:13], s12, v7
	s_nop 1
	v_cndmask_b32_e64 v7, v15, v13, s[12:13]
	v_add_f32_e32 v13, 1.0, v7
	v_add_f32_e32 v16, -1.0, v13
	v_sub_f32_e32 v17, v16, v13
	v_add_f32_e32 v17, 1.0, v17
	v_sub_f32_e32 v16, v7, v16
	v_add_f32_e32 v18, v16, v17
	v_frexp_mant_f32_e32 v19, v13
	s_mov_b32 s12, 0x3f2aaaab
	v_cvt_f64_f32_e32 v[16:17], v13
	v_frexp_exp_i32_f64_e32 v16, v[16:17]
	v_cmp_gt_f32_e64 s[12:13], s12, v19
	s_nop 1
	v_subbrev_co_u32_e64 v20, s[12:13], 0, v16, s[12:13]
	v_sub_u32_e32 v16, 0, v20
	v_ldexp_f32 v13, v13, v16
	v_ldexp_f32 v16, v18, v16
	v_add_f32_e32 v18, -1.0, v13
	v_add_f32_e32 v17, 1.0, v18
	v_sub_f32_e32 v17, v13, v17
	v_add_f32_e32 v19, v16, v17
	v_add_f32_e32 v17, 1.0, v13
	v_add_f32_e32 v35, -1.0, v17
	v_sub_f32_e32 v13, v13, v35
	v_add_f32_e32 v13, v16, v13
	v_add_f32_e32 v35, v17, v13
	v_rcp_f32_e32 v40, v35
	v_sub_f32_e32 v16, v17, v35
	v_add_f32_e32 v17, v18, v19
	v_add_f32_e32 v13, v13, v16
	v_mul_f32_e32 v42, v17, v40
	v_sub_f32_e32 v16, v18, v17
	v_mul_f32_e32 v18, v35, v42
	v_fma_f32 v36, v42, v35, -v18
	v_fmac_f32_e32 v36, v42, v13
	v_add_f32_e32 v41, v19, v16
	v_add_f32_e32 v16, v18, v36
	v_sub_f32_e32 v19, v17, v16
	v_pk_add_f32 v[38:39], v[16:17], v[18:19] neg_lo:[0,1] neg_hi:[0,1]
	v_mov_b32_e32 v37, v16
	v_pk_add_f32 v[16:17], v[38:39], v[36:37] neg_lo:[0,1] neg_hi:[0,1]
	s_mov_b32 s12, 0x3f317218
	v_add_f32_e32 v17, v41, v17
	v_add_f32_e32 v16, v16, v17
	;; [unrolled: 1-line block ×3, first 2 shown]
	v_mul_f32_e32 v41, v40, v17
	v_mul_f32_e32 v18, v35, v41
	v_fma_f32 v36, v41, v35, -v18
	v_fmac_f32_e32 v36, v41, v13
	v_sub_f32_e32 v13, v19, v17
	v_add_f32_e32 v13, v16, v13
	v_add_f32_e32 v16, v18, v36
	v_sub_f32_e32 v19, v17, v16
	v_pk_add_f32 v[38:39], v[16:17], v[18:19] neg_lo:[0,1] neg_hi:[0,1]
	v_mov_b32_e32 v37, v16
	v_pk_add_f32 v[16:17], v[38:39], v[36:37] neg_lo:[0,1] neg_hi:[0,1]
	v_cvt_f32_i32_e32 v18, v20
	v_add_f32_e32 v13, v13, v17
	v_add_f32_e32 v13, v16, v13
	;; [unrolled: 1-line block ×4, first 2 shown]
	v_sub_f32_e32 v17, v16, v42
	v_mul_f32_e32 v13, v40, v13
	v_sub_f32_e32 v17, v41, v17
	v_add_f32_e32 v13, v17, v13
	v_add_f32_e32 v19, v16, v13
	v_mul_f32_e32 v35, v19, v19
	v_mov_b32_e32 v17, 0x3ecc95a3
	v_fmac_f32_e32 v17, 0x3e9b6dac, v35
	v_sub_f32_e32 v16, v19, v16
	v_fmaak_f32 v17, v35, v17, 0x3f2aaada
	v_sub_f32_e32 v13, v13, v16
	v_ldexp_f32 v37, v19, 1
	v_mul_f32_e32 v19, v19, v35
	v_mov_b32_e32 v16, 0x3f317218
	v_pk_mul_f32 v[16:17], v[18:19], v[16:17]
	v_ldexp_f32 v13, v13, 1
	v_fma_f32 v19, v18, s12, -v16
	v_fmamk_f32 v36, v18, 0xb102e308, v19
	v_pk_add_f32 v[18:19], v[16:17], v[36:37]
	v_mov_b32_e32 v38, v16
	v_sub_f32_e32 v20, v19, v37
	v_sub_f32_e32 v20, v17, v20
	v_add_f32_e32 v39, v13, v20
	v_pk_add_f32 v[16:17], v[18:19], v[16:17] neg_lo:[0,1] neg_hi:[0,1]
	v_pk_add_f32 v[40:41], v[18:19], v[38:39]
	v_mov_b32_e32 v37, v18
	v_mov_b32_e32 v17, v41
	v_pk_add_f32 v[42:43], v[36:37], v[16:17] neg_lo:[0,1] neg_hi:[0,1]
	v_pk_add_f32 v[16:17], v[36:37], v[16:17]
	v_mov_b32_e32 v38, v39
	v_pk_add_f32 v[36:37], v[16:17], v[18:19] op_sel:[1,0] op_sel_hi:[0,1] neg_lo:[0,1] neg_hi:[0,1]
	v_pk_add_f32 v[44:45], v[40:41], v[36:37] op_sel_hi:[1,0] neg_lo:[0,1] neg_hi:[0,1]
	v_mov_b32_e32 v40, v41
	v_mov_b32_e32 v41, v17
	v_pk_mov_b32 v[36:37], v[18:19], v[36:37] op_sel:[1,0]
	v_mov_b32_e32 v39, v18
	v_pk_add_f32 v[36:37], v[40:41], v[36:37] neg_lo:[0,1] neg_hi:[0,1]
	v_mov_b32_e32 v44, v42
	v_pk_add_f32 v[18:19], v[38:39], v[36:37] neg_lo:[0,1] neg_hi:[0,1]
	v_mov_b32_e32 v43, v17
	v_pk_add_f32 v[36:37], v[44:45], v[18:19]
	v_cmp_neq_f32_e64 s[12:13], s16, v7
	v_pk_add_f32 v[38:39], v[36:37], v[36:37] op_sel:[0,1] op_sel_hi:[1,0]
	s_nop 0
	v_pk_add_f32 v[16:17], v[16:17], v[38:39] op_sel:[1,0] op_sel_hi:[0,1]
	v_mov_b32_e32 v37, v16
	v_pk_add_f32 v[40:41], v[36:37], v[42:43] neg_lo:[0,1] neg_hi:[0,1]
	v_mov_b32_e32 v19, v38
	v_sub_f32_e32 v13, v36, v40
	v_pk_add_f32 v[18:19], v[18:19], v[40:41] neg_lo:[0,1] neg_hi:[0,1]
	v_sub_f32_e32 v13, v42, v13
	v_add_f32_e32 v13, v18, v13
	v_add_f32_e32 v13, v13, v19
	;; [unrolled: 1-line block ×3, first 2 shown]
	v_cndmask_b32_e64 v13, v15, v13, s[12:13]
	s_mov_b32 s12, 0x33800000
	v_cmp_lt_f32_e64 s[12:13], |v7|, s12
	s_nop 1
	v_cndmask_b32_e64 v7, v13, v7, s[12:13]
	v_add_f32_e32 v36, v6, v7
.LBB88_222:
	s_or_b64 exec, exec, s[14:15]
	v_max_f32_e32 v13, v29, v29
	v_max_f32_e32 v6, v36, v36
	v_min_f32_e32 v7, v6, v13
	v_cmp_u_f32_e64 s[14:15], v36, v36
	v_max_f32_e32 v6, v6, v13
	v_cmp_u_f32_e64 s[12:13], v29, v29
	v_cndmask_b32_e64 v7, v7, v36, s[14:15]
	v_cndmask_b32_e64 v6, v6, v36, s[14:15]
	;; [unrolled: 1-line block ×4, first 2 shown]
	s_movk_i32 s18, 0x1f8
	v_cmp_neq_f32_e64 s[14:15], v7, v6
	v_cmp_class_f32_e64 s[16:17], v7, s18
	s_or_b64 s[14:15], s[14:15], s[16:17]
	s_and_saveexec_b64 s[16:17], s[14:15]
	s_cbranch_execz .LBB88_224
; %bb.223:
	v_sub_f32_e32 v7, v7, v6
	s_mov_b32 s14, 0x3fb8aa3b
	v_mul_f32_e32 v15, 0x3fb8aa3b, v7
	v_fma_f32 v16, v7, s14, -v15
	v_rndne_f32_e32 v17, v15
	v_fmamk_f32 v16, v7, 0x32a5705f, v16
	v_sub_f32_e32 v15, v15, v17
	v_add_f32_e32 v15, v15, v16
	v_exp_f32_e32 v15, v15
	v_cvt_i32_f32_e32 v16, v17
	s_mov_b32 s14, 0xc2ce8ed0
	v_cmp_ngt_f32_e64 s[14:15], s14, v7
	v_mov_b32_e32 v20, 0x7f800000
	v_ldexp_f32 v15, v15, v16
	v_cndmask_b32_e64 v15, 0, v15, s[14:15]
	s_mov_b32 s14, 0x42b17218
	v_cmp_nlt_f32_e64 s[14:15], s14, v7
	s_mov_b32 s19, 0x7f800000
	s_nop 0
	v_cndmask_b32_e64 v7, v20, v15, s[14:15]
	v_add_f32_e32 v15, 1.0, v7
	v_add_f32_e32 v16, -1.0, v15
	v_sub_f32_e32 v17, v16, v15
	v_add_f32_e32 v17, 1.0, v17
	v_sub_f32_e32 v16, v7, v16
	v_add_f32_e32 v18, v16, v17
	v_frexp_mant_f32_e32 v19, v15
	s_mov_b32 s14, 0x3f2aaaab
	v_cvt_f64_f32_e32 v[16:17], v15
	v_frexp_exp_i32_f64_e32 v16, v[16:17]
	v_cmp_gt_f32_e64 s[14:15], s14, v19
	s_nop 1
	v_subbrev_co_u32_e64 v35, s[14:15], 0, v16, s[14:15]
	v_sub_u32_e32 v16, 0, v35
	v_ldexp_f32 v15, v15, v16
	v_ldexp_f32 v16, v18, v16
	v_add_f32_e32 v18, -1.0, v15
	v_add_f32_e32 v17, 1.0, v18
	v_sub_f32_e32 v17, v15, v17
	v_add_f32_e32 v19, v16, v17
	v_add_f32_e32 v17, 1.0, v15
	v_add_f32_e32 v36, -1.0, v17
	v_sub_f32_e32 v15, v15, v36
	v_add_f32_e32 v15, v16, v15
	v_add_f32_e32 v40, v17, v15
	v_rcp_f32_e32 v41, v40
	v_sub_f32_e32 v16, v17, v40
	v_add_f32_e32 v17, v18, v19
	v_add_f32_e32 v15, v15, v16
	v_mul_f32_e32 v43, v17, v41
	v_sub_f32_e32 v16, v18, v17
	v_mul_f32_e32 v18, v40, v43
	v_fma_f32 v36, v43, v40, -v18
	v_fmac_f32_e32 v36, v43, v15
	v_add_f32_e32 v42, v19, v16
	v_add_f32_e32 v16, v18, v36
	v_sub_f32_e32 v19, v17, v16
	v_pk_add_f32 v[38:39], v[16:17], v[18:19] neg_lo:[0,1] neg_hi:[0,1]
	v_mov_b32_e32 v37, v16
	v_pk_add_f32 v[16:17], v[38:39], v[36:37] neg_lo:[0,1] neg_hi:[0,1]
	s_mov_b32 s14, 0x3f317218
	v_add_f32_e32 v17, v42, v17
	v_add_f32_e32 v16, v16, v17
	;; [unrolled: 1-line block ×3, first 2 shown]
	v_mul_f32_e32 v42, v41, v17
	v_mul_f32_e32 v18, v40, v42
	v_fma_f32 v36, v42, v40, -v18
	v_fmac_f32_e32 v36, v42, v15
	v_sub_f32_e32 v15, v19, v17
	v_add_f32_e32 v15, v16, v15
	v_add_f32_e32 v16, v18, v36
	v_sub_f32_e32 v19, v17, v16
	v_pk_add_f32 v[38:39], v[16:17], v[18:19] neg_lo:[0,1] neg_hi:[0,1]
	v_mov_b32_e32 v37, v16
	v_pk_add_f32 v[16:17], v[38:39], v[36:37] neg_lo:[0,1] neg_hi:[0,1]
	v_cvt_f32_i32_e32 v18, v35
	v_add_f32_e32 v15, v15, v17
	v_add_f32_e32 v15, v16, v15
	;; [unrolled: 1-line block ×4, first 2 shown]
	v_sub_f32_e32 v17, v16, v43
	v_mul_f32_e32 v15, v41, v15
	v_sub_f32_e32 v17, v42, v17
	v_add_f32_e32 v15, v17, v15
	v_add_f32_e32 v19, v16, v15
	v_mul_f32_e32 v36, v19, v19
	v_mov_b32_e32 v17, 0x3ecc95a3
	v_fmac_f32_e32 v17, 0x3e9b6dac, v36
	v_sub_f32_e32 v16, v19, v16
	v_fmaak_f32 v17, v36, v17, 0x3f2aaada
	v_sub_f32_e32 v15, v15, v16
	v_ldexp_f32 v37, v19, 1
	v_mul_f32_e32 v19, v19, v36
	v_mov_b32_e32 v16, 0x3f317218
	v_pk_mul_f32 v[16:17], v[18:19], v[16:17]
	v_ldexp_f32 v15, v15, 1
	v_fma_f32 v19, v18, s14, -v16
	v_fmamk_f32 v36, v18, 0xb102e308, v19
	v_pk_add_f32 v[18:19], v[16:17], v[36:37]
	v_mov_b32_e32 v38, v16
	v_sub_f32_e32 v35, v19, v37
	v_sub_f32_e32 v35, v17, v35
	v_add_f32_e32 v39, v15, v35
	v_pk_add_f32 v[16:17], v[18:19], v[16:17] neg_lo:[0,1] neg_hi:[0,1]
	v_pk_add_f32 v[40:41], v[18:19], v[38:39]
	v_mov_b32_e32 v37, v18
	v_mov_b32_e32 v17, v41
	v_pk_add_f32 v[42:43], v[36:37], v[16:17] neg_lo:[0,1] neg_hi:[0,1]
	v_pk_add_f32 v[16:17], v[36:37], v[16:17]
	v_mov_b32_e32 v38, v39
	v_pk_add_f32 v[36:37], v[16:17], v[18:19] op_sel:[1,0] op_sel_hi:[0,1] neg_lo:[0,1] neg_hi:[0,1]
	v_pk_add_f32 v[44:45], v[40:41], v[36:37] op_sel_hi:[1,0] neg_lo:[0,1] neg_hi:[0,1]
	v_mov_b32_e32 v40, v41
	v_mov_b32_e32 v41, v17
	v_pk_mov_b32 v[36:37], v[18:19], v[36:37] op_sel:[1,0]
	v_mov_b32_e32 v39, v18
	v_pk_add_f32 v[36:37], v[40:41], v[36:37] neg_lo:[0,1] neg_hi:[0,1]
	v_mov_b32_e32 v44, v42
	v_pk_add_f32 v[18:19], v[38:39], v[36:37] neg_lo:[0,1] neg_hi:[0,1]
	v_mov_b32_e32 v43, v17
	v_pk_add_f32 v[36:37], v[44:45], v[18:19]
	v_cmp_neq_f32_e64 s[14:15], s19, v7
	v_pk_add_f32 v[38:39], v[36:37], v[36:37] op_sel:[0,1] op_sel_hi:[1,0]
	s_nop 0
	v_pk_add_f32 v[16:17], v[16:17], v[38:39] op_sel:[1,0] op_sel_hi:[0,1]
	v_mov_b32_e32 v37, v16
	v_pk_add_f32 v[40:41], v[36:37], v[42:43] neg_lo:[0,1] neg_hi:[0,1]
	v_mov_b32_e32 v19, v38
	v_sub_f32_e32 v15, v36, v40
	v_pk_add_f32 v[18:19], v[18:19], v[40:41] neg_lo:[0,1] neg_hi:[0,1]
	v_sub_f32_e32 v15, v42, v15
	v_add_f32_e32 v15, v18, v15
	v_add_f32_e32 v15, v15, v19
	v_add_f32_e32 v15, v16, v15
	v_cndmask_b32_e64 v15, v20, v15, s[14:15]
	s_mov_b32 s14, 0x33800000
	v_cmp_lt_f32_e64 s[14:15], |v7|, s14
	s_nop 1
	v_cndmask_b32_e64 v7, v15, v7, s[14:15]
	v_add_f32_e32 v36, v6, v7
.LBB88_224:
	s_or_b64 exec, exec, s[16:17]
	v_max_f32_e32 v15, v22, v22
	v_max_f32_e32 v6, v36, v36
	v_min_f32_e32 v7, v6, v15
	v_cmp_u_f32_e64 s[16:17], v36, v36
	v_max_f32_e32 v6, v6, v15
	v_cmp_u_f32_e64 s[14:15], v22, v22
	v_cndmask_b32_e64 v7, v7, v36, s[16:17]
	v_cndmask_b32_e64 v6, v6, v36, s[16:17]
	;; [unrolled: 1-line block ×4, first 2 shown]
	v_cmp_neq_f32_e64 s[16:17], v7, v6
	v_cmp_class_f32_e64 s[18:19], v7, s18
	s_or_b64 s[16:17], s[16:17], s[18:19]
	s_and_saveexec_b64 s[18:19], s[16:17]
	s_cbranch_execz .LBB88_226
; %bb.225:
	v_sub_f32_e32 v7, v7, v6
	s_mov_b32 s16, 0x3fb8aa3b
	v_mul_f32_e32 v16, 0x3fb8aa3b, v7
	v_fma_f32 v17, v7, s16, -v16
	v_rndne_f32_e32 v18, v16
	v_fmamk_f32 v17, v7, 0x32a5705f, v17
	v_sub_f32_e32 v16, v16, v18
	v_add_f32_e32 v16, v16, v17
	v_exp_f32_e32 v16, v16
	v_cvt_i32_f32_e32 v17, v18
	s_mov_b32 s16, 0xc2ce8ed0
	v_cmp_ngt_f32_e64 s[16:17], s16, v7
	v_mov_b32_e32 v20, 0x7f800000
	v_ldexp_f32 v16, v16, v17
	v_cndmask_b32_e64 v16, 0, v16, s[16:17]
	s_mov_b32 s16, 0x42b17218
	v_cmp_nlt_f32_e64 s[16:17], s16, v7
	s_mov_b32 s20, 0x7f800000
	s_nop 0
	v_cndmask_b32_e64 v7, v20, v16, s[16:17]
	v_add_f32_e32 v18, 1.0, v7
	v_add_f32_e32 v16, -1.0, v18
	v_sub_f32_e32 v17, v16, v18
	v_add_f32_e32 v17, 1.0, v17
	v_sub_f32_e32 v16, v7, v16
	v_add_f32_e32 v19, v16, v17
	v_frexp_mant_f32_e32 v35, v18
	s_mov_b32 s16, 0x3f2aaaab
	v_cvt_f64_f32_e32 v[16:17], v18
	v_frexp_exp_i32_f64_e32 v16, v[16:17]
	v_cmp_gt_f32_e64 s[16:17], s16, v35
	s_nop 1
	v_subbrev_co_u32_e64 v35, s[16:17], 0, v16, s[16:17]
	v_sub_u32_e32 v16, 0, v35
	v_ldexp_f32 v17, v18, v16
	v_add_f32_e32 v18, -1.0, v17
	v_add_f32_e32 v36, 1.0, v17
	v_ldexp_f32 v16, v19, v16
	v_add_f32_e32 v19, 1.0, v18
	v_add_f32_e32 v37, -1.0, v36
	v_sub_f32_e32 v19, v17, v19
	v_sub_f32_e32 v17, v17, v37
	v_add_f32_e32 v19, v16, v19
	v_add_f32_e32 v16, v16, v17
	;; [unrolled: 1-line block ×3, first 2 shown]
	v_rcp_f32_e32 v42, v40
	v_sub_f32_e32 v17, v36, v40
	v_add_f32_e32 v41, v16, v17
	v_add_f32_e32 v17, v18, v19
	v_mul_f32_e32 v44, v17, v42
	v_sub_f32_e32 v16, v18, v17
	v_mul_f32_e32 v18, v40, v44
	v_fma_f32 v36, v44, v40, -v18
	v_fmac_f32_e32 v36, v44, v41
	v_add_f32_e32 v43, v19, v16
	v_add_f32_e32 v16, v18, v36
	v_sub_f32_e32 v19, v17, v16
	v_pk_add_f32 v[38:39], v[16:17], v[18:19] neg_lo:[0,1] neg_hi:[0,1]
	v_mov_b32_e32 v37, v16
	v_pk_add_f32 v[16:17], v[38:39], v[36:37] neg_lo:[0,1] neg_hi:[0,1]
	s_mov_b32 s16, 0x3f317218
	v_add_f32_e32 v17, v43, v17
	v_add_f32_e32 v16, v16, v17
	v_add_f32_e32 v17, v19, v16
	v_mul_f32_e32 v43, v42, v17
	v_mul_f32_e32 v18, v40, v43
	v_fma_f32 v36, v43, v40, -v18
	v_fmac_f32_e32 v36, v43, v41
	v_sub_f32_e32 v19, v19, v17
	v_add_f32_e32 v40, v16, v19
	v_add_f32_e32 v16, v18, v36
	v_sub_f32_e32 v19, v17, v16
	v_pk_add_f32 v[38:39], v[16:17], v[18:19] neg_lo:[0,1] neg_hi:[0,1]
	v_mov_b32_e32 v37, v16
	v_pk_add_f32 v[16:17], v[38:39], v[36:37] neg_lo:[0,1] neg_hi:[0,1]
	v_cvt_f32_i32_e32 v18, v35
	v_add_f32_e32 v17, v40, v17
	v_add_f32_e32 v16, v16, v17
	;; [unrolled: 1-line block ×4, first 2 shown]
	v_sub_f32_e32 v17, v19, v44
	v_mul_f32_e32 v16, v42, v16
	v_sub_f32_e32 v17, v43, v17
	v_add_f32_e32 v16, v17, v16
	v_add_f32_e32 v36, v19, v16
	v_mul_f32_e32 v38, v36, v36
	v_mov_b32_e32 v17, 0x3ecc95a3
	v_sub_f32_e32 v19, v36, v19
	v_fmac_f32_e32 v17, 0x3e9b6dac, v38
	v_sub_f32_e32 v16, v16, v19
	v_fmaak_f32 v17, v38, v17, 0x3f2aaada
	v_ldexp_f32 v35, v16, 1
	v_mul_f32_e32 v19, v36, v38
	v_mov_b32_e32 v16, 0x3f317218
	v_pk_mul_f32 v[16:17], v[18:19], v[16:17]
	v_ldexp_f32 v37, v36, 1
	v_fma_f32 v19, v18, s16, -v16
	v_fmamk_f32 v36, v18, 0xb102e308, v19
	v_pk_add_f32 v[18:19], v[16:17], v[36:37]
	v_mov_b32_e32 v38, v16
	v_sub_f32_e32 v37, v19, v37
	v_sub_f32_e32 v37, v17, v37
	v_add_f32_e32 v39, v35, v37
	v_pk_add_f32 v[16:17], v[18:19], v[16:17] neg_lo:[0,1] neg_hi:[0,1]
	v_pk_add_f32 v[40:41], v[18:19], v[38:39]
	v_mov_b32_e32 v37, v18
	v_mov_b32_e32 v17, v41
	v_pk_add_f32 v[42:43], v[36:37], v[16:17] neg_lo:[0,1] neg_hi:[0,1]
	v_pk_add_f32 v[16:17], v[36:37], v[16:17]
	v_mov_b32_e32 v38, v39
	v_pk_add_f32 v[36:37], v[16:17], v[18:19] op_sel:[1,0] op_sel_hi:[0,1] neg_lo:[0,1] neg_hi:[0,1]
	v_pk_add_f32 v[44:45], v[40:41], v[36:37] op_sel_hi:[1,0] neg_lo:[0,1] neg_hi:[0,1]
	v_mov_b32_e32 v40, v41
	v_mov_b32_e32 v41, v17
	v_pk_mov_b32 v[36:37], v[18:19], v[36:37] op_sel:[1,0]
	v_mov_b32_e32 v39, v18
	v_pk_add_f32 v[36:37], v[40:41], v[36:37] neg_lo:[0,1] neg_hi:[0,1]
	v_mov_b32_e32 v44, v42
	v_pk_add_f32 v[18:19], v[38:39], v[36:37] neg_lo:[0,1] neg_hi:[0,1]
	v_mov_b32_e32 v43, v17
	v_pk_add_f32 v[36:37], v[44:45], v[18:19]
	v_cmp_neq_f32_e64 s[16:17], s20, v7
	v_pk_add_f32 v[38:39], v[36:37], v[36:37] op_sel:[0,1] op_sel_hi:[1,0]
	s_nop 0
	v_pk_add_f32 v[16:17], v[16:17], v[38:39] op_sel:[1,0] op_sel_hi:[0,1]
	v_mov_b32_e32 v37, v16
	v_pk_add_f32 v[40:41], v[36:37], v[42:43] neg_lo:[0,1] neg_hi:[0,1]
	v_mov_b32_e32 v19, v38
	v_sub_f32_e32 v17, v36, v40
	v_pk_add_f32 v[18:19], v[18:19], v[40:41] neg_lo:[0,1] neg_hi:[0,1]
	v_sub_f32_e32 v17, v42, v17
	v_add_f32_e32 v17, v18, v17
	v_add_f32_e32 v17, v17, v19
	;; [unrolled: 1-line block ×3, first 2 shown]
	v_cndmask_b32_e64 v16, v20, v16, s[16:17]
	s_mov_b32 s16, 0x33800000
	v_cmp_lt_f32_e64 s[16:17], |v7|, s16
	s_nop 1
	v_cndmask_b32_e64 v7, v16, v7, s[16:17]
	v_add_f32_e32 v36, v6, v7
.LBB88_226:
	s_or_b64 exec, exec, s[18:19]
	v_max_f32_e32 v16, v23, v23
	v_max_f32_e32 v6, v36, v36
	v_min_f32_e32 v7, v6, v16
	v_cmp_u_f32_e64 s[18:19], v36, v36
	v_max_f32_e32 v6, v6, v16
	v_cmp_u_f32_e64 s[16:17], v23, v23
	v_cndmask_b32_e64 v7, v7, v36, s[18:19]
	v_cndmask_b32_e64 v6, v6, v36, s[18:19]
	;; [unrolled: 1-line block ×4, first 2 shown]
	s_movk_i32 s22, 0x1f8
	v_cmp_neq_f32_e64 s[18:19], v7, v6
	v_cmp_class_f32_e64 s[20:21], v7, s22
	s_or_b64 s[18:19], s[18:19], s[20:21]
	s_and_saveexec_b64 s[20:21], s[18:19]
	s_cbranch_execz .LBB88_228
; %bb.227:
	v_sub_f32_e32 v7, v7, v6
	s_mov_b32 s18, 0x3fb8aa3b
	v_mul_f32_e32 v17, 0x3fb8aa3b, v7
	v_fma_f32 v18, v7, s18, -v17
	v_rndne_f32_e32 v19, v17
	v_fmamk_f32 v18, v7, 0x32a5705f, v18
	v_sub_f32_e32 v17, v17, v19
	v_add_f32_e32 v17, v17, v18
	v_exp_f32_e32 v17, v17
	v_cvt_i32_f32_e32 v18, v19
	s_mov_b32 s18, 0xc2ce8ed0
	v_cmp_ngt_f32_e64 s[18:19], s18, v7
	v_mov_b32_e32 v20, 0x7f800000
	v_ldexp_f32 v17, v17, v18
	v_cndmask_b32_e64 v17, 0, v17, s[18:19]
	s_mov_b32 s18, 0x42b17218
	v_cmp_nlt_f32_e64 s[18:19], s18, v7
	s_mov_b32 s23, 0x7f800000
	s_nop 0
	v_cndmask_b32_e64 v7, v20, v17, s[18:19]
	v_add_f32_e32 v17, 1.0, v7
	v_add_f32_e32 v18, -1.0, v17
	v_sub_f32_e32 v19, v18, v17
	v_add_f32_e32 v19, 1.0, v19
	v_sub_f32_e32 v18, v7, v18
	v_add_f32_e32 v35, v18, v19
	v_frexp_mant_f32_e32 v36, v17
	s_mov_b32 s18, 0x3f2aaaab
	v_cvt_f64_f32_e32 v[18:19], v17
	v_frexp_exp_i32_f64_e32 v18, v[18:19]
	v_cmp_gt_f32_e64 s[18:19], s18, v36
	s_nop 1
	v_subbrev_co_u32_e64 v42, s[18:19], 0, v18, s[18:19]
	v_sub_u32_e32 v18, 0, v42
	v_ldexp_f32 v17, v17, v18
	v_ldexp_f32 v18, v35, v18
	v_add_f32_e32 v35, -1.0, v17
	v_add_f32_e32 v19, 1.0, v35
	v_sub_f32_e32 v19, v17, v19
	v_add_f32_e32 v36, v18, v19
	v_add_f32_e32 v19, 1.0, v17
	v_add_f32_e32 v37, -1.0, v19
	v_sub_f32_e32 v17, v17, v37
	v_add_f32_e32 v17, v18, v17
	v_add_f32_e32 v43, v19, v17
	v_rcp_f32_e32 v44, v43
	v_sub_f32_e32 v18, v19, v43
	v_add_f32_e32 v19, v35, v36
	v_add_f32_e32 v17, v17, v18
	v_sub_f32_e32 v18, v35, v19
	v_mul_f32_e32 v45, v19, v44
	v_add_f32_e32 v35, v36, v18
	v_mul_f32_e32 v36, v43, v45
	v_fma_f32 v38, v45, v43, -v36
	v_fmac_f32_e32 v38, v45, v17
	v_add_f32_e32 v18, v36, v38
	v_sub_f32_e32 v37, v19, v18
	v_pk_add_f32 v[40:41], v[18:19], v[36:37] neg_lo:[0,1] neg_hi:[0,1]
	v_mov_b32_e32 v39, v18
	v_pk_add_f32 v[18:19], v[40:41], v[38:39] neg_lo:[0,1] neg_hi:[0,1]
	s_mov_b32 s18, 0x3f317218
	v_add_f32_e32 v19, v35, v19
	v_add_f32_e32 v18, v18, v19
	;; [unrolled: 1-line block ×3, first 2 shown]
	v_mul_f32_e32 v35, v44, v19
	v_mul_f32_e32 v36, v43, v35
	v_fma_f32 v38, v35, v43, -v36
	v_fmac_f32_e32 v38, v35, v17
	v_sub_f32_e32 v17, v37, v19
	v_add_f32_e32 v17, v18, v17
	v_add_f32_e32 v18, v36, v38
	v_sub_f32_e32 v37, v19, v18
	v_pk_add_f32 v[40:41], v[18:19], v[36:37] neg_lo:[0,1] neg_hi:[0,1]
	v_mov_b32_e32 v39, v18
	v_pk_add_f32 v[18:19], v[40:41], v[38:39] neg_lo:[0,1] neg_hi:[0,1]
	v_cvt_f32_i32_e32 v36, v42
	v_add_f32_e32 v17, v17, v19
	v_add_f32_e32 v17, v18, v17
	;; [unrolled: 1-line block ×4, first 2 shown]
	v_sub_f32_e32 v19, v18, v45
	v_mul_f32_e32 v17, v44, v17
	v_sub_f32_e32 v19, v35, v19
	v_add_f32_e32 v17, v19, v17
	v_add_f32_e32 v35, v18, v17
	v_mul_f32_e32 v37, v35, v35
	v_mov_b32_e32 v19, 0x3ecc95a3
	v_fmac_f32_e32 v19, 0x3e9b6dac, v37
	v_sub_f32_e32 v18, v35, v18
	v_fmaak_f32 v19, v37, v19, 0x3f2aaada
	v_sub_f32_e32 v17, v17, v18
	v_mul_f32_e32 v37, v35, v37
	v_mov_b32_e32 v18, 0x3f317218
	v_pk_mul_f32 v[18:19], v[36:37], v[18:19]
	v_ldexp_f32 v39, v35, 1
	v_fma_f32 v35, v36, s18, -v18
	v_fmamk_f32 v38, v36, 0xb102e308, v35
	v_pk_add_f32 v[36:37], v[18:19], v[38:39]
	v_ldexp_f32 v17, v17, 1
	v_sub_f32_e32 v35, v37, v39
	v_sub_f32_e32 v35, v19, v35
	v_add_f32_e32 v41, v17, v35
	v_mov_b32_e32 v40, v18
	v_pk_add_f32 v[18:19], v[36:37], v[18:19] neg_lo:[0,1] neg_hi:[0,1]
	v_pk_add_f32 v[42:43], v[36:37], v[40:41]
	v_mov_b32_e32 v39, v36
	v_mov_b32_e32 v19, v43
	v_pk_add_f32 v[44:45], v[38:39], v[18:19] neg_lo:[0,1] neg_hi:[0,1]
	v_pk_add_f32 v[18:19], v[38:39], v[18:19]
	v_mov_b32_e32 v40, v41
	v_pk_add_f32 v[38:39], v[18:19], v[36:37] op_sel:[1,0] op_sel_hi:[0,1] neg_lo:[0,1] neg_hi:[0,1]
	v_pk_add_f32 v[46:47], v[42:43], v[38:39] op_sel_hi:[1,0] neg_lo:[0,1] neg_hi:[0,1]
	v_mov_b32_e32 v42, v43
	v_mov_b32_e32 v43, v19
	v_pk_mov_b32 v[38:39], v[36:37], v[38:39] op_sel:[1,0]
	v_mov_b32_e32 v41, v36
	v_pk_add_f32 v[38:39], v[42:43], v[38:39] neg_lo:[0,1] neg_hi:[0,1]
	v_mov_b32_e32 v46, v44
	v_pk_add_f32 v[36:37], v[40:41], v[38:39] neg_lo:[0,1] neg_hi:[0,1]
	v_mov_b32_e32 v45, v19
	v_pk_add_f32 v[38:39], v[46:47], v[36:37]
	v_cmp_neq_f32_e64 s[18:19], s23, v7
	v_pk_add_f32 v[40:41], v[38:39], v[38:39] op_sel:[0,1] op_sel_hi:[1,0]
	s_nop 0
	v_pk_add_f32 v[18:19], v[18:19], v[40:41] op_sel:[1,0] op_sel_hi:[0,1]
	v_mov_b32_e32 v39, v18
	v_pk_add_f32 v[42:43], v[38:39], v[44:45] neg_lo:[0,1] neg_hi:[0,1]
	v_mov_b32_e32 v37, v40
	v_sub_f32_e32 v17, v38, v42
	v_pk_add_f32 v[36:37], v[36:37], v[42:43] neg_lo:[0,1] neg_hi:[0,1]
	v_sub_f32_e32 v17, v44, v17
	v_add_f32_e32 v17, v36, v17
	v_add_f32_e32 v17, v17, v37
	;; [unrolled: 1-line block ×3, first 2 shown]
	v_cndmask_b32_e64 v17, v20, v17, s[18:19]
	s_mov_b32 s18, 0x33800000
	v_cmp_lt_f32_e64 s[18:19], |v7|, s18
	s_nop 1
	v_cndmask_b32_e64 v7, v17, v7, s[18:19]
	v_add_f32_e32 v36, v6, v7
.LBB88_228:
	s_or_b64 exec, exec, s[20:21]
	v_max_f32_e32 v17, v24, v24
	v_max_f32_e32 v6, v36, v36
	v_min_f32_e32 v7, v6, v17
	v_cmp_u_f32_e64 s[20:21], v36, v36
	v_max_f32_e32 v6, v6, v17
	v_cmp_u_f32_e64 s[18:19], v24, v24
	v_cndmask_b32_e64 v7, v7, v36, s[20:21]
	v_cndmask_b32_e64 v6, v6, v36, s[20:21]
	v_cndmask_b32_e64 v7, v7, v24, s[18:19]
	v_cndmask_b32_e64 v6, v6, v24, s[18:19]
	v_cmp_neq_f32_e64 s[20:21], v7, v6
	v_cmp_class_f32_e64 s[22:23], v7, s22
	s_or_b64 s[20:21], s[20:21], s[22:23]
	s_and_saveexec_b64 s[22:23], s[20:21]
	s_cbranch_execz .LBB88_230
; %bb.229:
	v_sub_f32_e32 v7, v7, v6
	s_mov_b32 s20, 0x3fb8aa3b
	v_mul_f32_e32 v18, 0x3fb8aa3b, v7
	v_fma_f32 v19, v7, s20, -v18
	v_rndne_f32_e32 v20, v18
	v_fmamk_f32 v19, v7, 0x32a5705f, v19
	v_sub_f32_e32 v18, v18, v20
	v_add_f32_e32 v18, v18, v19
	v_exp_f32_e32 v18, v18
	v_cvt_i32_f32_e32 v19, v20
	s_mov_b32 s20, 0xc2ce8ed0
	v_cmp_ngt_f32_e64 s[20:21], s20, v7
	v_mov_b32_e32 v20, 0x7f800000
	v_ldexp_f32 v18, v18, v19
	v_cndmask_b32_e64 v18, 0, v18, s[20:21]
	s_mov_b32 s20, 0x42b17218
	v_cmp_nlt_f32_e64 s[20:21], s20, v7
	s_mov_b32 s24, 0x7f800000
	s_nop 0
	v_cndmask_b32_e64 v7, v20, v18, s[20:21]
	v_add_f32_e32 v35, 1.0, v7
	v_add_f32_e32 v18, -1.0, v35
	v_sub_f32_e32 v19, v18, v35
	v_add_f32_e32 v19, 1.0, v19
	v_sub_f32_e32 v18, v7, v18
	v_add_f32_e32 v36, v18, v19
	v_frexp_mant_f32_e32 v37, v35
	s_mov_b32 s20, 0x3f2aaaab
	v_cvt_f64_f32_e32 v[18:19], v35
	v_frexp_exp_i32_f64_e32 v18, v[18:19]
	v_cmp_gt_f32_e64 s[20:21], s20, v37
	s_nop 1
	v_subbrev_co_u32_e64 v42, s[20:21], 0, v18, s[20:21]
	v_sub_u32_e32 v18, 0, v42
	v_ldexp_f32 v19, v35, v18
	v_add_f32_e32 v35, -1.0, v19
	v_add_f32_e32 v37, 1.0, v19
	v_ldexp_f32 v18, v36, v18
	v_add_f32_e32 v36, 1.0, v35
	v_add_f32_e32 v38, -1.0, v37
	v_sub_f32_e32 v36, v19, v36
	v_sub_f32_e32 v19, v19, v38
	v_add_f32_e32 v36, v18, v36
	v_add_f32_e32 v18, v18, v19
	;; [unrolled: 1-line block ×3, first 2 shown]
	v_rcp_f32_e32 v45, v43
	v_sub_f32_e32 v19, v37, v43
	v_add_f32_e32 v44, v18, v19
	v_add_f32_e32 v19, v35, v36
	v_sub_f32_e32 v18, v35, v19
	v_mul_f32_e32 v46, v19, v45
	v_add_f32_e32 v35, v36, v18
	v_mul_f32_e32 v36, v43, v46
	v_fma_f32 v38, v46, v43, -v36
	v_fmac_f32_e32 v38, v46, v44
	v_add_f32_e32 v18, v36, v38
	v_sub_f32_e32 v37, v19, v18
	v_pk_add_f32 v[40:41], v[18:19], v[36:37] neg_lo:[0,1] neg_hi:[0,1]
	v_mov_b32_e32 v39, v18
	v_pk_add_f32 v[18:19], v[40:41], v[38:39] neg_lo:[0,1] neg_hi:[0,1]
	s_mov_b32 s20, 0x3f317218
	v_add_f32_e32 v19, v35, v19
	v_add_f32_e32 v18, v18, v19
	v_add_f32_e32 v19, v37, v18
	v_mul_f32_e32 v35, v45, v19
	v_mul_f32_e32 v36, v43, v35
	v_fma_f32 v38, v35, v43, -v36
	v_fmac_f32_e32 v38, v35, v44
	v_sub_f32_e32 v37, v37, v19
	v_add_f32_e32 v43, v18, v37
	v_add_f32_e32 v18, v36, v38
	v_sub_f32_e32 v37, v19, v18
	v_pk_add_f32 v[40:41], v[18:19], v[36:37] neg_lo:[0,1] neg_hi:[0,1]
	v_mov_b32_e32 v39, v18
	v_pk_add_f32 v[18:19], v[40:41], v[38:39] neg_lo:[0,1] neg_hi:[0,1]
	v_cvt_f32_i32_e32 v36, v42
	v_add_f32_e32 v19, v43, v19
	v_add_f32_e32 v18, v18, v19
	;; [unrolled: 1-line block ×4, first 2 shown]
	v_sub_f32_e32 v19, v37, v46
	v_mul_f32_e32 v18, v45, v18
	v_sub_f32_e32 v19, v35, v19
	v_add_f32_e32 v18, v19, v18
	v_add_f32_e32 v35, v37, v18
	v_mul_f32_e32 v38, v35, v35
	v_mov_b32_e32 v19, 0x3ecc95a3
	v_sub_f32_e32 v37, v35, v37
	v_fmac_f32_e32 v19, 0x3e9b6dac, v38
	v_sub_f32_e32 v18, v18, v37
	v_fmaak_f32 v19, v38, v19, 0x3f2aaada
	v_ldexp_f32 v40, v18, 1
	v_mul_f32_e32 v37, v35, v38
	v_mov_b32_e32 v18, 0x3f317218
	v_pk_mul_f32 v[18:19], v[36:37], v[18:19]
	v_ldexp_f32 v39, v35, 1
	v_fma_f32 v35, v36, s20, -v18
	v_fmamk_f32 v38, v36, 0xb102e308, v35
	v_pk_add_f32 v[36:37], v[18:19], v[38:39]
	v_cmp_neq_f32_e64 s[20:21], s24, v7
	v_sub_f32_e32 v35, v37, v39
	v_sub_f32_e32 v35, v19, v35
	v_add_f32_e32 v41, v40, v35
	v_mov_b32_e32 v40, v18
	v_pk_add_f32 v[18:19], v[36:37], v[18:19] neg_lo:[0,1] neg_hi:[0,1]
	v_pk_add_f32 v[42:43], v[36:37], v[40:41]
	v_mov_b32_e32 v39, v36
	v_mov_b32_e32 v19, v43
	v_pk_add_f32 v[44:45], v[38:39], v[18:19] neg_lo:[0,1] neg_hi:[0,1]
	v_pk_add_f32 v[18:19], v[38:39], v[18:19]
	v_mov_b32_e32 v40, v41
	v_pk_add_f32 v[38:39], v[18:19], v[36:37] op_sel:[1,0] op_sel_hi:[0,1] neg_lo:[0,1] neg_hi:[0,1]
	v_pk_add_f32 v[46:47], v[42:43], v[38:39] op_sel_hi:[1,0] neg_lo:[0,1] neg_hi:[0,1]
	v_mov_b32_e32 v42, v43
	v_mov_b32_e32 v43, v19
	v_pk_mov_b32 v[38:39], v[36:37], v[38:39] op_sel:[1,0]
	v_mov_b32_e32 v41, v36
	v_pk_add_f32 v[38:39], v[42:43], v[38:39] neg_lo:[0,1] neg_hi:[0,1]
	v_mov_b32_e32 v46, v44
	v_pk_add_f32 v[36:37], v[40:41], v[38:39] neg_lo:[0,1] neg_hi:[0,1]
	v_mov_b32_e32 v45, v19
	v_pk_add_f32 v[38:39], v[46:47], v[36:37]
	s_nop 0
	v_pk_add_f32 v[40:41], v[38:39], v[38:39] op_sel:[0,1] op_sel_hi:[1,0]
	s_nop 0
	v_pk_add_f32 v[18:19], v[18:19], v[40:41] op_sel:[1,0] op_sel_hi:[0,1]
	v_mov_b32_e32 v39, v18
	v_pk_add_f32 v[42:43], v[38:39], v[44:45] neg_lo:[0,1] neg_hi:[0,1]
	v_mov_b32_e32 v37, v40
	v_sub_f32_e32 v19, v38, v42
	v_pk_add_f32 v[36:37], v[36:37], v[42:43] neg_lo:[0,1] neg_hi:[0,1]
	v_sub_f32_e32 v19, v44, v19
	v_add_f32_e32 v19, v36, v19
	v_add_f32_e32 v19, v19, v37
	;; [unrolled: 1-line block ×3, first 2 shown]
	v_cndmask_b32_e64 v18, v20, v18, s[20:21]
	s_mov_b32 s20, 0x33800000
	v_cmp_lt_f32_e64 s[20:21], |v7|, s20
	s_nop 1
	v_cndmask_b32_e64 v7, v18, v7, s[20:21]
	v_add_f32_e32 v36, v6, v7
.LBB88_230:
	s_or_b64 exec, exec, s[22:23]
	v_max_f32_e32 v18, v25, v25
	v_max_f32_e32 v6, v36, v36
	v_min_f32_e32 v7, v6, v18
	v_cmp_u_f32_e64 s[22:23], v36, v36
	v_max_f32_e32 v6, v6, v18
	v_cmp_u_f32_e64 s[20:21], v25, v25
	v_cndmask_b32_e64 v7, v7, v36, s[22:23]
	v_cndmask_b32_e64 v6, v6, v36, s[22:23]
	;; [unrolled: 1-line block ×4, first 2 shown]
	s_movk_i32 s30, 0x1f8
	v_cmp_neq_f32_e64 s[22:23], v7, v6
	v_cmp_class_f32_e64 s[24:25], v7, s30
	s_or_b64 s[22:23], s[22:23], s[24:25]
	s_and_saveexec_b64 s[24:25], s[22:23]
	s_cbranch_execz .LBB88_232
; %bb.231:
	v_sub_f32_e32 v7, v7, v6
	s_mov_b32 s22, 0x3fb8aa3b
	v_mul_f32_e32 v19, 0x3fb8aa3b, v7
	v_fma_f32 v20, v7, s22, -v19
	v_rndne_f32_e32 v35, v19
	v_fmamk_f32 v20, v7, 0x32a5705f, v20
	v_sub_f32_e32 v19, v19, v35
	v_add_f32_e32 v19, v19, v20
	v_exp_f32_e32 v19, v19
	v_cvt_i32_f32_e32 v20, v35
	s_mov_b32 s22, 0xc2ce8ed0
	v_cmp_ngt_f32_e64 s[22:23], s22, v7
	s_mov_b32 s31, 0x7f800000
	v_ldexp_f32 v19, v19, v20
	v_cndmask_b32_e64 v19, 0, v19, s[22:23]
	s_mov_b32 s22, 0x42b17218
	v_mov_b32_e32 v20, 0x7f800000
	v_cmp_nlt_f32_e64 s[22:23], s22, v7
	s_nop 1
	v_cndmask_b32_e64 v7, v20, v19, s[22:23]
	v_add_f32_e32 v19, 1.0, v7
	v_add_f32_e32 v35, -1.0, v19
	v_sub_f32_e32 v36, v35, v19
	v_add_f32_e32 v36, 1.0, v36
	v_sub_f32_e32 v35, v7, v35
	v_add_f32_e32 v35, v35, v36
	v_frexp_mant_f32_e32 v38, v19
	s_mov_b32 s22, 0x3f2aaaab
	v_cvt_f64_f32_e32 v[36:37], v19
	v_frexp_exp_i32_f64_e32 v36, v[36:37]
	v_cmp_gt_f32_e64 s[22:23], s22, v38
	s_nop 1
	v_subbrev_co_u32_e64 v44, s[22:23], 0, v36, s[22:23]
	v_sub_u32_e32 v36, 0, v44
	v_ldexp_f32 v19, v19, v36
	v_ldexp_f32 v35, v35, v36
	v_add_f32_e32 v36, -1.0, v19
	v_add_f32_e32 v37, 1.0, v36
	v_sub_f32_e32 v37, v19, v37
	v_add_f32_e32 v38, v35, v37
	v_add_f32_e32 v37, 1.0, v19
	v_add_f32_e32 v39, -1.0, v37
	v_sub_f32_e32 v19, v19, v39
	v_add_f32_e32 v19, v35, v19
	v_add_f32_e32 v35, v37, v19
	v_rcp_f32_e32 v45, v35
	v_sub_f32_e32 v37, v37, v35
	v_add_f32_e32 v19, v19, v37
	v_add_f32_e32 v37, v36, v38
	v_sub_f32_e32 v36, v36, v37
	v_mul_f32_e32 v47, v37, v45
	v_add_f32_e32 v46, v38, v36
	v_mul_f32_e32 v38, v35, v47
	v_fma_f32 v40, v47, v35, -v38
	v_fmac_f32_e32 v40, v47, v19
	v_add_f32_e32 v36, v38, v40
	v_sub_f32_e32 v39, v37, v36
	v_pk_add_f32 v[42:43], v[36:37], v[38:39] neg_lo:[0,1] neg_hi:[0,1]
	v_mov_b32_e32 v41, v36
	v_pk_add_f32 v[36:37], v[42:43], v[40:41] neg_lo:[0,1] neg_hi:[0,1]
	s_mov_b32 s22, 0x3f317218
	v_add_f32_e32 v37, v46, v37
	v_add_f32_e32 v36, v36, v37
	;; [unrolled: 1-line block ×3, first 2 shown]
	v_mul_f32_e32 v46, v45, v37
	v_mul_f32_e32 v38, v35, v46
	v_fma_f32 v40, v46, v35, -v38
	v_fmac_f32_e32 v40, v46, v19
	v_sub_f32_e32 v19, v39, v37
	v_add_f32_e32 v19, v36, v19
	v_add_f32_e32 v36, v38, v40
	v_sub_f32_e32 v39, v37, v36
	v_pk_add_f32 v[42:43], v[36:37], v[38:39] neg_lo:[0,1] neg_hi:[0,1]
	v_mov_b32_e32 v41, v36
	v_pk_add_f32 v[36:37], v[42:43], v[40:41] neg_lo:[0,1] neg_hi:[0,1]
	v_add_f32_e32 v35, v47, v46
	v_add_f32_e32 v19, v19, v37
	;; [unrolled: 1-line block ×4, first 2 shown]
	v_sub_f32_e32 v36, v35, v47
	v_mul_f32_e32 v19, v45, v19
	v_sub_f32_e32 v36, v46, v36
	v_add_f32_e32 v19, v36, v19
	v_add_f32_e32 v36, v35, v19
	v_cvt_f32_i32_e32 v38, v44
	v_mul_f32_e32 v39, v36, v36
	v_mov_b32_e32 v37, 0x3ecc95a3
	v_fmac_f32_e32 v37, 0x3e9b6dac, v39
	v_fmaak_f32 v37, v39, v37, 0x3f2aaada
	v_sub_f32_e32 v35, v36, v35
	v_ldexp_f32 v41, v36, 1
	v_mul_f32_e32 v39, v36, v39
	v_mov_b32_e32 v36, 0x3f317218
	v_pk_mul_f32 v[36:37], v[38:39], v[36:37]
	v_sub_f32_e32 v19, v19, v35
	v_fma_f32 v35, v38, s22, -v36
	v_fmamk_f32 v40, v38, 0xb102e308, v35
	v_pk_add_f32 v[38:39], v[36:37], v[40:41]
	v_ldexp_f32 v19, v19, 1
	v_sub_f32_e32 v35, v39, v41
	v_sub_f32_e32 v35, v37, v35
	v_add_f32_e32 v43, v19, v35
	v_mov_b32_e32 v42, v36
	v_pk_add_f32 v[36:37], v[38:39], v[36:37] neg_lo:[0,1] neg_hi:[0,1]
	v_pk_add_f32 v[44:45], v[38:39], v[42:43]
	v_mov_b32_e32 v41, v38
	v_mov_b32_e32 v37, v45
	v_pk_add_f32 v[46:47], v[40:41], v[36:37] neg_lo:[0,1] neg_hi:[0,1]
	v_pk_add_f32 v[36:37], v[40:41], v[36:37]
	v_mov_b32_e32 v42, v43
	v_pk_add_f32 v[40:41], v[36:37], v[38:39] op_sel:[1,0] op_sel_hi:[0,1] neg_lo:[0,1] neg_hi:[0,1]
	v_pk_add_f32 v[48:49], v[44:45], v[40:41] op_sel_hi:[1,0] neg_lo:[0,1] neg_hi:[0,1]
	v_mov_b32_e32 v44, v45
	v_mov_b32_e32 v45, v37
	v_pk_mov_b32 v[40:41], v[38:39], v[40:41] op_sel:[1,0]
	v_mov_b32_e32 v43, v38
	v_pk_add_f32 v[40:41], v[44:45], v[40:41] neg_lo:[0,1] neg_hi:[0,1]
	v_mov_b32_e32 v48, v46
	v_pk_add_f32 v[38:39], v[42:43], v[40:41] neg_lo:[0,1] neg_hi:[0,1]
	v_mov_b32_e32 v47, v37
	v_pk_add_f32 v[40:41], v[48:49], v[38:39]
	v_cmp_neq_f32_e64 s[22:23], s31, v7
	v_pk_add_f32 v[42:43], v[40:41], v[40:41] op_sel:[0,1] op_sel_hi:[1,0]
	s_nop 0
	v_pk_add_f32 v[36:37], v[36:37], v[42:43] op_sel:[1,0] op_sel_hi:[0,1]
	v_mov_b32_e32 v41, v36
	v_pk_add_f32 v[44:45], v[40:41], v[46:47] neg_lo:[0,1] neg_hi:[0,1]
	v_mov_b32_e32 v39, v42
	v_sub_f32_e32 v19, v40, v44
	v_pk_add_f32 v[38:39], v[38:39], v[44:45] neg_lo:[0,1] neg_hi:[0,1]
	v_sub_f32_e32 v19, v46, v19
	v_add_f32_e32 v19, v38, v19
	v_add_f32_e32 v19, v19, v39
	;; [unrolled: 1-line block ×3, first 2 shown]
	v_cndmask_b32_e64 v19, v20, v19, s[22:23]
	s_mov_b32 s22, 0x33800000
	v_cmp_lt_f32_e64 s[22:23], |v7|, s22
	s_nop 1
	v_cndmask_b32_e64 v7, v19, v7, s[22:23]
	v_add_f32_e32 v36, v6, v7
.LBB88_232:
	s_or_b64 exec, exec, s[24:25]
	v_max_f32_e32 v19, v32, v32
	v_max_f32_e32 v6, v36, v36
	v_min_f32_e32 v7, v6, v19
	v_cmp_u_f32_e64 s[24:25], v36, v36
	v_max_f32_e32 v6, v6, v19
	v_cmp_u_f32_e64 s[22:23], v32, v32
	v_cndmask_b32_e64 v7, v7, v36, s[24:25]
	v_cndmask_b32_e64 v6, v6, v36, s[24:25]
	;; [unrolled: 1-line block ×4, first 2 shown]
	v_cmp_neq_f32_e64 s[24:25], v7, v6
	v_cmp_class_f32_e64 s[30:31], v7, s30
	s_or_b64 s[24:25], s[24:25], s[30:31]
	s_and_saveexec_b64 s[30:31], s[24:25]
	s_cbranch_execz .LBB88_234
; %bb.233:
	v_sub_f32_e32 v7, v7, v6
	s_mov_b32 s24, 0x3fb8aa3b
	v_mul_f32_e32 v20, 0x3fb8aa3b, v7
	v_fma_f32 v35, v7, s24, -v20
	v_rndne_f32_e32 v36, v20
	v_fmamk_f32 v35, v7, 0x32a5705f, v35
	v_sub_f32_e32 v20, v20, v36
	v_add_f32_e32 v20, v20, v35
	v_exp_f32_e32 v20, v20
	v_cvt_i32_f32_e32 v35, v36
	s_mov_b32 s24, 0xc2ce8ed0
	v_cmp_ngt_f32_e64 s[24:25], s24, v7
	s_mov_b32 s34, 0x7f800000
	v_ldexp_f32 v20, v20, v35
	v_cndmask_b32_e64 v20, 0, v20, s[24:25]
	s_mov_b32 s24, 0x42b17218
	v_mov_b32_e32 v35, 0x7f800000
	v_cmp_nlt_f32_e64 s[24:25], s24, v7
	s_nop 1
	v_cndmask_b32_e64 v7, v35, v20, s[24:25]
	v_add_f32_e32 v20, 1.0, v7
	v_add_f32_e32 v36, -1.0, v20
	v_sub_f32_e32 v37, v36, v20
	v_add_f32_e32 v37, 1.0, v37
	v_sub_f32_e32 v36, v7, v36
	v_add_f32_e32 v38, v36, v37
	v_frexp_mant_f32_e32 v39, v20
	s_mov_b32 s24, 0x3f2aaaab
	v_cvt_f64_f32_e32 v[36:37], v20
	v_frexp_exp_i32_f64_e32 v36, v[36:37]
	v_cmp_gt_f32_e64 s[24:25], s24, v39
	s_nop 1
	v_subbrev_co_u32_e64 v44, s[24:25], 0, v36, s[24:25]
	v_sub_u32_e32 v36, 0, v44
	v_ldexp_f32 v20, v20, v36
	v_ldexp_f32 v36, v38, v36
	v_add_f32_e32 v38, -1.0, v20
	v_add_f32_e32 v37, 1.0, v38
	v_sub_f32_e32 v37, v20, v37
	v_add_f32_e32 v39, v36, v37
	v_add_f32_e32 v37, 1.0, v20
	v_add_f32_e32 v40, -1.0, v37
	v_sub_f32_e32 v20, v20, v40
	v_add_f32_e32 v20, v36, v20
	v_add_f32_e32 v45, v37, v20
	v_rcp_f32_e32 v46, v45
	v_sub_f32_e32 v36, v37, v45
	v_add_f32_e32 v37, v38, v39
	v_add_f32_e32 v20, v20, v36
	v_mul_f32_e32 v48, v37, v46
	v_sub_f32_e32 v36, v38, v37
	v_mul_f32_e32 v38, v45, v48
	v_fma_f32 v40, v48, v45, -v38
	v_fmac_f32_e32 v40, v48, v20
	v_add_f32_e32 v47, v39, v36
	v_add_f32_e32 v36, v38, v40
	v_sub_f32_e32 v39, v37, v36
	v_pk_add_f32 v[42:43], v[36:37], v[38:39] neg_lo:[0,1] neg_hi:[0,1]
	v_mov_b32_e32 v41, v36
	v_pk_add_f32 v[36:37], v[42:43], v[40:41] neg_lo:[0,1] neg_hi:[0,1]
	s_mov_b32 s24, 0x3f317218
	v_add_f32_e32 v37, v47, v37
	v_add_f32_e32 v36, v36, v37
	v_add_f32_e32 v37, v39, v36
	v_mul_f32_e32 v47, v46, v37
	v_mul_f32_e32 v38, v45, v47
	v_fma_f32 v40, v47, v45, -v38
	v_fmac_f32_e32 v40, v47, v20
	v_sub_f32_e32 v20, v39, v37
	v_add_f32_e32 v20, v36, v20
	v_add_f32_e32 v36, v38, v40
	v_sub_f32_e32 v39, v37, v36
	v_pk_add_f32 v[42:43], v[36:37], v[38:39] neg_lo:[0,1] neg_hi:[0,1]
	v_mov_b32_e32 v41, v36
	v_pk_add_f32 v[36:37], v[42:43], v[40:41] neg_lo:[0,1] neg_hi:[0,1]
	v_cvt_f32_i32_e32 v38, v44
	v_add_f32_e32 v20, v20, v37
	v_add_f32_e32 v20, v36, v20
	;; [unrolled: 1-line block ×4, first 2 shown]
	v_sub_f32_e32 v37, v36, v48
	v_mul_f32_e32 v20, v46, v20
	v_sub_f32_e32 v37, v47, v37
	v_add_f32_e32 v20, v37, v20
	v_add_f32_e32 v39, v36, v20
	v_mul_f32_e32 v40, v39, v39
	v_mov_b32_e32 v37, 0x3ecc95a3
	v_fmac_f32_e32 v37, 0x3e9b6dac, v40
	v_sub_f32_e32 v36, v39, v36
	v_fmaak_f32 v37, v40, v37, 0x3f2aaada
	v_sub_f32_e32 v20, v20, v36
	v_ldexp_f32 v41, v39, 1
	v_mul_f32_e32 v39, v39, v40
	v_mov_b32_e32 v36, 0x3f317218
	v_pk_mul_f32 v[36:37], v[38:39], v[36:37]
	v_ldexp_f32 v20, v20, 1
	v_fma_f32 v39, v38, s24, -v36
	v_fmamk_f32 v40, v38, 0xb102e308, v39
	v_pk_add_f32 v[38:39], v[36:37], v[40:41]
	v_mov_b32_e32 v42, v36
	v_sub_f32_e32 v41, v39, v41
	v_sub_f32_e32 v41, v37, v41
	v_add_f32_e32 v43, v20, v41
	v_pk_add_f32 v[36:37], v[38:39], v[36:37] neg_lo:[0,1] neg_hi:[0,1]
	v_pk_add_f32 v[44:45], v[38:39], v[42:43]
	v_mov_b32_e32 v41, v38
	v_mov_b32_e32 v37, v45
	v_pk_add_f32 v[46:47], v[40:41], v[36:37] neg_lo:[0,1] neg_hi:[0,1]
	v_pk_add_f32 v[36:37], v[40:41], v[36:37]
	v_mov_b32_e32 v42, v43
	v_pk_add_f32 v[40:41], v[36:37], v[38:39] op_sel:[1,0] op_sel_hi:[0,1] neg_lo:[0,1] neg_hi:[0,1]
	v_pk_add_f32 v[48:49], v[44:45], v[40:41] op_sel_hi:[1,0] neg_lo:[0,1] neg_hi:[0,1]
	v_mov_b32_e32 v44, v45
	v_mov_b32_e32 v45, v37
	v_pk_mov_b32 v[40:41], v[38:39], v[40:41] op_sel:[1,0]
	v_mov_b32_e32 v43, v38
	v_pk_add_f32 v[40:41], v[44:45], v[40:41] neg_lo:[0,1] neg_hi:[0,1]
	v_mov_b32_e32 v48, v46
	v_pk_add_f32 v[38:39], v[42:43], v[40:41] neg_lo:[0,1] neg_hi:[0,1]
	v_mov_b32_e32 v47, v37
	v_pk_add_f32 v[40:41], v[48:49], v[38:39]
	v_cmp_neq_f32_e64 s[24:25], s34, v7
	v_pk_add_f32 v[42:43], v[40:41], v[40:41] op_sel:[0,1] op_sel_hi:[1,0]
	s_nop 0
	v_pk_add_f32 v[36:37], v[36:37], v[42:43] op_sel:[1,0] op_sel_hi:[0,1]
	v_mov_b32_e32 v41, v36
	v_pk_add_f32 v[44:45], v[40:41], v[46:47] neg_lo:[0,1] neg_hi:[0,1]
	v_mov_b32_e32 v39, v42
	v_sub_f32_e32 v20, v40, v44
	v_pk_add_f32 v[38:39], v[38:39], v[44:45] neg_lo:[0,1] neg_hi:[0,1]
	v_sub_f32_e32 v20, v46, v20
	v_add_f32_e32 v20, v38, v20
	v_add_f32_e32 v20, v20, v39
	;; [unrolled: 1-line block ×3, first 2 shown]
	v_cndmask_b32_e64 v20, v35, v20, s[24:25]
	s_mov_b32 s24, 0x33800000
	v_cmp_lt_f32_e64 s[24:25], |v7|, s24
	s_nop 1
	v_cndmask_b32_e64 v7, v20, v7, s[24:25]
	v_add_f32_e32 v36, v6, v7
.LBB88_234:
	s_or_b64 exec, exec, s[30:31]
	v_max_f32_e32 v20, v33, v33
	v_max_f32_e32 v6, v36, v36
	v_min_f32_e32 v7, v6, v20
	v_cmp_u_f32_e64 s[30:31], v36, v36
	v_max_f32_e32 v6, v6, v20
	v_cmp_u_f32_e64 s[24:25], v33, v33
	v_cndmask_b32_e64 v7, v7, v36, s[30:31]
	v_cndmask_b32_e64 v6, v6, v36, s[30:31]
	;; [unrolled: 1-line block ×4, first 2 shown]
	s_movk_i32 s34, 0x1f8
	v_cmp_neq_f32_e64 s[30:31], v7, v6
	v_cmp_class_f32_e64 s[34:35], v7, s34
	s_or_b64 s[30:31], s[30:31], s[34:35]
	s_and_saveexec_b64 s[34:35], s[30:31]
	s_cbranch_execz .LBB88_236
; %bb.235:
	v_sub_f32_e32 v7, v7, v6
	s_mov_b32 s30, 0x3fb8aa3b
	v_mul_f32_e32 v35, 0x3fb8aa3b, v7
	v_fma_f32 v36, v7, s30, -v35
	v_rndne_f32_e32 v37, v35
	v_fmamk_f32 v36, v7, 0x32a5705f, v36
	v_sub_f32_e32 v35, v35, v37
	v_add_f32_e32 v35, v35, v36
	v_exp_f32_e32 v35, v35
	v_cvt_i32_f32_e32 v36, v37
	s_mov_b32 s30, 0xc2ce8ed0
	v_cmp_ngt_f32_e64 s[30:31], s30, v7
	v_mov_b32_e32 v50, 0x7f800000
	v_ldexp_f32 v35, v35, v36
	v_cndmask_b32_e64 v35, 0, v35, s[30:31]
	s_mov_b32 s30, 0x42b17218
	v_cmp_nlt_f32_e64 s[30:31], s30, v7
	s_mov_b32 s36, 0x7f800000
	s_nop 0
	v_cndmask_b32_e64 v7, v50, v35, s[30:31]
	v_add_f32_e32 v35, 1.0, v7
	v_add_f32_e32 v36, -1.0, v35
	v_sub_f32_e32 v37, v36, v35
	v_add_f32_e32 v37, 1.0, v37
	v_sub_f32_e32 v36, v7, v36
	v_add_f32_e32 v38, v36, v37
	v_frexp_mant_f32_e32 v39, v35
	s_mov_b32 s30, 0x3f2aaaab
	v_cvt_f64_f32_e32 v[36:37], v35
	v_frexp_exp_i32_f64_e32 v36, v[36:37]
	v_cmp_gt_f32_e64 s[30:31], s30, v39
	s_nop 1
	v_subbrev_co_u32_e64 v44, s[30:31], 0, v36, s[30:31]
	v_sub_u32_e32 v36, 0, v44
	v_ldexp_f32 v35, v35, v36
	v_ldexp_f32 v36, v38, v36
	v_add_f32_e32 v38, -1.0, v35
	v_add_f32_e32 v37, 1.0, v38
	v_sub_f32_e32 v37, v35, v37
	v_add_f32_e32 v39, v36, v37
	v_add_f32_e32 v37, 1.0, v35
	v_add_f32_e32 v40, -1.0, v37
	v_sub_f32_e32 v35, v35, v40
	v_add_f32_e32 v35, v36, v35
	v_add_f32_e32 v45, v37, v35
	v_rcp_f32_e32 v46, v45
	v_sub_f32_e32 v36, v37, v45
	v_add_f32_e32 v37, v38, v39
	v_add_f32_e32 v35, v35, v36
	v_mul_f32_e32 v48, v37, v46
	v_sub_f32_e32 v36, v38, v37
	v_mul_f32_e32 v38, v45, v48
	v_fma_f32 v40, v48, v45, -v38
	v_fmac_f32_e32 v40, v48, v35
	v_add_f32_e32 v47, v39, v36
	v_add_f32_e32 v36, v38, v40
	v_sub_f32_e32 v39, v37, v36
	v_pk_add_f32 v[42:43], v[36:37], v[38:39] neg_lo:[0,1] neg_hi:[0,1]
	v_mov_b32_e32 v41, v36
	v_pk_add_f32 v[36:37], v[42:43], v[40:41] neg_lo:[0,1] neg_hi:[0,1]
	s_mov_b32 s30, 0x3f317218
	v_add_f32_e32 v37, v47, v37
	v_add_f32_e32 v36, v36, v37
	;; [unrolled: 1-line block ×3, first 2 shown]
	v_mul_f32_e32 v47, v46, v37
	v_mul_f32_e32 v38, v45, v47
	v_fma_f32 v40, v47, v45, -v38
	v_fmac_f32_e32 v40, v47, v35
	v_sub_f32_e32 v35, v39, v37
	v_add_f32_e32 v35, v36, v35
	v_add_f32_e32 v36, v38, v40
	v_sub_f32_e32 v39, v37, v36
	v_pk_add_f32 v[42:43], v[36:37], v[38:39] neg_lo:[0,1] neg_hi:[0,1]
	v_mov_b32_e32 v41, v36
	v_pk_add_f32 v[36:37], v[42:43], v[40:41] neg_lo:[0,1] neg_hi:[0,1]
	v_cvt_f32_i32_e32 v38, v44
	v_add_f32_e32 v35, v35, v37
	v_add_f32_e32 v35, v36, v35
	;; [unrolled: 1-line block ×4, first 2 shown]
	v_sub_f32_e32 v37, v36, v48
	v_mul_f32_e32 v35, v46, v35
	v_sub_f32_e32 v37, v47, v37
	v_add_f32_e32 v35, v37, v35
	v_add_f32_e32 v39, v36, v35
	v_mul_f32_e32 v40, v39, v39
	v_mov_b32_e32 v37, 0x3ecc95a3
	v_fmac_f32_e32 v37, 0x3e9b6dac, v40
	v_sub_f32_e32 v36, v39, v36
	v_fmaak_f32 v37, v40, v37, 0x3f2aaada
	v_sub_f32_e32 v35, v35, v36
	v_ldexp_f32 v41, v39, 1
	v_mul_f32_e32 v39, v39, v40
	v_mov_b32_e32 v36, 0x3f317218
	v_pk_mul_f32 v[36:37], v[38:39], v[36:37]
	v_ldexp_f32 v35, v35, 1
	v_fma_f32 v39, v38, s30, -v36
	v_fmamk_f32 v40, v38, 0xb102e308, v39
	v_pk_add_f32 v[38:39], v[36:37], v[40:41]
	v_mov_b32_e32 v42, v36
	v_sub_f32_e32 v41, v39, v41
	v_sub_f32_e32 v41, v37, v41
	v_add_f32_e32 v43, v35, v41
	v_pk_add_f32 v[36:37], v[38:39], v[36:37] neg_lo:[0,1] neg_hi:[0,1]
	v_pk_add_f32 v[44:45], v[38:39], v[42:43]
	v_mov_b32_e32 v41, v38
	v_mov_b32_e32 v37, v45
	v_pk_add_f32 v[46:47], v[40:41], v[36:37] neg_lo:[0,1] neg_hi:[0,1]
	v_pk_add_f32 v[36:37], v[40:41], v[36:37]
	v_mov_b32_e32 v42, v43
	v_pk_add_f32 v[40:41], v[36:37], v[38:39] op_sel:[1,0] op_sel_hi:[0,1] neg_lo:[0,1] neg_hi:[0,1]
	v_pk_add_f32 v[48:49], v[44:45], v[40:41] op_sel_hi:[1,0] neg_lo:[0,1] neg_hi:[0,1]
	v_mov_b32_e32 v44, v45
	v_mov_b32_e32 v45, v37
	v_pk_mov_b32 v[40:41], v[38:39], v[40:41] op_sel:[1,0]
	v_mov_b32_e32 v43, v38
	v_pk_add_f32 v[40:41], v[44:45], v[40:41] neg_lo:[0,1] neg_hi:[0,1]
	v_mov_b32_e32 v48, v46
	v_pk_add_f32 v[38:39], v[42:43], v[40:41] neg_lo:[0,1] neg_hi:[0,1]
	v_mov_b32_e32 v47, v37
	v_pk_add_f32 v[40:41], v[48:49], v[38:39]
	v_cmp_neq_f32_e64 s[30:31], s36, v7
	v_pk_add_f32 v[42:43], v[40:41], v[40:41] op_sel:[0,1] op_sel_hi:[1,0]
	s_nop 0
	v_pk_add_f32 v[36:37], v[36:37], v[42:43] op_sel:[1,0] op_sel_hi:[0,1]
	v_mov_b32_e32 v41, v36
	v_pk_add_f32 v[44:45], v[40:41], v[46:47] neg_lo:[0,1] neg_hi:[0,1]
	v_mov_b32_e32 v39, v42
	v_sub_f32_e32 v35, v40, v44
	v_pk_add_f32 v[38:39], v[38:39], v[44:45] neg_lo:[0,1] neg_hi:[0,1]
	v_sub_f32_e32 v35, v46, v35
	v_add_f32_e32 v35, v38, v35
	v_add_f32_e32 v35, v35, v39
	;; [unrolled: 1-line block ×3, first 2 shown]
	v_cndmask_b32_e64 v35, v50, v35, s[30:31]
	s_mov_b32 s30, 0x33800000
	v_cmp_lt_f32_e64 s[30:31], |v7|, s30
	s_nop 1
	v_cndmask_b32_e64 v7, v35, v7, s[30:31]
	v_add_f32_e32 v36, v6, v7
.LBB88_236:
	s_or_b64 exec, exec, s[34:35]
	v_lshrrev_b32_e32 v6, 3, v0
	v_and_b32_e32 v6, 28, v6
	v_lshl_add_u32 v6, v0, 2, v6
	v_cmp_gt_u32_e64 s[30:31], 64, v0
	ds_write_b32 v6, v36
	s_waitcnt lgkmcnt(0)
	s_barrier
	s_and_saveexec_b64 s[40:41], s[30:31]
	s_cbranch_execz .LBB88_276
; %bb.237:
	v_lshrrev_b32_e32 v6, 1, v0
	v_and_b32_e32 v6, 0x7c, v6
	v_lshlrev_b32_e32 v7, 4, v0
	v_add_u32_e32 v35, v6, v7
	ds_read2_b32 v[6:7], v35 offset1:1
	s_movk_i32 s54, 0x1f8
	s_waitcnt lgkmcnt(0)
	v_max_f32_e32 v39, v7, v7
	v_max_f32_e32 v37, v6, v6
	v_min_f32_e32 v38, v37, v39
	v_cmp_u_f32_e64 s[30:31], v6, v6
	v_max_f32_e32 v39, v37, v39
	v_cmp_u_f32_e64 s[34:35], v7, v7
	v_cndmask_b32_e64 v38, v38, v6, s[30:31]
	v_cndmask_b32_e64 v39, v39, v6, s[30:31]
	;; [unrolled: 1-line block ×4, first 2 shown]
	v_cmp_neq_f32_e64 s[34:35], v38, v7
	v_cmp_class_f32_e64 s[36:37], v38, s54
	s_or_b64 s[34:35], s[34:35], s[36:37]
	v_mov_b32_e32 v39, v6
	s_and_saveexec_b64 s[36:37], s[34:35]
	s_cbranch_execz .LBB88_239
; %bb.238:
	v_sub_f32_e32 v38, v38, v7
	s_mov_b32 s34, 0x3fb8aa3b
	v_mul_f32_e32 v39, 0x3fb8aa3b, v38
	v_fma_f32 v40, v38, s34, -v39
	v_rndne_f32_e32 v41, v39
	v_fmamk_f32 v40, v38, 0x32a5705f, v40
	v_sub_f32_e32 v39, v39, v41
	v_add_f32_e32 v39, v39, v40
	v_exp_f32_e32 v39, v39
	v_cvt_i32_f32_e32 v40, v41
	s_mov_b32 s34, 0xc2ce8ed0
	v_cmp_ngt_f32_e64 s[34:35], s34, v38
	v_mov_b32_e32 v52, 0x7f800000
	v_ldexp_f32 v39, v39, v40
	v_cndmask_b32_e64 v39, 0, v39, s[34:35]
	s_mov_b32 s34, 0x42b17218
	v_cmp_nlt_f32_e64 s[34:35], s34, v38
	s_mov_b32 s55, 0x7f800000
	s_nop 0
	v_cndmask_b32_e64 v53, v52, v39, s[34:35]
	v_add_f32_e32 v40, 1.0, v53
	v_add_f32_e32 v38, -1.0, v40
	v_sub_f32_e32 v39, v38, v40
	v_add_f32_e32 v39, 1.0, v39
	v_sub_f32_e32 v38, v53, v38
	v_add_f32_e32 v41, v38, v39
	v_frexp_mant_f32_e32 v42, v40
	s_mov_b32 s34, 0x3f2aaaab
	v_cvt_f64_f32_e32 v[38:39], v40
	v_frexp_exp_i32_f64_e32 v38, v[38:39]
	v_cmp_gt_f32_e64 s[34:35], s34, v42
	s_nop 1
	v_subbrev_co_u32_e64 v46, s[34:35], 0, v38, s[34:35]
	v_sub_u32_e32 v38, 0, v46
	v_ldexp_f32 v39, v40, v38
	v_add_f32_e32 v40, -1.0, v39
	v_add_f32_e32 v42, 1.0, v39
	v_ldexp_f32 v38, v41, v38
	v_add_f32_e32 v41, 1.0, v40
	v_add_f32_e32 v43, -1.0, v42
	v_sub_f32_e32 v41, v39, v41
	v_sub_f32_e32 v39, v39, v43
	v_add_f32_e32 v41, v38, v41
	v_add_f32_e32 v38, v38, v39
	;; [unrolled: 1-line block ×3, first 2 shown]
	v_rcp_f32_e32 v49, v47
	v_sub_f32_e32 v39, v42, v47
	v_add_f32_e32 v48, v38, v39
	v_add_f32_e32 v39, v40, v41
	v_mul_f32_e32 v51, v39, v49
	v_sub_f32_e32 v38, v40, v39
	v_mul_f32_e32 v40, v47, v51
	v_fma_f32 v42, v51, v47, -v40
	v_fmac_f32_e32 v42, v51, v48
	v_add_f32_e32 v50, v41, v38
	v_add_f32_e32 v38, v40, v42
	v_sub_f32_e32 v41, v39, v38
	v_pk_add_f32 v[44:45], v[38:39], v[40:41] neg_lo:[0,1] neg_hi:[0,1]
	v_mov_b32_e32 v43, v38
	v_pk_add_f32 v[38:39], v[44:45], v[42:43] neg_lo:[0,1] neg_hi:[0,1]
	s_mov_b32 s34, 0x3f317218
	v_add_f32_e32 v39, v50, v39
	v_add_f32_e32 v38, v38, v39
	;; [unrolled: 1-line block ×3, first 2 shown]
	v_mul_f32_e32 v50, v49, v39
	v_mul_f32_e32 v40, v47, v50
	v_fma_f32 v42, v50, v47, -v40
	v_fmac_f32_e32 v42, v50, v48
	v_sub_f32_e32 v41, v41, v39
	v_add_f32_e32 v47, v38, v41
	v_add_f32_e32 v38, v40, v42
	v_sub_f32_e32 v41, v39, v38
	v_pk_add_f32 v[44:45], v[38:39], v[40:41] neg_lo:[0,1] neg_hi:[0,1]
	v_mov_b32_e32 v43, v38
	v_pk_add_f32 v[38:39], v[44:45], v[42:43] neg_lo:[0,1] neg_hi:[0,1]
	v_cvt_f32_i32_e32 v40, v46
	v_add_f32_e32 v39, v47, v39
	v_add_f32_e32 v38, v38, v39
	;; [unrolled: 1-line block ×4, first 2 shown]
	v_sub_f32_e32 v39, v41, v51
	v_mul_f32_e32 v38, v49, v38
	v_sub_f32_e32 v39, v50, v39
	v_add_f32_e32 v38, v39, v38
	v_add_f32_e32 v42, v41, v38
	v_mul_f32_e32 v44, v42, v42
	v_mov_b32_e32 v39, 0x3ecc95a3
	v_sub_f32_e32 v41, v42, v41
	v_fmac_f32_e32 v39, 0x3e9b6dac, v44
	v_sub_f32_e32 v38, v38, v41
	v_fmaak_f32 v39, v44, v39, 0x3f2aaada
	v_ldexp_f32 v45, v38, 1
	v_mul_f32_e32 v41, v42, v44
	v_mov_b32_e32 v38, 0x3f317218
	v_pk_mul_f32 v[38:39], v[40:41], v[38:39]
	v_ldexp_f32 v43, v42, 1
	v_fma_f32 v41, v40, s34, -v38
	v_fmamk_f32 v42, v40, 0xb102e308, v41
	v_pk_add_f32 v[40:41], v[38:39], v[42:43]
	v_mov_b32_e32 v44, v38
	v_sub_f32_e32 v43, v41, v43
	v_sub_f32_e32 v43, v39, v43
	v_add_f32_e32 v45, v45, v43
	v_pk_add_f32 v[38:39], v[40:41], v[38:39] neg_lo:[0,1] neg_hi:[0,1]
	v_pk_add_f32 v[46:47], v[40:41], v[44:45]
	v_mov_b32_e32 v43, v40
	v_mov_b32_e32 v39, v47
	v_pk_add_f32 v[48:49], v[42:43], v[38:39] neg_lo:[0,1] neg_hi:[0,1]
	v_pk_add_f32 v[38:39], v[42:43], v[38:39]
	v_mov_b32_e32 v44, v45
	v_pk_add_f32 v[42:43], v[38:39], v[40:41] op_sel:[1,0] op_sel_hi:[0,1] neg_lo:[0,1] neg_hi:[0,1]
	v_pk_add_f32 v[50:51], v[46:47], v[42:43] op_sel_hi:[1,0] neg_lo:[0,1] neg_hi:[0,1]
	v_mov_b32_e32 v46, v47
	v_mov_b32_e32 v47, v39
	v_pk_mov_b32 v[42:43], v[40:41], v[42:43] op_sel:[1,0]
	v_mov_b32_e32 v45, v40
	v_pk_add_f32 v[42:43], v[46:47], v[42:43] neg_lo:[0,1] neg_hi:[0,1]
	v_mov_b32_e32 v50, v48
	v_pk_add_f32 v[40:41], v[44:45], v[42:43] neg_lo:[0,1] neg_hi:[0,1]
	v_mov_b32_e32 v49, v39
	v_pk_add_f32 v[42:43], v[50:51], v[40:41]
	v_cmp_neq_f32_e64 s[34:35], s55, v53
	v_pk_add_f32 v[44:45], v[42:43], v[42:43] op_sel:[0,1] op_sel_hi:[1,0]
	s_nop 0
	v_pk_add_f32 v[38:39], v[38:39], v[44:45] op_sel:[1,0] op_sel_hi:[0,1]
	v_mov_b32_e32 v43, v38
	v_pk_add_f32 v[46:47], v[42:43], v[48:49] neg_lo:[0,1] neg_hi:[0,1]
	v_mov_b32_e32 v41, v44
	v_sub_f32_e32 v39, v42, v46
	v_pk_add_f32 v[40:41], v[40:41], v[46:47] neg_lo:[0,1] neg_hi:[0,1]
	v_sub_f32_e32 v39, v48, v39
	v_add_f32_e32 v39, v40, v39
	v_add_f32_e32 v39, v39, v41
	;; [unrolled: 1-line block ×3, first 2 shown]
	v_cndmask_b32_e64 v38, v52, v38, s[34:35]
	s_mov_b32 s34, 0x33800000
	v_cmp_lt_f32_e64 s[34:35], |v53|, s34
	s_nop 1
	v_cndmask_b32_e64 v38, v38, v53, s[34:35]
	v_add_f32_e32 v39, v7, v38
.LBB88_239:
	s_or_b64 exec, exec, s[36:37]
	ds_read_b32 v7, v35 offset:8
	v_max_f32_e32 v38, v39, v39
	v_cmp_u_f32_e64 s[34:35], v39, v39
	s_waitcnt lgkmcnt(0)
	v_max_f32_e32 v40, v7, v7
	v_min_f32_e32 v41, v38, v40
	v_max_f32_e32 v40, v38, v40
	v_cndmask_b32_e64 v38, v41, v39, s[34:35]
	v_cmp_u_f32_e64 s[36:37], v7, v7
	v_cndmask_b32_e64 v40, v40, v39, s[34:35]
	s_nop 0
	v_cndmask_b32_e64 v38, v38, v7, s[36:37]
	v_cndmask_b32_e64 v7, v40, v7, s[36:37]
	v_cmp_neq_f32_e64 s[34:35], v38, v7
	v_cmp_class_f32_e64 s[36:37], v38, s54
	s_or_b64 s[34:35], s[34:35], s[36:37]
	s_and_saveexec_b64 s[36:37], s[34:35]
	s_cbranch_execz .LBB88_241
; %bb.240:
	v_sub_f32_e32 v38, v38, v7
	s_mov_b32 s34, 0x3fb8aa3b
	v_mul_f32_e32 v39, 0x3fb8aa3b, v38
	v_fma_f32 v40, v38, s34, -v39
	v_rndne_f32_e32 v41, v39
	v_fmamk_f32 v40, v38, 0x32a5705f, v40
	v_sub_f32_e32 v39, v39, v41
	v_add_f32_e32 v39, v39, v40
	v_exp_f32_e32 v39, v39
	v_cvt_i32_f32_e32 v40, v41
	s_mov_b32 s34, 0xc2ce8ed0
	v_cmp_ngt_f32_e64 s[34:35], s34, v38
	v_mov_b32_e32 v52, 0x7f800000
	v_ldexp_f32 v39, v39, v40
	v_cndmask_b32_e64 v39, 0, v39, s[34:35]
	s_mov_b32 s34, 0x42b17218
	v_cmp_nlt_f32_e64 s[34:35], s34, v38
	s_mov_b32 s54, 0x7f800000
	s_nop 0
	v_cndmask_b32_e64 v53, v52, v39, s[34:35]
	v_add_f32_e32 v40, 1.0, v53
	v_add_f32_e32 v38, -1.0, v40
	v_sub_f32_e32 v39, v38, v40
	v_add_f32_e32 v39, 1.0, v39
	v_sub_f32_e32 v38, v53, v38
	v_add_f32_e32 v41, v38, v39
	v_frexp_mant_f32_e32 v42, v40
	s_mov_b32 s34, 0x3f2aaaab
	v_cvt_f64_f32_e32 v[38:39], v40
	v_frexp_exp_i32_f64_e32 v38, v[38:39]
	v_cmp_gt_f32_e64 s[34:35], s34, v42
	s_nop 1
	v_subbrev_co_u32_e64 v46, s[34:35], 0, v38, s[34:35]
	v_sub_u32_e32 v38, 0, v46
	v_ldexp_f32 v39, v40, v38
	v_add_f32_e32 v40, -1.0, v39
	v_add_f32_e32 v42, 1.0, v39
	v_ldexp_f32 v38, v41, v38
	v_add_f32_e32 v41, 1.0, v40
	v_add_f32_e32 v43, -1.0, v42
	v_sub_f32_e32 v41, v39, v41
	v_sub_f32_e32 v39, v39, v43
	v_add_f32_e32 v41, v38, v41
	v_add_f32_e32 v38, v38, v39
	;; [unrolled: 1-line block ×3, first 2 shown]
	v_rcp_f32_e32 v49, v47
	v_sub_f32_e32 v39, v42, v47
	v_add_f32_e32 v48, v38, v39
	v_add_f32_e32 v39, v40, v41
	v_mul_f32_e32 v51, v39, v49
	v_sub_f32_e32 v38, v40, v39
	v_mul_f32_e32 v40, v47, v51
	v_fma_f32 v42, v51, v47, -v40
	v_fmac_f32_e32 v42, v51, v48
	v_add_f32_e32 v50, v41, v38
	v_add_f32_e32 v38, v40, v42
	v_sub_f32_e32 v41, v39, v38
	v_pk_add_f32 v[44:45], v[38:39], v[40:41] neg_lo:[0,1] neg_hi:[0,1]
	v_mov_b32_e32 v43, v38
	v_pk_add_f32 v[38:39], v[44:45], v[42:43] neg_lo:[0,1] neg_hi:[0,1]
	s_mov_b32 s34, 0x3f317218
	v_add_f32_e32 v39, v50, v39
	v_add_f32_e32 v38, v38, v39
	;; [unrolled: 1-line block ×3, first 2 shown]
	v_mul_f32_e32 v50, v49, v39
	v_mul_f32_e32 v40, v47, v50
	v_fma_f32 v42, v50, v47, -v40
	v_fmac_f32_e32 v42, v50, v48
	v_sub_f32_e32 v41, v41, v39
	v_add_f32_e32 v47, v38, v41
	v_add_f32_e32 v38, v40, v42
	v_sub_f32_e32 v41, v39, v38
	v_pk_add_f32 v[44:45], v[38:39], v[40:41] neg_lo:[0,1] neg_hi:[0,1]
	v_mov_b32_e32 v43, v38
	v_pk_add_f32 v[38:39], v[44:45], v[42:43] neg_lo:[0,1] neg_hi:[0,1]
	v_cvt_f32_i32_e32 v40, v46
	v_add_f32_e32 v39, v47, v39
	v_add_f32_e32 v38, v38, v39
	;; [unrolled: 1-line block ×4, first 2 shown]
	v_sub_f32_e32 v39, v41, v51
	v_mul_f32_e32 v38, v49, v38
	v_sub_f32_e32 v39, v50, v39
	v_add_f32_e32 v38, v39, v38
	v_add_f32_e32 v42, v41, v38
	v_mul_f32_e32 v44, v42, v42
	v_mov_b32_e32 v39, 0x3ecc95a3
	v_sub_f32_e32 v41, v42, v41
	v_fmac_f32_e32 v39, 0x3e9b6dac, v44
	v_sub_f32_e32 v38, v38, v41
	v_fmaak_f32 v39, v44, v39, 0x3f2aaada
	v_ldexp_f32 v45, v38, 1
	v_mul_f32_e32 v41, v42, v44
	v_mov_b32_e32 v38, 0x3f317218
	v_pk_mul_f32 v[38:39], v[40:41], v[38:39]
	v_ldexp_f32 v43, v42, 1
	v_fma_f32 v41, v40, s34, -v38
	v_fmamk_f32 v42, v40, 0xb102e308, v41
	v_pk_add_f32 v[40:41], v[38:39], v[42:43]
	v_mov_b32_e32 v44, v38
	v_sub_f32_e32 v43, v41, v43
	v_sub_f32_e32 v43, v39, v43
	v_add_f32_e32 v45, v45, v43
	v_pk_add_f32 v[38:39], v[40:41], v[38:39] neg_lo:[0,1] neg_hi:[0,1]
	v_pk_add_f32 v[46:47], v[40:41], v[44:45]
	v_mov_b32_e32 v43, v40
	v_mov_b32_e32 v39, v47
	v_pk_add_f32 v[48:49], v[42:43], v[38:39] neg_lo:[0,1] neg_hi:[0,1]
	v_pk_add_f32 v[38:39], v[42:43], v[38:39]
	v_mov_b32_e32 v44, v45
	v_pk_add_f32 v[42:43], v[38:39], v[40:41] op_sel:[1,0] op_sel_hi:[0,1] neg_lo:[0,1] neg_hi:[0,1]
	v_pk_add_f32 v[50:51], v[46:47], v[42:43] op_sel_hi:[1,0] neg_lo:[0,1] neg_hi:[0,1]
	v_mov_b32_e32 v46, v47
	v_mov_b32_e32 v47, v39
	v_pk_mov_b32 v[42:43], v[40:41], v[42:43] op_sel:[1,0]
	v_mov_b32_e32 v45, v40
	v_pk_add_f32 v[42:43], v[46:47], v[42:43] neg_lo:[0,1] neg_hi:[0,1]
	v_mov_b32_e32 v50, v48
	v_pk_add_f32 v[40:41], v[44:45], v[42:43] neg_lo:[0,1] neg_hi:[0,1]
	v_mov_b32_e32 v49, v39
	v_pk_add_f32 v[42:43], v[50:51], v[40:41]
	v_cmp_neq_f32_e64 s[34:35], s54, v53
	v_pk_add_f32 v[44:45], v[42:43], v[42:43] op_sel:[0,1] op_sel_hi:[1,0]
	s_nop 0
	v_pk_add_f32 v[38:39], v[38:39], v[44:45] op_sel:[1,0] op_sel_hi:[0,1]
	v_mov_b32_e32 v43, v38
	v_pk_add_f32 v[46:47], v[42:43], v[48:49] neg_lo:[0,1] neg_hi:[0,1]
	v_mov_b32_e32 v41, v44
	v_sub_f32_e32 v39, v42, v46
	v_pk_add_f32 v[40:41], v[40:41], v[46:47] neg_lo:[0,1] neg_hi:[0,1]
	v_sub_f32_e32 v39, v48, v39
	v_add_f32_e32 v39, v40, v39
	v_add_f32_e32 v39, v39, v41
	;; [unrolled: 1-line block ×3, first 2 shown]
	v_cndmask_b32_e64 v38, v52, v38, s[34:35]
	s_mov_b32 s34, 0x33800000
	v_cmp_lt_f32_e64 s[34:35], |v53|, s34
	s_nop 1
	v_cndmask_b32_e64 v38, v38, v53, s[34:35]
	v_add_f32_e32 v39, v7, v38
.LBB88_241:
	s_or_b64 exec, exec, s[36:37]
	ds_read_b32 v7, v35 offset:12
	v_max_f32_e32 v38, v39, v39
	v_cmp_u_f32_e64 s[34:35], v39, v39
	s_waitcnt lgkmcnt(0)
	v_max_f32_e32 v40, v7, v7
	v_min_f32_e32 v41, v38, v40
	v_max_f32_e32 v40, v38, v40
	v_cndmask_b32_e64 v38, v41, v39, s[34:35]
	v_cmp_u_f32_e64 s[36:37], v7, v7
	v_cndmask_b32_e64 v40, v40, v39, s[34:35]
	s_nop 0
	v_cndmask_b32_e64 v38, v38, v7, s[36:37]
	v_cndmask_b32_e64 v7, v40, v7, s[36:37]
	s_movk_i32 s36, 0x1f8
	v_cmp_neq_f32_e64 s[34:35], v38, v7
	v_cmp_class_f32_e64 s[36:37], v38, s36
	s_or_b64 s[34:35], s[34:35], s[36:37]
	s_and_saveexec_b64 s[36:37], s[34:35]
	s_cbranch_execz .LBB88_243
; %bb.242:
	v_sub_f32_e32 v38, v38, v7
	s_mov_b32 s34, 0x3fb8aa3b
	v_mul_f32_e32 v39, 0x3fb8aa3b, v38
	v_fma_f32 v40, v38, s34, -v39
	v_rndne_f32_e32 v41, v39
	v_fmamk_f32 v40, v38, 0x32a5705f, v40
	v_sub_f32_e32 v39, v39, v41
	v_add_f32_e32 v39, v39, v40
	v_exp_f32_e32 v39, v39
	v_cvt_i32_f32_e32 v40, v41
	s_mov_b32 s34, 0xc2ce8ed0
	v_cmp_ngt_f32_e64 s[34:35], s34, v38
	v_mov_b32_e32 v52, 0x7f800000
	v_ldexp_f32 v39, v39, v40
	v_cndmask_b32_e64 v39, 0, v39, s[34:35]
	s_mov_b32 s34, 0x42b17218
	v_cmp_nlt_f32_e64 s[34:35], s34, v38
	s_mov_b32 s54, 0x7f800000
	s_nop 0
	v_cndmask_b32_e64 v53, v52, v39, s[34:35]
	v_add_f32_e32 v40, 1.0, v53
	v_add_f32_e32 v38, -1.0, v40
	v_sub_f32_e32 v39, v38, v40
	v_add_f32_e32 v39, 1.0, v39
	v_sub_f32_e32 v38, v53, v38
	v_add_f32_e32 v41, v38, v39
	v_frexp_mant_f32_e32 v42, v40
	s_mov_b32 s34, 0x3f2aaaab
	v_cvt_f64_f32_e32 v[38:39], v40
	v_frexp_exp_i32_f64_e32 v38, v[38:39]
	v_cmp_gt_f32_e64 s[34:35], s34, v42
	s_nop 1
	v_subbrev_co_u32_e64 v46, s[34:35], 0, v38, s[34:35]
	v_sub_u32_e32 v38, 0, v46
	v_ldexp_f32 v39, v40, v38
	v_add_f32_e32 v40, -1.0, v39
	v_add_f32_e32 v42, 1.0, v39
	v_ldexp_f32 v38, v41, v38
	v_add_f32_e32 v41, 1.0, v40
	v_add_f32_e32 v43, -1.0, v42
	v_sub_f32_e32 v41, v39, v41
	v_sub_f32_e32 v39, v39, v43
	v_add_f32_e32 v41, v38, v41
	v_add_f32_e32 v38, v38, v39
	;; [unrolled: 1-line block ×3, first 2 shown]
	v_rcp_f32_e32 v49, v47
	v_sub_f32_e32 v39, v42, v47
	v_add_f32_e32 v48, v38, v39
	v_add_f32_e32 v39, v40, v41
	v_mul_f32_e32 v51, v39, v49
	v_sub_f32_e32 v38, v40, v39
	v_mul_f32_e32 v40, v47, v51
	v_fma_f32 v42, v51, v47, -v40
	v_fmac_f32_e32 v42, v51, v48
	v_add_f32_e32 v50, v41, v38
	v_add_f32_e32 v38, v40, v42
	v_sub_f32_e32 v41, v39, v38
	v_pk_add_f32 v[44:45], v[38:39], v[40:41] neg_lo:[0,1] neg_hi:[0,1]
	v_mov_b32_e32 v43, v38
	v_pk_add_f32 v[38:39], v[44:45], v[42:43] neg_lo:[0,1] neg_hi:[0,1]
	s_mov_b32 s34, 0x3f317218
	v_add_f32_e32 v39, v50, v39
	v_add_f32_e32 v38, v38, v39
	;; [unrolled: 1-line block ×3, first 2 shown]
	v_mul_f32_e32 v50, v49, v39
	v_mul_f32_e32 v40, v47, v50
	v_fma_f32 v42, v50, v47, -v40
	v_fmac_f32_e32 v42, v50, v48
	v_sub_f32_e32 v41, v41, v39
	v_add_f32_e32 v47, v38, v41
	v_add_f32_e32 v38, v40, v42
	v_sub_f32_e32 v41, v39, v38
	v_pk_add_f32 v[44:45], v[38:39], v[40:41] neg_lo:[0,1] neg_hi:[0,1]
	v_mov_b32_e32 v43, v38
	v_pk_add_f32 v[38:39], v[44:45], v[42:43] neg_lo:[0,1] neg_hi:[0,1]
	v_cvt_f32_i32_e32 v40, v46
	v_add_f32_e32 v39, v47, v39
	v_add_f32_e32 v38, v38, v39
	;; [unrolled: 1-line block ×4, first 2 shown]
	v_sub_f32_e32 v39, v41, v51
	v_mul_f32_e32 v38, v49, v38
	v_sub_f32_e32 v39, v50, v39
	v_add_f32_e32 v38, v39, v38
	v_add_f32_e32 v42, v41, v38
	v_mul_f32_e32 v44, v42, v42
	v_mov_b32_e32 v39, 0x3ecc95a3
	v_sub_f32_e32 v41, v42, v41
	v_fmac_f32_e32 v39, 0x3e9b6dac, v44
	v_sub_f32_e32 v38, v38, v41
	v_fmaak_f32 v39, v44, v39, 0x3f2aaada
	v_ldexp_f32 v45, v38, 1
	v_mul_f32_e32 v41, v42, v44
	v_mov_b32_e32 v38, 0x3f317218
	v_pk_mul_f32 v[38:39], v[40:41], v[38:39]
	v_ldexp_f32 v43, v42, 1
	v_fma_f32 v41, v40, s34, -v38
	v_fmamk_f32 v42, v40, 0xb102e308, v41
	v_pk_add_f32 v[40:41], v[38:39], v[42:43]
	v_mov_b32_e32 v44, v38
	v_sub_f32_e32 v43, v41, v43
	v_sub_f32_e32 v43, v39, v43
	v_add_f32_e32 v45, v45, v43
	v_pk_add_f32 v[38:39], v[40:41], v[38:39] neg_lo:[0,1] neg_hi:[0,1]
	v_pk_add_f32 v[46:47], v[40:41], v[44:45]
	v_mov_b32_e32 v43, v40
	v_mov_b32_e32 v39, v47
	v_pk_add_f32 v[48:49], v[42:43], v[38:39] neg_lo:[0,1] neg_hi:[0,1]
	v_pk_add_f32 v[38:39], v[42:43], v[38:39]
	v_mov_b32_e32 v44, v45
	v_pk_add_f32 v[42:43], v[38:39], v[40:41] op_sel:[1,0] op_sel_hi:[0,1] neg_lo:[0,1] neg_hi:[0,1]
	v_pk_add_f32 v[50:51], v[46:47], v[42:43] op_sel_hi:[1,0] neg_lo:[0,1] neg_hi:[0,1]
	v_mov_b32_e32 v46, v47
	v_mov_b32_e32 v47, v39
	v_pk_mov_b32 v[42:43], v[40:41], v[42:43] op_sel:[1,0]
	v_mov_b32_e32 v45, v40
	v_pk_add_f32 v[42:43], v[46:47], v[42:43] neg_lo:[0,1] neg_hi:[0,1]
	v_mov_b32_e32 v50, v48
	v_pk_add_f32 v[40:41], v[44:45], v[42:43] neg_lo:[0,1] neg_hi:[0,1]
	v_mov_b32_e32 v49, v39
	v_pk_add_f32 v[42:43], v[50:51], v[40:41]
	v_cmp_neq_f32_e64 s[34:35], s54, v53
	v_pk_add_f32 v[44:45], v[42:43], v[42:43] op_sel:[0,1] op_sel_hi:[1,0]
	s_nop 0
	v_pk_add_f32 v[38:39], v[38:39], v[44:45] op_sel:[1,0] op_sel_hi:[0,1]
	v_mov_b32_e32 v43, v38
	v_pk_add_f32 v[46:47], v[42:43], v[48:49] neg_lo:[0,1] neg_hi:[0,1]
	v_mov_b32_e32 v41, v44
	v_sub_f32_e32 v39, v42, v46
	v_pk_add_f32 v[40:41], v[40:41], v[46:47] neg_lo:[0,1] neg_hi:[0,1]
	v_sub_f32_e32 v39, v48, v39
	v_add_f32_e32 v39, v40, v39
	v_add_f32_e32 v39, v39, v41
	;; [unrolled: 1-line block ×3, first 2 shown]
	v_cndmask_b32_e64 v38, v52, v38, s[34:35]
	s_mov_b32 s34, 0x33800000
	v_cmp_lt_f32_e64 s[34:35], |v53|, s34
	s_nop 1
	v_cndmask_b32_e64 v38, v38, v53, s[34:35]
	v_add_f32_e32 v39, v7, v38
.LBB88_243:
	s_or_b64 exec, exec, s[36:37]
	v_mbcnt_lo_u32_b32 v7, -1, 0
	v_mbcnt_hi_u32_b32 v7, -1, v7
	v_and_b32_e32 v38, 15, v7
	v_mov_b32_dpp v40, v39 row_shr:1 row_mask:0xf bank_mask:0xf
	v_cmp_ne_u32_e64 s[34:35], 0, v38
	s_and_saveexec_b64 s[36:37], s[34:35]
	s_xor_b64 s[54:55], exec, s[36:37]
	s_cbranch_execz .LBB88_247
; %bb.244:
	v_max_f32_e32 v42, v39, v39
	v_max_f32_e32 v43, v40, v40
	v_min_f32_e32 v41, v43, v42
	v_cmp_u_f32_e64 s[34:35], v40, v40
	v_max_f32_e32 v42, v43, v42
	v_cmp_u_f32_e64 s[36:37], v39, v39
	v_cndmask_b32_e64 v41, v41, v40, s[34:35]
	v_cndmask_b32_e64 v42, v42, v40, s[34:35]
	;; [unrolled: 1-line block ×4, first 2 shown]
	s_movk_i32 s36, 0x1f8
	v_cmp_neq_f32_e64 s[34:35], v41, v39
	v_cmp_class_f32_e64 s[36:37], v41, s36
	s_or_b64 s[34:35], s[34:35], s[36:37]
	s_and_saveexec_b64 s[36:37], s[34:35]
	s_cbranch_execz .LBB88_246
; %bb.245:
	v_sub_f32_e32 v40, v41, v39
	s_mov_b32 s34, 0x3fb8aa3b
	v_mul_f32_e32 v41, 0x3fb8aa3b, v40
	v_fma_f32 v42, v40, s34, -v41
	v_rndne_f32_e32 v43, v41
	v_fmamk_f32 v42, v40, 0x32a5705f, v42
	v_sub_f32_e32 v41, v41, v43
	v_add_f32_e32 v41, v41, v42
	v_exp_f32_e32 v41, v41
	v_cvt_i32_f32_e32 v42, v43
	s_mov_b32 s34, 0xc2ce8ed0
	v_cmp_ngt_f32_e64 s[34:35], s34, v40
	v_mov_b32_e32 v54, 0x7f800000
	v_ldexp_f32 v41, v41, v42
	v_cndmask_b32_e64 v41, 0, v41, s[34:35]
	s_mov_b32 s34, 0x42b17218
	v_cmp_nlt_f32_e64 s[34:35], s34, v40
	s_mov_b32 s57, 0x7f800000
	s_nop 0
	v_cndmask_b32_e64 v55, v54, v41, s[34:35]
	v_add_f32_e32 v42, 1.0, v55
	v_add_f32_e32 v40, -1.0, v42
	v_sub_f32_e32 v41, v40, v42
	v_add_f32_e32 v41, 1.0, v41
	v_sub_f32_e32 v40, v55, v40
	v_add_f32_e32 v43, v40, v41
	v_frexp_mant_f32_e32 v44, v42
	s_mov_b32 s34, 0x3f2aaaab
	v_cvt_f64_f32_e32 v[40:41], v42
	v_frexp_exp_i32_f64_e32 v40, v[40:41]
	v_cmp_gt_f32_e64 s[34:35], s34, v44
	s_nop 1
	v_subbrev_co_u32_e64 v48, s[34:35], 0, v40, s[34:35]
	v_sub_u32_e32 v40, 0, v48
	v_ldexp_f32 v41, v42, v40
	v_add_f32_e32 v42, -1.0, v41
	v_add_f32_e32 v44, 1.0, v41
	v_ldexp_f32 v40, v43, v40
	v_add_f32_e32 v43, 1.0, v42
	v_add_f32_e32 v45, -1.0, v44
	v_sub_f32_e32 v43, v41, v43
	v_sub_f32_e32 v41, v41, v45
	v_add_f32_e32 v43, v40, v43
	v_add_f32_e32 v40, v40, v41
	;; [unrolled: 1-line block ×3, first 2 shown]
	v_rcp_f32_e32 v51, v49
	v_sub_f32_e32 v41, v44, v49
	v_add_f32_e32 v50, v40, v41
	v_add_f32_e32 v41, v42, v43
	v_mul_f32_e32 v53, v41, v51
	v_sub_f32_e32 v40, v42, v41
	v_mul_f32_e32 v42, v49, v53
	v_fma_f32 v44, v53, v49, -v42
	v_fmac_f32_e32 v44, v53, v50
	v_add_f32_e32 v52, v43, v40
	v_add_f32_e32 v40, v42, v44
	v_sub_f32_e32 v43, v41, v40
	v_pk_add_f32 v[46:47], v[40:41], v[42:43] neg_lo:[0,1] neg_hi:[0,1]
	v_mov_b32_e32 v45, v40
	v_pk_add_f32 v[40:41], v[46:47], v[44:45] neg_lo:[0,1] neg_hi:[0,1]
	s_mov_b32 s34, 0x3f317218
	v_add_f32_e32 v41, v52, v41
	v_add_f32_e32 v40, v40, v41
	;; [unrolled: 1-line block ×3, first 2 shown]
	v_mul_f32_e32 v52, v51, v41
	v_mul_f32_e32 v42, v49, v52
	v_fma_f32 v44, v52, v49, -v42
	v_fmac_f32_e32 v44, v52, v50
	v_sub_f32_e32 v43, v43, v41
	v_add_f32_e32 v49, v40, v43
	v_add_f32_e32 v40, v42, v44
	v_sub_f32_e32 v43, v41, v40
	v_pk_add_f32 v[46:47], v[40:41], v[42:43] neg_lo:[0,1] neg_hi:[0,1]
	v_mov_b32_e32 v45, v40
	v_pk_add_f32 v[40:41], v[46:47], v[44:45] neg_lo:[0,1] neg_hi:[0,1]
	v_cvt_f32_i32_e32 v42, v48
	v_add_f32_e32 v41, v49, v41
	v_add_f32_e32 v40, v40, v41
	;; [unrolled: 1-line block ×4, first 2 shown]
	v_sub_f32_e32 v41, v43, v53
	v_mul_f32_e32 v40, v51, v40
	v_sub_f32_e32 v41, v52, v41
	v_add_f32_e32 v40, v41, v40
	v_add_f32_e32 v44, v43, v40
	v_mul_f32_e32 v46, v44, v44
	v_mov_b32_e32 v41, 0x3ecc95a3
	v_sub_f32_e32 v43, v44, v43
	v_fmac_f32_e32 v41, 0x3e9b6dac, v46
	v_sub_f32_e32 v40, v40, v43
	v_fmaak_f32 v41, v46, v41, 0x3f2aaada
	v_ldexp_f32 v47, v40, 1
	v_mul_f32_e32 v43, v44, v46
	v_mov_b32_e32 v40, 0x3f317218
	v_pk_mul_f32 v[40:41], v[42:43], v[40:41]
	v_ldexp_f32 v45, v44, 1
	v_fma_f32 v43, v42, s34, -v40
	v_fmamk_f32 v44, v42, 0xb102e308, v43
	v_pk_add_f32 v[42:43], v[40:41], v[44:45]
	v_mov_b32_e32 v46, v40
	v_sub_f32_e32 v45, v43, v45
	v_sub_f32_e32 v45, v41, v45
	v_add_f32_e32 v47, v47, v45
	v_pk_add_f32 v[40:41], v[42:43], v[40:41] neg_lo:[0,1] neg_hi:[0,1]
	v_pk_add_f32 v[48:49], v[42:43], v[46:47]
	v_mov_b32_e32 v45, v42
	v_mov_b32_e32 v41, v49
	v_pk_add_f32 v[50:51], v[44:45], v[40:41] neg_lo:[0,1] neg_hi:[0,1]
	v_pk_add_f32 v[40:41], v[44:45], v[40:41]
	v_mov_b32_e32 v46, v47
	v_pk_add_f32 v[44:45], v[40:41], v[42:43] op_sel:[1,0] op_sel_hi:[0,1] neg_lo:[0,1] neg_hi:[0,1]
	v_pk_add_f32 v[52:53], v[48:49], v[44:45] op_sel_hi:[1,0] neg_lo:[0,1] neg_hi:[0,1]
	v_mov_b32_e32 v48, v49
	v_mov_b32_e32 v49, v41
	v_pk_mov_b32 v[44:45], v[42:43], v[44:45] op_sel:[1,0]
	v_mov_b32_e32 v47, v42
	v_pk_add_f32 v[44:45], v[48:49], v[44:45] neg_lo:[0,1] neg_hi:[0,1]
	v_mov_b32_e32 v52, v50
	v_pk_add_f32 v[42:43], v[46:47], v[44:45] neg_lo:[0,1] neg_hi:[0,1]
	v_mov_b32_e32 v51, v41
	v_pk_add_f32 v[44:45], v[52:53], v[42:43]
	v_cmp_neq_f32_e64 s[34:35], s57, v55
	v_pk_add_f32 v[46:47], v[44:45], v[44:45] op_sel:[0,1] op_sel_hi:[1,0]
	s_nop 0
	v_pk_add_f32 v[40:41], v[40:41], v[46:47] op_sel:[1,0] op_sel_hi:[0,1]
	v_mov_b32_e32 v45, v40
	v_pk_add_f32 v[48:49], v[44:45], v[50:51] neg_lo:[0,1] neg_hi:[0,1]
	v_mov_b32_e32 v43, v46
	v_sub_f32_e32 v41, v44, v48
	v_pk_add_f32 v[42:43], v[42:43], v[48:49] neg_lo:[0,1] neg_hi:[0,1]
	v_sub_f32_e32 v41, v50, v41
	v_add_f32_e32 v41, v42, v41
	v_add_f32_e32 v41, v41, v43
	;; [unrolled: 1-line block ×3, first 2 shown]
	v_cndmask_b32_e64 v40, v54, v40, s[34:35]
	s_mov_b32 s34, 0x33800000
	v_cmp_lt_f32_e64 s[34:35], |v55|, s34
	s_nop 1
	v_cndmask_b32_e64 v40, v40, v55, s[34:35]
	v_add_f32_e32 v40, v39, v40
.LBB88_246:
	s_or_b64 exec, exec, s[36:37]
	v_mov_b32_e32 v39, v40
.LBB88_247:
	s_or_b64 exec, exec, s[54:55]
	s_nop 0
	v_mov_b32_dpp v40, v39 row_shr:2 row_mask:0xf bank_mask:0xf
	v_cmp_lt_u32_e64 s[34:35], 1, v38
	s_and_saveexec_b64 s[54:55], s[34:35]
	s_cbranch_execz .LBB88_251
; %bb.248:
	v_max_f32_e32 v42, v39, v39
	v_max_f32_e32 v43, v40, v40
	v_min_f32_e32 v41, v43, v42
	v_cmp_u_f32_e64 s[34:35], v40, v40
	v_max_f32_e32 v42, v43, v42
	v_cmp_u_f32_e64 s[36:37], v39, v39
	v_cndmask_b32_e64 v41, v41, v40, s[34:35]
	v_cndmask_b32_e64 v42, v42, v40, s[34:35]
	;; [unrolled: 1-line block ×4, first 2 shown]
	s_movk_i32 s36, 0x1f8
	v_cmp_neq_f32_e64 s[34:35], v41, v39
	v_cmp_class_f32_e64 s[36:37], v41, s36
	s_or_b64 s[34:35], s[34:35], s[36:37]
	s_and_saveexec_b64 s[36:37], s[34:35]
	s_cbranch_execz .LBB88_250
; %bb.249:
	v_sub_f32_e32 v40, v41, v39
	s_mov_b32 s34, 0x3fb8aa3b
	v_mul_f32_e32 v41, 0x3fb8aa3b, v40
	v_fma_f32 v42, v40, s34, -v41
	v_rndne_f32_e32 v43, v41
	v_fmamk_f32 v42, v40, 0x32a5705f, v42
	v_sub_f32_e32 v41, v41, v43
	v_add_f32_e32 v41, v41, v42
	v_exp_f32_e32 v41, v41
	v_cvt_i32_f32_e32 v42, v43
	s_mov_b32 s34, 0xc2ce8ed0
	v_cmp_ngt_f32_e64 s[34:35], s34, v40
	v_mov_b32_e32 v54, 0x7f800000
	v_ldexp_f32 v41, v41, v42
	v_cndmask_b32_e64 v41, 0, v41, s[34:35]
	s_mov_b32 s34, 0x42b17218
	v_cmp_nlt_f32_e64 s[34:35], s34, v40
	s_mov_b32 s57, 0x7f800000
	s_nop 0
	v_cndmask_b32_e64 v55, v54, v41, s[34:35]
	v_add_f32_e32 v42, 1.0, v55
	v_add_f32_e32 v40, -1.0, v42
	v_sub_f32_e32 v41, v40, v42
	v_add_f32_e32 v41, 1.0, v41
	v_sub_f32_e32 v40, v55, v40
	v_add_f32_e32 v43, v40, v41
	v_frexp_mant_f32_e32 v44, v42
	s_mov_b32 s34, 0x3f2aaaab
	v_cvt_f64_f32_e32 v[40:41], v42
	v_frexp_exp_i32_f64_e32 v40, v[40:41]
	v_cmp_gt_f32_e64 s[34:35], s34, v44
	s_nop 1
	v_subbrev_co_u32_e64 v48, s[34:35], 0, v40, s[34:35]
	v_sub_u32_e32 v40, 0, v48
	v_ldexp_f32 v41, v42, v40
	v_add_f32_e32 v42, -1.0, v41
	v_add_f32_e32 v44, 1.0, v41
	v_ldexp_f32 v40, v43, v40
	v_add_f32_e32 v43, 1.0, v42
	v_add_f32_e32 v45, -1.0, v44
	v_sub_f32_e32 v43, v41, v43
	v_sub_f32_e32 v41, v41, v45
	v_add_f32_e32 v43, v40, v43
	v_add_f32_e32 v40, v40, v41
	v_add_f32_e32 v49, v44, v40
	v_rcp_f32_e32 v51, v49
	v_sub_f32_e32 v41, v44, v49
	v_add_f32_e32 v50, v40, v41
	v_add_f32_e32 v41, v42, v43
	v_mul_f32_e32 v53, v41, v51
	v_sub_f32_e32 v40, v42, v41
	v_mul_f32_e32 v42, v49, v53
	v_fma_f32 v44, v53, v49, -v42
	v_fmac_f32_e32 v44, v53, v50
	v_add_f32_e32 v52, v43, v40
	v_add_f32_e32 v40, v42, v44
	v_sub_f32_e32 v43, v41, v40
	v_pk_add_f32 v[46:47], v[40:41], v[42:43] neg_lo:[0,1] neg_hi:[0,1]
	v_mov_b32_e32 v45, v40
	v_pk_add_f32 v[40:41], v[46:47], v[44:45] neg_lo:[0,1] neg_hi:[0,1]
	s_mov_b32 s34, 0x3f317218
	v_add_f32_e32 v41, v52, v41
	v_add_f32_e32 v40, v40, v41
	;; [unrolled: 1-line block ×3, first 2 shown]
	v_mul_f32_e32 v52, v51, v41
	v_mul_f32_e32 v42, v49, v52
	v_fma_f32 v44, v52, v49, -v42
	v_fmac_f32_e32 v44, v52, v50
	v_sub_f32_e32 v43, v43, v41
	v_add_f32_e32 v49, v40, v43
	v_add_f32_e32 v40, v42, v44
	v_sub_f32_e32 v43, v41, v40
	v_pk_add_f32 v[46:47], v[40:41], v[42:43] neg_lo:[0,1] neg_hi:[0,1]
	v_mov_b32_e32 v45, v40
	v_pk_add_f32 v[40:41], v[46:47], v[44:45] neg_lo:[0,1] neg_hi:[0,1]
	v_cvt_f32_i32_e32 v42, v48
	v_add_f32_e32 v41, v49, v41
	v_add_f32_e32 v40, v40, v41
	;; [unrolled: 1-line block ×4, first 2 shown]
	v_sub_f32_e32 v41, v43, v53
	v_mul_f32_e32 v40, v51, v40
	v_sub_f32_e32 v41, v52, v41
	v_add_f32_e32 v40, v41, v40
	v_add_f32_e32 v44, v43, v40
	v_mul_f32_e32 v46, v44, v44
	v_mov_b32_e32 v41, 0x3ecc95a3
	v_sub_f32_e32 v43, v44, v43
	v_fmac_f32_e32 v41, 0x3e9b6dac, v46
	v_sub_f32_e32 v40, v40, v43
	v_fmaak_f32 v41, v46, v41, 0x3f2aaada
	v_ldexp_f32 v47, v40, 1
	v_mul_f32_e32 v43, v44, v46
	v_mov_b32_e32 v40, 0x3f317218
	v_pk_mul_f32 v[40:41], v[42:43], v[40:41]
	v_ldexp_f32 v45, v44, 1
	v_fma_f32 v43, v42, s34, -v40
	v_fmamk_f32 v44, v42, 0xb102e308, v43
	v_pk_add_f32 v[42:43], v[40:41], v[44:45]
	v_mov_b32_e32 v46, v40
	v_sub_f32_e32 v45, v43, v45
	v_sub_f32_e32 v45, v41, v45
	v_add_f32_e32 v47, v47, v45
	v_pk_add_f32 v[40:41], v[42:43], v[40:41] neg_lo:[0,1] neg_hi:[0,1]
	v_pk_add_f32 v[48:49], v[42:43], v[46:47]
	v_mov_b32_e32 v45, v42
	v_mov_b32_e32 v41, v49
	v_pk_add_f32 v[50:51], v[44:45], v[40:41] neg_lo:[0,1] neg_hi:[0,1]
	v_pk_add_f32 v[40:41], v[44:45], v[40:41]
	v_mov_b32_e32 v46, v47
	v_pk_add_f32 v[44:45], v[40:41], v[42:43] op_sel:[1,0] op_sel_hi:[0,1] neg_lo:[0,1] neg_hi:[0,1]
	v_pk_add_f32 v[52:53], v[48:49], v[44:45] op_sel_hi:[1,0] neg_lo:[0,1] neg_hi:[0,1]
	v_mov_b32_e32 v48, v49
	v_mov_b32_e32 v49, v41
	v_pk_mov_b32 v[44:45], v[42:43], v[44:45] op_sel:[1,0]
	v_mov_b32_e32 v47, v42
	v_pk_add_f32 v[44:45], v[48:49], v[44:45] neg_lo:[0,1] neg_hi:[0,1]
	v_mov_b32_e32 v52, v50
	v_pk_add_f32 v[42:43], v[46:47], v[44:45] neg_lo:[0,1] neg_hi:[0,1]
	v_mov_b32_e32 v51, v41
	v_pk_add_f32 v[44:45], v[52:53], v[42:43]
	v_cmp_neq_f32_e64 s[34:35], s57, v55
	v_pk_add_f32 v[46:47], v[44:45], v[44:45] op_sel:[0,1] op_sel_hi:[1,0]
	s_nop 0
	v_pk_add_f32 v[40:41], v[40:41], v[46:47] op_sel:[1,0] op_sel_hi:[0,1]
	v_mov_b32_e32 v45, v40
	v_pk_add_f32 v[48:49], v[44:45], v[50:51] neg_lo:[0,1] neg_hi:[0,1]
	v_mov_b32_e32 v43, v46
	v_sub_f32_e32 v41, v44, v48
	v_pk_add_f32 v[42:43], v[42:43], v[48:49] neg_lo:[0,1] neg_hi:[0,1]
	v_sub_f32_e32 v41, v50, v41
	v_add_f32_e32 v41, v42, v41
	v_add_f32_e32 v41, v41, v43
	;; [unrolled: 1-line block ×3, first 2 shown]
	v_cndmask_b32_e64 v40, v54, v40, s[34:35]
	s_mov_b32 s34, 0x33800000
	v_cmp_lt_f32_e64 s[34:35], |v55|, s34
	s_nop 1
	v_cndmask_b32_e64 v40, v40, v55, s[34:35]
	v_add_f32_e32 v40, v39, v40
.LBB88_250:
	s_or_b64 exec, exec, s[36:37]
	v_mov_b32_e32 v39, v40
.LBB88_251:
	s_or_b64 exec, exec, s[54:55]
	s_nop 0
	v_mov_b32_dpp v40, v39 row_shr:4 row_mask:0xf bank_mask:0xf
	v_cmp_lt_u32_e64 s[34:35], 3, v38
	s_and_saveexec_b64 s[54:55], s[34:35]
	s_cbranch_execz .LBB88_255
; %bb.252:
	v_max_f32_e32 v42, v39, v39
	v_max_f32_e32 v43, v40, v40
	v_min_f32_e32 v41, v43, v42
	v_cmp_u_f32_e64 s[34:35], v40, v40
	v_max_f32_e32 v42, v43, v42
	v_cmp_u_f32_e64 s[36:37], v39, v39
	v_cndmask_b32_e64 v41, v41, v40, s[34:35]
	v_cndmask_b32_e64 v42, v42, v40, s[34:35]
	;; [unrolled: 1-line block ×4, first 2 shown]
	s_movk_i32 s36, 0x1f8
	v_cmp_neq_f32_e64 s[34:35], v41, v39
	v_cmp_class_f32_e64 s[36:37], v41, s36
	s_or_b64 s[34:35], s[34:35], s[36:37]
	s_and_saveexec_b64 s[36:37], s[34:35]
	s_cbranch_execz .LBB88_254
; %bb.253:
	v_sub_f32_e32 v40, v41, v39
	s_mov_b32 s34, 0x3fb8aa3b
	v_mul_f32_e32 v41, 0x3fb8aa3b, v40
	v_fma_f32 v42, v40, s34, -v41
	v_rndne_f32_e32 v43, v41
	v_fmamk_f32 v42, v40, 0x32a5705f, v42
	v_sub_f32_e32 v41, v41, v43
	v_add_f32_e32 v41, v41, v42
	v_exp_f32_e32 v41, v41
	v_cvt_i32_f32_e32 v42, v43
	s_mov_b32 s34, 0xc2ce8ed0
	v_cmp_ngt_f32_e64 s[34:35], s34, v40
	v_mov_b32_e32 v54, 0x7f800000
	v_ldexp_f32 v41, v41, v42
	v_cndmask_b32_e64 v41, 0, v41, s[34:35]
	s_mov_b32 s34, 0x42b17218
	v_cmp_nlt_f32_e64 s[34:35], s34, v40
	s_mov_b32 s57, 0x7f800000
	s_nop 0
	v_cndmask_b32_e64 v55, v54, v41, s[34:35]
	v_add_f32_e32 v42, 1.0, v55
	v_add_f32_e32 v40, -1.0, v42
	v_sub_f32_e32 v41, v40, v42
	v_add_f32_e32 v41, 1.0, v41
	v_sub_f32_e32 v40, v55, v40
	v_add_f32_e32 v43, v40, v41
	v_frexp_mant_f32_e32 v44, v42
	s_mov_b32 s34, 0x3f2aaaab
	v_cvt_f64_f32_e32 v[40:41], v42
	v_frexp_exp_i32_f64_e32 v40, v[40:41]
	v_cmp_gt_f32_e64 s[34:35], s34, v44
	s_nop 1
	v_subbrev_co_u32_e64 v48, s[34:35], 0, v40, s[34:35]
	v_sub_u32_e32 v40, 0, v48
	v_ldexp_f32 v41, v42, v40
	v_add_f32_e32 v42, -1.0, v41
	v_add_f32_e32 v44, 1.0, v41
	v_ldexp_f32 v40, v43, v40
	v_add_f32_e32 v43, 1.0, v42
	v_add_f32_e32 v45, -1.0, v44
	v_sub_f32_e32 v43, v41, v43
	v_sub_f32_e32 v41, v41, v45
	v_add_f32_e32 v43, v40, v43
	v_add_f32_e32 v40, v40, v41
	v_add_f32_e32 v49, v44, v40
	v_rcp_f32_e32 v51, v49
	v_sub_f32_e32 v41, v44, v49
	v_add_f32_e32 v50, v40, v41
	v_add_f32_e32 v41, v42, v43
	v_mul_f32_e32 v53, v41, v51
	v_sub_f32_e32 v40, v42, v41
	v_mul_f32_e32 v42, v49, v53
	v_fma_f32 v44, v53, v49, -v42
	v_fmac_f32_e32 v44, v53, v50
	v_add_f32_e32 v52, v43, v40
	v_add_f32_e32 v40, v42, v44
	v_sub_f32_e32 v43, v41, v40
	v_pk_add_f32 v[46:47], v[40:41], v[42:43] neg_lo:[0,1] neg_hi:[0,1]
	v_mov_b32_e32 v45, v40
	v_pk_add_f32 v[40:41], v[46:47], v[44:45] neg_lo:[0,1] neg_hi:[0,1]
	s_mov_b32 s34, 0x3f317218
	v_add_f32_e32 v41, v52, v41
	v_add_f32_e32 v40, v40, v41
	;; [unrolled: 1-line block ×3, first 2 shown]
	v_mul_f32_e32 v52, v51, v41
	v_mul_f32_e32 v42, v49, v52
	v_fma_f32 v44, v52, v49, -v42
	v_fmac_f32_e32 v44, v52, v50
	v_sub_f32_e32 v43, v43, v41
	v_add_f32_e32 v49, v40, v43
	v_add_f32_e32 v40, v42, v44
	v_sub_f32_e32 v43, v41, v40
	v_pk_add_f32 v[46:47], v[40:41], v[42:43] neg_lo:[0,1] neg_hi:[0,1]
	v_mov_b32_e32 v45, v40
	v_pk_add_f32 v[40:41], v[46:47], v[44:45] neg_lo:[0,1] neg_hi:[0,1]
	v_cvt_f32_i32_e32 v42, v48
	v_add_f32_e32 v41, v49, v41
	v_add_f32_e32 v40, v40, v41
	;; [unrolled: 1-line block ×4, first 2 shown]
	v_sub_f32_e32 v41, v43, v53
	v_mul_f32_e32 v40, v51, v40
	v_sub_f32_e32 v41, v52, v41
	v_add_f32_e32 v40, v41, v40
	v_add_f32_e32 v44, v43, v40
	v_mul_f32_e32 v46, v44, v44
	v_mov_b32_e32 v41, 0x3ecc95a3
	v_sub_f32_e32 v43, v44, v43
	v_fmac_f32_e32 v41, 0x3e9b6dac, v46
	v_sub_f32_e32 v40, v40, v43
	v_fmaak_f32 v41, v46, v41, 0x3f2aaada
	v_ldexp_f32 v47, v40, 1
	v_mul_f32_e32 v43, v44, v46
	v_mov_b32_e32 v40, 0x3f317218
	v_pk_mul_f32 v[40:41], v[42:43], v[40:41]
	v_ldexp_f32 v45, v44, 1
	v_fma_f32 v43, v42, s34, -v40
	v_fmamk_f32 v44, v42, 0xb102e308, v43
	v_pk_add_f32 v[42:43], v[40:41], v[44:45]
	v_mov_b32_e32 v46, v40
	v_sub_f32_e32 v45, v43, v45
	v_sub_f32_e32 v45, v41, v45
	v_add_f32_e32 v47, v47, v45
	v_pk_add_f32 v[40:41], v[42:43], v[40:41] neg_lo:[0,1] neg_hi:[0,1]
	v_pk_add_f32 v[48:49], v[42:43], v[46:47]
	v_mov_b32_e32 v45, v42
	v_mov_b32_e32 v41, v49
	v_pk_add_f32 v[50:51], v[44:45], v[40:41] neg_lo:[0,1] neg_hi:[0,1]
	v_pk_add_f32 v[40:41], v[44:45], v[40:41]
	v_mov_b32_e32 v46, v47
	v_pk_add_f32 v[44:45], v[40:41], v[42:43] op_sel:[1,0] op_sel_hi:[0,1] neg_lo:[0,1] neg_hi:[0,1]
	v_pk_add_f32 v[52:53], v[48:49], v[44:45] op_sel_hi:[1,0] neg_lo:[0,1] neg_hi:[0,1]
	v_mov_b32_e32 v48, v49
	v_mov_b32_e32 v49, v41
	v_pk_mov_b32 v[44:45], v[42:43], v[44:45] op_sel:[1,0]
	v_mov_b32_e32 v47, v42
	v_pk_add_f32 v[44:45], v[48:49], v[44:45] neg_lo:[0,1] neg_hi:[0,1]
	v_mov_b32_e32 v52, v50
	v_pk_add_f32 v[42:43], v[46:47], v[44:45] neg_lo:[0,1] neg_hi:[0,1]
	v_mov_b32_e32 v51, v41
	v_pk_add_f32 v[44:45], v[52:53], v[42:43]
	v_cmp_neq_f32_e64 s[34:35], s57, v55
	v_pk_add_f32 v[46:47], v[44:45], v[44:45] op_sel:[0,1] op_sel_hi:[1,0]
	s_nop 0
	v_pk_add_f32 v[40:41], v[40:41], v[46:47] op_sel:[1,0] op_sel_hi:[0,1]
	v_mov_b32_e32 v45, v40
	v_pk_add_f32 v[48:49], v[44:45], v[50:51] neg_lo:[0,1] neg_hi:[0,1]
	v_mov_b32_e32 v43, v46
	v_sub_f32_e32 v41, v44, v48
	v_pk_add_f32 v[42:43], v[42:43], v[48:49] neg_lo:[0,1] neg_hi:[0,1]
	v_sub_f32_e32 v41, v50, v41
	v_add_f32_e32 v41, v42, v41
	v_add_f32_e32 v41, v41, v43
	;; [unrolled: 1-line block ×3, first 2 shown]
	v_cndmask_b32_e64 v40, v54, v40, s[34:35]
	s_mov_b32 s34, 0x33800000
	v_cmp_lt_f32_e64 s[34:35], |v55|, s34
	s_nop 1
	v_cndmask_b32_e64 v40, v40, v55, s[34:35]
	v_add_f32_e32 v40, v39, v40
.LBB88_254:
	s_or_b64 exec, exec, s[36:37]
	v_mov_b32_e32 v39, v40
.LBB88_255:
	s_or_b64 exec, exec, s[54:55]
	s_nop 0
	v_mov_b32_dpp v40, v39 row_shr:8 row_mask:0xf bank_mask:0xf
	v_cmp_lt_u32_e64 s[34:35], 7, v38
	s_and_saveexec_b64 s[54:55], s[34:35]
	s_cbranch_execz .LBB88_259
; %bb.256:
	v_max_f32_e32 v38, v39, v39
	v_max_f32_e32 v42, v40, v40
	v_min_f32_e32 v41, v42, v38
	v_cmp_u_f32_e64 s[34:35], v40, v40
	v_max_f32_e32 v38, v42, v38
	v_cmp_u_f32_e64 s[36:37], v39, v39
	v_cndmask_b32_e64 v41, v41, v40, s[34:35]
	v_cndmask_b32_e64 v38, v38, v40, s[34:35]
	;; [unrolled: 1-line block ×4, first 2 shown]
	s_movk_i32 s36, 0x1f8
	v_cmp_neq_f32_e64 s[34:35], v41, v38
	v_cmp_class_f32_e64 s[36:37], v41, s36
	s_or_b64 s[34:35], s[34:35], s[36:37]
	s_and_saveexec_b64 s[36:37], s[34:35]
	s_cbranch_execz .LBB88_258
; %bb.257:
	v_sub_f32_e32 v39, v41, v38
	s_mov_b32 s34, 0x3fb8aa3b
	v_mul_f32_e32 v40, 0x3fb8aa3b, v39
	v_fma_f32 v41, v39, s34, -v40
	v_rndne_f32_e32 v42, v40
	v_fmamk_f32 v41, v39, 0x32a5705f, v41
	v_sub_f32_e32 v40, v40, v42
	v_add_f32_e32 v40, v40, v41
	v_exp_f32_e32 v40, v40
	v_cvt_i32_f32_e32 v41, v42
	s_mov_b32 s34, 0xc2ce8ed0
	v_cmp_ngt_f32_e64 s[34:35], s34, v39
	v_mov_b32_e32 v54, 0x7f800000
	v_ldexp_f32 v40, v40, v41
	v_cndmask_b32_e64 v40, 0, v40, s[34:35]
	s_mov_b32 s34, 0x42b17218
	v_cmp_nlt_f32_e64 s[34:35], s34, v39
	s_mov_b32 s57, 0x7f800000
	s_nop 0
	v_cndmask_b32_e64 v39, v54, v40, s[34:35]
	v_add_f32_e32 v42, 1.0, v39
	v_add_f32_e32 v40, -1.0, v42
	v_sub_f32_e32 v41, v40, v42
	v_add_f32_e32 v41, 1.0, v41
	v_sub_f32_e32 v40, v39, v40
	v_add_f32_e32 v43, v40, v41
	v_frexp_mant_f32_e32 v44, v42
	s_mov_b32 s34, 0x3f2aaaab
	v_cvt_f64_f32_e32 v[40:41], v42
	v_frexp_exp_i32_f64_e32 v40, v[40:41]
	v_cmp_gt_f32_e64 s[34:35], s34, v44
	s_nop 1
	v_subbrev_co_u32_e64 v48, s[34:35], 0, v40, s[34:35]
	v_sub_u32_e32 v40, 0, v48
	v_ldexp_f32 v41, v42, v40
	v_add_f32_e32 v42, -1.0, v41
	v_add_f32_e32 v44, 1.0, v41
	v_ldexp_f32 v40, v43, v40
	v_add_f32_e32 v43, 1.0, v42
	v_add_f32_e32 v45, -1.0, v44
	v_sub_f32_e32 v43, v41, v43
	v_sub_f32_e32 v41, v41, v45
	v_add_f32_e32 v43, v40, v43
	v_add_f32_e32 v40, v40, v41
	;; [unrolled: 1-line block ×3, first 2 shown]
	v_rcp_f32_e32 v51, v49
	v_sub_f32_e32 v41, v44, v49
	v_add_f32_e32 v50, v40, v41
	v_add_f32_e32 v41, v42, v43
	v_mul_f32_e32 v53, v41, v51
	v_sub_f32_e32 v40, v42, v41
	v_mul_f32_e32 v42, v49, v53
	v_fma_f32 v44, v53, v49, -v42
	v_fmac_f32_e32 v44, v53, v50
	v_add_f32_e32 v52, v43, v40
	v_add_f32_e32 v40, v42, v44
	v_sub_f32_e32 v43, v41, v40
	v_pk_add_f32 v[46:47], v[40:41], v[42:43] neg_lo:[0,1] neg_hi:[0,1]
	v_mov_b32_e32 v45, v40
	v_pk_add_f32 v[40:41], v[46:47], v[44:45] neg_lo:[0,1] neg_hi:[0,1]
	s_mov_b32 s34, 0x3f317218
	v_add_f32_e32 v41, v52, v41
	v_add_f32_e32 v40, v40, v41
	;; [unrolled: 1-line block ×3, first 2 shown]
	v_mul_f32_e32 v52, v51, v41
	v_mul_f32_e32 v42, v49, v52
	v_fma_f32 v44, v52, v49, -v42
	v_fmac_f32_e32 v44, v52, v50
	v_sub_f32_e32 v43, v43, v41
	v_add_f32_e32 v49, v40, v43
	v_add_f32_e32 v40, v42, v44
	v_sub_f32_e32 v43, v41, v40
	v_pk_add_f32 v[46:47], v[40:41], v[42:43] neg_lo:[0,1] neg_hi:[0,1]
	v_mov_b32_e32 v45, v40
	v_pk_add_f32 v[40:41], v[46:47], v[44:45] neg_lo:[0,1] neg_hi:[0,1]
	v_cvt_f32_i32_e32 v42, v48
	v_add_f32_e32 v41, v49, v41
	v_add_f32_e32 v40, v40, v41
	;; [unrolled: 1-line block ×4, first 2 shown]
	v_sub_f32_e32 v41, v43, v53
	v_mul_f32_e32 v40, v51, v40
	v_sub_f32_e32 v41, v52, v41
	v_add_f32_e32 v40, v41, v40
	v_add_f32_e32 v44, v43, v40
	v_mul_f32_e32 v46, v44, v44
	v_mov_b32_e32 v41, 0x3ecc95a3
	v_sub_f32_e32 v43, v44, v43
	v_fmac_f32_e32 v41, 0x3e9b6dac, v46
	v_sub_f32_e32 v40, v40, v43
	v_fmaak_f32 v41, v46, v41, 0x3f2aaada
	v_ldexp_f32 v47, v40, 1
	v_mul_f32_e32 v43, v44, v46
	v_mov_b32_e32 v40, 0x3f317218
	v_pk_mul_f32 v[40:41], v[42:43], v[40:41]
	v_ldexp_f32 v45, v44, 1
	v_fma_f32 v43, v42, s34, -v40
	v_fmamk_f32 v44, v42, 0xb102e308, v43
	v_pk_add_f32 v[42:43], v[40:41], v[44:45]
	v_mov_b32_e32 v46, v40
	v_sub_f32_e32 v45, v43, v45
	v_sub_f32_e32 v45, v41, v45
	v_add_f32_e32 v47, v47, v45
	v_pk_add_f32 v[40:41], v[42:43], v[40:41] neg_lo:[0,1] neg_hi:[0,1]
	v_pk_add_f32 v[48:49], v[42:43], v[46:47]
	v_mov_b32_e32 v45, v42
	v_mov_b32_e32 v41, v49
	v_pk_add_f32 v[50:51], v[44:45], v[40:41] neg_lo:[0,1] neg_hi:[0,1]
	v_pk_add_f32 v[40:41], v[44:45], v[40:41]
	v_mov_b32_e32 v46, v47
	v_pk_add_f32 v[44:45], v[40:41], v[42:43] op_sel:[1,0] op_sel_hi:[0,1] neg_lo:[0,1] neg_hi:[0,1]
	v_pk_add_f32 v[52:53], v[48:49], v[44:45] op_sel_hi:[1,0] neg_lo:[0,1] neg_hi:[0,1]
	v_mov_b32_e32 v48, v49
	v_mov_b32_e32 v49, v41
	v_pk_mov_b32 v[44:45], v[42:43], v[44:45] op_sel:[1,0]
	v_mov_b32_e32 v47, v42
	v_pk_add_f32 v[44:45], v[48:49], v[44:45] neg_lo:[0,1] neg_hi:[0,1]
	v_mov_b32_e32 v52, v50
	v_pk_add_f32 v[42:43], v[46:47], v[44:45] neg_lo:[0,1] neg_hi:[0,1]
	v_mov_b32_e32 v51, v41
	v_pk_add_f32 v[44:45], v[52:53], v[42:43]
	v_cmp_neq_f32_e64 s[34:35], s57, v39
	v_pk_add_f32 v[46:47], v[44:45], v[44:45] op_sel:[0,1] op_sel_hi:[1,0]
	s_nop 0
	v_pk_add_f32 v[40:41], v[40:41], v[46:47] op_sel:[1,0] op_sel_hi:[0,1]
	v_mov_b32_e32 v45, v40
	v_pk_add_f32 v[48:49], v[44:45], v[50:51] neg_lo:[0,1] neg_hi:[0,1]
	v_mov_b32_e32 v43, v46
	v_sub_f32_e32 v41, v44, v48
	v_pk_add_f32 v[42:43], v[42:43], v[48:49] neg_lo:[0,1] neg_hi:[0,1]
	v_sub_f32_e32 v41, v50, v41
	v_add_f32_e32 v41, v42, v41
	v_add_f32_e32 v41, v41, v43
	;; [unrolled: 1-line block ×3, first 2 shown]
	v_cndmask_b32_e64 v40, v54, v40, s[34:35]
	s_mov_b32 s34, 0x33800000
	v_cmp_lt_f32_e64 s[34:35], |v39|, s34
	s_nop 1
	v_cndmask_b32_e64 v39, v40, v39, s[34:35]
	v_add_f32_e32 v40, v38, v39
.LBB88_258:
	s_or_b64 exec, exec, s[36:37]
	v_mov_b32_e32 v39, v40
.LBB88_259:
	s_or_b64 exec, exec, s[54:55]
	v_and_b32_e32 v38, 16, v7
	v_mov_b32_dpp v40, v39 row_bcast:15 row_mask:0xf bank_mask:0xf
	v_cmp_ne_u32_e64 s[34:35], 0, v38
	s_and_saveexec_b64 s[54:55], s[34:35]
	s_cbranch_execz .LBB88_263
; %bb.260:
	v_max_f32_e32 v38, v39, v39
	v_max_f32_e32 v42, v40, v40
	v_min_f32_e32 v41, v42, v38
	v_cmp_u_f32_e64 s[34:35], v40, v40
	v_max_f32_e32 v38, v42, v38
	v_cmp_u_f32_e64 s[36:37], v39, v39
	v_cndmask_b32_e64 v41, v41, v40, s[34:35]
	v_cndmask_b32_e64 v38, v38, v40, s[34:35]
	;; [unrolled: 1-line block ×4, first 2 shown]
	s_movk_i32 s36, 0x1f8
	v_cmp_neq_f32_e64 s[34:35], v41, v38
	v_cmp_class_f32_e64 s[36:37], v41, s36
	s_or_b64 s[34:35], s[34:35], s[36:37]
	s_and_saveexec_b64 s[36:37], s[34:35]
	s_cbranch_execz .LBB88_262
; %bb.261:
	v_sub_f32_e32 v39, v41, v38
	s_mov_b32 s34, 0x3fb8aa3b
	v_mul_f32_e32 v40, 0x3fb8aa3b, v39
	v_fma_f32 v41, v39, s34, -v40
	v_rndne_f32_e32 v42, v40
	v_fmamk_f32 v41, v39, 0x32a5705f, v41
	v_sub_f32_e32 v40, v40, v42
	v_add_f32_e32 v40, v40, v41
	v_exp_f32_e32 v40, v40
	v_cvt_i32_f32_e32 v41, v42
	s_mov_b32 s34, 0xc2ce8ed0
	v_cmp_ngt_f32_e64 s[34:35], s34, v39
	v_mov_b32_e32 v54, 0x7f800000
	v_ldexp_f32 v40, v40, v41
	v_cndmask_b32_e64 v40, 0, v40, s[34:35]
	s_mov_b32 s34, 0x42b17218
	v_cmp_nlt_f32_e64 s[34:35], s34, v39
	s_mov_b32 s57, 0x7f800000
	s_nop 0
	v_cndmask_b32_e64 v39, v54, v40, s[34:35]
	v_add_f32_e32 v42, 1.0, v39
	v_add_f32_e32 v40, -1.0, v42
	v_sub_f32_e32 v41, v40, v42
	v_add_f32_e32 v41, 1.0, v41
	v_sub_f32_e32 v40, v39, v40
	v_add_f32_e32 v43, v40, v41
	v_frexp_mant_f32_e32 v44, v42
	s_mov_b32 s34, 0x3f2aaaab
	v_cvt_f64_f32_e32 v[40:41], v42
	v_frexp_exp_i32_f64_e32 v40, v[40:41]
	v_cmp_gt_f32_e64 s[34:35], s34, v44
	s_nop 1
	v_subbrev_co_u32_e64 v48, s[34:35], 0, v40, s[34:35]
	v_sub_u32_e32 v40, 0, v48
	v_ldexp_f32 v41, v42, v40
	v_add_f32_e32 v42, -1.0, v41
	v_add_f32_e32 v44, 1.0, v41
	v_ldexp_f32 v40, v43, v40
	v_add_f32_e32 v43, 1.0, v42
	v_add_f32_e32 v45, -1.0, v44
	v_sub_f32_e32 v43, v41, v43
	v_sub_f32_e32 v41, v41, v45
	v_add_f32_e32 v43, v40, v43
	v_add_f32_e32 v40, v40, v41
	;; [unrolled: 1-line block ×3, first 2 shown]
	v_rcp_f32_e32 v51, v49
	v_sub_f32_e32 v41, v44, v49
	v_add_f32_e32 v50, v40, v41
	v_add_f32_e32 v41, v42, v43
	v_mul_f32_e32 v53, v41, v51
	v_sub_f32_e32 v40, v42, v41
	v_mul_f32_e32 v42, v49, v53
	v_fma_f32 v44, v53, v49, -v42
	v_fmac_f32_e32 v44, v53, v50
	v_add_f32_e32 v52, v43, v40
	v_add_f32_e32 v40, v42, v44
	v_sub_f32_e32 v43, v41, v40
	v_pk_add_f32 v[46:47], v[40:41], v[42:43] neg_lo:[0,1] neg_hi:[0,1]
	v_mov_b32_e32 v45, v40
	v_pk_add_f32 v[40:41], v[46:47], v[44:45] neg_lo:[0,1] neg_hi:[0,1]
	s_mov_b32 s34, 0x3f317218
	v_add_f32_e32 v41, v52, v41
	v_add_f32_e32 v40, v40, v41
	;; [unrolled: 1-line block ×3, first 2 shown]
	v_mul_f32_e32 v52, v51, v41
	v_mul_f32_e32 v42, v49, v52
	v_fma_f32 v44, v52, v49, -v42
	v_fmac_f32_e32 v44, v52, v50
	v_sub_f32_e32 v43, v43, v41
	v_add_f32_e32 v49, v40, v43
	v_add_f32_e32 v40, v42, v44
	v_sub_f32_e32 v43, v41, v40
	v_pk_add_f32 v[46:47], v[40:41], v[42:43] neg_lo:[0,1] neg_hi:[0,1]
	v_mov_b32_e32 v45, v40
	v_pk_add_f32 v[40:41], v[46:47], v[44:45] neg_lo:[0,1] neg_hi:[0,1]
	v_cvt_f32_i32_e32 v42, v48
	v_add_f32_e32 v41, v49, v41
	v_add_f32_e32 v40, v40, v41
	;; [unrolled: 1-line block ×4, first 2 shown]
	v_sub_f32_e32 v41, v43, v53
	v_mul_f32_e32 v40, v51, v40
	v_sub_f32_e32 v41, v52, v41
	v_add_f32_e32 v40, v41, v40
	v_add_f32_e32 v44, v43, v40
	v_mul_f32_e32 v46, v44, v44
	v_mov_b32_e32 v41, 0x3ecc95a3
	v_sub_f32_e32 v43, v44, v43
	v_fmac_f32_e32 v41, 0x3e9b6dac, v46
	v_sub_f32_e32 v40, v40, v43
	v_fmaak_f32 v41, v46, v41, 0x3f2aaada
	v_ldexp_f32 v47, v40, 1
	v_mul_f32_e32 v43, v44, v46
	v_mov_b32_e32 v40, 0x3f317218
	v_pk_mul_f32 v[40:41], v[42:43], v[40:41]
	v_ldexp_f32 v45, v44, 1
	v_fma_f32 v43, v42, s34, -v40
	v_fmamk_f32 v44, v42, 0xb102e308, v43
	v_pk_add_f32 v[42:43], v[40:41], v[44:45]
	v_mov_b32_e32 v46, v40
	v_sub_f32_e32 v45, v43, v45
	v_sub_f32_e32 v45, v41, v45
	v_add_f32_e32 v47, v47, v45
	v_pk_add_f32 v[40:41], v[42:43], v[40:41] neg_lo:[0,1] neg_hi:[0,1]
	v_pk_add_f32 v[48:49], v[42:43], v[46:47]
	v_mov_b32_e32 v45, v42
	v_mov_b32_e32 v41, v49
	v_pk_add_f32 v[50:51], v[44:45], v[40:41] neg_lo:[0,1] neg_hi:[0,1]
	v_pk_add_f32 v[40:41], v[44:45], v[40:41]
	v_mov_b32_e32 v46, v47
	v_pk_add_f32 v[44:45], v[40:41], v[42:43] op_sel:[1,0] op_sel_hi:[0,1] neg_lo:[0,1] neg_hi:[0,1]
	v_pk_add_f32 v[52:53], v[48:49], v[44:45] op_sel_hi:[1,0] neg_lo:[0,1] neg_hi:[0,1]
	v_mov_b32_e32 v48, v49
	v_mov_b32_e32 v49, v41
	v_pk_mov_b32 v[44:45], v[42:43], v[44:45] op_sel:[1,0]
	v_mov_b32_e32 v47, v42
	v_pk_add_f32 v[44:45], v[48:49], v[44:45] neg_lo:[0,1] neg_hi:[0,1]
	v_mov_b32_e32 v52, v50
	v_pk_add_f32 v[42:43], v[46:47], v[44:45] neg_lo:[0,1] neg_hi:[0,1]
	v_mov_b32_e32 v51, v41
	v_pk_add_f32 v[44:45], v[52:53], v[42:43]
	v_cmp_neq_f32_e64 s[34:35], s57, v39
	v_pk_add_f32 v[46:47], v[44:45], v[44:45] op_sel:[0,1] op_sel_hi:[1,0]
	s_nop 0
	v_pk_add_f32 v[40:41], v[40:41], v[46:47] op_sel:[1,0] op_sel_hi:[0,1]
	v_mov_b32_e32 v45, v40
	v_pk_add_f32 v[48:49], v[44:45], v[50:51] neg_lo:[0,1] neg_hi:[0,1]
	v_mov_b32_e32 v43, v46
	v_sub_f32_e32 v41, v44, v48
	v_pk_add_f32 v[42:43], v[42:43], v[48:49] neg_lo:[0,1] neg_hi:[0,1]
	v_sub_f32_e32 v41, v50, v41
	v_add_f32_e32 v41, v42, v41
	v_add_f32_e32 v41, v41, v43
	;; [unrolled: 1-line block ×3, first 2 shown]
	v_cndmask_b32_e64 v40, v54, v40, s[34:35]
	s_mov_b32 s34, 0x33800000
	v_cmp_lt_f32_e64 s[34:35], |v39|, s34
	s_nop 1
	v_cndmask_b32_e64 v39, v40, v39, s[34:35]
	v_add_f32_e32 v40, v38, v39
.LBB88_262:
	s_or_b64 exec, exec, s[36:37]
	v_mov_b32_e32 v39, v40
.LBB88_263:
	s_or_b64 exec, exec, s[54:55]
	s_nop 0
	v_mov_b32_dpp v40, v39 row_bcast:31 row_mask:0xf bank_mask:0xf
	v_cmp_lt_u32_e64 s[34:35], 31, v7
	s_and_saveexec_b64 s[54:55], s[34:35]
	s_cbranch_execz .LBB88_267
; %bb.264:
	v_max_f32_e32 v38, v39, v39
	v_max_f32_e32 v42, v40, v40
	v_min_f32_e32 v41, v42, v38
	v_cmp_u_f32_e64 s[34:35], v40, v40
	v_max_f32_e32 v38, v42, v38
	v_cmp_u_f32_e64 s[36:37], v39, v39
	v_cndmask_b32_e64 v41, v41, v40, s[34:35]
	v_cndmask_b32_e64 v38, v38, v40, s[34:35]
	;; [unrolled: 1-line block ×4, first 2 shown]
	s_movk_i32 s36, 0x1f8
	v_cmp_neq_f32_e64 s[34:35], v41, v38
	v_cmp_class_f32_e64 s[36:37], v41, s36
	s_or_b64 s[34:35], s[34:35], s[36:37]
	s_and_saveexec_b64 s[36:37], s[34:35]
	s_cbranch_execz .LBB88_266
; %bb.265:
	v_sub_f32_e32 v39, v41, v38
	s_mov_b32 s34, 0x3fb8aa3b
	v_mul_f32_e32 v40, 0x3fb8aa3b, v39
	v_fma_f32 v41, v39, s34, -v40
	v_rndne_f32_e32 v42, v40
	v_fmamk_f32 v41, v39, 0x32a5705f, v41
	v_sub_f32_e32 v40, v40, v42
	v_add_f32_e32 v40, v40, v41
	v_exp_f32_e32 v40, v40
	v_cvt_i32_f32_e32 v41, v42
	s_mov_b32 s34, 0xc2ce8ed0
	v_cmp_ngt_f32_e64 s[34:35], s34, v39
	v_mov_b32_e32 v54, 0x7f800000
	v_ldexp_f32 v40, v40, v41
	v_cndmask_b32_e64 v40, 0, v40, s[34:35]
	s_mov_b32 s34, 0x42b17218
	v_cmp_nlt_f32_e64 s[34:35], s34, v39
	s_mov_b32 s57, 0x7f800000
	s_nop 0
	v_cndmask_b32_e64 v39, v54, v40, s[34:35]
	v_add_f32_e32 v42, 1.0, v39
	v_add_f32_e32 v40, -1.0, v42
	v_sub_f32_e32 v41, v40, v42
	v_add_f32_e32 v41, 1.0, v41
	v_sub_f32_e32 v40, v39, v40
	v_add_f32_e32 v43, v40, v41
	v_frexp_mant_f32_e32 v44, v42
	s_mov_b32 s34, 0x3f2aaaab
	v_cvt_f64_f32_e32 v[40:41], v42
	v_frexp_exp_i32_f64_e32 v40, v[40:41]
	v_cmp_gt_f32_e64 s[34:35], s34, v44
	s_nop 1
	v_subbrev_co_u32_e64 v48, s[34:35], 0, v40, s[34:35]
	v_sub_u32_e32 v40, 0, v48
	v_ldexp_f32 v41, v42, v40
	v_add_f32_e32 v42, -1.0, v41
	v_add_f32_e32 v44, 1.0, v41
	v_ldexp_f32 v40, v43, v40
	v_add_f32_e32 v43, 1.0, v42
	v_add_f32_e32 v45, -1.0, v44
	v_sub_f32_e32 v43, v41, v43
	v_sub_f32_e32 v41, v41, v45
	v_add_f32_e32 v43, v40, v43
	v_add_f32_e32 v40, v40, v41
	v_add_f32_e32 v49, v44, v40
	v_rcp_f32_e32 v51, v49
	v_sub_f32_e32 v41, v44, v49
	v_add_f32_e32 v50, v40, v41
	v_add_f32_e32 v41, v42, v43
	v_mul_f32_e32 v53, v41, v51
	v_sub_f32_e32 v40, v42, v41
	v_mul_f32_e32 v42, v49, v53
	v_fma_f32 v44, v53, v49, -v42
	v_fmac_f32_e32 v44, v53, v50
	v_add_f32_e32 v52, v43, v40
	v_add_f32_e32 v40, v42, v44
	v_sub_f32_e32 v43, v41, v40
	v_pk_add_f32 v[46:47], v[40:41], v[42:43] neg_lo:[0,1] neg_hi:[0,1]
	v_mov_b32_e32 v45, v40
	v_pk_add_f32 v[40:41], v[46:47], v[44:45] neg_lo:[0,1] neg_hi:[0,1]
	s_mov_b32 s34, 0x3f317218
	v_add_f32_e32 v41, v52, v41
	v_add_f32_e32 v40, v40, v41
	;; [unrolled: 1-line block ×3, first 2 shown]
	v_mul_f32_e32 v52, v51, v41
	v_mul_f32_e32 v42, v49, v52
	v_fma_f32 v44, v52, v49, -v42
	v_fmac_f32_e32 v44, v52, v50
	v_sub_f32_e32 v43, v43, v41
	v_add_f32_e32 v49, v40, v43
	v_add_f32_e32 v40, v42, v44
	v_sub_f32_e32 v43, v41, v40
	v_pk_add_f32 v[46:47], v[40:41], v[42:43] neg_lo:[0,1] neg_hi:[0,1]
	v_mov_b32_e32 v45, v40
	v_pk_add_f32 v[40:41], v[46:47], v[44:45] neg_lo:[0,1] neg_hi:[0,1]
	v_cvt_f32_i32_e32 v42, v48
	v_add_f32_e32 v41, v49, v41
	v_add_f32_e32 v40, v40, v41
	;; [unrolled: 1-line block ×4, first 2 shown]
	v_sub_f32_e32 v41, v43, v53
	v_mul_f32_e32 v40, v51, v40
	v_sub_f32_e32 v41, v52, v41
	v_add_f32_e32 v40, v41, v40
	v_add_f32_e32 v44, v43, v40
	v_mul_f32_e32 v46, v44, v44
	v_mov_b32_e32 v41, 0x3ecc95a3
	v_sub_f32_e32 v43, v44, v43
	v_fmac_f32_e32 v41, 0x3e9b6dac, v46
	v_sub_f32_e32 v40, v40, v43
	v_fmaak_f32 v41, v46, v41, 0x3f2aaada
	v_ldexp_f32 v47, v40, 1
	v_mul_f32_e32 v43, v44, v46
	v_mov_b32_e32 v40, 0x3f317218
	v_pk_mul_f32 v[40:41], v[42:43], v[40:41]
	v_ldexp_f32 v45, v44, 1
	v_fma_f32 v43, v42, s34, -v40
	v_fmamk_f32 v44, v42, 0xb102e308, v43
	v_pk_add_f32 v[42:43], v[40:41], v[44:45]
	v_mov_b32_e32 v46, v40
	v_sub_f32_e32 v45, v43, v45
	v_sub_f32_e32 v45, v41, v45
	v_add_f32_e32 v47, v47, v45
	v_pk_add_f32 v[40:41], v[42:43], v[40:41] neg_lo:[0,1] neg_hi:[0,1]
	v_pk_add_f32 v[48:49], v[42:43], v[46:47]
	v_mov_b32_e32 v45, v42
	v_mov_b32_e32 v41, v49
	v_pk_add_f32 v[50:51], v[44:45], v[40:41] neg_lo:[0,1] neg_hi:[0,1]
	v_pk_add_f32 v[40:41], v[44:45], v[40:41]
	v_mov_b32_e32 v46, v47
	v_pk_add_f32 v[44:45], v[40:41], v[42:43] op_sel:[1,0] op_sel_hi:[0,1] neg_lo:[0,1] neg_hi:[0,1]
	v_pk_add_f32 v[52:53], v[48:49], v[44:45] op_sel_hi:[1,0] neg_lo:[0,1] neg_hi:[0,1]
	v_mov_b32_e32 v48, v49
	v_mov_b32_e32 v49, v41
	v_pk_mov_b32 v[44:45], v[42:43], v[44:45] op_sel:[1,0]
	v_mov_b32_e32 v47, v42
	v_pk_add_f32 v[44:45], v[48:49], v[44:45] neg_lo:[0,1] neg_hi:[0,1]
	v_mov_b32_e32 v52, v50
	v_pk_add_f32 v[42:43], v[46:47], v[44:45] neg_lo:[0,1] neg_hi:[0,1]
	v_mov_b32_e32 v51, v41
	v_pk_add_f32 v[44:45], v[52:53], v[42:43]
	v_cmp_neq_f32_e64 s[34:35], s57, v39
	v_pk_add_f32 v[46:47], v[44:45], v[44:45] op_sel:[0,1] op_sel_hi:[1,0]
	s_nop 0
	v_pk_add_f32 v[40:41], v[40:41], v[46:47] op_sel:[1,0] op_sel_hi:[0,1]
	v_mov_b32_e32 v45, v40
	v_pk_add_f32 v[48:49], v[44:45], v[50:51] neg_lo:[0,1] neg_hi:[0,1]
	v_mov_b32_e32 v43, v46
	v_sub_f32_e32 v41, v44, v48
	v_pk_add_f32 v[42:43], v[42:43], v[48:49] neg_lo:[0,1] neg_hi:[0,1]
	v_sub_f32_e32 v41, v50, v41
	v_add_f32_e32 v41, v42, v41
	v_add_f32_e32 v41, v41, v43
	v_add_f32_e32 v40, v40, v41
	v_cndmask_b32_e64 v40, v54, v40, s[34:35]
	s_mov_b32 s34, 0x33800000
	v_cmp_lt_f32_e64 s[34:35], |v39|, s34
	s_nop 1
	v_cndmask_b32_e64 v39, v40, v39, s[34:35]
	v_add_f32_e32 v40, v38, v39
.LBB88_266:
	s_or_b64 exec, exec, s[36:37]
	v_mov_b32_e32 v39, v40
.LBB88_267:
	s_or_b64 exec, exec, s[54:55]
	v_add_u32_e32 v38, -1, v7
	v_and_b32_e32 v40, 64, v7
	v_cmp_lt_i32_e64 s[34:35], v38, v40
	s_movk_i32 s36, 0x1f8
	s_nop 0
	v_cndmask_b32_e64 v7, v38, v7, s[34:35]
	v_lshlrev_b32_e32 v7, 2, v7
	ds_bpermute_b32 v7, v7, v39
	s_waitcnt lgkmcnt(0)
	v_max_f32_e32 v38, v7, v7
	v_min_f32_e32 v39, v38, v37
	v_max_f32_e32 v38, v38, v37
	v_cmp_u_f32_e64 s[34:35], v7, v7
	s_nop 1
	v_cndmask_b32_e64 v37, v39, v7, s[34:35]
	v_cndmask_b32_e64 v38, v38, v7, s[34:35]
	;; [unrolled: 1-line block ×4, first 2 shown]
	v_cmp_neq_f32_e64 s[30:31], v37, v6
	v_cmp_class_f32_e64 s[34:35], v37, s36
	s_or_b64 s[30:31], s[30:31], s[34:35]
	s_and_saveexec_b64 s[34:35], s[30:31]
	s_cbranch_execz .LBB88_269
; %bb.268:
	v_sub_f32_e32 v7, v37, v6
	s_mov_b32 s30, 0x3fb8aa3b
	v_mul_f32_e32 v37, 0x3fb8aa3b, v7
	v_fma_f32 v38, v7, s30, -v37
	v_rndne_f32_e32 v39, v37
	v_fmamk_f32 v38, v7, 0x32a5705f, v38
	v_sub_f32_e32 v37, v37, v39
	v_add_f32_e32 v37, v37, v38
	v_exp_f32_e32 v37, v37
	v_cvt_i32_f32_e32 v38, v39
	s_mov_b32 s30, 0xc2ce8ed0
	v_cmp_ngt_f32_e64 s[30:31], s30, v7
	v_mov_b32_e32 v52, 0x7f800000
	v_ldexp_f32 v37, v37, v38
	v_cndmask_b32_e64 v37, 0, v37, s[30:31]
	s_mov_b32 s30, 0x42b17218
	v_cmp_nlt_f32_e64 s[30:31], s30, v7
	s_mov_b32 s37, 0x7f800000
	s_nop 0
	v_cndmask_b32_e64 v7, v52, v37, s[30:31]
	v_add_f32_e32 v37, 1.0, v7
	v_add_f32_e32 v38, -1.0, v37
	v_sub_f32_e32 v39, v38, v37
	v_add_f32_e32 v39, 1.0, v39
	v_sub_f32_e32 v38, v7, v38
	v_add_f32_e32 v40, v38, v39
	v_frexp_mant_f32_e32 v41, v37
	s_mov_b32 s30, 0x3f2aaaab
	v_cvt_f64_f32_e32 v[38:39], v37
	v_frexp_exp_i32_f64_e32 v38, v[38:39]
	v_cmp_gt_f32_e64 s[30:31], s30, v41
	s_nop 1
	v_subbrev_co_u32_e64 v46, s[30:31], 0, v38, s[30:31]
	v_sub_u32_e32 v38, 0, v46
	v_ldexp_f32 v37, v37, v38
	v_ldexp_f32 v38, v40, v38
	v_add_f32_e32 v40, -1.0, v37
	v_add_f32_e32 v39, 1.0, v40
	v_sub_f32_e32 v39, v37, v39
	v_add_f32_e32 v41, v38, v39
	v_add_f32_e32 v39, 1.0, v37
	v_add_f32_e32 v42, -1.0, v39
	v_sub_f32_e32 v37, v37, v42
	v_add_f32_e32 v37, v38, v37
	v_add_f32_e32 v47, v39, v37
	v_rcp_f32_e32 v48, v47
	v_sub_f32_e32 v38, v39, v47
	v_add_f32_e32 v39, v40, v41
	v_add_f32_e32 v37, v37, v38
	v_mul_f32_e32 v50, v39, v48
	v_sub_f32_e32 v38, v40, v39
	v_mul_f32_e32 v40, v47, v50
	v_fma_f32 v42, v50, v47, -v40
	v_fmac_f32_e32 v42, v50, v37
	v_add_f32_e32 v49, v41, v38
	v_add_f32_e32 v38, v40, v42
	v_sub_f32_e32 v41, v39, v38
	v_pk_add_f32 v[44:45], v[38:39], v[40:41] neg_lo:[0,1] neg_hi:[0,1]
	v_mov_b32_e32 v43, v38
	v_pk_add_f32 v[38:39], v[44:45], v[42:43] neg_lo:[0,1] neg_hi:[0,1]
	s_mov_b32 s30, 0x3f317218
	v_add_f32_e32 v39, v49, v39
	v_add_f32_e32 v38, v38, v39
	;; [unrolled: 1-line block ×3, first 2 shown]
	v_mul_f32_e32 v49, v48, v39
	v_mul_f32_e32 v40, v47, v49
	v_fma_f32 v42, v49, v47, -v40
	v_fmac_f32_e32 v42, v49, v37
	v_sub_f32_e32 v37, v41, v39
	v_add_f32_e32 v37, v38, v37
	v_add_f32_e32 v38, v40, v42
	v_sub_f32_e32 v41, v39, v38
	v_pk_add_f32 v[44:45], v[38:39], v[40:41] neg_lo:[0,1] neg_hi:[0,1]
	v_mov_b32_e32 v43, v38
	v_pk_add_f32 v[38:39], v[44:45], v[42:43] neg_lo:[0,1] neg_hi:[0,1]
	v_cvt_f32_i32_e32 v40, v46
	v_add_f32_e32 v37, v37, v39
	v_add_f32_e32 v37, v38, v37
	;; [unrolled: 1-line block ×4, first 2 shown]
	v_sub_f32_e32 v39, v38, v50
	v_mul_f32_e32 v37, v48, v37
	v_sub_f32_e32 v39, v49, v39
	v_add_f32_e32 v37, v39, v37
	v_add_f32_e32 v41, v38, v37
	v_mul_f32_e32 v42, v41, v41
	v_mov_b32_e32 v39, 0x3ecc95a3
	v_fmac_f32_e32 v39, 0x3e9b6dac, v42
	v_sub_f32_e32 v38, v41, v38
	v_fmaak_f32 v39, v42, v39, 0x3f2aaada
	v_sub_f32_e32 v37, v37, v38
	v_ldexp_f32 v43, v41, 1
	v_mul_f32_e32 v41, v41, v42
	v_mov_b32_e32 v38, 0x3f317218
	v_pk_mul_f32 v[38:39], v[40:41], v[38:39]
	v_ldexp_f32 v37, v37, 1
	v_fma_f32 v41, v40, s30, -v38
	v_fmamk_f32 v42, v40, 0xb102e308, v41
	v_pk_add_f32 v[40:41], v[38:39], v[42:43]
	v_mov_b32_e32 v44, v38
	v_sub_f32_e32 v43, v41, v43
	v_sub_f32_e32 v43, v39, v43
	v_add_f32_e32 v45, v37, v43
	v_pk_add_f32 v[38:39], v[40:41], v[38:39] neg_lo:[0,1] neg_hi:[0,1]
	v_pk_add_f32 v[46:47], v[40:41], v[44:45]
	v_mov_b32_e32 v43, v40
	v_mov_b32_e32 v39, v47
	v_pk_add_f32 v[48:49], v[42:43], v[38:39] neg_lo:[0,1] neg_hi:[0,1]
	v_pk_add_f32 v[38:39], v[42:43], v[38:39]
	v_mov_b32_e32 v44, v45
	v_pk_add_f32 v[42:43], v[38:39], v[40:41] op_sel:[1,0] op_sel_hi:[0,1] neg_lo:[0,1] neg_hi:[0,1]
	v_pk_add_f32 v[50:51], v[46:47], v[42:43] op_sel_hi:[1,0] neg_lo:[0,1] neg_hi:[0,1]
	v_mov_b32_e32 v46, v47
	v_mov_b32_e32 v47, v39
	v_pk_mov_b32 v[42:43], v[40:41], v[42:43] op_sel:[1,0]
	v_mov_b32_e32 v45, v40
	v_pk_add_f32 v[42:43], v[46:47], v[42:43] neg_lo:[0,1] neg_hi:[0,1]
	v_mov_b32_e32 v50, v48
	v_pk_add_f32 v[40:41], v[44:45], v[42:43] neg_lo:[0,1] neg_hi:[0,1]
	v_mov_b32_e32 v49, v39
	v_pk_add_f32 v[42:43], v[50:51], v[40:41]
	v_cmp_neq_f32_e64 s[30:31], s37, v7
	v_pk_add_f32 v[44:45], v[42:43], v[42:43] op_sel:[0,1] op_sel_hi:[1,0]
	s_nop 0
	v_pk_add_f32 v[38:39], v[38:39], v[44:45] op_sel:[1,0] op_sel_hi:[0,1]
	v_mov_b32_e32 v43, v38
	v_pk_add_f32 v[46:47], v[42:43], v[48:49] neg_lo:[0,1] neg_hi:[0,1]
	v_mov_b32_e32 v41, v44
	v_sub_f32_e32 v37, v42, v46
	v_pk_add_f32 v[40:41], v[40:41], v[46:47] neg_lo:[0,1] neg_hi:[0,1]
	v_sub_f32_e32 v37, v48, v37
	v_add_f32_e32 v37, v40, v37
	v_add_f32_e32 v37, v37, v41
	;; [unrolled: 1-line block ×3, first 2 shown]
	v_cndmask_b32_e64 v37, v52, v37, s[30:31]
	s_mov_b32 s30, 0x33800000
	v_cmp_lt_f32_e64 s[30:31], |v7|, s30
	s_nop 1
	v_cndmask_b32_e64 v7, v37, v7, s[30:31]
	v_add_f32_e32 v7, v6, v7
.LBB88_269:
	s_or_b64 exec, exec, s[34:35]
	v_cndmask_b32_e64 v7, v7, v36, s[28:29]
	; wave barrier
	ds_write_b32 v35, v7
	; wave barrier
	ds_read_b32 v6, v35 offset:4
	v_max_f32_e32 v37, v7, v7
	v_cmp_u_f32_e64 s[28:29], v7, v7
	s_waitcnt lgkmcnt(0)
	v_max_f32_e32 v38, v6, v6
	v_min_f32_e32 v36, v37, v38
	v_max_f32_e32 v37, v37, v38
	v_cndmask_b32_e64 v36, v36, v7, s[28:29]
	v_cmp_u_f32_e64 s[30:31], v6, v6
	v_cndmask_b32_e64 v37, v37, v7, s[28:29]
	s_nop 0
	v_cndmask_b32_e64 v36, v36, v6, s[30:31]
	v_cndmask_b32_e64 v6, v37, v6, s[30:31]
	v_cmp_neq_f32_e64 s[28:29], v36, v6
	v_cmp_class_f32_e64 s[30:31], v36, s36
	s_or_b64 s[28:29], s[28:29], s[30:31]
	s_and_saveexec_b64 s[30:31], s[28:29]
	s_cbranch_execz .LBB88_271
; %bb.270:
	v_sub_f32_e32 v7, v36, v6
	s_mov_b32 s28, 0x3fb8aa3b
	v_mul_f32_e32 v36, 0x3fb8aa3b, v7
	v_fma_f32 v37, v7, s28, -v36
	v_rndne_f32_e32 v38, v36
	v_fmamk_f32 v37, v7, 0x32a5705f, v37
	v_sub_f32_e32 v36, v36, v38
	v_add_f32_e32 v36, v36, v37
	v_exp_f32_e32 v36, v36
	v_cvt_i32_f32_e32 v37, v38
	s_mov_b32 s28, 0xc2ce8ed0
	v_cmp_ngt_f32_e64 s[28:29], s28, v7
	v_mov_b32_e32 v50, 0x7f800000
	v_ldexp_f32 v36, v36, v37
	v_cndmask_b32_e64 v36, 0, v36, s[28:29]
	s_mov_b32 s28, 0x42b17218
	v_cmp_nlt_f32_e64 s[28:29], s28, v7
	s_mov_b32 s34, 0x7f800000
	s_nop 0
	v_cndmask_b32_e64 v7, v50, v36, s[28:29]
	v_add_f32_e32 v38, 1.0, v7
	v_add_f32_e32 v36, -1.0, v38
	v_sub_f32_e32 v37, v36, v38
	v_add_f32_e32 v37, 1.0, v37
	v_sub_f32_e32 v36, v7, v36
	v_add_f32_e32 v39, v36, v37
	v_frexp_mant_f32_e32 v40, v38
	s_mov_b32 s28, 0x3f2aaaab
	v_cvt_f64_f32_e32 v[36:37], v38
	v_frexp_exp_i32_f64_e32 v36, v[36:37]
	v_cmp_gt_f32_e64 s[28:29], s28, v40
	s_nop 1
	v_subbrev_co_u32_e64 v44, s[28:29], 0, v36, s[28:29]
	v_sub_u32_e32 v36, 0, v44
	v_ldexp_f32 v37, v38, v36
	v_add_f32_e32 v38, -1.0, v37
	v_add_f32_e32 v40, 1.0, v37
	v_ldexp_f32 v36, v39, v36
	v_add_f32_e32 v39, 1.0, v38
	v_add_f32_e32 v41, -1.0, v40
	v_sub_f32_e32 v39, v37, v39
	v_sub_f32_e32 v37, v37, v41
	v_add_f32_e32 v39, v36, v39
	v_add_f32_e32 v36, v36, v37
	v_add_f32_e32 v45, v40, v36
	v_rcp_f32_e32 v47, v45
	v_sub_f32_e32 v37, v40, v45
	v_add_f32_e32 v46, v36, v37
	v_add_f32_e32 v37, v38, v39
	v_mul_f32_e32 v49, v37, v47
	v_sub_f32_e32 v36, v38, v37
	v_mul_f32_e32 v38, v45, v49
	v_fma_f32 v40, v49, v45, -v38
	v_fmac_f32_e32 v40, v49, v46
	v_add_f32_e32 v48, v39, v36
	v_add_f32_e32 v36, v38, v40
	v_sub_f32_e32 v39, v37, v36
	v_pk_add_f32 v[42:43], v[36:37], v[38:39] neg_lo:[0,1] neg_hi:[0,1]
	v_mov_b32_e32 v41, v36
	v_pk_add_f32 v[36:37], v[42:43], v[40:41] neg_lo:[0,1] neg_hi:[0,1]
	s_mov_b32 s28, 0x3f317218
	v_add_f32_e32 v37, v48, v37
	v_add_f32_e32 v36, v36, v37
	;; [unrolled: 1-line block ×3, first 2 shown]
	v_mul_f32_e32 v48, v47, v37
	v_mul_f32_e32 v38, v45, v48
	v_fma_f32 v40, v48, v45, -v38
	v_fmac_f32_e32 v40, v48, v46
	v_sub_f32_e32 v39, v39, v37
	v_add_f32_e32 v45, v36, v39
	v_add_f32_e32 v36, v38, v40
	v_sub_f32_e32 v39, v37, v36
	v_pk_add_f32 v[42:43], v[36:37], v[38:39] neg_lo:[0,1] neg_hi:[0,1]
	v_mov_b32_e32 v41, v36
	v_pk_add_f32 v[36:37], v[42:43], v[40:41] neg_lo:[0,1] neg_hi:[0,1]
	v_cvt_f32_i32_e32 v38, v44
	v_add_f32_e32 v37, v45, v37
	v_add_f32_e32 v36, v36, v37
	;; [unrolled: 1-line block ×4, first 2 shown]
	v_sub_f32_e32 v37, v39, v49
	v_mul_f32_e32 v36, v47, v36
	v_sub_f32_e32 v37, v48, v37
	v_add_f32_e32 v36, v37, v36
	v_add_f32_e32 v40, v39, v36
	v_mul_f32_e32 v42, v40, v40
	v_mov_b32_e32 v37, 0x3ecc95a3
	v_sub_f32_e32 v39, v40, v39
	v_fmac_f32_e32 v37, 0x3e9b6dac, v42
	v_sub_f32_e32 v36, v36, v39
	v_fmaak_f32 v37, v42, v37, 0x3f2aaada
	v_ldexp_f32 v43, v36, 1
	v_mul_f32_e32 v39, v40, v42
	v_mov_b32_e32 v36, 0x3f317218
	v_pk_mul_f32 v[36:37], v[38:39], v[36:37]
	v_ldexp_f32 v41, v40, 1
	v_fma_f32 v39, v38, s28, -v36
	v_fmamk_f32 v40, v38, 0xb102e308, v39
	v_pk_add_f32 v[38:39], v[36:37], v[40:41]
	v_mov_b32_e32 v42, v36
	v_sub_f32_e32 v41, v39, v41
	v_sub_f32_e32 v41, v37, v41
	v_add_f32_e32 v43, v43, v41
	v_pk_add_f32 v[36:37], v[38:39], v[36:37] neg_lo:[0,1] neg_hi:[0,1]
	v_pk_add_f32 v[44:45], v[38:39], v[42:43]
	v_mov_b32_e32 v41, v38
	v_mov_b32_e32 v37, v45
	v_pk_add_f32 v[46:47], v[40:41], v[36:37] neg_lo:[0,1] neg_hi:[0,1]
	v_pk_add_f32 v[36:37], v[40:41], v[36:37]
	v_mov_b32_e32 v42, v43
	v_pk_add_f32 v[40:41], v[36:37], v[38:39] op_sel:[1,0] op_sel_hi:[0,1] neg_lo:[0,1] neg_hi:[0,1]
	v_pk_add_f32 v[48:49], v[44:45], v[40:41] op_sel_hi:[1,0] neg_lo:[0,1] neg_hi:[0,1]
	v_mov_b32_e32 v44, v45
	v_mov_b32_e32 v45, v37
	v_pk_mov_b32 v[40:41], v[38:39], v[40:41] op_sel:[1,0]
	v_mov_b32_e32 v43, v38
	v_pk_add_f32 v[40:41], v[44:45], v[40:41] neg_lo:[0,1] neg_hi:[0,1]
	v_mov_b32_e32 v48, v46
	v_pk_add_f32 v[38:39], v[42:43], v[40:41] neg_lo:[0,1] neg_hi:[0,1]
	v_mov_b32_e32 v47, v37
	v_pk_add_f32 v[40:41], v[48:49], v[38:39]
	v_cmp_neq_f32_e64 s[28:29], s34, v7
	v_pk_add_f32 v[42:43], v[40:41], v[40:41] op_sel:[0,1] op_sel_hi:[1,0]
	s_nop 0
	v_pk_add_f32 v[36:37], v[36:37], v[42:43] op_sel:[1,0] op_sel_hi:[0,1]
	v_mov_b32_e32 v41, v36
	v_pk_add_f32 v[44:45], v[40:41], v[46:47] neg_lo:[0,1] neg_hi:[0,1]
	v_mov_b32_e32 v39, v42
	v_sub_f32_e32 v37, v40, v44
	v_pk_add_f32 v[38:39], v[38:39], v[44:45] neg_lo:[0,1] neg_hi:[0,1]
	v_sub_f32_e32 v37, v46, v37
	v_add_f32_e32 v37, v38, v37
	v_add_f32_e32 v37, v37, v39
	;; [unrolled: 1-line block ×3, first 2 shown]
	v_cndmask_b32_e64 v36, v50, v36, s[28:29]
	s_mov_b32 s28, 0x33800000
	v_cmp_lt_f32_e64 s[28:29], |v7|, s28
	s_nop 1
	v_cndmask_b32_e64 v7, v36, v7, s[28:29]
	v_add_f32_e32 v7, v6, v7
.LBB88_271:
	s_or_b64 exec, exec, s[30:31]
	ds_read_b32 v6, v35 offset:8
	v_max_f32_e32 v37, v7, v7
	v_cmp_u_f32_e64 s[28:29], v7, v7
	s_movk_i32 s34, 0x1f8
	ds_write_b32 v35, v7 offset:4
	s_waitcnt lgkmcnt(1)
	v_max_f32_e32 v38, v6, v6
	v_min_f32_e32 v36, v37, v38
	v_max_f32_e32 v37, v37, v38
	v_cndmask_b32_e64 v36, v36, v7, s[28:29]
	v_cmp_u_f32_e64 s[30:31], v6, v6
	v_cndmask_b32_e64 v37, v37, v7, s[28:29]
	s_nop 0
	v_cndmask_b32_e64 v36, v36, v6, s[30:31]
	v_cndmask_b32_e64 v6, v37, v6, s[30:31]
	v_cmp_neq_f32_e64 s[28:29], v36, v6
	v_cmp_class_f32_e64 s[30:31], v36, s34
	s_or_b64 s[28:29], s[28:29], s[30:31]
	s_and_saveexec_b64 s[30:31], s[28:29]
	s_cbranch_execz .LBB88_273
; %bb.272:
	v_sub_f32_e32 v7, v36, v6
	s_mov_b32 s28, 0x3fb8aa3b
	v_mul_f32_e32 v36, 0x3fb8aa3b, v7
	v_fma_f32 v37, v7, s28, -v36
	v_rndne_f32_e32 v38, v36
	v_fmamk_f32 v37, v7, 0x32a5705f, v37
	v_sub_f32_e32 v36, v36, v38
	v_add_f32_e32 v36, v36, v37
	v_exp_f32_e32 v36, v36
	v_cvt_i32_f32_e32 v37, v38
	s_mov_b32 s28, 0xc2ce8ed0
	v_cmp_ngt_f32_e64 s[28:29], s28, v7
	v_mov_b32_e32 v50, 0x7f800000
	v_ldexp_f32 v36, v36, v37
	v_cndmask_b32_e64 v36, 0, v36, s[28:29]
	s_mov_b32 s28, 0x42b17218
	v_cmp_nlt_f32_e64 s[28:29], s28, v7
	s_mov_b32 s35, 0x7f800000
	s_nop 0
	v_cndmask_b32_e64 v7, v50, v36, s[28:29]
	v_add_f32_e32 v38, 1.0, v7
	v_add_f32_e32 v36, -1.0, v38
	v_sub_f32_e32 v37, v36, v38
	v_add_f32_e32 v37, 1.0, v37
	v_sub_f32_e32 v36, v7, v36
	v_add_f32_e32 v39, v36, v37
	v_frexp_mant_f32_e32 v40, v38
	s_mov_b32 s28, 0x3f2aaaab
	v_cvt_f64_f32_e32 v[36:37], v38
	v_frexp_exp_i32_f64_e32 v36, v[36:37]
	v_cmp_gt_f32_e64 s[28:29], s28, v40
	s_nop 1
	v_subbrev_co_u32_e64 v44, s[28:29], 0, v36, s[28:29]
	v_sub_u32_e32 v36, 0, v44
	v_ldexp_f32 v37, v38, v36
	v_add_f32_e32 v38, -1.0, v37
	v_add_f32_e32 v40, 1.0, v37
	v_ldexp_f32 v36, v39, v36
	v_add_f32_e32 v39, 1.0, v38
	v_add_f32_e32 v41, -1.0, v40
	v_sub_f32_e32 v39, v37, v39
	v_sub_f32_e32 v37, v37, v41
	v_add_f32_e32 v39, v36, v39
	v_add_f32_e32 v36, v36, v37
	;; [unrolled: 1-line block ×3, first 2 shown]
	v_rcp_f32_e32 v47, v45
	v_sub_f32_e32 v37, v40, v45
	v_add_f32_e32 v46, v36, v37
	v_add_f32_e32 v37, v38, v39
	v_mul_f32_e32 v49, v37, v47
	v_sub_f32_e32 v36, v38, v37
	v_mul_f32_e32 v38, v45, v49
	v_fma_f32 v40, v49, v45, -v38
	v_fmac_f32_e32 v40, v49, v46
	v_add_f32_e32 v48, v39, v36
	v_add_f32_e32 v36, v38, v40
	v_sub_f32_e32 v39, v37, v36
	v_pk_add_f32 v[42:43], v[36:37], v[38:39] neg_lo:[0,1] neg_hi:[0,1]
	v_mov_b32_e32 v41, v36
	v_pk_add_f32 v[36:37], v[42:43], v[40:41] neg_lo:[0,1] neg_hi:[0,1]
	s_mov_b32 s28, 0x3f317218
	v_add_f32_e32 v37, v48, v37
	v_add_f32_e32 v36, v36, v37
	v_add_f32_e32 v37, v39, v36
	v_mul_f32_e32 v48, v47, v37
	v_mul_f32_e32 v38, v45, v48
	v_fma_f32 v40, v48, v45, -v38
	v_fmac_f32_e32 v40, v48, v46
	v_sub_f32_e32 v39, v39, v37
	v_add_f32_e32 v45, v36, v39
	v_add_f32_e32 v36, v38, v40
	v_sub_f32_e32 v39, v37, v36
	v_pk_add_f32 v[42:43], v[36:37], v[38:39] neg_lo:[0,1] neg_hi:[0,1]
	v_mov_b32_e32 v41, v36
	v_pk_add_f32 v[36:37], v[42:43], v[40:41] neg_lo:[0,1] neg_hi:[0,1]
	v_cvt_f32_i32_e32 v38, v44
	v_add_f32_e32 v37, v45, v37
	v_add_f32_e32 v36, v36, v37
	;; [unrolled: 1-line block ×4, first 2 shown]
	v_sub_f32_e32 v37, v39, v49
	v_mul_f32_e32 v36, v47, v36
	v_sub_f32_e32 v37, v48, v37
	v_add_f32_e32 v36, v37, v36
	v_add_f32_e32 v40, v39, v36
	v_mul_f32_e32 v42, v40, v40
	v_mov_b32_e32 v37, 0x3ecc95a3
	v_sub_f32_e32 v39, v40, v39
	v_fmac_f32_e32 v37, 0x3e9b6dac, v42
	v_sub_f32_e32 v36, v36, v39
	v_fmaak_f32 v37, v42, v37, 0x3f2aaada
	v_ldexp_f32 v43, v36, 1
	v_mul_f32_e32 v39, v40, v42
	v_mov_b32_e32 v36, 0x3f317218
	v_pk_mul_f32 v[36:37], v[38:39], v[36:37]
	v_ldexp_f32 v41, v40, 1
	v_fma_f32 v39, v38, s28, -v36
	v_fmamk_f32 v40, v38, 0xb102e308, v39
	v_pk_add_f32 v[38:39], v[36:37], v[40:41]
	v_mov_b32_e32 v42, v36
	v_sub_f32_e32 v41, v39, v41
	v_sub_f32_e32 v41, v37, v41
	v_add_f32_e32 v43, v43, v41
	v_pk_add_f32 v[36:37], v[38:39], v[36:37] neg_lo:[0,1] neg_hi:[0,1]
	v_pk_add_f32 v[44:45], v[38:39], v[42:43]
	v_mov_b32_e32 v41, v38
	v_mov_b32_e32 v37, v45
	v_pk_add_f32 v[46:47], v[40:41], v[36:37] neg_lo:[0,1] neg_hi:[0,1]
	v_pk_add_f32 v[36:37], v[40:41], v[36:37]
	v_mov_b32_e32 v42, v43
	v_pk_add_f32 v[40:41], v[36:37], v[38:39] op_sel:[1,0] op_sel_hi:[0,1] neg_lo:[0,1] neg_hi:[0,1]
	v_pk_add_f32 v[48:49], v[44:45], v[40:41] op_sel_hi:[1,0] neg_lo:[0,1] neg_hi:[0,1]
	v_mov_b32_e32 v44, v45
	v_mov_b32_e32 v45, v37
	v_pk_mov_b32 v[40:41], v[38:39], v[40:41] op_sel:[1,0]
	v_mov_b32_e32 v43, v38
	v_pk_add_f32 v[40:41], v[44:45], v[40:41] neg_lo:[0,1] neg_hi:[0,1]
	v_mov_b32_e32 v48, v46
	v_pk_add_f32 v[38:39], v[42:43], v[40:41] neg_lo:[0,1] neg_hi:[0,1]
	v_mov_b32_e32 v47, v37
	v_pk_add_f32 v[40:41], v[48:49], v[38:39]
	v_cmp_neq_f32_e64 s[28:29], s35, v7
	v_pk_add_f32 v[42:43], v[40:41], v[40:41] op_sel:[0,1] op_sel_hi:[1,0]
	s_nop 0
	v_pk_add_f32 v[36:37], v[36:37], v[42:43] op_sel:[1,0] op_sel_hi:[0,1]
	v_mov_b32_e32 v41, v36
	v_pk_add_f32 v[44:45], v[40:41], v[46:47] neg_lo:[0,1] neg_hi:[0,1]
	v_mov_b32_e32 v39, v42
	v_sub_f32_e32 v37, v40, v44
	v_pk_add_f32 v[38:39], v[38:39], v[44:45] neg_lo:[0,1] neg_hi:[0,1]
	v_sub_f32_e32 v37, v46, v37
	v_add_f32_e32 v37, v38, v37
	v_add_f32_e32 v37, v37, v39
	;; [unrolled: 1-line block ×3, first 2 shown]
	v_cndmask_b32_e64 v36, v50, v36, s[28:29]
	s_mov_b32 s28, 0x33800000
	v_cmp_lt_f32_e64 s[28:29], |v7|, s28
	s_nop 1
	v_cndmask_b32_e64 v7, v36, v7, s[28:29]
	v_add_f32_e32 v7, v6, v7
.LBB88_273:
	s_or_b64 exec, exec, s[30:31]
	ds_read_b32 v6, v35 offset:12
	v_max_f32_e32 v37, v7, v7
	v_cmp_u_f32_e64 s[28:29], v7, v7
	ds_write_b32 v35, v7 offset:8
	s_waitcnt lgkmcnt(1)
	v_max_f32_e32 v38, v6, v6
	v_min_f32_e32 v36, v37, v38
	v_max_f32_e32 v37, v37, v38
	v_cndmask_b32_e64 v36, v36, v7, s[28:29]
	v_cmp_u_f32_e64 s[30:31], v6, v6
	v_cndmask_b32_e64 v37, v37, v7, s[28:29]
	s_nop 0
	v_cndmask_b32_e64 v36, v36, v6, s[30:31]
	v_cndmask_b32_e64 v6, v37, v6, s[30:31]
	v_cmp_neq_f32_e64 s[28:29], v36, v6
	v_cmp_class_f32_e64 s[30:31], v36, s34
	s_or_b64 s[28:29], s[28:29], s[30:31]
	s_and_saveexec_b64 s[30:31], s[28:29]
	s_cbranch_execz .LBB88_275
; %bb.274:
	v_sub_f32_e32 v7, v36, v6
	s_mov_b32 s28, 0x3fb8aa3b
	v_mul_f32_e32 v36, 0x3fb8aa3b, v7
	v_fma_f32 v37, v7, s28, -v36
	v_rndne_f32_e32 v38, v36
	v_fmamk_f32 v37, v7, 0x32a5705f, v37
	v_sub_f32_e32 v36, v36, v38
	v_add_f32_e32 v36, v36, v37
	v_exp_f32_e32 v36, v36
	v_cvt_i32_f32_e32 v37, v38
	s_mov_b32 s28, 0xc2ce8ed0
	v_cmp_ngt_f32_e64 s[28:29], s28, v7
	v_mov_b32_e32 v50, 0x7f800000
	v_ldexp_f32 v36, v36, v37
	v_cndmask_b32_e64 v36, 0, v36, s[28:29]
	s_mov_b32 s28, 0x42b17218
	v_cmp_nlt_f32_e64 s[28:29], s28, v7
	s_mov_b32 s34, 0x7f800000
	s_nop 0
	v_cndmask_b32_e64 v7, v50, v36, s[28:29]
	v_add_f32_e32 v38, 1.0, v7
	v_add_f32_e32 v36, -1.0, v38
	v_sub_f32_e32 v37, v36, v38
	v_add_f32_e32 v37, 1.0, v37
	v_sub_f32_e32 v36, v7, v36
	v_add_f32_e32 v39, v36, v37
	v_frexp_mant_f32_e32 v40, v38
	s_mov_b32 s28, 0x3f2aaaab
	v_cvt_f64_f32_e32 v[36:37], v38
	v_frexp_exp_i32_f64_e32 v36, v[36:37]
	v_cmp_gt_f32_e64 s[28:29], s28, v40
	s_nop 1
	v_subbrev_co_u32_e64 v44, s[28:29], 0, v36, s[28:29]
	v_sub_u32_e32 v36, 0, v44
	v_ldexp_f32 v37, v38, v36
	v_add_f32_e32 v38, -1.0, v37
	v_add_f32_e32 v40, 1.0, v37
	v_ldexp_f32 v36, v39, v36
	v_add_f32_e32 v39, 1.0, v38
	v_add_f32_e32 v41, -1.0, v40
	v_sub_f32_e32 v39, v37, v39
	v_sub_f32_e32 v37, v37, v41
	v_add_f32_e32 v39, v36, v39
	v_add_f32_e32 v36, v36, v37
	;; [unrolled: 1-line block ×3, first 2 shown]
	v_rcp_f32_e32 v47, v45
	v_sub_f32_e32 v37, v40, v45
	v_add_f32_e32 v46, v36, v37
	v_add_f32_e32 v37, v38, v39
	v_mul_f32_e32 v49, v37, v47
	v_sub_f32_e32 v36, v38, v37
	v_mul_f32_e32 v38, v45, v49
	v_fma_f32 v40, v49, v45, -v38
	v_fmac_f32_e32 v40, v49, v46
	v_add_f32_e32 v48, v39, v36
	v_add_f32_e32 v36, v38, v40
	v_sub_f32_e32 v39, v37, v36
	v_pk_add_f32 v[42:43], v[36:37], v[38:39] neg_lo:[0,1] neg_hi:[0,1]
	v_mov_b32_e32 v41, v36
	v_pk_add_f32 v[36:37], v[42:43], v[40:41] neg_lo:[0,1] neg_hi:[0,1]
	s_mov_b32 s28, 0x3f317218
	v_add_f32_e32 v37, v48, v37
	v_add_f32_e32 v36, v36, v37
	;; [unrolled: 1-line block ×3, first 2 shown]
	v_mul_f32_e32 v48, v47, v37
	v_mul_f32_e32 v38, v45, v48
	v_fma_f32 v40, v48, v45, -v38
	v_fmac_f32_e32 v40, v48, v46
	v_sub_f32_e32 v39, v39, v37
	v_add_f32_e32 v45, v36, v39
	v_add_f32_e32 v36, v38, v40
	v_sub_f32_e32 v39, v37, v36
	v_pk_add_f32 v[42:43], v[36:37], v[38:39] neg_lo:[0,1] neg_hi:[0,1]
	v_mov_b32_e32 v41, v36
	v_pk_add_f32 v[36:37], v[42:43], v[40:41] neg_lo:[0,1] neg_hi:[0,1]
	v_cvt_f32_i32_e32 v38, v44
	v_add_f32_e32 v37, v45, v37
	v_add_f32_e32 v36, v36, v37
	v_add_f32_e32 v36, v39, v36
	v_add_f32_e32 v39, v49, v48
	v_sub_f32_e32 v37, v39, v49
	v_mul_f32_e32 v36, v47, v36
	v_sub_f32_e32 v37, v48, v37
	v_add_f32_e32 v36, v37, v36
	v_add_f32_e32 v40, v39, v36
	v_mul_f32_e32 v42, v40, v40
	v_mov_b32_e32 v37, 0x3ecc95a3
	v_sub_f32_e32 v39, v40, v39
	v_fmac_f32_e32 v37, 0x3e9b6dac, v42
	v_sub_f32_e32 v36, v36, v39
	v_fmaak_f32 v37, v42, v37, 0x3f2aaada
	v_ldexp_f32 v43, v36, 1
	v_mul_f32_e32 v39, v40, v42
	v_mov_b32_e32 v36, 0x3f317218
	v_pk_mul_f32 v[36:37], v[38:39], v[36:37]
	v_ldexp_f32 v41, v40, 1
	v_fma_f32 v39, v38, s28, -v36
	v_fmamk_f32 v40, v38, 0xb102e308, v39
	v_pk_add_f32 v[38:39], v[36:37], v[40:41]
	v_mov_b32_e32 v42, v36
	v_sub_f32_e32 v41, v39, v41
	v_sub_f32_e32 v41, v37, v41
	v_add_f32_e32 v43, v43, v41
	v_pk_add_f32 v[36:37], v[38:39], v[36:37] neg_lo:[0,1] neg_hi:[0,1]
	v_pk_add_f32 v[44:45], v[38:39], v[42:43]
	v_mov_b32_e32 v41, v38
	v_mov_b32_e32 v37, v45
	v_pk_add_f32 v[46:47], v[40:41], v[36:37] neg_lo:[0,1] neg_hi:[0,1]
	v_pk_add_f32 v[36:37], v[40:41], v[36:37]
	v_mov_b32_e32 v42, v43
	v_pk_add_f32 v[40:41], v[36:37], v[38:39] op_sel:[1,0] op_sel_hi:[0,1] neg_lo:[0,1] neg_hi:[0,1]
	v_pk_add_f32 v[48:49], v[44:45], v[40:41] op_sel_hi:[1,0] neg_lo:[0,1] neg_hi:[0,1]
	v_mov_b32_e32 v44, v45
	v_mov_b32_e32 v45, v37
	v_pk_mov_b32 v[40:41], v[38:39], v[40:41] op_sel:[1,0]
	v_mov_b32_e32 v43, v38
	v_pk_add_f32 v[40:41], v[44:45], v[40:41] neg_lo:[0,1] neg_hi:[0,1]
	v_mov_b32_e32 v48, v46
	v_pk_add_f32 v[38:39], v[42:43], v[40:41] neg_lo:[0,1] neg_hi:[0,1]
	v_mov_b32_e32 v47, v37
	v_pk_add_f32 v[40:41], v[48:49], v[38:39]
	v_cmp_neq_f32_e64 s[28:29], s34, v7
	v_pk_add_f32 v[42:43], v[40:41], v[40:41] op_sel:[0,1] op_sel_hi:[1,0]
	s_nop 0
	v_pk_add_f32 v[36:37], v[36:37], v[42:43] op_sel:[1,0] op_sel_hi:[0,1]
	v_mov_b32_e32 v41, v36
	v_pk_add_f32 v[44:45], v[40:41], v[46:47] neg_lo:[0,1] neg_hi:[0,1]
	v_mov_b32_e32 v39, v42
	v_sub_f32_e32 v37, v40, v44
	v_pk_add_f32 v[38:39], v[38:39], v[44:45] neg_lo:[0,1] neg_hi:[0,1]
	v_sub_f32_e32 v37, v46, v37
	v_add_f32_e32 v37, v38, v37
	v_add_f32_e32 v37, v37, v39
	;; [unrolled: 1-line block ×3, first 2 shown]
	v_cndmask_b32_e64 v36, v50, v36, s[28:29]
	s_mov_b32 s28, 0x33800000
	v_cmp_lt_f32_e64 s[28:29], |v7|, s28
	s_nop 1
	v_cndmask_b32_e64 v7, v36, v7, s[28:29]
	v_add_f32_e32 v7, v6, v7
.LBB88_275:
	s_or_b64 exec, exec, s[30:31]
	ds_write_b32 v35, v7 offset:12
.LBB88_276:
	s_or_b64 exec, exec, s[40:41]
	s_waitcnt lgkmcnt(0)
	s_barrier
	s_and_saveexec_b64 s[28:29], vcc
	s_cbranch_execz .LBB88_280
; %bb.277:
	v_add_u32_e32 v6, -1, v0
	v_lshrrev_b32_e32 v7, 3, v6
	v_and_b32_e32 v7, 0x1ffffffc, v7
	v_lshl_add_u32 v6, v6, 2, v7
	ds_read_b32 v6, v6
	s_waitcnt lgkmcnt(0)
	v_max_f32_e32 v7, v6, v6
	v_min_f32_e32 v21, v7, v31
	v_max_f32_e32 v7, v7, v31
	v_cmp_u_f32_e32 vcc, v6, v6
	s_nop 1
	v_cndmask_b32_e32 v21, v21, v6, vcc
	v_cndmask_b32_e32 v31, v7, v6, vcc
	v_cndmask_b32_e64 v7, v21, v2, s[26:27]
	v_cndmask_b32_e64 v2, v31, v2, s[26:27]
	s_movk_i32 s26, 0x1f8
	v_cmp_neq_f32_e32 vcc, v7, v2
	v_cmp_class_f32_e64 s[26:27], v7, s26
	s_or_b64 s[30:31], vcc, s[26:27]
	s_and_saveexec_b64 s[26:27], s[30:31]
	s_cbranch_execz .LBB88_279
; %bb.278:
	v_sub_f32_e32 v6, v7, v2
	s_mov_b32 s30, 0x3fb8aa3b
	v_mul_f32_e32 v7, 0x3fb8aa3b, v6
	v_fma_f32 v21, v6, s30, -v7
	v_rndne_f32_e32 v31, v7
	v_fmamk_f32 v21, v6, 0x32a5705f, v21
	v_sub_f32_e32 v7, v7, v31
	v_add_f32_e32 v7, v7, v21
	v_exp_f32_e32 v7, v7
	v_cvt_i32_f32_e32 v21, v31
	s_mov_b32 s30, 0xc2ce8ed0
	v_cmp_ngt_f32_e32 vcc, s30, v6
	s_mov_b32 s30, 0x42b17218
	v_ldexp_f32 v7, v7, v21
	v_cndmask_b32_e32 v7, 0, v7, vcc
	v_mov_b32_e32 v21, 0x7f800000
	v_cmp_nlt_f32_e32 vcc, s30, v6
	s_mov_b32 s30, 0x3f2aaaab
	s_mov_b32 s31, 0x7f800000
	v_cndmask_b32_e32 v31, v21, v7, vcc
	v_add_f32_e32 v34, 1.0, v31
	v_add_f32_e32 v6, -1.0, v34
	v_sub_f32_e32 v7, v6, v34
	v_add_f32_e32 v7, 1.0, v7
	v_sub_f32_e32 v6, v31, v6
	v_add_f32_e32 v35, v6, v7
	v_frexp_mant_f32_e32 v36, v34
	v_cvt_f64_f32_e32 v[6:7], v34
	v_frexp_exp_i32_f64_e32 v6, v[6:7]
	v_cmp_gt_f32_e32 vcc, s30, v36
	s_mov_b32 s30, 0x3f317218
	s_nop 0
	v_subbrev_co_u32_e32 v40, vcc, 0, v6, vcc
	v_sub_u32_e32 v6, 0, v40
	v_ldexp_f32 v7, v34, v6
	v_add_f32_e32 v34, -1.0, v7
	v_add_f32_e32 v36, 1.0, v7
	v_ldexp_f32 v6, v35, v6
	v_add_f32_e32 v35, 1.0, v34
	v_add_f32_e32 v37, -1.0, v36
	v_sub_f32_e32 v35, v7, v35
	v_sub_f32_e32 v7, v7, v37
	v_add_f32_e32 v35, v6, v35
	v_add_f32_e32 v6, v6, v7
	;; [unrolled: 1-line block ×3, first 2 shown]
	v_rcp_f32_e32 v43, v41
	v_sub_f32_e32 v7, v36, v41
	v_add_f32_e32 v42, v6, v7
	v_add_f32_e32 v7, v34, v35
	v_mul_f32_e32 v45, v7, v43
	v_sub_f32_e32 v6, v34, v7
	v_mul_f32_e32 v34, v41, v45
	v_fma_f32 v36, v45, v41, -v34
	v_fmac_f32_e32 v36, v45, v42
	v_add_f32_e32 v44, v35, v6
	v_add_f32_e32 v6, v34, v36
	v_sub_f32_e32 v35, v7, v6
	v_pk_add_f32 v[38:39], v[6:7], v[34:35] neg_lo:[0,1] neg_hi:[0,1]
	v_mov_b32_e32 v37, v6
	v_pk_add_f32 v[6:7], v[38:39], v[36:37] neg_lo:[0,1] neg_hi:[0,1]
	v_cmp_neq_f32_e32 vcc, s31, v31
	v_add_f32_e32 v7, v44, v7
	v_add_f32_e32 v6, v6, v7
	;; [unrolled: 1-line block ×3, first 2 shown]
	v_mul_f32_e32 v44, v43, v7
	v_mul_f32_e32 v34, v41, v44
	v_fma_f32 v36, v44, v41, -v34
	v_fmac_f32_e32 v36, v44, v42
	v_sub_f32_e32 v35, v35, v7
	v_add_f32_e32 v41, v6, v35
	v_add_f32_e32 v6, v34, v36
	v_sub_f32_e32 v35, v7, v6
	v_pk_add_f32 v[38:39], v[6:7], v[34:35] neg_lo:[0,1] neg_hi:[0,1]
	v_mov_b32_e32 v37, v6
	v_pk_add_f32 v[6:7], v[38:39], v[36:37] neg_lo:[0,1] neg_hi:[0,1]
	v_cvt_f32_i32_e32 v34, v40
	v_add_f32_e32 v7, v41, v7
	v_add_f32_e32 v6, v6, v7
	;; [unrolled: 1-line block ×4, first 2 shown]
	v_sub_f32_e32 v7, v35, v45
	v_mul_f32_e32 v6, v43, v6
	v_sub_f32_e32 v7, v44, v7
	v_add_f32_e32 v6, v7, v6
	v_add_f32_e32 v36, v35, v6
	v_mul_f32_e32 v38, v36, v36
	v_mov_b32_e32 v7, 0x3ecc95a3
	v_sub_f32_e32 v35, v36, v35
	v_fmac_f32_e32 v7, 0x3e9b6dac, v38
	v_sub_f32_e32 v6, v6, v35
	v_fmaak_f32 v7, v38, v7, 0x3f2aaada
	v_ldexp_f32 v39, v6, 1
	v_mul_f32_e32 v35, v36, v38
	v_mov_b32_e32 v6, 0x3f317218
	v_pk_mul_f32 v[6:7], v[34:35], v[6:7]
	v_ldexp_f32 v37, v36, 1
	v_fma_f32 v35, v34, s30, -v6
	v_fmamk_f32 v36, v34, 0xb102e308, v35
	v_pk_add_f32 v[34:35], v[6:7], v[36:37]
	v_mov_b32_e32 v38, v6
	v_sub_f32_e32 v37, v35, v37
	v_sub_f32_e32 v37, v7, v37
	v_add_f32_e32 v39, v39, v37
	v_pk_add_f32 v[6:7], v[34:35], v[6:7] neg_lo:[0,1] neg_hi:[0,1]
	v_pk_add_f32 v[40:41], v[34:35], v[38:39]
	v_mov_b32_e32 v37, v34
	v_mov_b32_e32 v7, v41
	v_pk_add_f32 v[42:43], v[36:37], v[6:7] neg_lo:[0,1] neg_hi:[0,1]
	v_pk_add_f32 v[6:7], v[36:37], v[6:7]
	v_mov_b32_e32 v38, v39
	v_pk_add_f32 v[36:37], v[6:7], v[34:35] op_sel:[1,0] op_sel_hi:[0,1] neg_lo:[0,1] neg_hi:[0,1]
	v_pk_add_f32 v[44:45], v[40:41], v[36:37] op_sel_hi:[1,0] neg_lo:[0,1] neg_hi:[0,1]
	v_mov_b32_e32 v40, v41
	v_mov_b32_e32 v41, v7
	v_pk_mov_b32 v[36:37], v[34:35], v[36:37] op_sel:[1,0]
	v_mov_b32_e32 v39, v34
	v_pk_add_f32 v[36:37], v[40:41], v[36:37] neg_lo:[0,1] neg_hi:[0,1]
	v_mov_b32_e32 v44, v42
	v_pk_add_f32 v[34:35], v[38:39], v[36:37] neg_lo:[0,1] neg_hi:[0,1]
	v_mov_b32_e32 v43, v7
	v_pk_add_f32 v[36:37], v[44:45], v[34:35]
	s_mov_b32 s30, 0x33800000
	v_pk_add_f32 v[38:39], v[36:37], v[36:37] op_sel:[0,1] op_sel_hi:[1,0]
	s_nop 0
	v_pk_add_f32 v[6:7], v[6:7], v[38:39] op_sel:[1,0] op_sel_hi:[0,1]
	v_mov_b32_e32 v37, v6
	v_pk_add_f32 v[40:41], v[36:37], v[42:43] neg_lo:[0,1] neg_hi:[0,1]
	v_mov_b32_e32 v35, v38
	v_sub_f32_e32 v7, v36, v40
	v_pk_add_f32 v[34:35], v[34:35], v[40:41] neg_lo:[0,1] neg_hi:[0,1]
	v_sub_f32_e32 v7, v42, v7
	v_add_f32_e32 v7, v34, v7
	v_add_f32_e32 v7, v7, v35
	;; [unrolled: 1-line block ×3, first 2 shown]
	v_cndmask_b32_e32 v6, v21, v6, vcc
	v_cmp_lt_f32_e64 vcc, |v31|, s30
	s_nop 1
	v_cndmask_b32_e32 v6, v6, v31, vcc
	v_add_f32_e32 v6, v2, v6
.LBB88_279:
	s_or_b64 exec, exec, s[26:27]
	v_max_f32_e32 v2, v6, v6
	v_min_f32_e32 v21, v2, v14
	v_max_f32_e32 v34, v2, v14
	v_mov_b32_e32 v2, v6
	;;#ASMSTART
	;;#ASMEND
.LBB88_280:
	s_or_b64 exec, exec, s[28:29]
	v_cmp_u_f32_e32 vcc, v2, v2
	s_movk_i32 s26, 0x1f8
	s_nop 0
	v_cndmask_b32_e32 v6, v21, v2, vcc
	v_cndmask_b32_e64 v7, v6, v3, s[0:1]
	v_cndmask_b32_e32 v6, v34, v2, vcc
	v_cndmask_b32_e64 v6, v6, v3, s[0:1]
	v_cmp_neq_f32_e32 vcc, v7, v6
	v_cmp_class_f32_e64 s[0:1], v7, s26
	s_or_b64 s[28:29], vcc, s[0:1]
	v_mov_b32_e32 v3, v2
	s_and_saveexec_b64 s[0:1], s[28:29]
	s_cbranch_execz .LBB88_282
; %bb.281:
	v_sub_f32_e32 v3, v7, v6
	s_mov_b32 s27, 0x3fb8aa3b
	v_mul_f32_e32 v7, 0x3fb8aa3b, v3
	v_fma_f32 v14, v3, s27, -v7
	v_rndne_f32_e32 v21, v7
	v_fmamk_f32 v14, v3, 0x32a5705f, v14
	v_sub_f32_e32 v7, v7, v21
	v_add_f32_e32 v7, v7, v14
	v_exp_f32_e32 v7, v7
	v_cvt_i32_f32_e32 v14, v21
	s_mov_b32 s27, 0xc2ce8ed0
	v_cmp_ngt_f32_e32 vcc, s27, v3
	s_mov_b32 s27, 0x42b17218
	v_ldexp_f32 v7, v7, v14
	v_cndmask_b32_e32 v7, 0, v7, vcc
	v_mov_b32_e32 v14, 0x7f800000
	v_cmp_nlt_f32_e32 vcc, s27, v3
	s_mov_b32 s27, 0x3f2aaaab
	s_mov_b32 s28, 0x7f800000
	v_cndmask_b32_e32 v3, v14, v7, vcc
	v_add_f32_e32 v7, 1.0, v3
	v_add_f32_e32 v21, -1.0, v7
	v_sub_f32_e32 v31, v21, v7
	v_add_f32_e32 v31, 1.0, v31
	v_sub_f32_e32 v21, v3, v21
	v_add_f32_e32 v21, v21, v31
	v_frexp_mant_f32_e32 v31, v7
	v_cvt_f64_f32_e32 v[34:35], v7
	v_frexp_exp_i32_f64_e32 v34, v[34:35]
	v_cmp_gt_f32_e32 vcc, s27, v31
	s_mov_b32 s27, 0x3f317218
	s_nop 0
	v_subbrev_co_u32_e32 v31, vcc, 0, v34, vcc
	v_sub_u32_e32 v34, 0, v31
	v_ldexp_f32 v7, v7, v34
	v_ldexp_f32 v21, v21, v34
	v_add_f32_e32 v34, -1.0, v7
	v_add_f32_e32 v35, 1.0, v34
	v_sub_f32_e32 v35, v7, v35
	v_add_f32_e32 v36, v21, v35
	v_add_f32_e32 v35, 1.0, v7
	v_add_f32_e32 v37, -1.0, v35
	v_sub_f32_e32 v7, v7, v37
	v_add_f32_e32 v7, v21, v7
	v_add_f32_e32 v21, v35, v7
	v_rcp_f32_e32 v42, v21
	v_sub_f32_e32 v35, v35, v21
	v_add_f32_e32 v7, v7, v35
	v_add_f32_e32 v35, v34, v36
	v_sub_f32_e32 v34, v34, v35
	v_mul_f32_e32 v44, v35, v42
	v_add_f32_e32 v43, v36, v34
	v_mul_f32_e32 v36, v21, v44
	v_fma_f32 v38, v44, v21, -v36
	v_fmac_f32_e32 v38, v44, v7
	v_add_f32_e32 v34, v36, v38
	v_sub_f32_e32 v37, v35, v34
	v_pk_add_f32 v[40:41], v[34:35], v[36:37] neg_lo:[0,1] neg_hi:[0,1]
	v_mov_b32_e32 v39, v34
	v_pk_add_f32 v[34:35], v[40:41], v[38:39] neg_lo:[0,1] neg_hi:[0,1]
	v_cmp_neq_f32_e32 vcc, s28, v3
	v_add_f32_e32 v35, v43, v35
	v_add_f32_e32 v34, v34, v35
	;; [unrolled: 1-line block ×3, first 2 shown]
	v_mul_f32_e32 v43, v42, v35
	v_mul_f32_e32 v36, v21, v43
	v_fma_f32 v38, v43, v21, -v36
	v_fmac_f32_e32 v38, v43, v7
	v_sub_f32_e32 v7, v37, v35
	v_add_f32_e32 v7, v34, v7
	v_add_f32_e32 v34, v36, v38
	v_sub_f32_e32 v37, v35, v34
	v_pk_add_f32 v[40:41], v[34:35], v[36:37] neg_lo:[0,1] neg_hi:[0,1]
	v_mov_b32_e32 v39, v34
	v_pk_add_f32 v[34:35], v[40:41], v[38:39] neg_lo:[0,1] neg_hi:[0,1]
	v_add_f32_e32 v21, v44, v43
	v_add_f32_e32 v7, v7, v35
	;; [unrolled: 1-line block ×4, first 2 shown]
	v_sub_f32_e32 v34, v21, v44
	v_mul_f32_e32 v7, v42, v7
	v_sub_f32_e32 v34, v43, v34
	v_add_f32_e32 v7, v34, v7
	v_add_f32_e32 v34, v21, v7
	v_cvt_f32_i32_e32 v36, v31
	v_mul_f32_e32 v37, v34, v34
	v_mov_b32_e32 v35, 0x3ecc95a3
	v_fmac_f32_e32 v35, 0x3e9b6dac, v37
	v_fmaak_f32 v35, v37, v35, 0x3f2aaada
	v_sub_f32_e32 v21, v34, v21
	v_ldexp_f32 v39, v34, 1
	v_mul_f32_e32 v37, v34, v37
	v_mov_b32_e32 v34, 0x3f317218
	v_pk_mul_f32 v[34:35], v[36:37], v[34:35]
	v_sub_f32_e32 v7, v7, v21
	v_fma_f32 v21, v36, s27, -v34
	v_fmamk_f32 v38, v36, 0xb102e308, v21
	v_pk_add_f32 v[36:37], v[34:35], v[38:39]
	v_ldexp_f32 v7, v7, 1
	v_sub_f32_e32 v21, v37, v39
	v_sub_f32_e32 v21, v35, v21
	v_add_f32_e32 v41, v7, v21
	v_mov_b32_e32 v40, v34
	v_pk_add_f32 v[34:35], v[36:37], v[34:35] neg_lo:[0,1] neg_hi:[0,1]
	v_pk_add_f32 v[42:43], v[36:37], v[40:41]
	v_mov_b32_e32 v39, v36
	v_mov_b32_e32 v35, v43
	v_pk_add_f32 v[44:45], v[38:39], v[34:35] neg_lo:[0,1] neg_hi:[0,1]
	v_pk_add_f32 v[34:35], v[38:39], v[34:35]
	v_mov_b32_e32 v40, v41
	v_pk_add_f32 v[38:39], v[34:35], v[36:37] op_sel:[1,0] op_sel_hi:[0,1] neg_lo:[0,1] neg_hi:[0,1]
	v_pk_add_f32 v[46:47], v[42:43], v[38:39] op_sel_hi:[1,0] neg_lo:[0,1] neg_hi:[0,1]
	v_mov_b32_e32 v42, v43
	v_mov_b32_e32 v43, v35
	v_pk_mov_b32 v[38:39], v[36:37], v[38:39] op_sel:[1,0]
	v_mov_b32_e32 v41, v36
	v_pk_add_f32 v[38:39], v[42:43], v[38:39] neg_lo:[0,1] neg_hi:[0,1]
	v_mov_b32_e32 v46, v44
	v_pk_add_f32 v[36:37], v[40:41], v[38:39] neg_lo:[0,1] neg_hi:[0,1]
	v_mov_b32_e32 v45, v35
	v_pk_add_f32 v[38:39], v[46:47], v[36:37]
	s_mov_b32 s27, 0x33800000
	v_pk_add_f32 v[40:41], v[38:39], v[38:39] op_sel:[0,1] op_sel_hi:[1,0]
	s_nop 0
	v_pk_add_f32 v[34:35], v[34:35], v[40:41] op_sel:[1,0] op_sel_hi:[0,1]
	v_mov_b32_e32 v39, v34
	v_pk_add_f32 v[42:43], v[38:39], v[44:45] neg_lo:[0,1] neg_hi:[0,1]
	v_mov_b32_e32 v37, v40
	v_sub_f32_e32 v7, v38, v42
	v_pk_add_f32 v[36:37], v[36:37], v[42:43] neg_lo:[0,1] neg_hi:[0,1]
	v_sub_f32_e32 v7, v44, v7
	v_add_f32_e32 v7, v36, v7
	v_add_f32_e32 v7, v7, v37
	;; [unrolled: 1-line block ×3, first 2 shown]
	v_cndmask_b32_e32 v7, v14, v7, vcc
	v_cmp_lt_f32_e64 vcc, |v3|, s27
	s_nop 1
	v_cndmask_b32_e32 v3, v7, v3, vcc
	v_add_f32_e32 v3, v6, v3
.LBB88_282:
	s_or_b64 exec, exec, s[0:1]
	v_max_f32_e32 v6, v3, v3
	v_min_f32_e32 v7, v6, v8
	v_cmp_u_f32_e32 vcc, v3, v3
	v_max_f32_e32 v6, v6, v8
	s_nop 0
	v_cndmask_b32_e32 v7, v7, v3, vcc
	v_cndmask_b32_e32 v6, v6, v3, vcc
	v_cndmask_b32_e64 v7, v7, v4, s[2:3]
	v_cndmask_b32_e64 v6, v6, v4, s[2:3]
	v_cmp_neq_f32_e32 vcc, v7, v6
	v_cmp_class_f32_e64 s[0:1], v7, s26
	s_or_b64 s[2:3], vcc, s[0:1]
	v_mov_b32_e32 v4, v3
	s_and_saveexec_b64 s[0:1], s[2:3]
	s_cbranch_execz .LBB88_284
; %bb.283:
	v_sub_f32_e32 v4, v7, v6
	s_mov_b32 s2, 0x3fb8aa3b
	v_mul_f32_e32 v7, 0x3fb8aa3b, v4
	v_fma_f32 v8, v4, s2, -v7
	v_rndne_f32_e32 v14, v7
	v_fmamk_f32 v8, v4, 0x32a5705f, v8
	v_sub_f32_e32 v7, v7, v14
	v_add_f32_e32 v7, v7, v8
	v_exp_f32_e32 v7, v7
	v_cvt_i32_f32_e32 v8, v14
	s_mov_b32 s2, 0xc2ce8ed0
	v_cmp_ngt_f32_e32 vcc, s2, v4
	s_mov_b32 s2, 0x42b17218
	v_ldexp_f32 v7, v7, v8
	v_cndmask_b32_e32 v7, 0, v7, vcc
	v_mov_b32_e32 v8, 0x7f800000
	v_cmp_nlt_f32_e32 vcc, s2, v4
	s_mov_b32 s2, 0x3f2aaaab
	s_mov_b32 s3, 0x7f800000
	v_cndmask_b32_e32 v4, v8, v7, vcc
	v_add_f32_e32 v7, 1.0, v4
	v_add_f32_e32 v14, -1.0, v7
	v_sub_f32_e32 v21, v14, v7
	v_add_f32_e32 v21, 1.0, v21
	v_sub_f32_e32 v14, v4, v14
	v_add_f32_e32 v14, v14, v21
	v_frexp_mant_f32_e32 v21, v7
	v_cvt_f64_f32_e32 v[34:35], v7
	v_frexp_exp_i32_f64_e32 v31, v[34:35]
	v_cmp_gt_f32_e32 vcc, s2, v21
	s_mov_b32 s2, 0x3f317218
	s_nop 0
	v_subbrev_co_u32_e32 v21, vcc, 0, v31, vcc
	v_sub_u32_e32 v31, 0, v21
	v_ldexp_f32 v7, v7, v31
	v_ldexp_f32 v14, v14, v31
	v_add_f32_e32 v31, -1.0, v7
	v_add_f32_e32 v35, 1.0, v7
	v_add_f32_e32 v34, 1.0, v31
	v_add_f32_e32 v36, -1.0, v35
	v_sub_f32_e32 v34, v7, v34
	v_sub_f32_e32 v7, v7, v36
	v_add_f32_e32 v7, v14, v7
	v_add_f32_e32 v34, v14, v34
	;; [unrolled: 1-line block ×3, first 2 shown]
	v_rcp_f32_e32 v42, v14
	v_sub_f32_e32 v35, v35, v14
	v_add_f32_e32 v7, v7, v35
	v_add_f32_e32 v35, v31, v34
	v_mul_f32_e32 v43, v35, v42
	v_mul_f32_e32 v36, v14, v43
	v_fma_f32 v38, v43, v14, -v36
	v_sub_f32_e32 v31, v31, v35
	v_fmac_f32_e32 v38, v43, v7
	v_add_f32_e32 v31, v34, v31
	v_add_f32_e32 v34, v36, v38
	v_sub_f32_e32 v37, v35, v34
	v_pk_add_f32 v[40:41], v[34:35], v[36:37] neg_lo:[0,1] neg_hi:[0,1]
	v_mov_b32_e32 v39, v34
	v_pk_add_f32 v[34:35], v[40:41], v[38:39] neg_lo:[0,1] neg_hi:[0,1]
	v_cmp_neq_f32_e32 vcc, s3, v4
	v_add_f32_e32 v31, v31, v35
	v_add_f32_e32 v31, v34, v31
	;; [unrolled: 1-line block ×3, first 2 shown]
	v_mul_f32_e32 v44, v42, v35
	v_mul_f32_e32 v36, v14, v44
	v_fma_f32 v38, v44, v14, -v36
	v_fmac_f32_e32 v38, v44, v7
	v_add_f32_e32 v34, v36, v38
	v_sub_f32_e32 v7, v37, v35
	v_sub_f32_e32 v37, v35, v34
	v_pk_add_f32 v[40:41], v[34:35], v[36:37] neg_lo:[0,1] neg_hi:[0,1]
	v_mov_b32_e32 v39, v34
	v_add_f32_e32 v7, v31, v7
	v_pk_add_f32 v[34:35], v[40:41], v[38:39] neg_lo:[0,1] neg_hi:[0,1]
	v_add_f32_e32 v14, v43, v44
	v_add_f32_e32 v7, v7, v35
	;; [unrolled: 1-line block ×4, first 2 shown]
	v_sub_f32_e32 v31, v14, v43
	v_mul_f32_e32 v7, v42, v7
	v_sub_f32_e32 v31, v44, v31
	v_add_f32_e32 v7, v31, v7
	v_add_f32_e32 v31, v14, v7
	v_cvt_f32_i32_e32 v36, v21
	v_mul_f32_e32 v34, v31, v31
	v_mov_b32_e32 v35, 0x3ecc95a3
	v_fmac_f32_e32 v35, 0x3e9b6dac, v34
	v_fmaak_f32 v35, v34, v35, 0x3f2aaada
	v_mul_f32_e32 v37, v31, v34
	v_mov_b32_e32 v34, 0x3f317218
	v_sub_f32_e32 v14, v31, v14
	v_pk_mul_f32 v[34:35], v[36:37], v[34:35]
	v_sub_f32_e32 v7, v7, v14
	v_fma_f32 v14, v36, s2, -v34
	v_ldexp_f32 v39, v31, 1
	v_fmamk_f32 v38, v36, 0xb102e308, v14
	v_pk_add_f32 v[36:37], v[34:35], v[38:39]
	v_ldexp_f32 v7, v7, 1
	v_sub_f32_e32 v14, v37, v39
	v_sub_f32_e32 v14, v35, v14
	v_add_f32_e32 v41, v7, v14
	v_mov_b32_e32 v40, v34
	v_pk_add_f32 v[34:35], v[36:37], v[34:35] neg_lo:[0,1] neg_hi:[0,1]
	v_pk_add_f32 v[42:43], v[36:37], v[40:41]
	v_mov_b32_e32 v39, v36
	v_mov_b32_e32 v35, v43
	v_pk_add_f32 v[44:45], v[38:39], v[34:35] neg_lo:[0,1] neg_hi:[0,1]
	v_pk_add_f32 v[34:35], v[38:39], v[34:35]
	v_mov_b32_e32 v40, v41
	v_pk_add_f32 v[38:39], v[34:35], v[36:37] op_sel:[1,0] op_sel_hi:[0,1] neg_lo:[0,1] neg_hi:[0,1]
	v_pk_add_f32 v[46:47], v[42:43], v[38:39] op_sel_hi:[1,0] neg_lo:[0,1] neg_hi:[0,1]
	v_mov_b32_e32 v42, v43
	v_mov_b32_e32 v43, v35
	v_pk_mov_b32 v[38:39], v[36:37], v[38:39] op_sel:[1,0]
	v_mov_b32_e32 v41, v36
	v_pk_add_f32 v[38:39], v[42:43], v[38:39] neg_lo:[0,1] neg_hi:[0,1]
	v_mov_b32_e32 v46, v44
	v_pk_add_f32 v[36:37], v[40:41], v[38:39] neg_lo:[0,1] neg_hi:[0,1]
	v_mov_b32_e32 v45, v35
	v_pk_add_f32 v[38:39], v[46:47], v[36:37]
	s_mov_b32 s2, 0x33800000
	v_pk_add_f32 v[40:41], v[38:39], v[38:39] op_sel:[0,1] op_sel_hi:[1,0]
	s_nop 0
	v_pk_add_f32 v[34:35], v[34:35], v[40:41] op_sel:[1,0] op_sel_hi:[0,1]
	v_mov_b32_e32 v39, v34
	v_pk_add_f32 v[42:43], v[38:39], v[44:45] neg_lo:[0,1] neg_hi:[0,1]
	v_mov_b32_e32 v37, v40
	v_sub_f32_e32 v7, v38, v42
	v_pk_add_f32 v[36:37], v[36:37], v[42:43] neg_lo:[0,1] neg_hi:[0,1]
	v_sub_f32_e32 v7, v44, v7
	v_add_f32_e32 v7, v36, v7
	v_add_f32_e32 v7, v7, v37
	;; [unrolled: 1-line block ×3, first 2 shown]
	v_cndmask_b32_e32 v7, v8, v7, vcc
	v_cmp_lt_f32_e64 vcc, |v4|, s2
	s_nop 1
	v_cndmask_b32_e32 v4, v7, v4, vcc
	v_add_f32_e32 v4, v6, v4
.LBB88_284:
	s_or_b64 exec, exec, s[0:1]
	v_max_f32_e32 v6, v4, v4
	v_min_f32_e32 v7, v6, v9
	v_cmp_u_f32_e32 vcc, v4, v4
	v_max_f32_e32 v6, v6, v9
	s_movk_i32 s2, 0x1f8
	v_cndmask_b32_e32 v7, v7, v4, vcc
	v_cndmask_b32_e32 v6, v6, v4, vcc
	v_cndmask_b32_e64 v7, v7, v5, s[4:5]
	v_cndmask_b32_e64 v6, v6, v5, s[4:5]
	v_cmp_neq_f32_e32 vcc, v7, v6
	v_cmp_class_f32_e64 s[0:1], v7, s2
	s_or_b64 s[4:5], vcc, s[0:1]
	v_mov_b32_e32 v5, v4
	s_and_saveexec_b64 s[0:1], s[4:5]
	s_cbranch_execz .LBB88_286
; %bb.285:
	v_sub_f32_e32 v5, v7, v6
	s_mov_b32 s3, 0x3fb8aa3b
	v_mul_f32_e32 v7, 0x3fb8aa3b, v5
	v_fma_f32 v8, v5, s3, -v7
	v_rndne_f32_e32 v9, v7
	v_fmamk_f32 v8, v5, 0x32a5705f, v8
	v_sub_f32_e32 v7, v7, v9
	v_add_f32_e32 v7, v7, v8
	v_exp_f32_e32 v7, v7
	v_cvt_i32_f32_e32 v8, v9
	s_mov_b32 s3, 0xc2ce8ed0
	v_cmp_ngt_f32_e32 vcc, s3, v5
	s_mov_b32 s3, 0x42b17218
	v_ldexp_f32 v7, v7, v8
	v_cndmask_b32_e32 v7, 0, v7, vcc
	v_mov_b32_e32 v14, 0x7f800000
	v_cmp_nlt_f32_e32 vcc, s3, v5
	s_mov_b32 s3, 0x3f2aaaab
	s_mov_b32 s4, 0x7f800000
	v_cndmask_b32_e32 v5, v14, v7, vcc
	v_add_f32_e32 v7, 1.0, v5
	v_add_f32_e32 v8, -1.0, v7
	v_sub_f32_e32 v9, v8, v7
	v_add_f32_e32 v9, 1.0, v9
	v_sub_f32_e32 v8, v5, v8
	v_add_f32_e32 v21, v8, v9
	v_frexp_mant_f32_e32 v31, v7
	v_cvt_f64_f32_e32 v[8:9], v7
	v_frexp_exp_i32_f64_e32 v8, v[8:9]
	v_cmp_gt_f32_e32 vcc, s3, v31
	s_mov_b32 s3, 0x3f317218
	s_nop 0
	v_subbrev_co_u32_e32 v31, vcc, 0, v8, vcc
	v_sub_u32_e32 v8, 0, v31
	v_ldexp_f32 v7, v7, v8
	v_ldexp_f32 v8, v21, v8
	v_add_f32_e32 v21, -1.0, v7
	v_add_f32_e32 v9, 1.0, v21
	v_sub_f32_e32 v9, v7, v9
	v_add_f32_e32 v34, v8, v9
	v_add_f32_e32 v9, 1.0, v7
	v_add_f32_e32 v35, -1.0, v9
	v_sub_f32_e32 v7, v7, v35
	v_add_f32_e32 v7, v8, v7
	v_add_f32_e32 v40, v9, v7
	v_rcp_f32_e32 v41, v40
	v_sub_f32_e32 v8, v9, v40
	v_add_f32_e32 v9, v21, v34
	v_add_f32_e32 v7, v7, v8
	v_sub_f32_e32 v8, v21, v9
	v_mul_f32_e32 v42, v9, v41
	v_add_f32_e32 v21, v34, v8
	v_mul_f32_e32 v34, v40, v42
	v_fma_f32 v36, v42, v40, -v34
	v_fmac_f32_e32 v36, v42, v7
	v_add_f32_e32 v8, v34, v36
	v_sub_f32_e32 v35, v9, v8
	v_pk_add_f32 v[38:39], v[8:9], v[34:35] neg_lo:[0,1] neg_hi:[0,1]
	v_mov_b32_e32 v37, v8
	v_pk_add_f32 v[8:9], v[38:39], v[36:37] neg_lo:[0,1] neg_hi:[0,1]
	v_cmp_neq_f32_e32 vcc, s4, v5
	v_add_f32_e32 v9, v21, v9
	v_add_f32_e32 v8, v8, v9
	;; [unrolled: 1-line block ×3, first 2 shown]
	v_mul_f32_e32 v21, v41, v9
	v_mul_f32_e32 v34, v40, v21
	v_fma_f32 v36, v21, v40, -v34
	v_fmac_f32_e32 v36, v21, v7
	v_sub_f32_e32 v7, v35, v9
	v_add_f32_e32 v7, v8, v7
	v_add_f32_e32 v8, v34, v36
	v_sub_f32_e32 v35, v9, v8
	v_pk_add_f32 v[38:39], v[8:9], v[34:35] neg_lo:[0,1] neg_hi:[0,1]
	v_mov_b32_e32 v37, v8
	v_pk_add_f32 v[8:9], v[38:39], v[36:37] neg_lo:[0,1] neg_hi:[0,1]
	v_cvt_f32_i32_e32 v34, v31
	v_add_f32_e32 v7, v7, v9
	v_add_f32_e32 v7, v8, v7
	;; [unrolled: 1-line block ×4, first 2 shown]
	v_sub_f32_e32 v9, v8, v42
	v_mul_f32_e32 v7, v41, v7
	v_sub_f32_e32 v9, v21, v9
	v_add_f32_e32 v7, v9, v7
	v_add_f32_e32 v21, v8, v7
	v_mul_f32_e32 v35, v21, v21
	v_mov_b32_e32 v9, 0x3ecc95a3
	v_fmac_f32_e32 v9, 0x3e9b6dac, v35
	v_sub_f32_e32 v8, v21, v8
	v_fmaak_f32 v9, v35, v9, 0x3f2aaada
	v_sub_f32_e32 v7, v7, v8
	v_mul_f32_e32 v35, v21, v35
	v_mov_b32_e32 v8, 0x3f317218
	v_pk_mul_f32 v[8:9], v[34:35], v[8:9]
	v_ldexp_f32 v37, v21, 1
	v_fma_f32 v21, v34, s3, -v8
	v_fmamk_f32 v36, v34, 0xb102e308, v21
	v_pk_add_f32 v[34:35], v[8:9], v[36:37]
	v_ldexp_f32 v7, v7, 1
	v_sub_f32_e32 v21, v35, v37
	v_sub_f32_e32 v21, v9, v21
	v_add_f32_e32 v39, v7, v21
	v_mov_b32_e32 v38, v8
	v_pk_add_f32 v[8:9], v[34:35], v[8:9] neg_lo:[0,1] neg_hi:[0,1]
	v_pk_add_f32 v[40:41], v[34:35], v[38:39]
	v_mov_b32_e32 v37, v34
	v_mov_b32_e32 v9, v41
	v_pk_add_f32 v[42:43], v[36:37], v[8:9] neg_lo:[0,1] neg_hi:[0,1]
	v_pk_add_f32 v[8:9], v[36:37], v[8:9]
	v_mov_b32_e32 v38, v39
	v_pk_add_f32 v[36:37], v[8:9], v[34:35] op_sel:[1,0] op_sel_hi:[0,1] neg_lo:[0,1] neg_hi:[0,1]
	v_pk_add_f32 v[44:45], v[40:41], v[36:37] op_sel_hi:[1,0] neg_lo:[0,1] neg_hi:[0,1]
	v_mov_b32_e32 v40, v41
	v_mov_b32_e32 v41, v9
	v_pk_mov_b32 v[36:37], v[34:35], v[36:37] op_sel:[1,0]
	v_mov_b32_e32 v39, v34
	v_pk_add_f32 v[36:37], v[40:41], v[36:37] neg_lo:[0,1] neg_hi:[0,1]
	v_mov_b32_e32 v44, v42
	v_pk_add_f32 v[34:35], v[38:39], v[36:37] neg_lo:[0,1] neg_hi:[0,1]
	v_mov_b32_e32 v43, v9
	v_pk_add_f32 v[36:37], v[44:45], v[34:35]
	s_mov_b32 s3, 0x33800000
	v_pk_add_f32 v[38:39], v[36:37], v[36:37] op_sel:[0,1] op_sel_hi:[1,0]
	s_nop 0
	v_pk_add_f32 v[8:9], v[8:9], v[38:39] op_sel:[1,0] op_sel_hi:[0,1]
	v_mov_b32_e32 v37, v8
	v_pk_add_f32 v[40:41], v[36:37], v[42:43] neg_lo:[0,1] neg_hi:[0,1]
	v_mov_b32_e32 v35, v38
	v_sub_f32_e32 v7, v36, v40
	v_pk_add_f32 v[34:35], v[34:35], v[40:41] neg_lo:[0,1] neg_hi:[0,1]
	v_sub_f32_e32 v7, v42, v7
	v_add_f32_e32 v7, v34, v7
	v_add_f32_e32 v7, v7, v35
	;; [unrolled: 1-line block ×3, first 2 shown]
	v_cndmask_b32_e32 v7, v14, v7, vcc
	v_cmp_lt_f32_e64 vcc, |v5|, s3
	s_nop 1
	v_cndmask_b32_e32 v5, v7, v5, vcc
	v_add_f32_e32 v5, v6, v5
.LBB88_286:
	s_or_b64 exec, exec, s[0:1]
	v_max_f32_e32 v6, v5, v5
	v_min_f32_e32 v7, v6, v10
	v_cmp_u_f32_e32 vcc, v5, v5
	v_max_f32_e32 v6, v6, v10
	s_nop 0
	v_cndmask_b32_e32 v7, v7, v5, vcc
	v_cndmask_b32_e32 v6, v6, v5, vcc
	v_cndmask_b32_e64 v8, v7, v26, s[6:7]
	v_cndmask_b32_e64 v7, v6, v26, s[6:7]
	v_cmp_neq_f32_e32 vcc, v8, v7
	v_cmp_class_f32_e64 s[0:1], v8, s2
	s_or_b64 s[2:3], vcc, s[0:1]
	v_mov_b32_e32 v6, v5
	s_and_saveexec_b64 s[0:1], s[2:3]
	s_cbranch_execz .LBB88_288
; %bb.287:
	v_sub_f32_e32 v6, v8, v7
	s_mov_b32 s2, 0x3fb8aa3b
	v_mul_f32_e32 v8, 0x3fb8aa3b, v6
	v_fma_f32 v9, v6, s2, -v8
	v_rndne_f32_e32 v10, v8
	v_fmamk_f32 v9, v6, 0x32a5705f, v9
	v_sub_f32_e32 v8, v8, v10
	v_add_f32_e32 v8, v8, v9
	v_exp_f32_e32 v8, v8
	v_cvt_i32_f32_e32 v9, v10
	s_mov_b32 s2, 0xc2ce8ed0
	v_cmp_ngt_f32_e32 vcc, s2, v6
	s_mov_b32 s2, 0x42b17218
	v_ldexp_f32 v8, v8, v9
	v_cndmask_b32_e32 v8, 0, v8, vcc
	v_mov_b32_e32 v10, 0x7f800000
	v_cmp_nlt_f32_e32 vcc, s2, v6
	s_mov_b32 s2, 0x3f2aaaab
	s_mov_b32 s3, 0x7f800000
	v_cndmask_b32_e32 v6, v10, v8, vcc
	v_add_f32_e32 v14, 1.0, v6
	v_add_f32_e32 v8, -1.0, v14
	v_sub_f32_e32 v9, v8, v14
	v_add_f32_e32 v9, 1.0, v9
	v_sub_f32_e32 v8, v6, v8
	v_add_f32_e32 v21, v8, v9
	v_frexp_mant_f32_e32 v26, v14
	v_cvt_f64_f32_e32 v[8:9], v14
	v_frexp_exp_i32_f64_e32 v8, v[8:9]
	v_cmp_gt_f32_e32 vcc, s2, v26
	s_mov_b32 s2, 0x3f317218
	s_nop 0
	v_subbrev_co_u32_e32 v26, vcc, 0, v8, vcc
	v_sub_u32_e32 v8, 0, v26
	v_ldexp_f32 v9, v14, v8
	v_add_f32_e32 v14, -1.0, v9
	v_add_f32_e32 v31, 1.0, v9
	v_ldexp_f32 v8, v21, v8
	v_add_f32_e32 v21, 1.0, v14
	v_add_f32_e32 v34, -1.0, v31
	v_sub_f32_e32 v21, v9, v21
	v_sub_f32_e32 v9, v9, v34
	v_add_f32_e32 v21, v8, v21
	v_add_f32_e32 v8, v8, v9
	;; [unrolled: 1-line block ×3, first 2 shown]
	v_rcp_f32_e32 v41, v40
	v_sub_f32_e32 v9, v31, v40
	v_add_f32_e32 v31, v8, v9
	v_add_f32_e32 v9, v14, v21
	v_sub_f32_e32 v8, v14, v9
	v_add_f32_e32 v14, v21, v8
	v_mul_f32_e32 v21, v9, v41
	v_mul_f32_e32 v34, v40, v21
	v_fma_f32 v36, v21, v40, -v34
	v_fmac_f32_e32 v36, v21, v31
	v_add_f32_e32 v8, v34, v36
	v_sub_f32_e32 v35, v9, v8
	v_pk_add_f32 v[38:39], v[8:9], v[34:35] neg_lo:[0,1] neg_hi:[0,1]
	v_mov_b32_e32 v37, v8
	v_pk_add_f32 v[8:9], v[38:39], v[36:37] neg_lo:[0,1] neg_hi:[0,1]
	v_cmp_neq_f32_e32 vcc, s3, v6
	v_add_f32_e32 v9, v14, v9
	v_add_f32_e32 v8, v8, v9
	;; [unrolled: 1-line block ×3, first 2 shown]
	v_mul_f32_e32 v14, v41, v9
	v_mul_f32_e32 v34, v40, v14
	v_fma_f32 v36, v14, v40, -v34
	v_fmac_f32_e32 v36, v14, v31
	v_sub_f32_e32 v31, v35, v9
	v_add_f32_e32 v31, v8, v31
	v_add_f32_e32 v8, v34, v36
	v_sub_f32_e32 v35, v9, v8
	v_pk_add_f32 v[38:39], v[8:9], v[34:35] neg_lo:[0,1] neg_hi:[0,1]
	v_mov_b32_e32 v37, v8
	v_pk_add_f32 v[8:9], v[38:39], v[36:37] neg_lo:[0,1] neg_hi:[0,1]
	v_cvt_f32_i32_e32 v34, v26
	v_add_f32_e32 v9, v31, v9
	v_add_f32_e32 v8, v8, v9
	v_add_f32_e32 v31, v21, v14
	v_add_f32_e32 v8, v35, v8
	v_sub_f32_e32 v9, v31, v21
	v_mul_f32_e32 v8, v41, v8
	v_sub_f32_e32 v9, v14, v9
	v_add_f32_e32 v8, v9, v8
	v_add_f32_e32 v14, v31, v8
	v_mul_f32_e32 v21, v14, v14
	v_mov_b32_e32 v9, 0x3ecc95a3
	v_sub_f32_e32 v26, v14, v31
	v_fmac_f32_e32 v9, 0x3e9b6dac, v21
	v_sub_f32_e32 v8, v8, v26
	v_fmaak_f32 v9, v21, v9, 0x3f2aaada
	v_ldexp_f32 v26, v8, 1
	v_mul_f32_e32 v35, v14, v21
	v_mov_b32_e32 v8, 0x3f317218
	v_pk_mul_f32 v[8:9], v[34:35], v[8:9]
	v_ldexp_f32 v37, v14, 1
	v_fma_f32 v14, v34, s2, -v8
	v_fmamk_f32 v36, v34, 0xb102e308, v14
	v_pk_add_f32 v[34:35], v[8:9], v[36:37]
	v_mov_b32_e32 v38, v8
	v_sub_f32_e32 v14, v35, v37
	v_sub_f32_e32 v14, v9, v14
	v_add_f32_e32 v39, v26, v14
	v_pk_add_f32 v[8:9], v[34:35], v[8:9] neg_lo:[0,1] neg_hi:[0,1]
	v_pk_add_f32 v[40:41], v[34:35], v[38:39]
	v_mov_b32_e32 v37, v34
	v_mov_b32_e32 v9, v41
	v_pk_add_f32 v[42:43], v[36:37], v[8:9] neg_lo:[0,1] neg_hi:[0,1]
	v_pk_add_f32 v[8:9], v[36:37], v[8:9]
	v_mov_b32_e32 v38, v39
	v_pk_add_f32 v[36:37], v[8:9], v[34:35] op_sel:[1,0] op_sel_hi:[0,1] neg_lo:[0,1] neg_hi:[0,1]
	v_pk_add_f32 v[44:45], v[40:41], v[36:37] op_sel_hi:[1,0] neg_lo:[0,1] neg_hi:[0,1]
	v_mov_b32_e32 v40, v41
	v_mov_b32_e32 v41, v9
	v_pk_mov_b32 v[36:37], v[34:35], v[36:37] op_sel:[1,0]
	v_mov_b32_e32 v39, v34
	v_pk_add_f32 v[36:37], v[40:41], v[36:37] neg_lo:[0,1] neg_hi:[0,1]
	v_mov_b32_e32 v44, v42
	v_pk_add_f32 v[34:35], v[38:39], v[36:37] neg_lo:[0,1] neg_hi:[0,1]
	v_mov_b32_e32 v43, v9
	v_pk_add_f32 v[36:37], v[44:45], v[34:35]
	s_mov_b32 s2, 0x33800000
	v_pk_add_f32 v[38:39], v[36:37], v[36:37] op_sel:[0,1] op_sel_hi:[1,0]
	s_nop 0
	v_pk_add_f32 v[8:9], v[8:9], v[38:39] op_sel:[1,0] op_sel_hi:[0,1]
	v_mov_b32_e32 v37, v8
	v_pk_add_f32 v[40:41], v[36:37], v[42:43] neg_lo:[0,1] neg_hi:[0,1]
	v_mov_b32_e32 v35, v38
	v_sub_f32_e32 v9, v36, v40
	v_pk_add_f32 v[34:35], v[34:35], v[40:41] neg_lo:[0,1] neg_hi:[0,1]
	v_sub_f32_e32 v9, v42, v9
	v_add_f32_e32 v9, v34, v9
	v_add_f32_e32 v9, v9, v35
	;; [unrolled: 1-line block ×3, first 2 shown]
	v_cndmask_b32_e32 v8, v10, v8, vcc
	v_cmp_lt_f32_e64 vcc, |v6|, s2
	s_nop 1
	v_cndmask_b32_e32 v6, v8, v6, vcc
	v_add_f32_e32 v6, v7, v6
.LBB88_288:
	s_or_b64 exec, exec, s[0:1]
	v_max_f32_e32 v7, v6, v6
	v_min_f32_e32 v8, v7, v11
	v_cmp_u_f32_e32 vcc, v6, v6
	v_max_f32_e32 v7, v7, v11
	s_movk_i32 s2, 0x1f8
	v_cndmask_b32_e32 v8, v8, v6, vcc
	v_cndmask_b32_e32 v7, v7, v6, vcc
	v_cndmask_b32_e64 v9, v8, v27, s[8:9]
	v_cndmask_b32_e64 v8, v7, v27, s[8:9]
	v_cmp_neq_f32_e32 vcc, v9, v8
	v_cmp_class_f32_e64 s[0:1], v9, s2
	s_or_b64 s[4:5], vcc, s[0:1]
	v_mov_b32_e32 v7, v6
	s_and_saveexec_b64 s[0:1], s[4:5]
	s_cbranch_execz .LBB88_290
; %bb.289:
	v_sub_f32_e32 v7, v9, v8
	s_mov_b32 s3, 0x3fb8aa3b
	v_mul_f32_e32 v9, 0x3fb8aa3b, v7
	v_fma_f32 v10, v7, s3, -v9
	v_rndne_f32_e32 v11, v9
	v_fmamk_f32 v10, v7, 0x32a5705f, v10
	v_sub_f32_e32 v9, v9, v11
	v_add_f32_e32 v9, v9, v10
	v_exp_f32_e32 v9, v9
	v_cvt_i32_f32_e32 v10, v11
	s_mov_b32 s3, 0xc2ce8ed0
	v_cmp_ngt_f32_e32 vcc, s3, v7
	s_mov_b32 s3, 0x42b17218
	v_ldexp_f32 v9, v9, v10
	v_cndmask_b32_e32 v9, 0, v9, vcc
	v_mov_b32_e32 v14, 0x7f800000
	v_cmp_nlt_f32_e32 vcc, s3, v7
	s_mov_b32 s3, 0x3f2aaaab
	s_mov_b32 s4, 0x7f800000
	v_cndmask_b32_e32 v7, v14, v9, vcc
	v_add_f32_e32 v9, 1.0, v7
	v_add_f32_e32 v10, -1.0, v9
	v_sub_f32_e32 v11, v10, v9
	v_add_f32_e32 v11, 1.0, v11
	v_sub_f32_e32 v10, v7, v10
	v_add_f32_e32 v21, v10, v11
	v_frexp_mant_f32_e32 v26, v9
	v_cvt_f64_f32_e32 v[10:11], v9
	v_frexp_exp_i32_f64_e32 v10, v[10:11]
	v_cmp_gt_f32_e32 vcc, s3, v26
	s_mov_b32 s3, 0x3f317218
	s_nop 0
	v_subbrev_co_u32_e32 v31, vcc, 0, v10, vcc
	v_sub_u32_e32 v10, 0, v31
	v_ldexp_f32 v9, v9, v10
	v_ldexp_f32 v10, v21, v10
	v_add_f32_e32 v21, -1.0, v9
	v_add_f32_e32 v11, 1.0, v21
	v_sub_f32_e32 v11, v9, v11
	v_add_f32_e32 v26, v10, v11
	v_add_f32_e32 v11, 1.0, v9
	v_add_f32_e32 v27, -1.0, v11
	v_sub_f32_e32 v9, v9, v27
	v_add_f32_e32 v9, v10, v9
	v_add_f32_e32 v38, v11, v9
	v_rcp_f32_e32 v39, v38
	v_sub_f32_e32 v10, v11, v38
	v_add_f32_e32 v11, v21, v26
	v_add_f32_e32 v9, v9, v10
	v_sub_f32_e32 v10, v21, v11
	v_mul_f32_e32 v40, v11, v39
	v_add_f32_e32 v21, v26, v10
	v_mul_f32_e32 v26, v38, v40
	v_fma_f32 v34, v40, v38, -v26
	v_fmac_f32_e32 v34, v40, v9
	v_add_f32_e32 v10, v26, v34
	v_sub_f32_e32 v27, v11, v10
	v_pk_add_f32 v[36:37], v[10:11], v[26:27] neg_lo:[0,1] neg_hi:[0,1]
	v_mov_b32_e32 v35, v10
	v_pk_add_f32 v[10:11], v[36:37], v[34:35] neg_lo:[0,1] neg_hi:[0,1]
	v_cmp_neq_f32_e32 vcc, s4, v7
	v_add_f32_e32 v11, v21, v11
	v_add_f32_e32 v10, v10, v11
	;; [unrolled: 1-line block ×3, first 2 shown]
	v_mul_f32_e32 v21, v39, v11
	v_mul_f32_e32 v26, v38, v21
	v_fma_f32 v34, v21, v38, -v26
	v_fmac_f32_e32 v34, v21, v9
	v_sub_f32_e32 v9, v27, v11
	v_add_f32_e32 v9, v10, v9
	v_add_f32_e32 v10, v26, v34
	v_sub_f32_e32 v27, v11, v10
	v_pk_add_f32 v[36:37], v[10:11], v[26:27] neg_lo:[0,1] neg_hi:[0,1]
	v_mov_b32_e32 v35, v10
	v_pk_add_f32 v[10:11], v[36:37], v[34:35] neg_lo:[0,1] neg_hi:[0,1]
	v_cvt_f32_i32_e32 v26, v31
	v_add_f32_e32 v9, v9, v11
	v_add_f32_e32 v9, v10, v9
	;; [unrolled: 1-line block ×4, first 2 shown]
	v_sub_f32_e32 v11, v10, v40
	v_mul_f32_e32 v9, v39, v9
	v_sub_f32_e32 v11, v21, v11
	v_add_f32_e32 v9, v11, v9
	v_add_f32_e32 v21, v10, v9
	v_mul_f32_e32 v27, v21, v21
	v_mov_b32_e32 v11, 0x3ecc95a3
	v_fmac_f32_e32 v11, 0x3e9b6dac, v27
	v_sub_f32_e32 v10, v21, v10
	v_fmaak_f32 v11, v27, v11, 0x3f2aaada
	v_sub_f32_e32 v9, v9, v10
	v_mul_f32_e32 v27, v21, v27
	v_mov_b32_e32 v10, 0x3f317218
	v_pk_mul_f32 v[10:11], v[26:27], v[10:11]
	v_ldexp_f32 v35, v21, 1
	v_fma_f32 v21, v26, s3, -v10
	v_fmamk_f32 v34, v26, 0xb102e308, v21
	v_pk_add_f32 v[26:27], v[10:11], v[34:35]
	v_ldexp_f32 v9, v9, 1
	v_sub_f32_e32 v21, v27, v35
	v_sub_f32_e32 v21, v11, v21
	v_add_f32_e32 v37, v9, v21
	v_mov_b32_e32 v36, v10
	v_pk_add_f32 v[10:11], v[26:27], v[10:11] neg_lo:[0,1] neg_hi:[0,1]
	v_pk_add_f32 v[38:39], v[26:27], v[36:37]
	v_mov_b32_e32 v35, v26
	v_mov_b32_e32 v11, v39
	v_pk_add_f32 v[40:41], v[34:35], v[10:11] neg_lo:[0,1] neg_hi:[0,1]
	v_pk_add_f32 v[10:11], v[34:35], v[10:11]
	v_mov_b32_e32 v36, v37
	v_pk_add_f32 v[34:35], v[10:11], v[26:27] op_sel:[1,0] op_sel_hi:[0,1] neg_lo:[0,1] neg_hi:[0,1]
	v_pk_add_f32 v[42:43], v[38:39], v[34:35] op_sel_hi:[1,0] neg_lo:[0,1] neg_hi:[0,1]
	v_mov_b32_e32 v38, v39
	v_mov_b32_e32 v39, v11
	v_pk_mov_b32 v[34:35], v[26:27], v[34:35] op_sel:[1,0]
	v_mov_b32_e32 v37, v26
	v_pk_add_f32 v[34:35], v[38:39], v[34:35] neg_lo:[0,1] neg_hi:[0,1]
	v_mov_b32_e32 v42, v40
	v_pk_add_f32 v[26:27], v[36:37], v[34:35] neg_lo:[0,1] neg_hi:[0,1]
	v_mov_b32_e32 v41, v11
	v_pk_add_f32 v[34:35], v[42:43], v[26:27]
	s_mov_b32 s3, 0x33800000
	v_pk_add_f32 v[36:37], v[34:35], v[34:35] op_sel:[0,1] op_sel_hi:[1,0]
	s_nop 0
	v_pk_add_f32 v[10:11], v[10:11], v[36:37] op_sel:[1,0] op_sel_hi:[0,1]
	v_mov_b32_e32 v35, v10
	v_pk_add_f32 v[38:39], v[34:35], v[40:41] neg_lo:[0,1] neg_hi:[0,1]
	v_mov_b32_e32 v27, v36
	v_sub_f32_e32 v9, v34, v38
	v_pk_add_f32 v[26:27], v[26:27], v[38:39] neg_lo:[0,1] neg_hi:[0,1]
	v_sub_f32_e32 v9, v40, v9
	v_add_f32_e32 v9, v26, v9
	v_add_f32_e32 v9, v9, v27
	;; [unrolled: 1-line block ×3, first 2 shown]
	v_cndmask_b32_e32 v9, v14, v9, vcc
	v_cmp_lt_f32_e64 vcc, |v7|, s3
	s_nop 1
	v_cndmask_b32_e32 v7, v9, v7, vcc
	v_add_f32_e32 v7, v8, v7
.LBB88_290:
	s_or_b64 exec, exec, s[0:1]
	v_max_f32_e32 v8, v7, v7
	v_min_f32_e32 v9, v8, v12
	v_cmp_u_f32_e32 vcc, v7, v7
	v_max_f32_e32 v8, v8, v12
	s_nop 0
	v_cndmask_b32_e32 v9, v9, v7, vcc
	v_cndmask_b32_e32 v8, v8, v7, vcc
	v_cndmask_b32_e64 v10, v9, v28, s[10:11]
	v_cndmask_b32_e64 v9, v8, v28, s[10:11]
	v_cmp_neq_f32_e32 vcc, v10, v9
	v_cmp_class_f32_e64 s[0:1], v10, s2
	s_or_b64 s[2:3], vcc, s[0:1]
	v_mov_b32_e32 v8, v7
	s_and_saveexec_b64 s[0:1], s[2:3]
	s_cbranch_execz .LBB88_292
; %bb.291:
	v_sub_f32_e32 v8, v10, v9
	s_mov_b32 s2, 0x3fb8aa3b
	v_mul_f32_e32 v10, 0x3fb8aa3b, v8
	v_fma_f32 v11, v8, s2, -v10
	v_rndne_f32_e32 v12, v10
	v_fmamk_f32 v11, v8, 0x32a5705f, v11
	v_sub_f32_e32 v10, v10, v12
	v_add_f32_e32 v10, v10, v11
	v_exp_f32_e32 v10, v10
	v_cvt_i32_f32_e32 v11, v12
	s_mov_b32 s2, 0xc2ce8ed0
	v_cmp_ngt_f32_e32 vcc, s2, v8
	s_mov_b32 s2, 0x42b17218
	v_ldexp_f32 v10, v10, v11
	v_cndmask_b32_e32 v10, 0, v10, vcc
	v_mov_b32_e32 v12, 0x7f800000
	v_cmp_nlt_f32_e32 vcc, s2, v8
	s_mov_b32 s2, 0x3f2aaaab
	s_mov_b32 s3, 0x7f800000
	v_cndmask_b32_e32 v8, v12, v10, vcc
	v_add_f32_e32 v14, 1.0, v8
	v_add_f32_e32 v10, -1.0, v14
	v_sub_f32_e32 v11, v10, v14
	v_add_f32_e32 v11, 1.0, v11
	v_sub_f32_e32 v10, v8, v10
	v_add_f32_e32 v21, v10, v11
	v_frexp_mant_f32_e32 v26, v14
	v_cvt_f64_f32_e32 v[10:11], v14
	v_frexp_exp_i32_f64_e32 v10, v[10:11]
	v_cmp_gt_f32_e32 vcc, s2, v26
	s_mov_b32 s2, 0x3f317218
	s_nop 0
	v_subbrev_co_u32_e32 v28, vcc, 0, v10, vcc
	v_sub_u32_e32 v10, 0, v28
	v_ldexp_f32 v11, v14, v10
	v_add_f32_e32 v14, -1.0, v11
	v_add_f32_e32 v26, 1.0, v11
	v_ldexp_f32 v10, v21, v10
	v_add_f32_e32 v21, 1.0, v14
	v_add_f32_e32 v27, -1.0, v26
	v_sub_f32_e32 v21, v11, v21
	v_sub_f32_e32 v11, v11, v27
	v_add_f32_e32 v21, v10, v21
	v_add_f32_e32 v10, v10, v11
	v_add_f32_e32 v31, v26, v10
	v_rcp_f32_e32 v39, v31
	v_sub_f32_e32 v11, v26, v31
	v_add_f32_e32 v38, v10, v11
	v_add_f32_e32 v11, v14, v21
	v_sub_f32_e32 v10, v14, v11
	v_add_f32_e32 v14, v21, v10
	v_mul_f32_e32 v21, v11, v39
	v_mul_f32_e32 v26, v31, v21
	v_fma_f32 v34, v21, v31, -v26
	v_fmac_f32_e32 v34, v21, v38
	v_add_f32_e32 v10, v26, v34
	v_sub_f32_e32 v27, v11, v10
	v_pk_add_f32 v[36:37], v[10:11], v[26:27] neg_lo:[0,1] neg_hi:[0,1]
	v_mov_b32_e32 v35, v10
	v_pk_add_f32 v[10:11], v[36:37], v[34:35] neg_lo:[0,1] neg_hi:[0,1]
	v_cmp_neq_f32_e32 vcc, s3, v8
	v_add_f32_e32 v11, v14, v11
	v_add_f32_e32 v10, v10, v11
	;; [unrolled: 1-line block ×3, first 2 shown]
	v_mul_f32_e32 v14, v39, v11
	v_mul_f32_e32 v26, v31, v14
	v_fma_f32 v34, v14, v31, -v26
	v_fmac_f32_e32 v34, v14, v38
	v_sub_f32_e32 v27, v27, v11
	v_add_f32_e32 v31, v10, v27
	v_add_f32_e32 v10, v26, v34
	v_sub_f32_e32 v27, v11, v10
	v_pk_add_f32 v[36:37], v[10:11], v[26:27] neg_lo:[0,1] neg_hi:[0,1]
	v_mov_b32_e32 v35, v10
	v_pk_add_f32 v[10:11], v[36:37], v[34:35] neg_lo:[0,1] neg_hi:[0,1]
	v_cvt_f32_i32_e32 v26, v28
	v_add_f32_e32 v11, v31, v11
	v_add_f32_e32 v10, v10, v11
	;; [unrolled: 1-line block ×4, first 2 shown]
	v_sub_f32_e32 v11, v27, v21
	v_mul_f32_e32 v10, v39, v10
	v_sub_f32_e32 v11, v14, v11
	v_add_f32_e32 v10, v11, v10
	v_add_f32_e32 v14, v27, v10
	v_mul_f32_e32 v21, v14, v14
	v_mov_b32_e32 v11, 0x3ecc95a3
	v_sub_f32_e32 v27, v14, v27
	v_fmac_f32_e32 v11, 0x3e9b6dac, v21
	v_sub_f32_e32 v10, v10, v27
	v_fmaak_f32 v11, v21, v11, 0x3f2aaada
	v_ldexp_f32 v28, v10, 1
	v_mul_f32_e32 v27, v14, v21
	v_mov_b32_e32 v10, 0x3f317218
	v_pk_mul_f32 v[10:11], v[26:27], v[10:11]
	v_ldexp_f32 v35, v14, 1
	v_fma_f32 v14, v26, s2, -v10
	v_fmamk_f32 v34, v26, 0xb102e308, v14
	v_pk_add_f32 v[26:27], v[10:11], v[34:35]
	v_mov_b32_e32 v36, v10
	v_sub_f32_e32 v14, v27, v35
	v_sub_f32_e32 v14, v11, v14
	v_add_f32_e32 v37, v28, v14
	v_pk_add_f32 v[10:11], v[26:27], v[10:11] neg_lo:[0,1] neg_hi:[0,1]
	v_pk_add_f32 v[38:39], v[26:27], v[36:37]
	v_mov_b32_e32 v35, v26
	v_mov_b32_e32 v11, v39
	v_pk_add_f32 v[40:41], v[34:35], v[10:11] neg_lo:[0,1] neg_hi:[0,1]
	v_pk_add_f32 v[10:11], v[34:35], v[10:11]
	v_mov_b32_e32 v36, v37
	v_pk_add_f32 v[34:35], v[10:11], v[26:27] op_sel:[1,0] op_sel_hi:[0,1] neg_lo:[0,1] neg_hi:[0,1]
	v_pk_add_f32 v[42:43], v[38:39], v[34:35] op_sel_hi:[1,0] neg_lo:[0,1] neg_hi:[0,1]
	v_mov_b32_e32 v38, v39
	v_mov_b32_e32 v39, v11
	v_pk_mov_b32 v[34:35], v[26:27], v[34:35] op_sel:[1,0]
	v_mov_b32_e32 v37, v26
	v_pk_add_f32 v[34:35], v[38:39], v[34:35] neg_lo:[0,1] neg_hi:[0,1]
	v_mov_b32_e32 v42, v40
	v_pk_add_f32 v[26:27], v[36:37], v[34:35] neg_lo:[0,1] neg_hi:[0,1]
	v_mov_b32_e32 v41, v11
	v_pk_add_f32 v[34:35], v[42:43], v[26:27]
	s_mov_b32 s2, 0x33800000
	v_pk_add_f32 v[36:37], v[34:35], v[34:35] op_sel:[0,1] op_sel_hi:[1,0]
	s_nop 0
	v_pk_add_f32 v[10:11], v[10:11], v[36:37] op_sel:[1,0] op_sel_hi:[0,1]
	v_mov_b32_e32 v35, v10
	v_pk_add_f32 v[38:39], v[34:35], v[40:41] neg_lo:[0,1] neg_hi:[0,1]
	v_mov_b32_e32 v27, v36
	v_sub_f32_e32 v11, v34, v38
	v_pk_add_f32 v[26:27], v[26:27], v[38:39] neg_lo:[0,1] neg_hi:[0,1]
	v_sub_f32_e32 v11, v40, v11
	v_add_f32_e32 v11, v26, v11
	v_add_f32_e32 v11, v11, v27
	;; [unrolled: 1-line block ×3, first 2 shown]
	v_cndmask_b32_e32 v10, v12, v10, vcc
	v_cmp_lt_f32_e64 vcc, |v8|, s2
	s_nop 1
	v_cndmask_b32_e32 v8, v10, v8, vcc
	v_add_f32_e32 v8, v9, v8
.LBB88_292:
	s_or_b64 exec, exec, s[0:1]
	v_max_f32_e32 v9, v8, v8
	v_min_f32_e32 v10, v9, v13
	v_cmp_u_f32_e32 vcc, v8, v8
	v_max_f32_e32 v9, v9, v13
	s_movk_i32 s2, 0x1f8
	v_cndmask_b32_e32 v10, v10, v8, vcc
	v_cndmask_b32_e32 v9, v9, v8, vcc
	v_cndmask_b32_e64 v11, v10, v29, s[12:13]
	v_cndmask_b32_e64 v10, v9, v29, s[12:13]
	v_cmp_neq_f32_e32 vcc, v11, v10
	v_cmp_class_f32_e64 s[0:1], v11, s2
	s_or_b64 s[4:5], vcc, s[0:1]
	v_mov_b32_e32 v9, v8
	s_and_saveexec_b64 s[0:1], s[4:5]
	s_cbranch_execz .LBB88_294
; %bb.293:
	v_sub_f32_e32 v9, v11, v10
	s_mov_b32 s3, 0x3fb8aa3b
	v_mul_f32_e32 v11, 0x3fb8aa3b, v9
	v_fma_f32 v12, v9, s3, -v11
	v_rndne_f32_e32 v13, v11
	v_fmamk_f32 v12, v9, 0x32a5705f, v12
	v_sub_f32_e32 v11, v11, v13
	v_add_f32_e32 v11, v11, v12
	v_exp_f32_e32 v11, v11
	v_cvt_i32_f32_e32 v12, v13
	s_mov_b32 s3, 0xc2ce8ed0
	v_cmp_ngt_f32_e32 vcc, s3, v9
	s_mov_b32 s3, 0x42b17218
	v_ldexp_f32 v11, v11, v12
	v_cndmask_b32_e32 v11, 0, v11, vcc
	v_mov_b32_e32 v14, 0x7f800000
	v_cmp_nlt_f32_e32 vcc, s3, v9
	s_mov_b32 s3, 0x3f2aaaab
	s_mov_b32 s4, 0x7f800000
	v_cndmask_b32_e32 v9, v14, v11, vcc
	v_add_f32_e32 v11, 1.0, v9
	v_add_f32_e32 v12, -1.0, v11
	v_sub_f32_e32 v13, v12, v11
	v_add_f32_e32 v13, 1.0, v13
	v_sub_f32_e32 v12, v9, v12
	v_add_f32_e32 v21, v12, v13
	v_frexp_mant_f32_e32 v26, v11
	v_cvt_f64_f32_e32 v[12:13], v11
	v_frexp_exp_i32_f64_e32 v12, v[12:13]
	v_cmp_gt_f32_e32 vcc, s3, v26
	s_mov_b32 s3, 0x3f317218
	s_nop 0
	v_subbrev_co_u32_e32 v31, vcc, 0, v12, vcc
	v_sub_u32_e32 v12, 0, v31
	v_ldexp_f32 v11, v11, v12
	v_ldexp_f32 v12, v21, v12
	v_add_f32_e32 v21, -1.0, v11
	v_add_f32_e32 v13, 1.0, v21
	v_sub_f32_e32 v13, v11, v13
	v_add_f32_e32 v26, v12, v13
	v_add_f32_e32 v13, 1.0, v11
	v_add_f32_e32 v27, -1.0, v13
	v_sub_f32_e32 v11, v11, v27
	v_add_f32_e32 v11, v12, v11
	v_add_f32_e32 v36, v13, v11
	v_rcp_f32_e32 v37, v36
	v_sub_f32_e32 v12, v13, v36
	v_add_f32_e32 v13, v21, v26
	v_add_f32_e32 v11, v11, v12
	v_sub_f32_e32 v12, v21, v13
	v_mul_f32_e32 v38, v13, v37
	v_add_f32_e32 v21, v26, v12
	v_mul_f32_e32 v26, v36, v38
	v_fma_f32 v28, v38, v36, -v26
	v_fmac_f32_e32 v28, v38, v11
	v_add_f32_e32 v12, v26, v28
	v_sub_f32_e32 v27, v13, v12
	v_pk_add_f32 v[34:35], v[12:13], v[26:27] neg_lo:[0,1] neg_hi:[0,1]
	v_mov_b32_e32 v29, v12
	v_pk_add_f32 v[12:13], v[34:35], v[28:29] neg_lo:[0,1] neg_hi:[0,1]
	v_cmp_neq_f32_e32 vcc, s4, v9
	v_add_f32_e32 v13, v21, v13
	v_add_f32_e32 v12, v12, v13
	;; [unrolled: 1-line block ×3, first 2 shown]
	v_mul_f32_e32 v21, v37, v13
	v_mul_f32_e32 v26, v36, v21
	v_fma_f32 v28, v21, v36, -v26
	v_fmac_f32_e32 v28, v21, v11
	v_sub_f32_e32 v11, v27, v13
	v_add_f32_e32 v11, v12, v11
	v_add_f32_e32 v12, v26, v28
	v_sub_f32_e32 v27, v13, v12
	v_pk_add_f32 v[34:35], v[12:13], v[26:27] neg_lo:[0,1] neg_hi:[0,1]
	v_mov_b32_e32 v29, v12
	v_pk_add_f32 v[12:13], v[34:35], v[28:29] neg_lo:[0,1] neg_hi:[0,1]
	v_cvt_f32_i32_e32 v26, v31
	v_add_f32_e32 v11, v11, v13
	v_add_f32_e32 v11, v12, v11
	;; [unrolled: 1-line block ×4, first 2 shown]
	v_sub_f32_e32 v13, v12, v38
	v_mul_f32_e32 v11, v37, v11
	v_sub_f32_e32 v13, v21, v13
	v_add_f32_e32 v11, v13, v11
	v_add_f32_e32 v21, v12, v11
	v_mul_f32_e32 v27, v21, v21
	v_mov_b32_e32 v13, 0x3ecc95a3
	v_fmac_f32_e32 v13, 0x3e9b6dac, v27
	v_sub_f32_e32 v12, v21, v12
	v_fmaak_f32 v13, v27, v13, 0x3f2aaada
	v_sub_f32_e32 v11, v11, v12
	v_mul_f32_e32 v27, v21, v27
	v_mov_b32_e32 v12, 0x3f317218
	v_pk_mul_f32 v[12:13], v[26:27], v[12:13]
	v_ldexp_f32 v29, v21, 1
	v_fma_f32 v21, v26, s3, -v12
	v_fmamk_f32 v28, v26, 0xb102e308, v21
	v_pk_add_f32 v[26:27], v[12:13], v[28:29]
	v_ldexp_f32 v11, v11, 1
	v_sub_f32_e32 v21, v27, v29
	v_sub_f32_e32 v21, v13, v21
	v_add_f32_e32 v35, v11, v21
	v_mov_b32_e32 v34, v12
	v_pk_add_f32 v[12:13], v[26:27], v[12:13] neg_lo:[0,1] neg_hi:[0,1]
	v_pk_add_f32 v[36:37], v[26:27], v[34:35]
	v_mov_b32_e32 v29, v26
	v_mov_b32_e32 v13, v37
	v_pk_add_f32 v[38:39], v[28:29], v[12:13] neg_lo:[0,1] neg_hi:[0,1]
	v_pk_add_f32 v[12:13], v[28:29], v[12:13]
	v_mov_b32_e32 v34, v35
	v_pk_add_f32 v[28:29], v[12:13], v[26:27] op_sel:[1,0] op_sel_hi:[0,1] neg_lo:[0,1] neg_hi:[0,1]
	v_pk_add_f32 v[40:41], v[36:37], v[28:29] op_sel_hi:[1,0] neg_lo:[0,1] neg_hi:[0,1]
	v_mov_b32_e32 v36, v37
	v_mov_b32_e32 v37, v13
	v_pk_mov_b32 v[28:29], v[26:27], v[28:29] op_sel:[1,0]
	v_mov_b32_e32 v35, v26
	v_pk_add_f32 v[28:29], v[36:37], v[28:29] neg_lo:[0,1] neg_hi:[0,1]
	v_mov_b32_e32 v40, v38
	v_pk_add_f32 v[26:27], v[34:35], v[28:29] neg_lo:[0,1] neg_hi:[0,1]
	v_mov_b32_e32 v39, v13
	v_pk_add_f32 v[28:29], v[40:41], v[26:27]
	s_mov_b32 s3, 0x33800000
	v_pk_add_f32 v[34:35], v[28:29], v[28:29] op_sel:[0,1] op_sel_hi:[1,0]
	s_nop 0
	v_pk_add_f32 v[12:13], v[12:13], v[34:35] op_sel:[1,0] op_sel_hi:[0,1]
	v_mov_b32_e32 v29, v12
	v_pk_add_f32 v[36:37], v[28:29], v[38:39] neg_lo:[0,1] neg_hi:[0,1]
	v_mov_b32_e32 v27, v34
	v_sub_f32_e32 v11, v28, v36
	v_pk_add_f32 v[26:27], v[26:27], v[36:37] neg_lo:[0,1] neg_hi:[0,1]
	v_sub_f32_e32 v11, v38, v11
	v_add_f32_e32 v11, v26, v11
	v_add_f32_e32 v11, v11, v27
	;; [unrolled: 1-line block ×3, first 2 shown]
	v_cndmask_b32_e32 v11, v14, v11, vcc
	v_cmp_lt_f32_e64 vcc, |v9|, s3
	s_nop 1
	v_cndmask_b32_e32 v9, v11, v9, vcc
	v_add_f32_e32 v9, v10, v9
.LBB88_294:
	s_or_b64 exec, exec, s[0:1]
	v_max_f32_e32 v10, v9, v9
	v_min_f32_e32 v11, v10, v15
	v_cmp_u_f32_e32 vcc, v9, v9
	v_max_f32_e32 v10, v10, v15
	s_nop 0
	v_cndmask_b32_e32 v11, v11, v9, vcc
	v_cndmask_b32_e32 v10, v10, v9, vcc
	v_cndmask_b32_e64 v12, v11, v22, s[14:15]
	v_cndmask_b32_e64 v11, v10, v22, s[14:15]
	v_cmp_neq_f32_e32 vcc, v12, v11
	v_cmp_class_f32_e64 s[0:1], v12, s2
	s_or_b64 s[2:3], vcc, s[0:1]
	v_mov_b32_e32 v10, v9
	s_and_saveexec_b64 s[0:1], s[2:3]
	s_cbranch_execz .LBB88_296
; %bb.295:
	v_sub_f32_e32 v10, v12, v11
	s_mov_b32 s2, 0x3fb8aa3b
	v_mul_f32_e32 v12, 0x3fb8aa3b, v10
	v_fma_f32 v13, v10, s2, -v12
	v_rndne_f32_e32 v14, v12
	v_fmamk_f32 v13, v10, 0x32a5705f, v13
	v_sub_f32_e32 v12, v12, v14
	v_add_f32_e32 v12, v12, v13
	v_exp_f32_e32 v12, v12
	v_cvt_i32_f32_e32 v13, v14
	s_mov_b32 s2, 0xc2ce8ed0
	v_cmp_ngt_f32_e32 vcc, s2, v10
	s_mov_b32 s2, 0x42b17218
	v_ldexp_f32 v12, v12, v13
	v_cndmask_b32_e32 v12, 0, v12, vcc
	v_mov_b32_e32 v21, 0x7f800000
	v_cmp_nlt_f32_e32 vcc, s2, v10
	s_mov_b32 s2, 0x3f2aaaab
	s_mov_b32 s3, 0x7f800000
	v_cndmask_b32_e32 v10, v21, v12, vcc
	v_add_f32_e32 v14, 1.0, v10
	v_add_f32_e32 v12, -1.0, v14
	v_sub_f32_e32 v13, v12, v14
	v_add_f32_e32 v13, 1.0, v13
	v_sub_f32_e32 v12, v10, v12
	v_add_f32_e32 v15, v12, v13
	v_frexp_mant_f32_e32 v22, v14
	v_cvt_f64_f32_e32 v[12:13], v14
	v_frexp_exp_i32_f64_e32 v12, v[12:13]
	v_cmp_gt_f32_e32 vcc, s2, v22
	s_mov_b32 s2, 0x3f317218
	s_nop 0
	v_subbrev_co_u32_e32 v22, vcc, 0, v12, vcc
	v_sub_u32_e32 v12, 0, v22
	v_ldexp_f32 v13, v14, v12
	v_add_f32_e32 v14, -1.0, v13
	v_add_f32_e32 v26, 1.0, v13
	v_ldexp_f32 v12, v15, v12
	v_add_f32_e32 v15, 1.0, v14
	v_add_f32_e32 v27, -1.0, v26
	v_sub_f32_e32 v15, v13, v15
	v_sub_f32_e32 v13, v13, v27
	v_add_f32_e32 v15, v12, v15
	v_add_f32_e32 v12, v12, v13
	;; [unrolled: 1-line block ×3, first 2 shown]
	v_rcp_f32_e32 v35, v31
	v_sub_f32_e32 v13, v26, v31
	v_add_f32_e32 v34, v12, v13
	v_add_f32_e32 v13, v14, v15
	v_mul_f32_e32 v37, v13, v35
	v_sub_f32_e32 v12, v14, v13
	v_mul_f32_e32 v14, v31, v37
	v_fma_f32 v26, v37, v31, -v14
	v_fmac_f32_e32 v26, v37, v34
	v_add_f32_e32 v36, v15, v12
	v_add_f32_e32 v12, v14, v26
	v_sub_f32_e32 v15, v13, v12
	v_pk_add_f32 v[28:29], v[12:13], v[14:15] neg_lo:[0,1] neg_hi:[0,1]
	v_mov_b32_e32 v27, v12
	v_pk_add_f32 v[12:13], v[28:29], v[26:27] neg_lo:[0,1] neg_hi:[0,1]
	v_cmp_neq_f32_e32 vcc, s3, v10
	v_add_f32_e32 v13, v36, v13
	v_add_f32_e32 v12, v12, v13
	v_add_f32_e32 v13, v15, v12
	v_mul_f32_e32 v36, v35, v13
	v_mul_f32_e32 v14, v31, v36
	v_fma_f32 v26, v36, v31, -v14
	v_fmac_f32_e32 v26, v36, v34
	v_sub_f32_e32 v15, v15, v13
	v_add_f32_e32 v31, v12, v15
	v_add_f32_e32 v12, v14, v26
	v_sub_f32_e32 v15, v13, v12
	v_pk_add_f32 v[28:29], v[12:13], v[14:15] neg_lo:[0,1] neg_hi:[0,1]
	v_mov_b32_e32 v27, v12
	v_pk_add_f32 v[12:13], v[28:29], v[26:27] neg_lo:[0,1] neg_hi:[0,1]
	v_cvt_f32_i32_e32 v14, v22
	v_add_f32_e32 v13, v31, v13
	v_add_f32_e32 v12, v12, v13
	;; [unrolled: 1-line block ×4, first 2 shown]
	v_sub_f32_e32 v13, v15, v37
	v_mul_f32_e32 v12, v35, v12
	v_sub_f32_e32 v13, v36, v13
	v_add_f32_e32 v12, v13, v12
	v_add_f32_e32 v26, v15, v12
	v_mul_f32_e32 v28, v26, v26
	v_mov_b32_e32 v13, 0x3ecc95a3
	v_sub_f32_e32 v15, v26, v15
	v_fmac_f32_e32 v13, 0x3e9b6dac, v28
	v_sub_f32_e32 v12, v12, v15
	v_fmaak_f32 v13, v28, v13, 0x3f2aaada
	v_ldexp_f32 v22, v12, 1
	v_mul_f32_e32 v15, v26, v28
	v_mov_b32_e32 v12, 0x3f317218
	v_pk_mul_f32 v[12:13], v[14:15], v[12:13]
	v_ldexp_f32 v27, v26, 1
	v_fma_f32 v15, v14, s2, -v12
	v_fmamk_f32 v26, v14, 0xb102e308, v15
	v_pk_add_f32 v[14:15], v[12:13], v[26:27]
	v_mov_b32_e32 v28, v12
	v_sub_f32_e32 v27, v15, v27
	v_sub_f32_e32 v27, v13, v27
	v_add_f32_e32 v29, v22, v27
	v_pk_add_f32 v[12:13], v[14:15], v[12:13] neg_lo:[0,1] neg_hi:[0,1]
	v_pk_add_f32 v[34:35], v[14:15], v[28:29]
	v_mov_b32_e32 v27, v14
	v_mov_b32_e32 v13, v35
	v_pk_add_f32 v[36:37], v[26:27], v[12:13] neg_lo:[0,1] neg_hi:[0,1]
	v_pk_add_f32 v[12:13], v[26:27], v[12:13]
	v_mov_b32_e32 v28, v29
	v_pk_add_f32 v[26:27], v[12:13], v[14:15] op_sel:[1,0] op_sel_hi:[0,1] neg_lo:[0,1] neg_hi:[0,1]
	v_pk_add_f32 v[38:39], v[34:35], v[26:27] op_sel_hi:[1,0] neg_lo:[0,1] neg_hi:[0,1]
	v_mov_b32_e32 v34, v35
	v_mov_b32_e32 v35, v13
	v_pk_mov_b32 v[26:27], v[14:15], v[26:27] op_sel:[1,0]
	v_mov_b32_e32 v29, v14
	v_pk_add_f32 v[26:27], v[34:35], v[26:27] neg_lo:[0,1] neg_hi:[0,1]
	v_mov_b32_e32 v38, v36
	v_pk_add_f32 v[14:15], v[28:29], v[26:27] neg_lo:[0,1] neg_hi:[0,1]
	v_mov_b32_e32 v37, v13
	v_pk_add_f32 v[26:27], v[38:39], v[14:15]
	s_mov_b32 s2, 0x33800000
	v_pk_add_f32 v[28:29], v[26:27], v[26:27] op_sel:[0,1] op_sel_hi:[1,0]
	s_nop 0
	v_pk_add_f32 v[12:13], v[12:13], v[28:29] op_sel:[1,0] op_sel_hi:[0,1]
	v_mov_b32_e32 v27, v12
	v_pk_add_f32 v[34:35], v[26:27], v[36:37] neg_lo:[0,1] neg_hi:[0,1]
	v_mov_b32_e32 v15, v28
	v_sub_f32_e32 v13, v26, v34
	v_pk_add_f32 v[14:15], v[14:15], v[34:35] neg_lo:[0,1] neg_hi:[0,1]
	v_sub_f32_e32 v13, v36, v13
	v_add_f32_e32 v13, v14, v13
	v_add_f32_e32 v13, v13, v15
	;; [unrolled: 1-line block ×3, first 2 shown]
	v_cndmask_b32_e32 v12, v21, v12, vcc
	v_cmp_lt_f32_e64 vcc, |v10|, s2
	s_nop 1
	v_cndmask_b32_e32 v10, v12, v10, vcc
	v_add_f32_e32 v10, v11, v10
.LBB88_296:
	s_or_b64 exec, exec, s[0:1]
	v_max_f32_e32 v11, v10, v10
	v_min_f32_e32 v12, v11, v16
	v_cmp_u_f32_e32 vcc, v10, v10
	v_max_f32_e32 v11, v11, v16
	s_movk_i32 s2, 0x1f8
	v_cndmask_b32_e32 v12, v12, v10, vcc
	v_cndmask_b32_e32 v11, v11, v10, vcc
	v_cndmask_b32_e64 v13, v12, v23, s[16:17]
	v_cndmask_b32_e64 v12, v11, v23, s[16:17]
	v_cmp_neq_f32_e32 vcc, v13, v12
	v_cmp_class_f32_e64 s[0:1], v13, s2
	s_or_b64 s[4:5], vcc, s[0:1]
	v_mov_b32_e32 v11, v10
	s_and_saveexec_b64 s[0:1], s[4:5]
	s_cbranch_execz .LBB88_298
; %bb.297:
	v_sub_f32_e32 v11, v13, v12
	s_mov_b32 s3, 0x3fb8aa3b
	v_mul_f32_e32 v13, 0x3fb8aa3b, v11
	v_fma_f32 v14, v11, s3, -v13
	v_rndne_f32_e32 v15, v13
	v_fmamk_f32 v14, v11, 0x32a5705f, v14
	v_sub_f32_e32 v13, v13, v15
	v_add_f32_e32 v13, v13, v14
	v_exp_f32_e32 v13, v13
	v_cvt_i32_f32_e32 v14, v15
	s_mov_b32 s3, 0xc2ce8ed0
	v_cmp_ngt_f32_e32 vcc, s3, v11
	s_mov_b32 s3, 0x42b17218
	v_ldexp_f32 v13, v13, v14
	v_cndmask_b32_e32 v13, 0, v13, vcc
	v_mov_b32_e32 v16, 0x7f800000
	v_cmp_nlt_f32_e32 vcc, s3, v11
	s_mov_b32 s3, 0x3f2aaaab
	s_mov_b32 s4, 0x7f800000
	v_cndmask_b32_e32 v11, v16, v13, vcc
	v_add_f32_e32 v13, 1.0, v11
	v_add_f32_e32 v14, -1.0, v13
	v_sub_f32_e32 v15, v14, v13
	v_add_f32_e32 v15, 1.0, v15
	v_sub_f32_e32 v14, v11, v14
	v_add_f32_e32 v21, v14, v15
	v_frexp_mant_f32_e32 v22, v13
	v_cvt_f64_f32_e32 v[14:15], v13
	v_frexp_exp_i32_f64_e32 v14, v[14:15]
	v_cmp_gt_f32_e32 vcc, s3, v22
	s_mov_b32 s3, 0x3f317218
	s_nop 0
	v_subbrev_co_u32_e32 v31, vcc, 0, v14, vcc
	v_sub_u32_e32 v14, 0, v31
	v_ldexp_f32 v13, v13, v14
	v_ldexp_f32 v14, v21, v14
	v_add_f32_e32 v21, -1.0, v13
	v_add_f32_e32 v15, 1.0, v21
	v_sub_f32_e32 v15, v13, v15
	v_add_f32_e32 v22, v14, v15
	v_add_f32_e32 v15, 1.0, v13
	v_add_f32_e32 v23, -1.0, v15
	v_sub_f32_e32 v13, v13, v23
	v_add_f32_e32 v13, v14, v13
	v_add_f32_e32 v34, v15, v13
	v_rcp_f32_e32 v35, v34
	v_sub_f32_e32 v14, v15, v34
	v_add_f32_e32 v15, v21, v22
	v_add_f32_e32 v13, v13, v14
	v_sub_f32_e32 v14, v21, v15
	v_mul_f32_e32 v36, v15, v35
	v_add_f32_e32 v21, v22, v14
	v_mul_f32_e32 v22, v34, v36
	v_fma_f32 v26, v36, v34, -v22
	v_fmac_f32_e32 v26, v36, v13
	v_add_f32_e32 v14, v22, v26
	v_sub_f32_e32 v23, v15, v14
	v_pk_add_f32 v[28:29], v[14:15], v[22:23] neg_lo:[0,1] neg_hi:[0,1]
	v_mov_b32_e32 v27, v14
	v_pk_add_f32 v[14:15], v[28:29], v[26:27] neg_lo:[0,1] neg_hi:[0,1]
	v_cmp_neq_f32_e32 vcc, s4, v11
	v_add_f32_e32 v15, v21, v15
	v_add_f32_e32 v14, v14, v15
	v_add_f32_e32 v15, v23, v14
	v_mul_f32_e32 v21, v35, v15
	v_mul_f32_e32 v22, v34, v21
	v_fma_f32 v26, v21, v34, -v22
	v_fmac_f32_e32 v26, v21, v13
	v_sub_f32_e32 v13, v23, v15
	v_add_f32_e32 v13, v14, v13
	v_add_f32_e32 v14, v22, v26
	v_sub_f32_e32 v23, v15, v14
	v_pk_add_f32 v[28:29], v[14:15], v[22:23] neg_lo:[0,1] neg_hi:[0,1]
	v_mov_b32_e32 v27, v14
	v_pk_add_f32 v[14:15], v[28:29], v[26:27] neg_lo:[0,1] neg_hi:[0,1]
	v_cvt_f32_i32_e32 v22, v31
	v_add_f32_e32 v13, v13, v15
	v_add_f32_e32 v13, v14, v13
	;; [unrolled: 1-line block ×4, first 2 shown]
	v_sub_f32_e32 v15, v14, v36
	v_mul_f32_e32 v13, v35, v13
	v_sub_f32_e32 v15, v21, v15
	v_add_f32_e32 v13, v15, v13
	v_add_f32_e32 v21, v14, v13
	v_mul_f32_e32 v23, v21, v21
	v_mov_b32_e32 v15, 0x3ecc95a3
	v_fmac_f32_e32 v15, 0x3e9b6dac, v23
	v_sub_f32_e32 v14, v21, v14
	v_fmaak_f32 v15, v23, v15, 0x3f2aaada
	v_sub_f32_e32 v13, v13, v14
	v_mul_f32_e32 v23, v21, v23
	v_mov_b32_e32 v14, 0x3f317218
	v_pk_mul_f32 v[14:15], v[22:23], v[14:15]
	v_ldexp_f32 v27, v21, 1
	v_fma_f32 v21, v22, s3, -v14
	v_fmamk_f32 v26, v22, 0xb102e308, v21
	v_pk_add_f32 v[22:23], v[14:15], v[26:27]
	v_ldexp_f32 v13, v13, 1
	v_sub_f32_e32 v21, v23, v27
	v_sub_f32_e32 v21, v15, v21
	v_add_f32_e32 v29, v13, v21
	v_mov_b32_e32 v28, v14
	v_pk_add_f32 v[14:15], v[22:23], v[14:15] neg_lo:[0,1] neg_hi:[0,1]
	v_pk_add_f32 v[34:35], v[22:23], v[28:29]
	v_mov_b32_e32 v27, v22
	v_mov_b32_e32 v15, v35
	v_pk_add_f32 v[36:37], v[26:27], v[14:15] neg_lo:[0,1] neg_hi:[0,1]
	v_pk_add_f32 v[14:15], v[26:27], v[14:15]
	v_mov_b32_e32 v28, v29
	v_pk_add_f32 v[26:27], v[14:15], v[22:23] op_sel:[1,0] op_sel_hi:[0,1] neg_lo:[0,1] neg_hi:[0,1]
	v_pk_add_f32 v[38:39], v[34:35], v[26:27] op_sel_hi:[1,0] neg_lo:[0,1] neg_hi:[0,1]
	v_mov_b32_e32 v34, v35
	v_mov_b32_e32 v35, v15
	v_pk_mov_b32 v[26:27], v[22:23], v[26:27] op_sel:[1,0]
	v_mov_b32_e32 v29, v22
	v_pk_add_f32 v[26:27], v[34:35], v[26:27] neg_lo:[0,1] neg_hi:[0,1]
	v_mov_b32_e32 v38, v36
	v_pk_add_f32 v[22:23], v[28:29], v[26:27] neg_lo:[0,1] neg_hi:[0,1]
	v_mov_b32_e32 v37, v15
	v_pk_add_f32 v[26:27], v[38:39], v[22:23]
	s_mov_b32 s3, 0x33800000
	v_pk_add_f32 v[28:29], v[26:27], v[26:27] op_sel:[0,1] op_sel_hi:[1,0]
	s_nop 0
	v_pk_add_f32 v[14:15], v[14:15], v[28:29] op_sel:[1,0] op_sel_hi:[0,1]
	v_mov_b32_e32 v27, v14
	v_pk_add_f32 v[34:35], v[26:27], v[36:37] neg_lo:[0,1] neg_hi:[0,1]
	v_mov_b32_e32 v23, v28
	v_sub_f32_e32 v13, v26, v34
	v_pk_add_f32 v[22:23], v[22:23], v[34:35] neg_lo:[0,1] neg_hi:[0,1]
	v_sub_f32_e32 v13, v36, v13
	v_add_f32_e32 v13, v22, v13
	v_add_f32_e32 v13, v13, v23
	;; [unrolled: 1-line block ×3, first 2 shown]
	v_cndmask_b32_e32 v13, v16, v13, vcc
	v_cmp_lt_f32_e64 vcc, |v11|, s3
	s_nop 1
	v_cndmask_b32_e32 v11, v13, v11, vcc
	v_add_f32_e32 v11, v12, v11
.LBB88_298:
	s_or_b64 exec, exec, s[0:1]
	v_max_f32_e32 v12, v11, v11
	v_min_f32_e32 v13, v12, v17
	v_cmp_u_f32_e32 vcc, v11, v11
	v_max_f32_e32 v12, v12, v17
	s_nop 0
	v_cndmask_b32_e32 v13, v13, v11, vcc
	v_cndmask_b32_e32 v12, v12, v11, vcc
	v_cndmask_b32_e64 v14, v13, v24, s[18:19]
	v_cndmask_b32_e64 v13, v12, v24, s[18:19]
	v_cmp_neq_f32_e32 vcc, v14, v13
	v_cmp_class_f32_e64 s[0:1], v14, s2
	s_or_b64 s[2:3], vcc, s[0:1]
	v_mov_b32_e32 v12, v11
	s_and_saveexec_b64 s[0:1], s[2:3]
	s_cbranch_execz .LBB88_300
; %bb.299:
	v_sub_f32_e32 v12, v14, v13
	s_mov_b32 s2, 0x3fb8aa3b
	v_mul_f32_e32 v14, 0x3fb8aa3b, v12
	v_fma_f32 v15, v12, s2, -v14
	v_rndne_f32_e32 v16, v14
	v_fmamk_f32 v15, v12, 0x32a5705f, v15
	v_sub_f32_e32 v14, v14, v16
	v_add_f32_e32 v14, v14, v15
	v_exp_f32_e32 v14, v14
	v_cvt_i32_f32_e32 v15, v16
	s_mov_b32 s2, 0xc2ce8ed0
	v_cmp_ngt_f32_e32 vcc, s2, v12
	s_mov_b32 s2, 0x42b17218
	v_ldexp_f32 v14, v14, v15
	v_cndmask_b32_e32 v14, 0, v14, vcc
	v_mov_b32_e32 v21, 0x7f800000
	v_cmp_nlt_f32_e32 vcc, s2, v12
	s_mov_b32 s2, 0x3f2aaaab
	s_mov_b32 s3, 0x7f800000
	v_cndmask_b32_e32 v12, v21, v14, vcc
	v_add_f32_e32 v16, 1.0, v12
	v_add_f32_e32 v14, -1.0, v16
	v_sub_f32_e32 v15, v14, v16
	v_add_f32_e32 v15, 1.0, v15
	v_sub_f32_e32 v14, v12, v14
	v_add_f32_e32 v17, v14, v15
	v_frexp_mant_f32_e32 v22, v16
	v_cvt_f64_f32_e32 v[14:15], v16
	v_frexp_exp_i32_f64_e32 v14, v[14:15]
	v_cmp_gt_f32_e32 vcc, s2, v22
	s_mov_b32 s2, 0x3f317218
	s_nop 0
	v_subbrev_co_u32_e32 v24, vcc, 0, v14, vcc
	v_sub_u32_e32 v14, 0, v24
	v_ldexp_f32 v15, v16, v14
	v_add_f32_e32 v16, -1.0, v15
	v_add_f32_e32 v22, 1.0, v15
	v_ldexp_f32 v14, v17, v14
	v_add_f32_e32 v17, 1.0, v16
	v_add_f32_e32 v23, -1.0, v22
	v_sub_f32_e32 v17, v15, v17
	v_sub_f32_e32 v15, v15, v23
	v_add_f32_e32 v17, v14, v17
	v_add_f32_e32 v14, v14, v15
	;; [unrolled: 1-line block ×3, first 2 shown]
	v_rcp_f32_e32 v31, v28
	v_sub_f32_e32 v15, v22, v28
	v_add_f32_e32 v29, v14, v15
	v_add_f32_e32 v15, v16, v17
	v_mul_f32_e32 v35, v15, v31
	v_sub_f32_e32 v14, v16, v15
	v_mul_f32_e32 v16, v28, v35
	v_fma_f32 v22, v35, v28, -v16
	v_fmac_f32_e32 v22, v35, v29
	v_add_f32_e32 v34, v17, v14
	v_add_f32_e32 v14, v16, v22
	v_sub_f32_e32 v17, v15, v14
	v_pk_add_f32 v[26:27], v[14:15], v[16:17] neg_lo:[0,1] neg_hi:[0,1]
	v_mov_b32_e32 v23, v14
	v_pk_add_f32 v[14:15], v[26:27], v[22:23] neg_lo:[0,1] neg_hi:[0,1]
	v_cmp_neq_f32_e32 vcc, s3, v12
	v_add_f32_e32 v15, v34, v15
	v_add_f32_e32 v14, v14, v15
	;; [unrolled: 1-line block ×3, first 2 shown]
	v_mul_f32_e32 v34, v31, v15
	v_mul_f32_e32 v16, v28, v34
	v_fma_f32 v22, v34, v28, -v16
	v_fmac_f32_e32 v22, v34, v29
	v_sub_f32_e32 v17, v17, v15
	v_add_f32_e32 v28, v14, v17
	v_add_f32_e32 v14, v16, v22
	v_sub_f32_e32 v17, v15, v14
	v_pk_add_f32 v[26:27], v[14:15], v[16:17] neg_lo:[0,1] neg_hi:[0,1]
	v_mov_b32_e32 v23, v14
	v_pk_add_f32 v[14:15], v[26:27], v[22:23] neg_lo:[0,1] neg_hi:[0,1]
	v_cvt_f32_i32_e32 v16, v24
	v_add_f32_e32 v15, v28, v15
	v_add_f32_e32 v14, v14, v15
	;; [unrolled: 1-line block ×4, first 2 shown]
	v_sub_f32_e32 v15, v17, v35
	v_mul_f32_e32 v14, v31, v14
	v_sub_f32_e32 v15, v34, v15
	v_add_f32_e32 v14, v15, v14
	v_add_f32_e32 v22, v17, v14
	v_mul_f32_e32 v26, v22, v22
	v_mov_b32_e32 v15, 0x3ecc95a3
	v_sub_f32_e32 v17, v22, v17
	v_fmac_f32_e32 v15, 0x3e9b6dac, v26
	v_sub_f32_e32 v14, v14, v17
	v_fmaak_f32 v15, v26, v15, 0x3f2aaada
	v_ldexp_f32 v24, v14, 1
	v_mul_f32_e32 v17, v22, v26
	v_mov_b32_e32 v14, 0x3f317218
	v_pk_mul_f32 v[14:15], v[16:17], v[14:15]
	v_ldexp_f32 v23, v22, 1
	v_fma_f32 v17, v16, s2, -v14
	v_fmamk_f32 v22, v16, 0xb102e308, v17
	v_pk_add_f32 v[16:17], v[14:15], v[22:23]
	v_mov_b32_e32 v26, v14
	v_sub_f32_e32 v23, v17, v23
	v_sub_f32_e32 v23, v15, v23
	v_add_f32_e32 v27, v24, v23
	v_pk_add_f32 v[14:15], v[16:17], v[14:15] neg_lo:[0,1] neg_hi:[0,1]
	v_pk_add_f32 v[28:29], v[16:17], v[26:27]
	v_mov_b32_e32 v23, v16
	v_mov_b32_e32 v15, v29
	v_pk_add_f32 v[34:35], v[22:23], v[14:15] neg_lo:[0,1] neg_hi:[0,1]
	v_pk_add_f32 v[14:15], v[22:23], v[14:15]
	v_mov_b32_e32 v26, v27
	v_pk_add_f32 v[22:23], v[14:15], v[16:17] op_sel:[1,0] op_sel_hi:[0,1] neg_lo:[0,1] neg_hi:[0,1]
	v_pk_add_f32 v[36:37], v[28:29], v[22:23] op_sel_hi:[1,0] neg_lo:[0,1] neg_hi:[0,1]
	v_mov_b32_e32 v28, v29
	v_mov_b32_e32 v29, v15
	v_pk_mov_b32 v[22:23], v[16:17], v[22:23] op_sel:[1,0]
	v_mov_b32_e32 v27, v16
	v_pk_add_f32 v[22:23], v[28:29], v[22:23] neg_lo:[0,1] neg_hi:[0,1]
	v_mov_b32_e32 v36, v34
	v_pk_add_f32 v[16:17], v[26:27], v[22:23] neg_lo:[0,1] neg_hi:[0,1]
	v_mov_b32_e32 v35, v15
	v_pk_add_f32 v[22:23], v[36:37], v[16:17]
	s_mov_b32 s2, 0x33800000
	v_pk_add_f32 v[26:27], v[22:23], v[22:23] op_sel:[0,1] op_sel_hi:[1,0]
	s_nop 0
	v_pk_add_f32 v[14:15], v[14:15], v[26:27] op_sel:[1,0] op_sel_hi:[0,1]
	v_mov_b32_e32 v23, v14
	v_pk_add_f32 v[28:29], v[22:23], v[34:35] neg_lo:[0,1] neg_hi:[0,1]
	v_mov_b32_e32 v17, v26
	v_sub_f32_e32 v15, v22, v28
	v_pk_add_f32 v[16:17], v[16:17], v[28:29] neg_lo:[0,1] neg_hi:[0,1]
	v_sub_f32_e32 v15, v34, v15
	v_add_f32_e32 v15, v16, v15
	v_add_f32_e32 v15, v15, v17
	;; [unrolled: 1-line block ×3, first 2 shown]
	v_cndmask_b32_e32 v14, v21, v14, vcc
	v_cmp_lt_f32_e64 vcc, |v12|, s2
	s_nop 1
	v_cndmask_b32_e32 v12, v14, v12, vcc
	v_add_f32_e32 v12, v13, v12
.LBB88_300:
	s_or_b64 exec, exec, s[0:1]
	v_max_f32_e32 v13, v12, v12
	v_min_f32_e32 v14, v13, v18
	v_cmp_u_f32_e32 vcc, v12, v12
	v_max_f32_e32 v13, v13, v18
	s_movk_i32 s2, 0x1f8
	v_cndmask_b32_e32 v14, v14, v12, vcc
	v_cndmask_b32_e32 v13, v13, v12, vcc
	v_cndmask_b32_e64 v15, v14, v25, s[20:21]
	v_cndmask_b32_e64 v14, v13, v25, s[20:21]
	v_cmp_neq_f32_e32 vcc, v15, v14
	v_cmp_class_f32_e64 s[0:1], v15, s2
	s_or_b64 s[4:5], vcc, s[0:1]
	v_mov_b32_e32 v13, v12
	s_and_saveexec_b64 s[0:1], s[4:5]
	s_cbranch_execz .LBB88_302
; %bb.301:
	v_sub_f32_e32 v13, v15, v14
	s_mov_b32 s3, 0x3fb8aa3b
	v_mul_f32_e32 v15, 0x3fb8aa3b, v13
	v_fma_f32 v16, v13, s3, -v15
	v_rndne_f32_e32 v17, v15
	v_fmamk_f32 v16, v13, 0x32a5705f, v16
	v_sub_f32_e32 v15, v15, v17
	v_add_f32_e32 v15, v15, v16
	v_exp_f32_e32 v15, v15
	v_cvt_i32_f32_e32 v16, v17
	s_mov_b32 s3, 0xc2ce8ed0
	v_cmp_ngt_f32_e32 vcc, s3, v13
	s_mov_b32 s3, 0x42b17218
	v_ldexp_f32 v15, v15, v16
	v_cndmask_b32_e32 v15, 0, v15, vcc
	v_mov_b32_e32 v18, 0x7f800000
	v_cmp_nlt_f32_e32 vcc, s3, v13
	s_mov_b32 s3, 0x3f2aaaab
	s_mov_b32 s4, 0x7f800000
	v_cndmask_b32_e32 v13, v18, v15, vcc
	v_add_f32_e32 v15, 1.0, v13
	v_add_f32_e32 v16, -1.0, v15
	v_sub_f32_e32 v17, v16, v15
	v_add_f32_e32 v17, 1.0, v17
	v_sub_f32_e32 v16, v13, v16
	v_add_f32_e32 v21, v16, v17
	v_frexp_mant_f32_e32 v22, v15
	v_cvt_f64_f32_e32 v[16:17], v15
	v_frexp_exp_i32_f64_e32 v16, v[16:17]
	v_cmp_gt_f32_e32 vcc, s3, v22
	s_mov_b32 s3, 0x3f317218
	s_nop 0
	v_subbrev_co_u32_e32 v28, vcc, 0, v16, vcc
	v_sub_u32_e32 v16, 0, v28
	v_ldexp_f32 v15, v15, v16
	v_ldexp_f32 v16, v21, v16
	v_add_f32_e32 v21, -1.0, v15
	v_add_f32_e32 v17, 1.0, v21
	v_sub_f32_e32 v17, v15, v17
	v_add_f32_e32 v22, v16, v17
	v_add_f32_e32 v17, 1.0, v15
	v_add_f32_e32 v23, -1.0, v17
	v_sub_f32_e32 v15, v15, v23
	v_add_f32_e32 v15, v16, v15
	v_add_f32_e32 v29, v17, v15
	v_rcp_f32_e32 v31, v29
	v_sub_f32_e32 v16, v17, v29
	v_add_f32_e32 v17, v21, v22
	v_add_f32_e32 v15, v15, v16
	v_sub_f32_e32 v16, v21, v17
	v_mul_f32_e32 v34, v17, v31
	v_add_f32_e32 v21, v22, v16
	v_mul_f32_e32 v22, v29, v34
	v_fma_f32 v24, v34, v29, -v22
	v_fmac_f32_e32 v24, v34, v15
	v_add_f32_e32 v16, v22, v24
	v_sub_f32_e32 v23, v17, v16
	v_pk_add_f32 v[26:27], v[16:17], v[22:23] neg_lo:[0,1] neg_hi:[0,1]
	v_mov_b32_e32 v25, v16
	v_pk_add_f32 v[16:17], v[26:27], v[24:25] neg_lo:[0,1] neg_hi:[0,1]
	v_cmp_neq_f32_e32 vcc, s4, v13
	v_add_f32_e32 v17, v21, v17
	v_add_f32_e32 v16, v16, v17
	;; [unrolled: 1-line block ×3, first 2 shown]
	v_mul_f32_e32 v21, v31, v17
	v_mul_f32_e32 v22, v29, v21
	v_fma_f32 v24, v21, v29, -v22
	v_fmac_f32_e32 v24, v21, v15
	v_sub_f32_e32 v15, v23, v17
	v_add_f32_e32 v15, v16, v15
	v_add_f32_e32 v16, v22, v24
	v_sub_f32_e32 v23, v17, v16
	v_pk_add_f32 v[26:27], v[16:17], v[22:23] neg_lo:[0,1] neg_hi:[0,1]
	v_mov_b32_e32 v25, v16
	v_pk_add_f32 v[16:17], v[26:27], v[24:25] neg_lo:[0,1] neg_hi:[0,1]
	v_cvt_f32_i32_e32 v22, v28
	v_add_f32_e32 v15, v15, v17
	v_add_f32_e32 v15, v16, v15
	;; [unrolled: 1-line block ×4, first 2 shown]
	v_sub_f32_e32 v17, v16, v34
	v_mul_f32_e32 v15, v31, v15
	v_sub_f32_e32 v17, v21, v17
	v_add_f32_e32 v15, v17, v15
	v_add_f32_e32 v21, v16, v15
	v_mul_f32_e32 v23, v21, v21
	v_mov_b32_e32 v17, 0x3ecc95a3
	v_fmac_f32_e32 v17, 0x3e9b6dac, v23
	v_sub_f32_e32 v16, v21, v16
	v_fmaak_f32 v17, v23, v17, 0x3f2aaada
	v_sub_f32_e32 v15, v15, v16
	v_mul_f32_e32 v23, v21, v23
	v_mov_b32_e32 v16, 0x3f317218
	v_pk_mul_f32 v[16:17], v[22:23], v[16:17]
	v_ldexp_f32 v25, v21, 1
	v_fma_f32 v21, v22, s3, -v16
	v_fmamk_f32 v24, v22, 0xb102e308, v21
	v_pk_add_f32 v[22:23], v[16:17], v[24:25]
	v_ldexp_f32 v15, v15, 1
	v_sub_f32_e32 v21, v23, v25
	v_sub_f32_e32 v21, v17, v21
	v_add_f32_e32 v27, v15, v21
	v_mov_b32_e32 v26, v16
	v_pk_add_f32 v[16:17], v[22:23], v[16:17] neg_lo:[0,1] neg_hi:[0,1]
	v_pk_add_f32 v[28:29], v[22:23], v[26:27]
	v_mov_b32_e32 v25, v22
	v_mov_b32_e32 v17, v29
	v_pk_add_f32 v[34:35], v[24:25], v[16:17] neg_lo:[0,1] neg_hi:[0,1]
	v_pk_add_f32 v[16:17], v[24:25], v[16:17]
	v_mov_b32_e32 v26, v27
	v_pk_add_f32 v[24:25], v[16:17], v[22:23] op_sel:[1,0] op_sel_hi:[0,1] neg_lo:[0,1] neg_hi:[0,1]
	v_pk_add_f32 v[36:37], v[28:29], v[24:25] op_sel_hi:[1,0] neg_lo:[0,1] neg_hi:[0,1]
	v_mov_b32_e32 v28, v29
	v_mov_b32_e32 v29, v17
	v_pk_mov_b32 v[24:25], v[22:23], v[24:25] op_sel:[1,0]
	v_mov_b32_e32 v27, v22
	v_pk_add_f32 v[24:25], v[28:29], v[24:25] neg_lo:[0,1] neg_hi:[0,1]
	v_mov_b32_e32 v36, v34
	v_pk_add_f32 v[22:23], v[26:27], v[24:25] neg_lo:[0,1] neg_hi:[0,1]
	v_mov_b32_e32 v35, v17
	v_pk_add_f32 v[24:25], v[36:37], v[22:23]
	s_mov_b32 s3, 0x33800000
	v_pk_add_f32 v[26:27], v[24:25], v[24:25] op_sel:[0,1] op_sel_hi:[1,0]
	s_nop 0
	v_pk_add_f32 v[16:17], v[16:17], v[26:27] op_sel:[1,0] op_sel_hi:[0,1]
	v_mov_b32_e32 v25, v16
	v_pk_add_f32 v[28:29], v[24:25], v[34:35] neg_lo:[0,1] neg_hi:[0,1]
	v_mov_b32_e32 v23, v26
	v_sub_f32_e32 v15, v24, v28
	v_pk_add_f32 v[22:23], v[22:23], v[28:29] neg_lo:[0,1] neg_hi:[0,1]
	v_sub_f32_e32 v15, v34, v15
	v_add_f32_e32 v15, v22, v15
	v_add_f32_e32 v15, v15, v23
	;; [unrolled: 1-line block ×3, first 2 shown]
	v_cndmask_b32_e32 v15, v18, v15, vcc
	v_cmp_lt_f32_e64 vcc, |v13|, s3
	s_nop 1
	v_cndmask_b32_e32 v13, v15, v13, vcc
	v_add_f32_e32 v13, v14, v13
.LBB88_302:
	s_or_b64 exec, exec, s[0:1]
	v_max_f32_e32 v14, v13, v13
	v_min_f32_e32 v15, v14, v19
	v_cmp_u_f32_e32 vcc, v13, v13
	v_max_f32_e32 v14, v14, v19
	s_nop 0
	v_cndmask_b32_e32 v15, v15, v13, vcc
	v_cndmask_b32_e32 v14, v14, v13, vcc
	v_cndmask_b32_e64 v16, v15, v32, s[22:23]
	v_cndmask_b32_e64 v15, v14, v32, s[22:23]
	v_cmp_neq_f32_e32 vcc, v16, v15
	v_cmp_class_f32_e64 s[0:1], v16, s2
	s_or_b64 s[2:3], vcc, s[0:1]
	v_mov_b32_e32 v14, v13
	s_and_saveexec_b64 s[0:1], s[2:3]
	s_cbranch_execz .LBB88_304
; %bb.303:
	v_sub_f32_e32 v14, v16, v15
	s_mov_b32 s2, 0x3fb8aa3b
	v_mul_f32_e32 v16, 0x3fb8aa3b, v14
	v_fma_f32 v17, v14, s2, -v16
	v_rndne_f32_e32 v18, v16
	v_fmamk_f32 v17, v14, 0x32a5705f, v17
	v_sub_f32_e32 v16, v16, v18
	v_add_f32_e32 v16, v16, v17
	v_exp_f32_e32 v16, v16
	v_cvt_i32_f32_e32 v17, v18
	s_mov_b32 s2, 0xc2ce8ed0
	v_cmp_ngt_f32_e32 vcc, s2, v14
	s_mov_b32 s2, 0x42b17218
	v_ldexp_f32 v16, v16, v17
	v_cndmask_b32_e32 v16, 0, v16, vcc
	v_mov_b32_e32 v21, 0x7f800000
	v_cmp_nlt_f32_e32 vcc, s2, v14
	s_mov_b32 s2, 0x3f2aaaab
	s_mov_b32 s3, 0x7f800000
	v_cndmask_b32_e32 v14, v21, v16, vcc
	v_add_f32_e32 v18, 1.0, v14
	v_add_f32_e32 v16, -1.0, v18
	v_sub_f32_e32 v17, v16, v18
	v_add_f32_e32 v17, 1.0, v17
	v_sub_f32_e32 v16, v14, v16
	v_add_f32_e32 v19, v16, v17
	v_frexp_mant_f32_e32 v22, v18
	v_cvt_f64_f32_e32 v[16:17], v18
	v_frexp_exp_i32_f64_e32 v16, v[16:17]
	v_cmp_gt_f32_e32 vcc, s2, v22
	s_mov_b32 s2, 0x3f317218
	s_nop 0
	v_subbrev_co_u32_e32 v26, vcc, 0, v16, vcc
	v_sub_u32_e32 v16, 0, v26
	v_ldexp_f32 v17, v18, v16
	v_add_f32_e32 v18, -1.0, v17
	v_add_f32_e32 v22, 1.0, v17
	v_ldexp_f32 v16, v19, v16
	v_add_f32_e32 v19, 1.0, v18
	v_add_f32_e32 v23, -1.0, v22
	v_sub_f32_e32 v19, v17, v19
	v_sub_f32_e32 v17, v17, v23
	v_add_f32_e32 v19, v16, v19
	v_add_f32_e32 v16, v16, v17
	;; [unrolled: 1-line block ×3, first 2 shown]
	v_rcp_f32_e32 v29, v27
	v_sub_f32_e32 v17, v22, v27
	v_add_f32_e32 v28, v16, v17
	v_add_f32_e32 v17, v18, v19
	v_mul_f32_e32 v32, v17, v29
	v_sub_f32_e32 v16, v18, v17
	v_mul_f32_e32 v18, v27, v32
	v_fma_f32 v22, v32, v27, -v18
	v_fmac_f32_e32 v22, v32, v28
	v_add_f32_e32 v31, v19, v16
	v_add_f32_e32 v16, v18, v22
	v_sub_f32_e32 v19, v17, v16
	v_pk_add_f32 v[24:25], v[16:17], v[18:19] neg_lo:[0,1] neg_hi:[0,1]
	v_mov_b32_e32 v23, v16
	v_pk_add_f32 v[16:17], v[24:25], v[22:23] neg_lo:[0,1] neg_hi:[0,1]
	v_cmp_neq_f32_e32 vcc, s3, v14
	v_add_f32_e32 v17, v31, v17
	v_add_f32_e32 v16, v16, v17
	;; [unrolled: 1-line block ×3, first 2 shown]
	v_mul_f32_e32 v31, v29, v17
	v_mul_f32_e32 v18, v27, v31
	v_fma_f32 v22, v31, v27, -v18
	v_fmac_f32_e32 v22, v31, v28
	v_sub_f32_e32 v19, v19, v17
	v_add_f32_e32 v27, v16, v19
	v_add_f32_e32 v16, v18, v22
	v_sub_f32_e32 v19, v17, v16
	v_pk_add_f32 v[24:25], v[16:17], v[18:19] neg_lo:[0,1] neg_hi:[0,1]
	v_mov_b32_e32 v23, v16
	v_pk_add_f32 v[16:17], v[24:25], v[22:23] neg_lo:[0,1] neg_hi:[0,1]
	v_cvt_f32_i32_e32 v18, v26
	v_add_f32_e32 v17, v27, v17
	v_add_f32_e32 v16, v16, v17
	v_add_f32_e32 v16, v19, v16
	v_add_f32_e32 v19, v32, v31
	v_sub_f32_e32 v17, v19, v32
	v_mul_f32_e32 v16, v29, v16
	v_sub_f32_e32 v17, v31, v17
	v_add_f32_e32 v16, v17, v16
	v_add_f32_e32 v22, v19, v16
	v_mul_f32_e32 v24, v22, v22
	v_mov_b32_e32 v17, 0x3ecc95a3
	v_sub_f32_e32 v19, v22, v19
	v_fmac_f32_e32 v17, 0x3e9b6dac, v24
	v_sub_f32_e32 v16, v16, v19
	v_fmaak_f32 v17, v24, v17, 0x3f2aaada
	v_ldexp_f32 v25, v16, 1
	v_mul_f32_e32 v19, v22, v24
	v_mov_b32_e32 v16, 0x3f317218
	v_pk_mul_f32 v[16:17], v[18:19], v[16:17]
	v_ldexp_f32 v23, v22, 1
	v_fma_f32 v19, v18, s2, -v16
	v_fmamk_f32 v22, v18, 0xb102e308, v19
	v_pk_add_f32 v[18:19], v[16:17], v[22:23]
	v_mov_b32_e32 v24, v16
	v_sub_f32_e32 v23, v19, v23
	v_sub_f32_e32 v23, v17, v23
	v_add_f32_e32 v25, v25, v23
	v_pk_add_f32 v[16:17], v[18:19], v[16:17] neg_lo:[0,1] neg_hi:[0,1]
	v_pk_add_f32 v[26:27], v[18:19], v[24:25]
	v_mov_b32_e32 v23, v18
	v_mov_b32_e32 v17, v27
	v_pk_add_f32 v[28:29], v[22:23], v[16:17] neg_lo:[0,1] neg_hi:[0,1]
	v_pk_add_f32 v[16:17], v[22:23], v[16:17]
	v_mov_b32_e32 v24, v25
	v_pk_add_f32 v[22:23], v[16:17], v[18:19] op_sel:[1,0] op_sel_hi:[0,1] neg_lo:[0,1] neg_hi:[0,1]
	v_pk_add_f32 v[34:35], v[26:27], v[22:23] op_sel_hi:[1,0] neg_lo:[0,1] neg_hi:[0,1]
	v_mov_b32_e32 v26, v27
	v_mov_b32_e32 v27, v17
	v_pk_mov_b32 v[22:23], v[18:19], v[22:23] op_sel:[1,0]
	v_mov_b32_e32 v25, v18
	v_pk_add_f32 v[22:23], v[26:27], v[22:23] neg_lo:[0,1] neg_hi:[0,1]
	v_mov_b32_e32 v34, v28
	v_pk_add_f32 v[18:19], v[24:25], v[22:23] neg_lo:[0,1] neg_hi:[0,1]
	v_mov_b32_e32 v29, v17
	v_pk_add_f32 v[22:23], v[34:35], v[18:19]
	s_mov_b32 s2, 0x33800000
	v_pk_add_f32 v[24:25], v[22:23], v[22:23] op_sel:[0,1] op_sel_hi:[1,0]
	s_nop 0
	v_pk_add_f32 v[16:17], v[16:17], v[24:25] op_sel:[1,0] op_sel_hi:[0,1]
	v_mov_b32_e32 v23, v16
	v_pk_add_f32 v[26:27], v[22:23], v[28:29] neg_lo:[0,1] neg_hi:[0,1]
	v_mov_b32_e32 v19, v24
	v_sub_f32_e32 v17, v22, v26
	v_pk_add_f32 v[18:19], v[18:19], v[26:27] neg_lo:[0,1] neg_hi:[0,1]
	v_sub_f32_e32 v17, v28, v17
	v_add_f32_e32 v17, v18, v17
	v_add_f32_e32 v17, v17, v19
	v_add_f32_e32 v16, v16, v17
	v_cndmask_b32_e32 v16, v21, v16, vcc
	v_cmp_lt_f32_e64 vcc, |v14|, s2
	s_nop 1
	v_cndmask_b32_e32 v14, v16, v14, vcc
	v_add_f32_e32 v14, v15, v14
.LBB88_304:
	s_or_b64 exec, exec, s[0:1]
	v_max_f32_e32 v15, v14, v14
	v_min_f32_e32 v16, v15, v20
	v_cmp_u_f32_e32 vcc, v14, v14
	v_max_f32_e32 v15, v15, v20
	s_movk_i32 s0, 0x1f8
	v_cndmask_b32_e32 v16, v16, v14, vcc
	v_cndmask_b32_e32 v15, v15, v14, vcc
	v_cndmask_b32_e64 v17, v16, v33, s[24:25]
	v_cndmask_b32_e64 v16, v15, v33, s[24:25]
	v_cmp_neq_f32_e32 vcc, v17, v16
	v_cmp_class_f32_e64 s[0:1], v17, s0
	s_or_b64 s[2:3], vcc, s[0:1]
	v_mov_b32_e32 v15, v14
	s_and_saveexec_b64 s[0:1], s[2:3]
	s_cbranch_execz .LBB88_306
; %bb.305:
	v_sub_f32_e32 v15, v17, v16
	s_mov_b32 s2, 0x3fb8aa3b
	v_mul_f32_e32 v17, 0x3fb8aa3b, v15
	v_fma_f32 v18, v15, s2, -v17
	v_rndne_f32_e32 v19, v17
	v_fmamk_f32 v18, v15, 0x32a5705f, v18
	v_sub_f32_e32 v17, v17, v19
	v_add_f32_e32 v17, v17, v18
	v_exp_f32_e32 v17, v17
	v_cvt_i32_f32_e32 v18, v19
	s_mov_b32 s2, 0xc2ce8ed0
	v_cmp_ngt_f32_e32 vcc, s2, v15
	s_mov_b32 s2, 0x42b17218
	v_ldexp_f32 v17, v17, v18
	v_cndmask_b32_e32 v17, 0, v17, vcc
	v_mov_b32_e32 v31, 0x7f800000
	v_cmp_nlt_f32_e32 vcc, s2, v15
	s_mov_b32 s2, 0x3f2aaaab
	s_mov_b32 s3, 0x7f800000
	v_cndmask_b32_e32 v15, v31, v17, vcc
	v_add_f32_e32 v17, 1.0, v15
	v_add_f32_e32 v18, -1.0, v17
	v_sub_f32_e32 v19, v18, v17
	v_add_f32_e32 v19, 1.0, v19
	v_sub_f32_e32 v18, v15, v18
	v_add_f32_e32 v20, v18, v19
	v_frexp_mant_f32_e32 v21, v17
	v_cvt_f64_f32_e32 v[18:19], v17
	v_frexp_exp_i32_f64_e32 v18, v[18:19]
	v_cmp_gt_f32_e32 vcc, s2, v21
	s_mov_b32 s2, 0x3f317218
	s_nop 0
	v_subbrev_co_u32_e32 v26, vcc, 0, v18, vcc
	v_sub_u32_e32 v18, 0, v26
	v_ldexp_f32 v17, v17, v18
	v_ldexp_f32 v18, v20, v18
	v_add_f32_e32 v20, -1.0, v17
	v_add_f32_e32 v19, 1.0, v20
	v_sub_f32_e32 v19, v17, v19
	v_add_f32_e32 v21, v18, v19
	v_add_f32_e32 v19, 1.0, v17
	v_add_f32_e32 v22, -1.0, v19
	v_sub_f32_e32 v17, v17, v22
	v_add_f32_e32 v17, v18, v17
	v_add_f32_e32 v27, v19, v17
	v_rcp_f32_e32 v28, v27
	v_sub_f32_e32 v18, v19, v27
	v_add_f32_e32 v19, v20, v21
	v_add_f32_e32 v17, v17, v18
	v_mul_f32_e32 v32, v19, v28
	v_sub_f32_e32 v18, v20, v19
	v_mul_f32_e32 v20, v27, v32
	v_fma_f32 v22, v32, v27, -v20
	v_fmac_f32_e32 v22, v32, v17
	v_add_f32_e32 v29, v21, v18
	v_add_f32_e32 v18, v20, v22
	v_sub_f32_e32 v21, v19, v18
	v_pk_add_f32 v[24:25], v[18:19], v[20:21] neg_lo:[0,1] neg_hi:[0,1]
	v_mov_b32_e32 v23, v18
	v_pk_add_f32 v[18:19], v[24:25], v[22:23] neg_lo:[0,1] neg_hi:[0,1]
	v_cmp_neq_f32_e32 vcc, s3, v15
	v_add_f32_e32 v19, v29, v19
	v_add_f32_e32 v18, v18, v19
	;; [unrolled: 1-line block ×3, first 2 shown]
	v_mul_f32_e32 v29, v28, v19
	v_mul_f32_e32 v20, v27, v29
	v_fma_f32 v22, v29, v27, -v20
	v_fmac_f32_e32 v22, v29, v17
	v_sub_f32_e32 v17, v21, v19
	v_add_f32_e32 v17, v18, v17
	v_add_f32_e32 v18, v20, v22
	v_sub_f32_e32 v21, v19, v18
	v_pk_add_f32 v[24:25], v[18:19], v[20:21] neg_lo:[0,1] neg_hi:[0,1]
	v_mov_b32_e32 v23, v18
	v_pk_add_f32 v[18:19], v[24:25], v[22:23] neg_lo:[0,1] neg_hi:[0,1]
	v_cvt_f32_i32_e32 v20, v26
	v_add_f32_e32 v17, v17, v19
	v_add_f32_e32 v17, v18, v17
	;; [unrolled: 1-line block ×4, first 2 shown]
	v_sub_f32_e32 v19, v18, v32
	v_mul_f32_e32 v17, v28, v17
	v_sub_f32_e32 v19, v29, v19
	v_add_f32_e32 v17, v19, v17
	v_add_f32_e32 v21, v18, v17
	v_mul_f32_e32 v22, v21, v21
	v_mov_b32_e32 v19, 0x3ecc95a3
	v_fmac_f32_e32 v19, 0x3e9b6dac, v22
	v_sub_f32_e32 v18, v21, v18
	v_fmaak_f32 v19, v22, v19, 0x3f2aaada
	v_sub_f32_e32 v17, v17, v18
	v_ldexp_f32 v23, v21, 1
	v_mul_f32_e32 v21, v21, v22
	v_mov_b32_e32 v18, 0x3f317218
	v_pk_mul_f32 v[18:19], v[20:21], v[18:19]
	v_ldexp_f32 v17, v17, 1
	v_fma_f32 v21, v20, s2, -v18
	v_fmamk_f32 v22, v20, 0xb102e308, v21
	v_pk_add_f32 v[20:21], v[18:19], v[22:23]
	v_mov_b32_e32 v24, v18
	v_sub_f32_e32 v23, v21, v23
	v_sub_f32_e32 v23, v19, v23
	v_add_f32_e32 v25, v17, v23
	v_pk_add_f32 v[18:19], v[20:21], v[18:19] neg_lo:[0,1] neg_hi:[0,1]
	v_pk_add_f32 v[26:27], v[20:21], v[24:25]
	v_mov_b32_e32 v23, v20
	v_mov_b32_e32 v19, v27
	v_pk_add_f32 v[28:29], v[22:23], v[18:19] neg_lo:[0,1] neg_hi:[0,1]
	v_pk_add_f32 v[18:19], v[22:23], v[18:19]
	v_mov_b32_e32 v24, v25
	v_pk_add_f32 v[22:23], v[18:19], v[20:21] op_sel:[1,0] op_sel_hi:[0,1] neg_lo:[0,1] neg_hi:[0,1]
	v_pk_add_f32 v[32:33], v[26:27], v[22:23] op_sel_hi:[1,0] neg_lo:[0,1] neg_hi:[0,1]
	v_mov_b32_e32 v26, v27
	v_mov_b32_e32 v27, v19
	v_pk_mov_b32 v[22:23], v[20:21], v[22:23] op_sel:[1,0]
	v_mov_b32_e32 v25, v20
	v_pk_add_f32 v[22:23], v[26:27], v[22:23] neg_lo:[0,1] neg_hi:[0,1]
	v_mov_b32_e32 v32, v28
	v_pk_add_f32 v[20:21], v[24:25], v[22:23] neg_lo:[0,1] neg_hi:[0,1]
	v_mov_b32_e32 v29, v19
	v_pk_add_f32 v[22:23], v[32:33], v[20:21]
	s_mov_b32 s2, 0x33800000
	v_pk_add_f32 v[24:25], v[22:23], v[22:23] op_sel:[0,1] op_sel_hi:[1,0]
	s_nop 0
	v_pk_add_f32 v[18:19], v[18:19], v[24:25] op_sel:[1,0] op_sel_hi:[0,1]
	v_mov_b32_e32 v23, v18
	v_pk_add_f32 v[26:27], v[22:23], v[28:29] neg_lo:[0,1] neg_hi:[0,1]
	v_mov_b32_e32 v21, v24
	v_sub_f32_e32 v17, v22, v26
	v_pk_add_f32 v[20:21], v[20:21], v[26:27] neg_lo:[0,1] neg_hi:[0,1]
	v_sub_f32_e32 v17, v28, v17
	v_add_f32_e32 v17, v20, v17
	v_add_f32_e32 v17, v17, v21
	;; [unrolled: 1-line block ×3, first 2 shown]
	v_cndmask_b32_e32 v17, v31, v17, vcc
	v_cmp_lt_f32_e64 vcc, |v15|, s2
	s_nop 1
	v_cndmask_b32_e32 v15, v17, v15, vcc
	v_add_f32_e32 v15, v16, v15
.LBB88_306:
	s_or_b64 exec, exec, s[0:1]
	s_movk_i32 s0, 0xff
	v_cmp_eq_u32_e32 vcc, s0, v0
	s_and_saveexec_b64 s[0:1], vcc
	s_cbranch_execz .LBB88_308
; %bb.307:
	v_mov_b32_e32 v16, 0
	v_mov_b32_e32 v19, 2
	;; [unrolled: 1-line block ×3, first 2 shown]
	global_store_dwordx2 v16, v[18:19], s[52:53] offset:512 sc1
.LBB88_308:
	s_or_b64 exec, exec, s[0:1]
	v_mov_b64_e32 v[20:21], v[16:17]
	v_mov_b64_e32 v[18:19], v[14:15]
	;; [unrolled: 1-line block ×8, first 2 shown]
.LBB88_309:
	s_add_u32 s0, s44, s48
	s_addc_u32 s1, s45, s49
	s_add_u32 s0, s0, s50
	s_addc_u32 s1, s1, s51
	s_mov_b64 s[2:3], -1
	s_and_b64 vcc, exec, s[46:47]
	s_waitcnt lgkmcnt(0)
	s_barrier
	s_cbranch_vccz .LBB88_311
; %bb.310:
	v_mov_b32_e32 v31, 0
	ds_write2_b64 v1, v[6:7], v[8:9] offset1:1
	ds_write2_b64 v1, v[10:11], v[12:13] offset0:2 offset1:3
	ds_write2_b64 v1, v[14:15], v[16:17] offset0:4 offset1:5
	ds_write_b64 v1, v[18:19] offset:48
	s_waitcnt lgkmcnt(0)
	s_barrier
	ds_read2st64_b32 v[2:3], v30 offset1:4
	ds_read2st64_b32 v[4:5], v30 offset0:8 offset1:12
	ds_read2st64_b32 v[20:21], v30 offset0:16 offset1:20
	;; [unrolled: 1-line block ×6, first 2 shown]
	v_lshl_add_u64 v[32:33], s[0:1], 0, v[30:31]
	s_movk_i32 s2, 0x1000
	s_waitcnt lgkmcnt(6)
	global_store_dword v30, v2, s[0:1]
	global_store_dword v30, v3, s[0:1] offset:1024
	s_waitcnt lgkmcnt(5)
	global_store_dword v30, v4, s[0:1] offset:2048
	global_store_dword v30, v5, s[0:1] offset:3072
	v_add_co_u32_e32 v2, vcc, s2, v32
	s_movk_i32 s2, 0x2000
	s_nop 0
	v_addc_co_u32_e32 v3, vcc, 0, v33, vcc
	v_add_co_u32_e32 v4, vcc, s2, v32
	s_mov_b64 s[2:3], 0
	s_nop 0
	v_addc_co_u32_e32 v5, vcc, 0, v33, vcc
	s_waitcnt lgkmcnt(4)
	global_store_dword v[4:5], v20, off offset:-4096
	global_store_dword v[2:3], v21, off offset:1024
	s_waitcnt lgkmcnt(3)
	global_store_dword v[2:3], v22, off offset:2048
	global_store_dword v[2:3], v23, off offset:3072
	s_waitcnt lgkmcnt(2)
	global_store_dword v[4:5], v24, off
	global_store_dword v[4:5], v25, off offset:1024
	s_waitcnt lgkmcnt(1)
	global_store_dword v[4:5], v26, off offset:2048
	global_store_dword v[4:5], v27, off offset:3072
	v_add_co_u32_e32 v2, vcc, 0x3000, v32
	s_nop 1
	v_addc_co_u32_e32 v3, vcc, 0, v33, vcc
	s_waitcnt lgkmcnt(0)
	global_store_dword v[2:3], v28, off
	global_store_dword v[2:3], v29, off offset:1024
.LBB88_311:
	s_andn2_b64 vcc, exec, s[2:3]
	s_cbranch_vccnz .LBB88_391
; %bb.312:
	ds_write2_b64 v1, v[6:7], v[8:9] offset1:1
	ds_write2_b64 v1, v[10:11], v[12:13] offset0:2 offset1:3
	ds_write2_b64 v1, v[14:15], v[16:17] offset0:4 offset1:5
	ds_write_b64 v1, v[18:19] offset:48
	s_waitcnt lgkmcnt(0)
	s_barrier
	ds_read2st64_b32 v[6:7], v30 offset1:4
	ds_read2st64_b32 v[8:9], v30 offset0:8 offset1:12
	ds_read2st64_b32 v[10:11], v30 offset0:16 offset1:20
	;; [unrolled: 1-line block ×6, first 2 shown]
	v_mov_b32_e32 v31, 0
	v_lshl_add_u64 v[2:3], s[0:1], 0, v[30:31]
	v_cmp_gt_u32_e32 vcc, s33, v0
	s_and_saveexec_b64 s[0:1], vcc
	s_cbranch_execz .LBB88_314
; %bb.313:
	s_waitcnt lgkmcnt(6)
	global_store_dword v[2:3], v6, off
.LBB88_314:
	s_or_b64 exec, exec, s[0:1]
	v_or_b32_e32 v1, 0x100, v0
	v_cmp_gt_u32_e32 vcc, s33, v1
	s_and_saveexec_b64 s[0:1], vcc
	s_cbranch_execz .LBB88_316
; %bb.315:
	s_waitcnt lgkmcnt(6)
	global_store_dword v[2:3], v7, off offset:1024
.LBB88_316:
	s_or_b64 exec, exec, s[0:1]
	v_or_b32_e32 v1, 0x200, v0
	v_cmp_gt_u32_e32 vcc, s33, v1
	s_and_saveexec_b64 s[0:1], vcc
	s_cbranch_execz .LBB88_318
; %bb.317:
	s_waitcnt lgkmcnt(5)
	global_store_dword v[2:3], v8, off offset:2048
.LBB88_318:
	;; [unrolled: 9-line block ×3, first 2 shown]
	s_or_b64 exec, exec, s[0:1]
	v_or_b32_e32 v1, 0x400, v0
	v_cmp_gt_u32_e32 vcc, s33, v1
	s_and_saveexec_b64 s[0:1], vcc
	s_cbranch_execz .LBB88_322
; %bb.321:
	v_add_co_u32_e32 v18, vcc, 0x1000, v2
	s_nop 1
	v_addc_co_u32_e32 v19, vcc, 0, v3, vcc
	s_waitcnt lgkmcnt(4)
	global_store_dword v[18:19], v10, off
.LBB88_322:
	s_or_b64 exec, exec, s[0:1]
	v_or_b32_e32 v1, 0x500, v0
	v_cmp_gt_u32_e32 vcc, s33, v1
	s_and_saveexec_b64 s[0:1], vcc
	s_cbranch_execz .LBB88_324
; %bb.323:
	v_add_co_u32_e32 v18, vcc, 0x1000, v2
	s_nop 1
	v_addc_co_u32_e32 v19, vcc, 0, v3, vcc
	s_waitcnt lgkmcnt(4)
	global_store_dword v[18:19], v11, off offset:1024
.LBB88_324:
	s_or_b64 exec, exec, s[0:1]
	v_or_b32_e32 v1, 0x600, v0
	v_cmp_gt_u32_e32 vcc, s33, v1
	s_and_saveexec_b64 s[0:1], vcc
	s_cbranch_execz .LBB88_326
; %bb.325:
	v_add_co_u32_e32 v18, vcc, 0x1000, v2
	s_nop 1
	v_addc_co_u32_e32 v19, vcc, 0, v3, vcc
	s_waitcnt lgkmcnt(3)
	global_store_dword v[18:19], v4, off offset:2048
.LBB88_326:
	;; [unrolled: 12-line block ×3, first 2 shown]
	s_or_b64 exec, exec, s[0:1]
	v_or_b32_e32 v1, 0x800, v0
	v_cmp_gt_u32_e32 vcc, s33, v1
	s_and_saveexec_b64 s[0:1], vcc
	s_cbranch_execz .LBB88_330
; %bb.329:
	v_add_co_u32_e32 v18, vcc, 0x2000, v2
	s_nop 1
	v_addc_co_u32_e32 v19, vcc, 0, v3, vcc
	s_waitcnt lgkmcnt(2)
	global_store_dword v[18:19], v14, off
.LBB88_330:
	s_or_b64 exec, exec, s[0:1]
	v_or_b32_e32 v1, 0x900, v0
	v_cmp_gt_u32_e32 vcc, s33, v1
	s_and_saveexec_b64 s[0:1], vcc
	s_cbranch_execz .LBB88_332
; %bb.331:
	v_add_co_u32_e32 v18, vcc, 0x2000, v2
	s_nop 1
	v_addc_co_u32_e32 v19, vcc, 0, v3, vcc
	s_waitcnt lgkmcnt(2)
	global_store_dword v[18:19], v15, off offset:1024
.LBB88_332:
	s_or_b64 exec, exec, s[0:1]
	v_or_b32_e32 v1, 0xa00, v0
	v_cmp_gt_u32_e32 vcc, s33, v1
	s_and_saveexec_b64 s[0:1], vcc
	s_cbranch_execz .LBB88_334
; %bb.333:
	v_add_co_u32_e32 v18, vcc, 0x2000, v2
	s_nop 1
	v_addc_co_u32_e32 v19, vcc, 0, v3, vcc
	s_waitcnt lgkmcnt(1)
	global_store_dword v[18:19], v12, off offset:2048
.LBB88_334:
	s_or_b64 exec, exec, s[0:1]
	v_or_b32_e32 v1, 0xb00, v0
	v_cmp_gt_u32_e32 vcc, s33, v1
	s_and_saveexec_b64 s[0:1], vcc
	s_cbranch_execz .LBB88_336
; %bb.335:
	v_add_co_u32_e32 v18, vcc, 0x2000, v2
	s_nop 1
	v_addc_co_u32_e32 v19, vcc, 0, v3, vcc
	s_waitcnt lgkmcnt(1)
	global_store_dword v[18:19], v13, off offset:3072
.LBB88_336:
	s_or_b64 exec, exec, s[0:1]
	v_or_b32_e32 v1, 0xc00, v0
	v_cmp_gt_u32_e32 vcc, s33, v1
	s_and_saveexec_b64 s[0:1], vcc
	s_cbranch_execz .LBB88_338
; %bb.337:
	v_add_co_u32_e32 v18, vcc, 0x3000, v2
	s_nop 1
	v_addc_co_u32_e32 v19, vcc, 0, v3, vcc
	s_waitcnt lgkmcnt(0)
	global_store_dword v[18:19], v16, off
.LBB88_338:
	s_or_b64 exec, exec, s[0:1]
	v_or_b32_e32 v1, 0xd00, v0
	v_cmp_gt_u32_e32 vcc, s33, v1
	s_and_saveexec_b64 s[0:1], vcc
	s_cbranch_execz .LBB88_340
; %bb.339:
	v_add_co_u32_e32 v2, vcc, 0x3000, v2
	s_nop 1
	v_addc_co_u32_e32 v3, vcc, 0, v3, vcc
	s_waitcnt lgkmcnt(0)
	global_store_dword v[2:3], v17, off offset:1024
.LBB88_340:
	s_or_b64 exec, exec, s[0:1]
	v_cmp_lt_u64_e64 s[0:1], s[42:43], 2
	s_and_b64 vcc, exec, s[0:1]
	s_cbranch_vccnz .LBB88_391
; %bb.341:
	s_add_u32 s0, s33, -1
	s_addc_u32 s1, s56, -1
	s_lshr_b64 s[2:3], s[0:1], 1
	s_lshr_b32 s5, s1, 1
	s_mul_hi_u32 s3, s2, 0x49249249
	s_mul_i32 s4, s2, 0x49249249
	s_mul_i32 s7, s5, 0x24924925
	s_mul_hi_u32 s2, s2, 0x24924925
	s_mul_hi_u32 s6, s5, 0x24924925
	s_add_u32 s2, s7, s2
	s_addc_u32 s6, s6, 0
	s_add_u32 s2, s4, s2
	s_addc_u32 s2, s3, 0
	;; [unrolled: 2-line block ×3, first 2 shown]
	s_mul_hi_u32 s4, s5, 0x49249249
	s_mul_i32 s5, s5, 0x49249249
	s_add_u32 s2, s5, s2
	s_addc_u32 s3, s4, s3
	v_mov_b32_e32 v1, v31
	s_lshr_b64 s[2:3], s[2:3], 1
	v_cmp_eq_u64_e32 vcc, s[2:3], v[0:1]
	s_and_saveexec_b64 s[2:3], vcc
	s_cbranch_execz .LBB88_391
; %bb.342:
	v_mul_hi_u32_u24_e32 v1, 14, v0
	v_mul_u32_u24_e32 v0, 14, v0
	v_mov_b32_e32 v2, s1
	v_sub_co_u32_e32 v0, vcc, s0, v0
	s_nop 1
	v_subb_co_u32_e32 v1, vcc, v2, v1, vcc
	v_cmp_lt_i64_e32 vcc, 6, v[0:1]
	s_and_saveexec_b64 s[0:1], vcc
	s_xor_b64 s[0:1], exec, s[0:1]
	s_cbranch_execz .LBB88_368
; %bb.343:
	v_cmp_lt_i64_e32 vcc, 9, v[0:1]
	s_and_saveexec_b64 s[2:3], vcc
	s_xor_b64 s[2:3], exec, s[2:3]
	s_cbranch_execz .LBB88_357
; %bb.344:
	;; [unrolled: 5-line block ×4, first 2 shown]
	v_mov_b32_e32 v0, 0
	s_waitcnt lgkmcnt(0)
	global_store_dword v0, v17, s[38:39]
                                        ; implicit-def: $vgpr16_vgpr17
.LBB88_347:
	s_andn2_saveexec_b64 s[6:7], s[6:7]
	s_cbranch_execz .LBB88_349
; %bb.348:
	v_mov_b32_e32 v0, 0
	s_waitcnt lgkmcnt(0)
	global_store_dword v0, v16, s[38:39]
.LBB88_349:
	s_or_b64 exec, exec, s[6:7]
                                        ; implicit-def: $vgpr12_vgpr13
                                        ; implicit-def: $vgpr0_vgpr1
.LBB88_350:
	s_andn2_saveexec_b64 s[4:5], s[4:5]
	s_cbranch_execz .LBB88_356
; %bb.351:
	v_cmp_lt_i64_e32 vcc, 10, v[0:1]
	s_and_saveexec_b64 s[6:7], vcc
	s_xor_b64 s[6:7], exec, s[6:7]
	s_cbranch_execz .LBB88_353
; %bb.352:
	v_mov_b32_e32 v0, 0
	s_waitcnt lgkmcnt(1)
	global_store_dword v0, v13, s[38:39]
                                        ; implicit-def: $vgpr12_vgpr13
.LBB88_353:
	s_andn2_saveexec_b64 s[6:7], s[6:7]
	s_cbranch_execz .LBB88_355
; %bb.354:
	v_mov_b32_e32 v0, 0
	s_waitcnt lgkmcnt(1)
	global_store_dword v0, v12, s[38:39]
.LBB88_355:
	s_or_b64 exec, exec, s[6:7]
.LBB88_356:
	s_or_b64 exec, exec, s[4:5]
                                        ; implicit-def: $vgpr4_vgpr5
                                        ; implicit-def: $vgpr0_vgpr1
                                        ; implicit-def: $vgpr14_vgpr15
.LBB88_357:
	s_andn2_saveexec_b64 s[2:3], s[2:3]
	s_cbranch_execz .LBB88_367
; %bb.358:
	v_cmp_lt_i64_e32 vcc, 7, v[0:1]
	s_and_saveexec_b64 s[4:5], vcc
	s_xor_b64 s[4:5], exec, s[4:5]
	s_cbranch_execz .LBB88_364
; %bb.359:
	v_cmp_lt_i64_e32 vcc, 8, v[0:1]
	s_and_saveexec_b64 s[6:7], vcc
	s_xor_b64 s[6:7], exec, s[6:7]
	s_cbranch_execz .LBB88_361
; %bb.360:
	v_mov_b32_e32 v0, 0
	s_waitcnt lgkmcnt(2)
	global_store_dword v0, v15, s[38:39]
                                        ; implicit-def: $vgpr14_vgpr15
.LBB88_361:
	s_andn2_saveexec_b64 s[6:7], s[6:7]
	s_cbranch_execz .LBB88_363
; %bb.362:
	v_mov_b32_e32 v0, 0
	s_waitcnt lgkmcnt(2)
	global_store_dword v0, v14, s[38:39]
.LBB88_363:
	s_or_b64 exec, exec, s[6:7]
                                        ; implicit-def: $vgpr4_vgpr5
.LBB88_364:
	s_andn2_saveexec_b64 s[4:5], s[4:5]
	s_cbranch_execz .LBB88_366
; %bb.365:
	v_mov_b32_e32 v0, 0
	s_waitcnt lgkmcnt(3)
	global_store_dword v0, v5, s[38:39]
.LBB88_366:
	s_or_b64 exec, exec, s[4:5]
.LBB88_367:
	s_or_b64 exec, exec, s[2:3]
                                        ; implicit-def: $vgpr0_vgpr1
                                        ; implicit-def: $vgpr10_vgpr11
                                        ; implicit-def: $vgpr6_vgpr7
                                        ; implicit-def: $vgpr8_vgpr9
                                        ; implicit-def: $vgpr4_vgpr5
.LBB88_368:
	s_andn2_saveexec_b64 s[0:1], s[0:1]
	s_cbranch_execz .LBB88_391
; %bb.369:
	v_cmp_lt_i64_e32 vcc, 3, v[0:1]
	s_and_saveexec_b64 s[0:1], vcc
	s_xor_b64 s[0:1], exec, s[0:1]
	s_cbranch_execz .LBB88_379
; %bb.370:
	v_cmp_lt_i64_e32 vcc, 4, v[0:1]
	s_and_saveexec_b64 s[2:3], vcc
	s_xor_b64 s[2:3], exec, s[2:3]
	;; [unrolled: 5-line block ×3, first 2 shown]
	s_cbranch_execz .LBB88_373
; %bb.372:
	v_mov_b32_e32 v0, 0
	s_waitcnt lgkmcnt(3)
	global_store_dword v0, v4, s[38:39]
                                        ; implicit-def: $vgpr10_vgpr11
.LBB88_373:
	s_andn2_saveexec_b64 s[4:5], s[4:5]
	s_cbranch_execz .LBB88_375
; %bb.374:
	v_mov_b32_e32 v0, 0
	s_waitcnt lgkmcnt(4)
	global_store_dword v0, v11, s[38:39]
.LBB88_375:
	s_or_b64 exec, exec, s[4:5]
                                        ; implicit-def: $vgpr10_vgpr11
.LBB88_376:
	s_andn2_saveexec_b64 s[2:3], s[2:3]
	s_cbranch_execz .LBB88_378
; %bb.377:
	v_mov_b32_e32 v0, 0
	s_waitcnt lgkmcnt(4)
	global_store_dword v0, v10, s[38:39]
.LBB88_378:
	s_or_b64 exec, exec, s[2:3]
                                        ; implicit-def: $vgpr0_vgpr1
                                        ; implicit-def: $vgpr6_vgpr7
                                        ; implicit-def: $vgpr8_vgpr9
.LBB88_379:
	s_andn2_saveexec_b64 s[0:1], s[0:1]
	s_cbranch_execz .LBB88_391
; %bb.380:
	v_cmp_lt_i64_e32 vcc, 1, v[0:1]
	s_and_saveexec_b64 s[0:1], vcc
	s_xor_b64 s[0:1], exec, s[0:1]
	s_cbranch_execz .LBB88_386
; %bb.381:
	v_cmp_lt_i64_e32 vcc, 2, v[0:1]
	s_and_saveexec_b64 s[2:3], vcc
	s_xor_b64 s[2:3], exec, s[2:3]
	s_cbranch_execz .LBB88_383
; %bb.382:
	v_mov_b32_e32 v0, 0
	s_waitcnt lgkmcnt(5)
	global_store_dword v0, v9, s[38:39]
                                        ; implicit-def: $vgpr8_vgpr9
.LBB88_383:
	s_andn2_saveexec_b64 s[2:3], s[2:3]
	s_cbranch_execz .LBB88_385
; %bb.384:
	v_mov_b32_e32 v0, 0
	s_waitcnt lgkmcnt(5)
	global_store_dword v0, v8, s[38:39]
.LBB88_385:
	s_or_b64 exec, exec, s[2:3]
                                        ; implicit-def: $vgpr6_vgpr7
                                        ; implicit-def: $vgpr0_vgpr1
.LBB88_386:
	s_andn2_saveexec_b64 s[0:1], s[0:1]
	s_cbranch_execz .LBB88_391
; %bb.387:
	v_cmp_ne_u64_e32 vcc, 1, v[0:1]
	s_and_saveexec_b64 s[0:1], vcc
	s_xor_b64 s[0:1], exec, s[0:1]
	s_cbranch_execz .LBB88_389
; %bb.388:
	v_mov_b32_e32 v0, 0
	s_waitcnt lgkmcnt(6)
	global_store_dword v0, v6, s[38:39]
                                        ; implicit-def: $vgpr6_vgpr7
.LBB88_389:
	s_andn2_saveexec_b64 s[0:1], s[0:1]
	s_cbranch_execz .LBB88_391
; %bb.390:
	v_mov_b32_e32 v0, 0
	s_waitcnt lgkmcnt(6)
	global_store_dword v0, v7, s[38:39]
.LBB88_391:
	s_endpgm
	.section	.rodata,"a",@progbits
	.p2align	6, 0x0
	.amdhsa_kernel _ZN7rocprim17ROCPRIM_400000_NS6detail17trampoline_kernelINS0_14default_configENS1_20scan_config_selectorIfEEZZNS1_9scan_implILNS1_25lookback_scan_determinismE0ELb0ELb0ES3_PKfPffZZZN2at6native31launch_logcumsumexp_cuda_kernelERKNSB_10TensorBaseESF_lENKUlvE_clEvENKUlvE0_clEvEUlffE_fEEDaPvRmT3_T4_T5_mT6_P12ihipStream_tbENKUlT_T0_E_clISt17integral_constantIbLb0EESW_EEDaSR_SS_EUlSR_E_NS1_11comp_targetILNS1_3genE0ELNS1_11target_archE4294967295ELNS1_3gpuE0ELNS1_3repE0EEENS1_30default_config_static_selectorELNS0_4arch9wavefront6targetE1EEEvT1_
		.amdhsa_group_segment_fixed_size 14336
		.amdhsa_private_segment_fixed_size 0
		.amdhsa_kernarg_size 96
		.amdhsa_user_sgpr_count 2
		.amdhsa_user_sgpr_dispatch_ptr 0
		.amdhsa_user_sgpr_queue_ptr 0
		.amdhsa_user_sgpr_kernarg_segment_ptr 1
		.amdhsa_user_sgpr_dispatch_id 0
		.amdhsa_user_sgpr_kernarg_preload_length 0
		.amdhsa_user_sgpr_kernarg_preload_offset 0
		.amdhsa_user_sgpr_private_segment_size 0
		.amdhsa_uses_dynamic_stack 0
		.amdhsa_enable_private_segment 0
		.amdhsa_system_sgpr_workgroup_id_x 1
		.amdhsa_system_sgpr_workgroup_id_y 0
		.amdhsa_system_sgpr_workgroup_id_z 0
		.amdhsa_system_sgpr_workgroup_info 0
		.amdhsa_system_vgpr_workitem_id 0
		.amdhsa_next_free_vgpr 74
		.amdhsa_next_free_sgpr 66
		.amdhsa_accum_offset 76
		.amdhsa_reserve_vcc 1
		.amdhsa_float_round_mode_32 0
		.amdhsa_float_round_mode_16_64 0
		.amdhsa_float_denorm_mode_32 3
		.amdhsa_float_denorm_mode_16_64 3
		.amdhsa_dx10_clamp 1
		.amdhsa_ieee_mode 1
		.amdhsa_fp16_overflow 0
		.amdhsa_tg_split 0
		.amdhsa_exception_fp_ieee_invalid_op 0
		.amdhsa_exception_fp_denorm_src 0
		.amdhsa_exception_fp_ieee_div_zero 0
		.amdhsa_exception_fp_ieee_overflow 0
		.amdhsa_exception_fp_ieee_underflow 0
		.amdhsa_exception_fp_ieee_inexact 0
		.amdhsa_exception_int_div_zero 0
	.end_amdhsa_kernel
	.section	.text._ZN7rocprim17ROCPRIM_400000_NS6detail17trampoline_kernelINS0_14default_configENS1_20scan_config_selectorIfEEZZNS1_9scan_implILNS1_25lookback_scan_determinismE0ELb0ELb0ES3_PKfPffZZZN2at6native31launch_logcumsumexp_cuda_kernelERKNSB_10TensorBaseESF_lENKUlvE_clEvENKUlvE0_clEvEUlffE_fEEDaPvRmT3_T4_T5_mT6_P12ihipStream_tbENKUlT_T0_E_clISt17integral_constantIbLb0EESW_EEDaSR_SS_EUlSR_E_NS1_11comp_targetILNS1_3genE0ELNS1_11target_archE4294967295ELNS1_3gpuE0ELNS1_3repE0EEENS1_30default_config_static_selectorELNS0_4arch9wavefront6targetE1EEEvT1_,"axG",@progbits,_ZN7rocprim17ROCPRIM_400000_NS6detail17trampoline_kernelINS0_14default_configENS1_20scan_config_selectorIfEEZZNS1_9scan_implILNS1_25lookback_scan_determinismE0ELb0ELb0ES3_PKfPffZZZN2at6native31launch_logcumsumexp_cuda_kernelERKNSB_10TensorBaseESF_lENKUlvE_clEvENKUlvE0_clEvEUlffE_fEEDaPvRmT3_T4_T5_mT6_P12ihipStream_tbENKUlT_T0_E_clISt17integral_constantIbLb0EESW_EEDaSR_SS_EUlSR_E_NS1_11comp_targetILNS1_3genE0ELNS1_11target_archE4294967295ELNS1_3gpuE0ELNS1_3repE0EEENS1_30default_config_static_selectorELNS0_4arch9wavefront6targetE1EEEvT1_,comdat
.Lfunc_end88:
	.size	_ZN7rocprim17ROCPRIM_400000_NS6detail17trampoline_kernelINS0_14default_configENS1_20scan_config_selectorIfEEZZNS1_9scan_implILNS1_25lookback_scan_determinismE0ELb0ELb0ES3_PKfPffZZZN2at6native31launch_logcumsumexp_cuda_kernelERKNSB_10TensorBaseESF_lENKUlvE_clEvENKUlvE0_clEvEUlffE_fEEDaPvRmT3_T4_T5_mT6_P12ihipStream_tbENKUlT_T0_E_clISt17integral_constantIbLb0EESW_EEDaSR_SS_EUlSR_E_NS1_11comp_targetILNS1_3genE0ELNS1_11target_archE4294967295ELNS1_3gpuE0ELNS1_3repE0EEENS1_30default_config_static_selectorELNS0_4arch9wavefront6targetE1EEEvT1_, .Lfunc_end88-_ZN7rocprim17ROCPRIM_400000_NS6detail17trampoline_kernelINS0_14default_configENS1_20scan_config_selectorIfEEZZNS1_9scan_implILNS1_25lookback_scan_determinismE0ELb0ELb0ES3_PKfPffZZZN2at6native31launch_logcumsumexp_cuda_kernelERKNSB_10TensorBaseESF_lENKUlvE_clEvENKUlvE0_clEvEUlffE_fEEDaPvRmT3_T4_T5_mT6_P12ihipStream_tbENKUlT_T0_E_clISt17integral_constantIbLb0EESW_EEDaSR_SS_EUlSR_E_NS1_11comp_targetILNS1_3genE0ELNS1_11target_archE4294967295ELNS1_3gpuE0ELNS1_3repE0EEENS1_30default_config_static_selectorELNS0_4arch9wavefront6targetE1EEEvT1_
                                        ; -- End function
	.set _ZN7rocprim17ROCPRIM_400000_NS6detail17trampoline_kernelINS0_14default_configENS1_20scan_config_selectorIfEEZZNS1_9scan_implILNS1_25lookback_scan_determinismE0ELb0ELb0ES3_PKfPffZZZN2at6native31launch_logcumsumexp_cuda_kernelERKNSB_10TensorBaseESF_lENKUlvE_clEvENKUlvE0_clEvEUlffE_fEEDaPvRmT3_T4_T5_mT6_P12ihipStream_tbENKUlT_T0_E_clISt17integral_constantIbLb0EESW_EEDaSR_SS_EUlSR_E_NS1_11comp_targetILNS1_3genE0ELNS1_11target_archE4294967295ELNS1_3gpuE0ELNS1_3repE0EEENS1_30default_config_static_selectorELNS0_4arch9wavefront6targetE1EEEvT1_.num_vgpr, 74
	.set _ZN7rocprim17ROCPRIM_400000_NS6detail17trampoline_kernelINS0_14default_configENS1_20scan_config_selectorIfEEZZNS1_9scan_implILNS1_25lookback_scan_determinismE0ELb0ELb0ES3_PKfPffZZZN2at6native31launch_logcumsumexp_cuda_kernelERKNSB_10TensorBaseESF_lENKUlvE_clEvENKUlvE0_clEvEUlffE_fEEDaPvRmT3_T4_T5_mT6_P12ihipStream_tbENKUlT_T0_E_clISt17integral_constantIbLb0EESW_EEDaSR_SS_EUlSR_E_NS1_11comp_targetILNS1_3genE0ELNS1_11target_archE4294967295ELNS1_3gpuE0ELNS1_3repE0EEENS1_30default_config_static_selectorELNS0_4arch9wavefront6targetE1EEEvT1_.num_agpr, 0
	.set _ZN7rocprim17ROCPRIM_400000_NS6detail17trampoline_kernelINS0_14default_configENS1_20scan_config_selectorIfEEZZNS1_9scan_implILNS1_25lookback_scan_determinismE0ELb0ELb0ES3_PKfPffZZZN2at6native31launch_logcumsumexp_cuda_kernelERKNSB_10TensorBaseESF_lENKUlvE_clEvENKUlvE0_clEvEUlffE_fEEDaPvRmT3_T4_T5_mT6_P12ihipStream_tbENKUlT_T0_E_clISt17integral_constantIbLb0EESW_EEDaSR_SS_EUlSR_E_NS1_11comp_targetILNS1_3genE0ELNS1_11target_archE4294967295ELNS1_3gpuE0ELNS1_3repE0EEENS1_30default_config_static_selectorELNS0_4arch9wavefront6targetE1EEEvT1_.numbered_sgpr, 66
	.set _ZN7rocprim17ROCPRIM_400000_NS6detail17trampoline_kernelINS0_14default_configENS1_20scan_config_selectorIfEEZZNS1_9scan_implILNS1_25lookback_scan_determinismE0ELb0ELb0ES3_PKfPffZZZN2at6native31launch_logcumsumexp_cuda_kernelERKNSB_10TensorBaseESF_lENKUlvE_clEvENKUlvE0_clEvEUlffE_fEEDaPvRmT3_T4_T5_mT6_P12ihipStream_tbENKUlT_T0_E_clISt17integral_constantIbLb0EESW_EEDaSR_SS_EUlSR_E_NS1_11comp_targetILNS1_3genE0ELNS1_11target_archE4294967295ELNS1_3gpuE0ELNS1_3repE0EEENS1_30default_config_static_selectorELNS0_4arch9wavefront6targetE1EEEvT1_.num_named_barrier, 0
	.set _ZN7rocprim17ROCPRIM_400000_NS6detail17trampoline_kernelINS0_14default_configENS1_20scan_config_selectorIfEEZZNS1_9scan_implILNS1_25lookback_scan_determinismE0ELb0ELb0ES3_PKfPffZZZN2at6native31launch_logcumsumexp_cuda_kernelERKNSB_10TensorBaseESF_lENKUlvE_clEvENKUlvE0_clEvEUlffE_fEEDaPvRmT3_T4_T5_mT6_P12ihipStream_tbENKUlT_T0_E_clISt17integral_constantIbLb0EESW_EEDaSR_SS_EUlSR_E_NS1_11comp_targetILNS1_3genE0ELNS1_11target_archE4294967295ELNS1_3gpuE0ELNS1_3repE0EEENS1_30default_config_static_selectorELNS0_4arch9wavefront6targetE1EEEvT1_.private_seg_size, 0
	.set _ZN7rocprim17ROCPRIM_400000_NS6detail17trampoline_kernelINS0_14default_configENS1_20scan_config_selectorIfEEZZNS1_9scan_implILNS1_25lookback_scan_determinismE0ELb0ELb0ES3_PKfPffZZZN2at6native31launch_logcumsumexp_cuda_kernelERKNSB_10TensorBaseESF_lENKUlvE_clEvENKUlvE0_clEvEUlffE_fEEDaPvRmT3_T4_T5_mT6_P12ihipStream_tbENKUlT_T0_E_clISt17integral_constantIbLb0EESW_EEDaSR_SS_EUlSR_E_NS1_11comp_targetILNS1_3genE0ELNS1_11target_archE4294967295ELNS1_3gpuE0ELNS1_3repE0EEENS1_30default_config_static_selectorELNS0_4arch9wavefront6targetE1EEEvT1_.uses_vcc, 1
	.set _ZN7rocprim17ROCPRIM_400000_NS6detail17trampoline_kernelINS0_14default_configENS1_20scan_config_selectorIfEEZZNS1_9scan_implILNS1_25lookback_scan_determinismE0ELb0ELb0ES3_PKfPffZZZN2at6native31launch_logcumsumexp_cuda_kernelERKNSB_10TensorBaseESF_lENKUlvE_clEvENKUlvE0_clEvEUlffE_fEEDaPvRmT3_T4_T5_mT6_P12ihipStream_tbENKUlT_T0_E_clISt17integral_constantIbLb0EESW_EEDaSR_SS_EUlSR_E_NS1_11comp_targetILNS1_3genE0ELNS1_11target_archE4294967295ELNS1_3gpuE0ELNS1_3repE0EEENS1_30default_config_static_selectorELNS0_4arch9wavefront6targetE1EEEvT1_.uses_flat_scratch, 0
	.set _ZN7rocprim17ROCPRIM_400000_NS6detail17trampoline_kernelINS0_14default_configENS1_20scan_config_selectorIfEEZZNS1_9scan_implILNS1_25lookback_scan_determinismE0ELb0ELb0ES3_PKfPffZZZN2at6native31launch_logcumsumexp_cuda_kernelERKNSB_10TensorBaseESF_lENKUlvE_clEvENKUlvE0_clEvEUlffE_fEEDaPvRmT3_T4_T5_mT6_P12ihipStream_tbENKUlT_T0_E_clISt17integral_constantIbLb0EESW_EEDaSR_SS_EUlSR_E_NS1_11comp_targetILNS1_3genE0ELNS1_11target_archE4294967295ELNS1_3gpuE0ELNS1_3repE0EEENS1_30default_config_static_selectorELNS0_4arch9wavefront6targetE1EEEvT1_.has_dyn_sized_stack, 0
	.set _ZN7rocprim17ROCPRIM_400000_NS6detail17trampoline_kernelINS0_14default_configENS1_20scan_config_selectorIfEEZZNS1_9scan_implILNS1_25lookback_scan_determinismE0ELb0ELb0ES3_PKfPffZZZN2at6native31launch_logcumsumexp_cuda_kernelERKNSB_10TensorBaseESF_lENKUlvE_clEvENKUlvE0_clEvEUlffE_fEEDaPvRmT3_T4_T5_mT6_P12ihipStream_tbENKUlT_T0_E_clISt17integral_constantIbLb0EESW_EEDaSR_SS_EUlSR_E_NS1_11comp_targetILNS1_3genE0ELNS1_11target_archE4294967295ELNS1_3gpuE0ELNS1_3repE0EEENS1_30default_config_static_selectorELNS0_4arch9wavefront6targetE1EEEvT1_.has_recursion, 0
	.set _ZN7rocprim17ROCPRIM_400000_NS6detail17trampoline_kernelINS0_14default_configENS1_20scan_config_selectorIfEEZZNS1_9scan_implILNS1_25lookback_scan_determinismE0ELb0ELb0ES3_PKfPffZZZN2at6native31launch_logcumsumexp_cuda_kernelERKNSB_10TensorBaseESF_lENKUlvE_clEvENKUlvE0_clEvEUlffE_fEEDaPvRmT3_T4_T5_mT6_P12ihipStream_tbENKUlT_T0_E_clISt17integral_constantIbLb0EESW_EEDaSR_SS_EUlSR_E_NS1_11comp_targetILNS1_3genE0ELNS1_11target_archE4294967295ELNS1_3gpuE0ELNS1_3repE0EEENS1_30default_config_static_selectorELNS0_4arch9wavefront6targetE1EEEvT1_.has_indirect_call, 0
	.section	.AMDGPU.csdata,"",@progbits
; Kernel info:
; codeLenInByte = 85648
; TotalNumSgprs: 72
; NumVgprs: 74
; NumAgprs: 0
; TotalNumVgprs: 74
; ScratchSize: 0
; MemoryBound: 0
; FloatMode: 240
; IeeeMode: 1
; LDSByteSize: 14336 bytes/workgroup (compile time only)
; SGPRBlocks: 8
; VGPRBlocks: 9
; NumSGPRsForWavesPerEU: 72
; NumVGPRsForWavesPerEU: 74
; AccumOffset: 76
; Occupancy: 6
; WaveLimiterHint : 1
; COMPUTE_PGM_RSRC2:SCRATCH_EN: 0
; COMPUTE_PGM_RSRC2:USER_SGPR: 2
; COMPUTE_PGM_RSRC2:TRAP_HANDLER: 0
; COMPUTE_PGM_RSRC2:TGID_X_EN: 1
; COMPUTE_PGM_RSRC2:TGID_Y_EN: 0
; COMPUTE_PGM_RSRC2:TGID_Z_EN: 0
; COMPUTE_PGM_RSRC2:TIDIG_COMP_CNT: 0
; COMPUTE_PGM_RSRC3_GFX90A:ACCUM_OFFSET: 18
; COMPUTE_PGM_RSRC3_GFX90A:TG_SPLIT: 0
	.section	.text._ZN7rocprim17ROCPRIM_400000_NS6detail17trampoline_kernelINS0_14default_configENS1_20scan_config_selectorIfEEZZNS1_9scan_implILNS1_25lookback_scan_determinismE0ELb0ELb0ES3_PKfPffZZZN2at6native31launch_logcumsumexp_cuda_kernelERKNSB_10TensorBaseESF_lENKUlvE_clEvENKUlvE0_clEvEUlffE_fEEDaPvRmT3_T4_T5_mT6_P12ihipStream_tbENKUlT_T0_E_clISt17integral_constantIbLb0EESW_EEDaSR_SS_EUlSR_E_NS1_11comp_targetILNS1_3genE5ELNS1_11target_archE942ELNS1_3gpuE9ELNS1_3repE0EEENS1_30default_config_static_selectorELNS0_4arch9wavefront6targetE1EEEvT1_,"axG",@progbits,_ZN7rocprim17ROCPRIM_400000_NS6detail17trampoline_kernelINS0_14default_configENS1_20scan_config_selectorIfEEZZNS1_9scan_implILNS1_25lookback_scan_determinismE0ELb0ELb0ES3_PKfPffZZZN2at6native31launch_logcumsumexp_cuda_kernelERKNSB_10TensorBaseESF_lENKUlvE_clEvENKUlvE0_clEvEUlffE_fEEDaPvRmT3_T4_T5_mT6_P12ihipStream_tbENKUlT_T0_E_clISt17integral_constantIbLb0EESW_EEDaSR_SS_EUlSR_E_NS1_11comp_targetILNS1_3genE5ELNS1_11target_archE942ELNS1_3gpuE9ELNS1_3repE0EEENS1_30default_config_static_selectorELNS0_4arch9wavefront6targetE1EEEvT1_,comdat
	.globl	_ZN7rocprim17ROCPRIM_400000_NS6detail17trampoline_kernelINS0_14default_configENS1_20scan_config_selectorIfEEZZNS1_9scan_implILNS1_25lookback_scan_determinismE0ELb0ELb0ES3_PKfPffZZZN2at6native31launch_logcumsumexp_cuda_kernelERKNSB_10TensorBaseESF_lENKUlvE_clEvENKUlvE0_clEvEUlffE_fEEDaPvRmT3_T4_T5_mT6_P12ihipStream_tbENKUlT_T0_E_clISt17integral_constantIbLb0EESW_EEDaSR_SS_EUlSR_E_NS1_11comp_targetILNS1_3genE5ELNS1_11target_archE942ELNS1_3gpuE9ELNS1_3repE0EEENS1_30default_config_static_selectorELNS0_4arch9wavefront6targetE1EEEvT1_ ; -- Begin function _ZN7rocprim17ROCPRIM_400000_NS6detail17trampoline_kernelINS0_14default_configENS1_20scan_config_selectorIfEEZZNS1_9scan_implILNS1_25lookback_scan_determinismE0ELb0ELb0ES3_PKfPffZZZN2at6native31launch_logcumsumexp_cuda_kernelERKNSB_10TensorBaseESF_lENKUlvE_clEvENKUlvE0_clEvEUlffE_fEEDaPvRmT3_T4_T5_mT6_P12ihipStream_tbENKUlT_T0_E_clISt17integral_constantIbLb0EESW_EEDaSR_SS_EUlSR_E_NS1_11comp_targetILNS1_3genE5ELNS1_11target_archE942ELNS1_3gpuE9ELNS1_3repE0EEENS1_30default_config_static_selectorELNS0_4arch9wavefront6targetE1EEEvT1_
	.p2align	8
	.type	_ZN7rocprim17ROCPRIM_400000_NS6detail17trampoline_kernelINS0_14default_configENS1_20scan_config_selectorIfEEZZNS1_9scan_implILNS1_25lookback_scan_determinismE0ELb0ELb0ES3_PKfPffZZZN2at6native31launch_logcumsumexp_cuda_kernelERKNSB_10TensorBaseESF_lENKUlvE_clEvENKUlvE0_clEvEUlffE_fEEDaPvRmT3_T4_T5_mT6_P12ihipStream_tbENKUlT_T0_E_clISt17integral_constantIbLb0EESW_EEDaSR_SS_EUlSR_E_NS1_11comp_targetILNS1_3genE5ELNS1_11target_archE942ELNS1_3gpuE9ELNS1_3repE0EEENS1_30default_config_static_selectorELNS0_4arch9wavefront6targetE1EEEvT1_,@function
_ZN7rocprim17ROCPRIM_400000_NS6detail17trampoline_kernelINS0_14default_configENS1_20scan_config_selectorIfEEZZNS1_9scan_implILNS1_25lookback_scan_determinismE0ELb0ELb0ES3_PKfPffZZZN2at6native31launch_logcumsumexp_cuda_kernelERKNSB_10TensorBaseESF_lENKUlvE_clEvENKUlvE0_clEvEUlffE_fEEDaPvRmT3_T4_T5_mT6_P12ihipStream_tbENKUlT_T0_E_clISt17integral_constantIbLb0EESW_EEDaSR_SS_EUlSR_E_NS1_11comp_targetILNS1_3genE5ELNS1_11target_archE942ELNS1_3gpuE9ELNS1_3repE0EEENS1_30default_config_static_selectorELNS0_4arch9wavefront6targetE1EEEvT1_: ; @_ZN7rocprim17ROCPRIM_400000_NS6detail17trampoline_kernelINS0_14default_configENS1_20scan_config_selectorIfEEZZNS1_9scan_implILNS1_25lookback_scan_determinismE0ELb0ELb0ES3_PKfPffZZZN2at6native31launch_logcumsumexp_cuda_kernelERKNSB_10TensorBaseESF_lENKUlvE_clEvENKUlvE0_clEvEUlffE_fEEDaPvRmT3_T4_T5_mT6_P12ihipStream_tbENKUlT_T0_E_clISt17integral_constantIbLb0EESW_EEDaSR_SS_EUlSR_E_NS1_11comp_targetILNS1_3genE5ELNS1_11target_archE942ELNS1_3gpuE9ELNS1_3repE0EEENS1_30default_config_static_selectorELNS0_4arch9wavefront6targetE1EEEvT1_
; %bb.0:
	.section	.rodata,"a",@progbits
	.p2align	6, 0x0
	.amdhsa_kernel _ZN7rocprim17ROCPRIM_400000_NS6detail17trampoline_kernelINS0_14default_configENS1_20scan_config_selectorIfEEZZNS1_9scan_implILNS1_25lookback_scan_determinismE0ELb0ELb0ES3_PKfPffZZZN2at6native31launch_logcumsumexp_cuda_kernelERKNSB_10TensorBaseESF_lENKUlvE_clEvENKUlvE0_clEvEUlffE_fEEDaPvRmT3_T4_T5_mT6_P12ihipStream_tbENKUlT_T0_E_clISt17integral_constantIbLb0EESW_EEDaSR_SS_EUlSR_E_NS1_11comp_targetILNS1_3genE5ELNS1_11target_archE942ELNS1_3gpuE9ELNS1_3repE0EEENS1_30default_config_static_selectorELNS0_4arch9wavefront6targetE1EEEvT1_
		.amdhsa_group_segment_fixed_size 0
		.amdhsa_private_segment_fixed_size 0
		.amdhsa_kernarg_size 96
		.amdhsa_user_sgpr_count 2
		.amdhsa_user_sgpr_dispatch_ptr 0
		.amdhsa_user_sgpr_queue_ptr 0
		.amdhsa_user_sgpr_kernarg_segment_ptr 1
		.amdhsa_user_sgpr_dispatch_id 0
		.amdhsa_user_sgpr_kernarg_preload_length 0
		.amdhsa_user_sgpr_kernarg_preload_offset 0
		.amdhsa_user_sgpr_private_segment_size 0
		.amdhsa_uses_dynamic_stack 0
		.amdhsa_enable_private_segment 0
		.amdhsa_system_sgpr_workgroup_id_x 1
		.amdhsa_system_sgpr_workgroup_id_y 0
		.amdhsa_system_sgpr_workgroup_id_z 0
		.amdhsa_system_sgpr_workgroup_info 0
		.amdhsa_system_vgpr_workitem_id 0
		.amdhsa_next_free_vgpr 1
		.amdhsa_next_free_sgpr 0
		.amdhsa_accum_offset 4
		.amdhsa_reserve_vcc 0
		.amdhsa_float_round_mode_32 0
		.amdhsa_float_round_mode_16_64 0
		.amdhsa_float_denorm_mode_32 3
		.amdhsa_float_denorm_mode_16_64 3
		.amdhsa_dx10_clamp 1
		.amdhsa_ieee_mode 1
		.amdhsa_fp16_overflow 0
		.amdhsa_tg_split 0
		.amdhsa_exception_fp_ieee_invalid_op 0
		.amdhsa_exception_fp_denorm_src 0
		.amdhsa_exception_fp_ieee_div_zero 0
		.amdhsa_exception_fp_ieee_overflow 0
		.amdhsa_exception_fp_ieee_underflow 0
		.amdhsa_exception_fp_ieee_inexact 0
		.amdhsa_exception_int_div_zero 0
	.end_amdhsa_kernel
	.section	.text._ZN7rocprim17ROCPRIM_400000_NS6detail17trampoline_kernelINS0_14default_configENS1_20scan_config_selectorIfEEZZNS1_9scan_implILNS1_25lookback_scan_determinismE0ELb0ELb0ES3_PKfPffZZZN2at6native31launch_logcumsumexp_cuda_kernelERKNSB_10TensorBaseESF_lENKUlvE_clEvENKUlvE0_clEvEUlffE_fEEDaPvRmT3_T4_T5_mT6_P12ihipStream_tbENKUlT_T0_E_clISt17integral_constantIbLb0EESW_EEDaSR_SS_EUlSR_E_NS1_11comp_targetILNS1_3genE5ELNS1_11target_archE942ELNS1_3gpuE9ELNS1_3repE0EEENS1_30default_config_static_selectorELNS0_4arch9wavefront6targetE1EEEvT1_,"axG",@progbits,_ZN7rocprim17ROCPRIM_400000_NS6detail17trampoline_kernelINS0_14default_configENS1_20scan_config_selectorIfEEZZNS1_9scan_implILNS1_25lookback_scan_determinismE0ELb0ELb0ES3_PKfPffZZZN2at6native31launch_logcumsumexp_cuda_kernelERKNSB_10TensorBaseESF_lENKUlvE_clEvENKUlvE0_clEvEUlffE_fEEDaPvRmT3_T4_T5_mT6_P12ihipStream_tbENKUlT_T0_E_clISt17integral_constantIbLb0EESW_EEDaSR_SS_EUlSR_E_NS1_11comp_targetILNS1_3genE5ELNS1_11target_archE942ELNS1_3gpuE9ELNS1_3repE0EEENS1_30default_config_static_selectorELNS0_4arch9wavefront6targetE1EEEvT1_,comdat
.Lfunc_end89:
	.size	_ZN7rocprim17ROCPRIM_400000_NS6detail17trampoline_kernelINS0_14default_configENS1_20scan_config_selectorIfEEZZNS1_9scan_implILNS1_25lookback_scan_determinismE0ELb0ELb0ES3_PKfPffZZZN2at6native31launch_logcumsumexp_cuda_kernelERKNSB_10TensorBaseESF_lENKUlvE_clEvENKUlvE0_clEvEUlffE_fEEDaPvRmT3_T4_T5_mT6_P12ihipStream_tbENKUlT_T0_E_clISt17integral_constantIbLb0EESW_EEDaSR_SS_EUlSR_E_NS1_11comp_targetILNS1_3genE5ELNS1_11target_archE942ELNS1_3gpuE9ELNS1_3repE0EEENS1_30default_config_static_selectorELNS0_4arch9wavefront6targetE1EEEvT1_, .Lfunc_end89-_ZN7rocprim17ROCPRIM_400000_NS6detail17trampoline_kernelINS0_14default_configENS1_20scan_config_selectorIfEEZZNS1_9scan_implILNS1_25lookback_scan_determinismE0ELb0ELb0ES3_PKfPffZZZN2at6native31launch_logcumsumexp_cuda_kernelERKNSB_10TensorBaseESF_lENKUlvE_clEvENKUlvE0_clEvEUlffE_fEEDaPvRmT3_T4_T5_mT6_P12ihipStream_tbENKUlT_T0_E_clISt17integral_constantIbLb0EESW_EEDaSR_SS_EUlSR_E_NS1_11comp_targetILNS1_3genE5ELNS1_11target_archE942ELNS1_3gpuE9ELNS1_3repE0EEENS1_30default_config_static_selectorELNS0_4arch9wavefront6targetE1EEEvT1_
                                        ; -- End function
	.set _ZN7rocprim17ROCPRIM_400000_NS6detail17trampoline_kernelINS0_14default_configENS1_20scan_config_selectorIfEEZZNS1_9scan_implILNS1_25lookback_scan_determinismE0ELb0ELb0ES3_PKfPffZZZN2at6native31launch_logcumsumexp_cuda_kernelERKNSB_10TensorBaseESF_lENKUlvE_clEvENKUlvE0_clEvEUlffE_fEEDaPvRmT3_T4_T5_mT6_P12ihipStream_tbENKUlT_T0_E_clISt17integral_constantIbLb0EESW_EEDaSR_SS_EUlSR_E_NS1_11comp_targetILNS1_3genE5ELNS1_11target_archE942ELNS1_3gpuE9ELNS1_3repE0EEENS1_30default_config_static_selectorELNS0_4arch9wavefront6targetE1EEEvT1_.num_vgpr, 0
	.set _ZN7rocprim17ROCPRIM_400000_NS6detail17trampoline_kernelINS0_14default_configENS1_20scan_config_selectorIfEEZZNS1_9scan_implILNS1_25lookback_scan_determinismE0ELb0ELb0ES3_PKfPffZZZN2at6native31launch_logcumsumexp_cuda_kernelERKNSB_10TensorBaseESF_lENKUlvE_clEvENKUlvE0_clEvEUlffE_fEEDaPvRmT3_T4_T5_mT6_P12ihipStream_tbENKUlT_T0_E_clISt17integral_constantIbLb0EESW_EEDaSR_SS_EUlSR_E_NS1_11comp_targetILNS1_3genE5ELNS1_11target_archE942ELNS1_3gpuE9ELNS1_3repE0EEENS1_30default_config_static_selectorELNS0_4arch9wavefront6targetE1EEEvT1_.num_agpr, 0
	.set _ZN7rocprim17ROCPRIM_400000_NS6detail17trampoline_kernelINS0_14default_configENS1_20scan_config_selectorIfEEZZNS1_9scan_implILNS1_25lookback_scan_determinismE0ELb0ELb0ES3_PKfPffZZZN2at6native31launch_logcumsumexp_cuda_kernelERKNSB_10TensorBaseESF_lENKUlvE_clEvENKUlvE0_clEvEUlffE_fEEDaPvRmT3_T4_T5_mT6_P12ihipStream_tbENKUlT_T0_E_clISt17integral_constantIbLb0EESW_EEDaSR_SS_EUlSR_E_NS1_11comp_targetILNS1_3genE5ELNS1_11target_archE942ELNS1_3gpuE9ELNS1_3repE0EEENS1_30default_config_static_selectorELNS0_4arch9wavefront6targetE1EEEvT1_.numbered_sgpr, 0
	.set _ZN7rocprim17ROCPRIM_400000_NS6detail17trampoline_kernelINS0_14default_configENS1_20scan_config_selectorIfEEZZNS1_9scan_implILNS1_25lookback_scan_determinismE0ELb0ELb0ES3_PKfPffZZZN2at6native31launch_logcumsumexp_cuda_kernelERKNSB_10TensorBaseESF_lENKUlvE_clEvENKUlvE0_clEvEUlffE_fEEDaPvRmT3_T4_T5_mT6_P12ihipStream_tbENKUlT_T0_E_clISt17integral_constantIbLb0EESW_EEDaSR_SS_EUlSR_E_NS1_11comp_targetILNS1_3genE5ELNS1_11target_archE942ELNS1_3gpuE9ELNS1_3repE0EEENS1_30default_config_static_selectorELNS0_4arch9wavefront6targetE1EEEvT1_.num_named_barrier, 0
	.set _ZN7rocprim17ROCPRIM_400000_NS6detail17trampoline_kernelINS0_14default_configENS1_20scan_config_selectorIfEEZZNS1_9scan_implILNS1_25lookback_scan_determinismE0ELb0ELb0ES3_PKfPffZZZN2at6native31launch_logcumsumexp_cuda_kernelERKNSB_10TensorBaseESF_lENKUlvE_clEvENKUlvE0_clEvEUlffE_fEEDaPvRmT3_T4_T5_mT6_P12ihipStream_tbENKUlT_T0_E_clISt17integral_constantIbLb0EESW_EEDaSR_SS_EUlSR_E_NS1_11comp_targetILNS1_3genE5ELNS1_11target_archE942ELNS1_3gpuE9ELNS1_3repE0EEENS1_30default_config_static_selectorELNS0_4arch9wavefront6targetE1EEEvT1_.private_seg_size, 0
	.set _ZN7rocprim17ROCPRIM_400000_NS6detail17trampoline_kernelINS0_14default_configENS1_20scan_config_selectorIfEEZZNS1_9scan_implILNS1_25lookback_scan_determinismE0ELb0ELb0ES3_PKfPffZZZN2at6native31launch_logcumsumexp_cuda_kernelERKNSB_10TensorBaseESF_lENKUlvE_clEvENKUlvE0_clEvEUlffE_fEEDaPvRmT3_T4_T5_mT6_P12ihipStream_tbENKUlT_T0_E_clISt17integral_constantIbLb0EESW_EEDaSR_SS_EUlSR_E_NS1_11comp_targetILNS1_3genE5ELNS1_11target_archE942ELNS1_3gpuE9ELNS1_3repE0EEENS1_30default_config_static_selectorELNS0_4arch9wavefront6targetE1EEEvT1_.uses_vcc, 0
	.set _ZN7rocprim17ROCPRIM_400000_NS6detail17trampoline_kernelINS0_14default_configENS1_20scan_config_selectorIfEEZZNS1_9scan_implILNS1_25lookback_scan_determinismE0ELb0ELb0ES3_PKfPffZZZN2at6native31launch_logcumsumexp_cuda_kernelERKNSB_10TensorBaseESF_lENKUlvE_clEvENKUlvE0_clEvEUlffE_fEEDaPvRmT3_T4_T5_mT6_P12ihipStream_tbENKUlT_T0_E_clISt17integral_constantIbLb0EESW_EEDaSR_SS_EUlSR_E_NS1_11comp_targetILNS1_3genE5ELNS1_11target_archE942ELNS1_3gpuE9ELNS1_3repE0EEENS1_30default_config_static_selectorELNS0_4arch9wavefront6targetE1EEEvT1_.uses_flat_scratch, 0
	.set _ZN7rocprim17ROCPRIM_400000_NS6detail17trampoline_kernelINS0_14default_configENS1_20scan_config_selectorIfEEZZNS1_9scan_implILNS1_25lookback_scan_determinismE0ELb0ELb0ES3_PKfPffZZZN2at6native31launch_logcumsumexp_cuda_kernelERKNSB_10TensorBaseESF_lENKUlvE_clEvENKUlvE0_clEvEUlffE_fEEDaPvRmT3_T4_T5_mT6_P12ihipStream_tbENKUlT_T0_E_clISt17integral_constantIbLb0EESW_EEDaSR_SS_EUlSR_E_NS1_11comp_targetILNS1_3genE5ELNS1_11target_archE942ELNS1_3gpuE9ELNS1_3repE0EEENS1_30default_config_static_selectorELNS0_4arch9wavefront6targetE1EEEvT1_.has_dyn_sized_stack, 0
	.set _ZN7rocprim17ROCPRIM_400000_NS6detail17trampoline_kernelINS0_14default_configENS1_20scan_config_selectorIfEEZZNS1_9scan_implILNS1_25lookback_scan_determinismE0ELb0ELb0ES3_PKfPffZZZN2at6native31launch_logcumsumexp_cuda_kernelERKNSB_10TensorBaseESF_lENKUlvE_clEvENKUlvE0_clEvEUlffE_fEEDaPvRmT3_T4_T5_mT6_P12ihipStream_tbENKUlT_T0_E_clISt17integral_constantIbLb0EESW_EEDaSR_SS_EUlSR_E_NS1_11comp_targetILNS1_3genE5ELNS1_11target_archE942ELNS1_3gpuE9ELNS1_3repE0EEENS1_30default_config_static_selectorELNS0_4arch9wavefront6targetE1EEEvT1_.has_recursion, 0
	.set _ZN7rocprim17ROCPRIM_400000_NS6detail17trampoline_kernelINS0_14default_configENS1_20scan_config_selectorIfEEZZNS1_9scan_implILNS1_25lookback_scan_determinismE0ELb0ELb0ES3_PKfPffZZZN2at6native31launch_logcumsumexp_cuda_kernelERKNSB_10TensorBaseESF_lENKUlvE_clEvENKUlvE0_clEvEUlffE_fEEDaPvRmT3_T4_T5_mT6_P12ihipStream_tbENKUlT_T0_E_clISt17integral_constantIbLb0EESW_EEDaSR_SS_EUlSR_E_NS1_11comp_targetILNS1_3genE5ELNS1_11target_archE942ELNS1_3gpuE9ELNS1_3repE0EEENS1_30default_config_static_selectorELNS0_4arch9wavefront6targetE1EEEvT1_.has_indirect_call, 0
	.section	.AMDGPU.csdata,"",@progbits
; Kernel info:
; codeLenInByte = 0
; TotalNumSgprs: 6
; NumVgprs: 0
; NumAgprs: 0
; TotalNumVgprs: 0
; ScratchSize: 0
; MemoryBound: 0
; FloatMode: 240
; IeeeMode: 1
; LDSByteSize: 0 bytes/workgroup (compile time only)
; SGPRBlocks: 0
; VGPRBlocks: 0
; NumSGPRsForWavesPerEU: 6
; NumVGPRsForWavesPerEU: 1
; AccumOffset: 4
; Occupancy: 8
; WaveLimiterHint : 0
; COMPUTE_PGM_RSRC2:SCRATCH_EN: 0
; COMPUTE_PGM_RSRC2:USER_SGPR: 2
; COMPUTE_PGM_RSRC2:TRAP_HANDLER: 0
; COMPUTE_PGM_RSRC2:TGID_X_EN: 1
; COMPUTE_PGM_RSRC2:TGID_Y_EN: 0
; COMPUTE_PGM_RSRC2:TGID_Z_EN: 0
; COMPUTE_PGM_RSRC2:TIDIG_COMP_CNT: 0
; COMPUTE_PGM_RSRC3_GFX90A:ACCUM_OFFSET: 0
; COMPUTE_PGM_RSRC3_GFX90A:TG_SPLIT: 0
	.section	.text._ZN7rocprim17ROCPRIM_400000_NS6detail17trampoline_kernelINS0_14default_configENS1_20scan_config_selectorIfEEZZNS1_9scan_implILNS1_25lookback_scan_determinismE0ELb0ELb0ES3_PKfPffZZZN2at6native31launch_logcumsumexp_cuda_kernelERKNSB_10TensorBaseESF_lENKUlvE_clEvENKUlvE0_clEvEUlffE_fEEDaPvRmT3_T4_T5_mT6_P12ihipStream_tbENKUlT_T0_E_clISt17integral_constantIbLb0EESW_EEDaSR_SS_EUlSR_E_NS1_11comp_targetILNS1_3genE4ELNS1_11target_archE910ELNS1_3gpuE8ELNS1_3repE0EEENS1_30default_config_static_selectorELNS0_4arch9wavefront6targetE1EEEvT1_,"axG",@progbits,_ZN7rocprim17ROCPRIM_400000_NS6detail17trampoline_kernelINS0_14default_configENS1_20scan_config_selectorIfEEZZNS1_9scan_implILNS1_25lookback_scan_determinismE0ELb0ELb0ES3_PKfPffZZZN2at6native31launch_logcumsumexp_cuda_kernelERKNSB_10TensorBaseESF_lENKUlvE_clEvENKUlvE0_clEvEUlffE_fEEDaPvRmT3_T4_T5_mT6_P12ihipStream_tbENKUlT_T0_E_clISt17integral_constantIbLb0EESW_EEDaSR_SS_EUlSR_E_NS1_11comp_targetILNS1_3genE4ELNS1_11target_archE910ELNS1_3gpuE8ELNS1_3repE0EEENS1_30default_config_static_selectorELNS0_4arch9wavefront6targetE1EEEvT1_,comdat
	.globl	_ZN7rocprim17ROCPRIM_400000_NS6detail17trampoline_kernelINS0_14default_configENS1_20scan_config_selectorIfEEZZNS1_9scan_implILNS1_25lookback_scan_determinismE0ELb0ELb0ES3_PKfPffZZZN2at6native31launch_logcumsumexp_cuda_kernelERKNSB_10TensorBaseESF_lENKUlvE_clEvENKUlvE0_clEvEUlffE_fEEDaPvRmT3_T4_T5_mT6_P12ihipStream_tbENKUlT_T0_E_clISt17integral_constantIbLb0EESW_EEDaSR_SS_EUlSR_E_NS1_11comp_targetILNS1_3genE4ELNS1_11target_archE910ELNS1_3gpuE8ELNS1_3repE0EEENS1_30default_config_static_selectorELNS0_4arch9wavefront6targetE1EEEvT1_ ; -- Begin function _ZN7rocprim17ROCPRIM_400000_NS6detail17trampoline_kernelINS0_14default_configENS1_20scan_config_selectorIfEEZZNS1_9scan_implILNS1_25lookback_scan_determinismE0ELb0ELb0ES3_PKfPffZZZN2at6native31launch_logcumsumexp_cuda_kernelERKNSB_10TensorBaseESF_lENKUlvE_clEvENKUlvE0_clEvEUlffE_fEEDaPvRmT3_T4_T5_mT6_P12ihipStream_tbENKUlT_T0_E_clISt17integral_constantIbLb0EESW_EEDaSR_SS_EUlSR_E_NS1_11comp_targetILNS1_3genE4ELNS1_11target_archE910ELNS1_3gpuE8ELNS1_3repE0EEENS1_30default_config_static_selectorELNS0_4arch9wavefront6targetE1EEEvT1_
	.p2align	8
	.type	_ZN7rocprim17ROCPRIM_400000_NS6detail17trampoline_kernelINS0_14default_configENS1_20scan_config_selectorIfEEZZNS1_9scan_implILNS1_25lookback_scan_determinismE0ELb0ELb0ES3_PKfPffZZZN2at6native31launch_logcumsumexp_cuda_kernelERKNSB_10TensorBaseESF_lENKUlvE_clEvENKUlvE0_clEvEUlffE_fEEDaPvRmT3_T4_T5_mT6_P12ihipStream_tbENKUlT_T0_E_clISt17integral_constantIbLb0EESW_EEDaSR_SS_EUlSR_E_NS1_11comp_targetILNS1_3genE4ELNS1_11target_archE910ELNS1_3gpuE8ELNS1_3repE0EEENS1_30default_config_static_selectorELNS0_4arch9wavefront6targetE1EEEvT1_,@function
_ZN7rocprim17ROCPRIM_400000_NS6detail17trampoline_kernelINS0_14default_configENS1_20scan_config_selectorIfEEZZNS1_9scan_implILNS1_25lookback_scan_determinismE0ELb0ELb0ES3_PKfPffZZZN2at6native31launch_logcumsumexp_cuda_kernelERKNSB_10TensorBaseESF_lENKUlvE_clEvENKUlvE0_clEvEUlffE_fEEDaPvRmT3_T4_T5_mT6_P12ihipStream_tbENKUlT_T0_E_clISt17integral_constantIbLb0EESW_EEDaSR_SS_EUlSR_E_NS1_11comp_targetILNS1_3genE4ELNS1_11target_archE910ELNS1_3gpuE8ELNS1_3repE0EEENS1_30default_config_static_selectorELNS0_4arch9wavefront6targetE1EEEvT1_: ; @_ZN7rocprim17ROCPRIM_400000_NS6detail17trampoline_kernelINS0_14default_configENS1_20scan_config_selectorIfEEZZNS1_9scan_implILNS1_25lookback_scan_determinismE0ELb0ELb0ES3_PKfPffZZZN2at6native31launch_logcumsumexp_cuda_kernelERKNSB_10TensorBaseESF_lENKUlvE_clEvENKUlvE0_clEvEUlffE_fEEDaPvRmT3_T4_T5_mT6_P12ihipStream_tbENKUlT_T0_E_clISt17integral_constantIbLb0EESW_EEDaSR_SS_EUlSR_E_NS1_11comp_targetILNS1_3genE4ELNS1_11target_archE910ELNS1_3gpuE8ELNS1_3repE0EEENS1_30default_config_static_selectorELNS0_4arch9wavefront6targetE1EEEvT1_
; %bb.0:
	.section	.rodata,"a",@progbits
	.p2align	6, 0x0
	.amdhsa_kernel _ZN7rocprim17ROCPRIM_400000_NS6detail17trampoline_kernelINS0_14default_configENS1_20scan_config_selectorIfEEZZNS1_9scan_implILNS1_25lookback_scan_determinismE0ELb0ELb0ES3_PKfPffZZZN2at6native31launch_logcumsumexp_cuda_kernelERKNSB_10TensorBaseESF_lENKUlvE_clEvENKUlvE0_clEvEUlffE_fEEDaPvRmT3_T4_T5_mT6_P12ihipStream_tbENKUlT_T0_E_clISt17integral_constantIbLb0EESW_EEDaSR_SS_EUlSR_E_NS1_11comp_targetILNS1_3genE4ELNS1_11target_archE910ELNS1_3gpuE8ELNS1_3repE0EEENS1_30default_config_static_selectorELNS0_4arch9wavefront6targetE1EEEvT1_
		.amdhsa_group_segment_fixed_size 0
		.amdhsa_private_segment_fixed_size 0
		.amdhsa_kernarg_size 96
		.amdhsa_user_sgpr_count 2
		.amdhsa_user_sgpr_dispatch_ptr 0
		.amdhsa_user_sgpr_queue_ptr 0
		.amdhsa_user_sgpr_kernarg_segment_ptr 1
		.amdhsa_user_sgpr_dispatch_id 0
		.amdhsa_user_sgpr_kernarg_preload_length 0
		.amdhsa_user_sgpr_kernarg_preload_offset 0
		.amdhsa_user_sgpr_private_segment_size 0
		.amdhsa_uses_dynamic_stack 0
		.amdhsa_enable_private_segment 0
		.amdhsa_system_sgpr_workgroup_id_x 1
		.amdhsa_system_sgpr_workgroup_id_y 0
		.amdhsa_system_sgpr_workgroup_id_z 0
		.amdhsa_system_sgpr_workgroup_info 0
		.amdhsa_system_vgpr_workitem_id 0
		.amdhsa_next_free_vgpr 1
		.amdhsa_next_free_sgpr 0
		.amdhsa_accum_offset 4
		.amdhsa_reserve_vcc 0
		.amdhsa_float_round_mode_32 0
		.amdhsa_float_round_mode_16_64 0
		.amdhsa_float_denorm_mode_32 3
		.amdhsa_float_denorm_mode_16_64 3
		.amdhsa_dx10_clamp 1
		.amdhsa_ieee_mode 1
		.amdhsa_fp16_overflow 0
		.amdhsa_tg_split 0
		.amdhsa_exception_fp_ieee_invalid_op 0
		.amdhsa_exception_fp_denorm_src 0
		.amdhsa_exception_fp_ieee_div_zero 0
		.amdhsa_exception_fp_ieee_overflow 0
		.amdhsa_exception_fp_ieee_underflow 0
		.amdhsa_exception_fp_ieee_inexact 0
		.amdhsa_exception_int_div_zero 0
	.end_amdhsa_kernel
	.section	.text._ZN7rocprim17ROCPRIM_400000_NS6detail17trampoline_kernelINS0_14default_configENS1_20scan_config_selectorIfEEZZNS1_9scan_implILNS1_25lookback_scan_determinismE0ELb0ELb0ES3_PKfPffZZZN2at6native31launch_logcumsumexp_cuda_kernelERKNSB_10TensorBaseESF_lENKUlvE_clEvENKUlvE0_clEvEUlffE_fEEDaPvRmT3_T4_T5_mT6_P12ihipStream_tbENKUlT_T0_E_clISt17integral_constantIbLb0EESW_EEDaSR_SS_EUlSR_E_NS1_11comp_targetILNS1_3genE4ELNS1_11target_archE910ELNS1_3gpuE8ELNS1_3repE0EEENS1_30default_config_static_selectorELNS0_4arch9wavefront6targetE1EEEvT1_,"axG",@progbits,_ZN7rocprim17ROCPRIM_400000_NS6detail17trampoline_kernelINS0_14default_configENS1_20scan_config_selectorIfEEZZNS1_9scan_implILNS1_25lookback_scan_determinismE0ELb0ELb0ES3_PKfPffZZZN2at6native31launch_logcumsumexp_cuda_kernelERKNSB_10TensorBaseESF_lENKUlvE_clEvENKUlvE0_clEvEUlffE_fEEDaPvRmT3_T4_T5_mT6_P12ihipStream_tbENKUlT_T0_E_clISt17integral_constantIbLb0EESW_EEDaSR_SS_EUlSR_E_NS1_11comp_targetILNS1_3genE4ELNS1_11target_archE910ELNS1_3gpuE8ELNS1_3repE0EEENS1_30default_config_static_selectorELNS0_4arch9wavefront6targetE1EEEvT1_,comdat
.Lfunc_end90:
	.size	_ZN7rocprim17ROCPRIM_400000_NS6detail17trampoline_kernelINS0_14default_configENS1_20scan_config_selectorIfEEZZNS1_9scan_implILNS1_25lookback_scan_determinismE0ELb0ELb0ES3_PKfPffZZZN2at6native31launch_logcumsumexp_cuda_kernelERKNSB_10TensorBaseESF_lENKUlvE_clEvENKUlvE0_clEvEUlffE_fEEDaPvRmT3_T4_T5_mT6_P12ihipStream_tbENKUlT_T0_E_clISt17integral_constantIbLb0EESW_EEDaSR_SS_EUlSR_E_NS1_11comp_targetILNS1_3genE4ELNS1_11target_archE910ELNS1_3gpuE8ELNS1_3repE0EEENS1_30default_config_static_selectorELNS0_4arch9wavefront6targetE1EEEvT1_, .Lfunc_end90-_ZN7rocprim17ROCPRIM_400000_NS6detail17trampoline_kernelINS0_14default_configENS1_20scan_config_selectorIfEEZZNS1_9scan_implILNS1_25lookback_scan_determinismE0ELb0ELb0ES3_PKfPffZZZN2at6native31launch_logcumsumexp_cuda_kernelERKNSB_10TensorBaseESF_lENKUlvE_clEvENKUlvE0_clEvEUlffE_fEEDaPvRmT3_T4_T5_mT6_P12ihipStream_tbENKUlT_T0_E_clISt17integral_constantIbLb0EESW_EEDaSR_SS_EUlSR_E_NS1_11comp_targetILNS1_3genE4ELNS1_11target_archE910ELNS1_3gpuE8ELNS1_3repE0EEENS1_30default_config_static_selectorELNS0_4arch9wavefront6targetE1EEEvT1_
                                        ; -- End function
	.set _ZN7rocprim17ROCPRIM_400000_NS6detail17trampoline_kernelINS0_14default_configENS1_20scan_config_selectorIfEEZZNS1_9scan_implILNS1_25lookback_scan_determinismE0ELb0ELb0ES3_PKfPffZZZN2at6native31launch_logcumsumexp_cuda_kernelERKNSB_10TensorBaseESF_lENKUlvE_clEvENKUlvE0_clEvEUlffE_fEEDaPvRmT3_T4_T5_mT6_P12ihipStream_tbENKUlT_T0_E_clISt17integral_constantIbLb0EESW_EEDaSR_SS_EUlSR_E_NS1_11comp_targetILNS1_3genE4ELNS1_11target_archE910ELNS1_3gpuE8ELNS1_3repE0EEENS1_30default_config_static_selectorELNS0_4arch9wavefront6targetE1EEEvT1_.num_vgpr, 0
	.set _ZN7rocprim17ROCPRIM_400000_NS6detail17trampoline_kernelINS0_14default_configENS1_20scan_config_selectorIfEEZZNS1_9scan_implILNS1_25lookback_scan_determinismE0ELb0ELb0ES3_PKfPffZZZN2at6native31launch_logcumsumexp_cuda_kernelERKNSB_10TensorBaseESF_lENKUlvE_clEvENKUlvE0_clEvEUlffE_fEEDaPvRmT3_T4_T5_mT6_P12ihipStream_tbENKUlT_T0_E_clISt17integral_constantIbLb0EESW_EEDaSR_SS_EUlSR_E_NS1_11comp_targetILNS1_3genE4ELNS1_11target_archE910ELNS1_3gpuE8ELNS1_3repE0EEENS1_30default_config_static_selectorELNS0_4arch9wavefront6targetE1EEEvT1_.num_agpr, 0
	.set _ZN7rocprim17ROCPRIM_400000_NS6detail17trampoline_kernelINS0_14default_configENS1_20scan_config_selectorIfEEZZNS1_9scan_implILNS1_25lookback_scan_determinismE0ELb0ELb0ES3_PKfPffZZZN2at6native31launch_logcumsumexp_cuda_kernelERKNSB_10TensorBaseESF_lENKUlvE_clEvENKUlvE0_clEvEUlffE_fEEDaPvRmT3_T4_T5_mT6_P12ihipStream_tbENKUlT_T0_E_clISt17integral_constantIbLb0EESW_EEDaSR_SS_EUlSR_E_NS1_11comp_targetILNS1_3genE4ELNS1_11target_archE910ELNS1_3gpuE8ELNS1_3repE0EEENS1_30default_config_static_selectorELNS0_4arch9wavefront6targetE1EEEvT1_.numbered_sgpr, 0
	.set _ZN7rocprim17ROCPRIM_400000_NS6detail17trampoline_kernelINS0_14default_configENS1_20scan_config_selectorIfEEZZNS1_9scan_implILNS1_25lookback_scan_determinismE0ELb0ELb0ES3_PKfPffZZZN2at6native31launch_logcumsumexp_cuda_kernelERKNSB_10TensorBaseESF_lENKUlvE_clEvENKUlvE0_clEvEUlffE_fEEDaPvRmT3_T4_T5_mT6_P12ihipStream_tbENKUlT_T0_E_clISt17integral_constantIbLb0EESW_EEDaSR_SS_EUlSR_E_NS1_11comp_targetILNS1_3genE4ELNS1_11target_archE910ELNS1_3gpuE8ELNS1_3repE0EEENS1_30default_config_static_selectorELNS0_4arch9wavefront6targetE1EEEvT1_.num_named_barrier, 0
	.set _ZN7rocprim17ROCPRIM_400000_NS6detail17trampoline_kernelINS0_14default_configENS1_20scan_config_selectorIfEEZZNS1_9scan_implILNS1_25lookback_scan_determinismE0ELb0ELb0ES3_PKfPffZZZN2at6native31launch_logcumsumexp_cuda_kernelERKNSB_10TensorBaseESF_lENKUlvE_clEvENKUlvE0_clEvEUlffE_fEEDaPvRmT3_T4_T5_mT6_P12ihipStream_tbENKUlT_T0_E_clISt17integral_constantIbLb0EESW_EEDaSR_SS_EUlSR_E_NS1_11comp_targetILNS1_3genE4ELNS1_11target_archE910ELNS1_3gpuE8ELNS1_3repE0EEENS1_30default_config_static_selectorELNS0_4arch9wavefront6targetE1EEEvT1_.private_seg_size, 0
	.set _ZN7rocprim17ROCPRIM_400000_NS6detail17trampoline_kernelINS0_14default_configENS1_20scan_config_selectorIfEEZZNS1_9scan_implILNS1_25lookback_scan_determinismE0ELb0ELb0ES3_PKfPffZZZN2at6native31launch_logcumsumexp_cuda_kernelERKNSB_10TensorBaseESF_lENKUlvE_clEvENKUlvE0_clEvEUlffE_fEEDaPvRmT3_T4_T5_mT6_P12ihipStream_tbENKUlT_T0_E_clISt17integral_constantIbLb0EESW_EEDaSR_SS_EUlSR_E_NS1_11comp_targetILNS1_3genE4ELNS1_11target_archE910ELNS1_3gpuE8ELNS1_3repE0EEENS1_30default_config_static_selectorELNS0_4arch9wavefront6targetE1EEEvT1_.uses_vcc, 0
	.set _ZN7rocprim17ROCPRIM_400000_NS6detail17trampoline_kernelINS0_14default_configENS1_20scan_config_selectorIfEEZZNS1_9scan_implILNS1_25lookback_scan_determinismE0ELb0ELb0ES3_PKfPffZZZN2at6native31launch_logcumsumexp_cuda_kernelERKNSB_10TensorBaseESF_lENKUlvE_clEvENKUlvE0_clEvEUlffE_fEEDaPvRmT3_T4_T5_mT6_P12ihipStream_tbENKUlT_T0_E_clISt17integral_constantIbLb0EESW_EEDaSR_SS_EUlSR_E_NS1_11comp_targetILNS1_3genE4ELNS1_11target_archE910ELNS1_3gpuE8ELNS1_3repE0EEENS1_30default_config_static_selectorELNS0_4arch9wavefront6targetE1EEEvT1_.uses_flat_scratch, 0
	.set _ZN7rocprim17ROCPRIM_400000_NS6detail17trampoline_kernelINS0_14default_configENS1_20scan_config_selectorIfEEZZNS1_9scan_implILNS1_25lookback_scan_determinismE0ELb0ELb0ES3_PKfPffZZZN2at6native31launch_logcumsumexp_cuda_kernelERKNSB_10TensorBaseESF_lENKUlvE_clEvENKUlvE0_clEvEUlffE_fEEDaPvRmT3_T4_T5_mT6_P12ihipStream_tbENKUlT_T0_E_clISt17integral_constantIbLb0EESW_EEDaSR_SS_EUlSR_E_NS1_11comp_targetILNS1_3genE4ELNS1_11target_archE910ELNS1_3gpuE8ELNS1_3repE0EEENS1_30default_config_static_selectorELNS0_4arch9wavefront6targetE1EEEvT1_.has_dyn_sized_stack, 0
	.set _ZN7rocprim17ROCPRIM_400000_NS6detail17trampoline_kernelINS0_14default_configENS1_20scan_config_selectorIfEEZZNS1_9scan_implILNS1_25lookback_scan_determinismE0ELb0ELb0ES3_PKfPffZZZN2at6native31launch_logcumsumexp_cuda_kernelERKNSB_10TensorBaseESF_lENKUlvE_clEvENKUlvE0_clEvEUlffE_fEEDaPvRmT3_T4_T5_mT6_P12ihipStream_tbENKUlT_T0_E_clISt17integral_constantIbLb0EESW_EEDaSR_SS_EUlSR_E_NS1_11comp_targetILNS1_3genE4ELNS1_11target_archE910ELNS1_3gpuE8ELNS1_3repE0EEENS1_30default_config_static_selectorELNS0_4arch9wavefront6targetE1EEEvT1_.has_recursion, 0
	.set _ZN7rocprim17ROCPRIM_400000_NS6detail17trampoline_kernelINS0_14default_configENS1_20scan_config_selectorIfEEZZNS1_9scan_implILNS1_25lookback_scan_determinismE0ELb0ELb0ES3_PKfPffZZZN2at6native31launch_logcumsumexp_cuda_kernelERKNSB_10TensorBaseESF_lENKUlvE_clEvENKUlvE0_clEvEUlffE_fEEDaPvRmT3_T4_T5_mT6_P12ihipStream_tbENKUlT_T0_E_clISt17integral_constantIbLb0EESW_EEDaSR_SS_EUlSR_E_NS1_11comp_targetILNS1_3genE4ELNS1_11target_archE910ELNS1_3gpuE8ELNS1_3repE0EEENS1_30default_config_static_selectorELNS0_4arch9wavefront6targetE1EEEvT1_.has_indirect_call, 0
	.section	.AMDGPU.csdata,"",@progbits
; Kernel info:
; codeLenInByte = 0
; TotalNumSgprs: 6
; NumVgprs: 0
; NumAgprs: 0
; TotalNumVgprs: 0
; ScratchSize: 0
; MemoryBound: 0
; FloatMode: 240
; IeeeMode: 1
; LDSByteSize: 0 bytes/workgroup (compile time only)
; SGPRBlocks: 0
; VGPRBlocks: 0
; NumSGPRsForWavesPerEU: 6
; NumVGPRsForWavesPerEU: 1
; AccumOffset: 4
; Occupancy: 8
; WaveLimiterHint : 0
; COMPUTE_PGM_RSRC2:SCRATCH_EN: 0
; COMPUTE_PGM_RSRC2:USER_SGPR: 2
; COMPUTE_PGM_RSRC2:TRAP_HANDLER: 0
; COMPUTE_PGM_RSRC2:TGID_X_EN: 1
; COMPUTE_PGM_RSRC2:TGID_Y_EN: 0
; COMPUTE_PGM_RSRC2:TGID_Z_EN: 0
; COMPUTE_PGM_RSRC2:TIDIG_COMP_CNT: 0
; COMPUTE_PGM_RSRC3_GFX90A:ACCUM_OFFSET: 0
; COMPUTE_PGM_RSRC3_GFX90A:TG_SPLIT: 0
	.section	.text._ZN7rocprim17ROCPRIM_400000_NS6detail17trampoline_kernelINS0_14default_configENS1_20scan_config_selectorIfEEZZNS1_9scan_implILNS1_25lookback_scan_determinismE0ELb0ELb0ES3_PKfPffZZZN2at6native31launch_logcumsumexp_cuda_kernelERKNSB_10TensorBaseESF_lENKUlvE_clEvENKUlvE0_clEvEUlffE_fEEDaPvRmT3_T4_T5_mT6_P12ihipStream_tbENKUlT_T0_E_clISt17integral_constantIbLb0EESW_EEDaSR_SS_EUlSR_E_NS1_11comp_targetILNS1_3genE3ELNS1_11target_archE908ELNS1_3gpuE7ELNS1_3repE0EEENS1_30default_config_static_selectorELNS0_4arch9wavefront6targetE1EEEvT1_,"axG",@progbits,_ZN7rocprim17ROCPRIM_400000_NS6detail17trampoline_kernelINS0_14default_configENS1_20scan_config_selectorIfEEZZNS1_9scan_implILNS1_25lookback_scan_determinismE0ELb0ELb0ES3_PKfPffZZZN2at6native31launch_logcumsumexp_cuda_kernelERKNSB_10TensorBaseESF_lENKUlvE_clEvENKUlvE0_clEvEUlffE_fEEDaPvRmT3_T4_T5_mT6_P12ihipStream_tbENKUlT_T0_E_clISt17integral_constantIbLb0EESW_EEDaSR_SS_EUlSR_E_NS1_11comp_targetILNS1_3genE3ELNS1_11target_archE908ELNS1_3gpuE7ELNS1_3repE0EEENS1_30default_config_static_selectorELNS0_4arch9wavefront6targetE1EEEvT1_,comdat
	.globl	_ZN7rocprim17ROCPRIM_400000_NS6detail17trampoline_kernelINS0_14default_configENS1_20scan_config_selectorIfEEZZNS1_9scan_implILNS1_25lookback_scan_determinismE0ELb0ELb0ES3_PKfPffZZZN2at6native31launch_logcumsumexp_cuda_kernelERKNSB_10TensorBaseESF_lENKUlvE_clEvENKUlvE0_clEvEUlffE_fEEDaPvRmT3_T4_T5_mT6_P12ihipStream_tbENKUlT_T0_E_clISt17integral_constantIbLb0EESW_EEDaSR_SS_EUlSR_E_NS1_11comp_targetILNS1_3genE3ELNS1_11target_archE908ELNS1_3gpuE7ELNS1_3repE0EEENS1_30default_config_static_selectorELNS0_4arch9wavefront6targetE1EEEvT1_ ; -- Begin function _ZN7rocprim17ROCPRIM_400000_NS6detail17trampoline_kernelINS0_14default_configENS1_20scan_config_selectorIfEEZZNS1_9scan_implILNS1_25lookback_scan_determinismE0ELb0ELb0ES3_PKfPffZZZN2at6native31launch_logcumsumexp_cuda_kernelERKNSB_10TensorBaseESF_lENKUlvE_clEvENKUlvE0_clEvEUlffE_fEEDaPvRmT3_T4_T5_mT6_P12ihipStream_tbENKUlT_T0_E_clISt17integral_constantIbLb0EESW_EEDaSR_SS_EUlSR_E_NS1_11comp_targetILNS1_3genE3ELNS1_11target_archE908ELNS1_3gpuE7ELNS1_3repE0EEENS1_30default_config_static_selectorELNS0_4arch9wavefront6targetE1EEEvT1_
	.p2align	8
	.type	_ZN7rocprim17ROCPRIM_400000_NS6detail17trampoline_kernelINS0_14default_configENS1_20scan_config_selectorIfEEZZNS1_9scan_implILNS1_25lookback_scan_determinismE0ELb0ELb0ES3_PKfPffZZZN2at6native31launch_logcumsumexp_cuda_kernelERKNSB_10TensorBaseESF_lENKUlvE_clEvENKUlvE0_clEvEUlffE_fEEDaPvRmT3_T4_T5_mT6_P12ihipStream_tbENKUlT_T0_E_clISt17integral_constantIbLb0EESW_EEDaSR_SS_EUlSR_E_NS1_11comp_targetILNS1_3genE3ELNS1_11target_archE908ELNS1_3gpuE7ELNS1_3repE0EEENS1_30default_config_static_selectorELNS0_4arch9wavefront6targetE1EEEvT1_,@function
_ZN7rocprim17ROCPRIM_400000_NS6detail17trampoline_kernelINS0_14default_configENS1_20scan_config_selectorIfEEZZNS1_9scan_implILNS1_25lookback_scan_determinismE0ELb0ELb0ES3_PKfPffZZZN2at6native31launch_logcumsumexp_cuda_kernelERKNSB_10TensorBaseESF_lENKUlvE_clEvENKUlvE0_clEvEUlffE_fEEDaPvRmT3_T4_T5_mT6_P12ihipStream_tbENKUlT_T0_E_clISt17integral_constantIbLb0EESW_EEDaSR_SS_EUlSR_E_NS1_11comp_targetILNS1_3genE3ELNS1_11target_archE908ELNS1_3gpuE7ELNS1_3repE0EEENS1_30default_config_static_selectorELNS0_4arch9wavefront6targetE1EEEvT1_: ; @_ZN7rocprim17ROCPRIM_400000_NS6detail17trampoline_kernelINS0_14default_configENS1_20scan_config_selectorIfEEZZNS1_9scan_implILNS1_25lookback_scan_determinismE0ELb0ELb0ES3_PKfPffZZZN2at6native31launch_logcumsumexp_cuda_kernelERKNSB_10TensorBaseESF_lENKUlvE_clEvENKUlvE0_clEvEUlffE_fEEDaPvRmT3_T4_T5_mT6_P12ihipStream_tbENKUlT_T0_E_clISt17integral_constantIbLb0EESW_EEDaSR_SS_EUlSR_E_NS1_11comp_targetILNS1_3genE3ELNS1_11target_archE908ELNS1_3gpuE7ELNS1_3repE0EEENS1_30default_config_static_selectorELNS0_4arch9wavefront6targetE1EEEvT1_
; %bb.0:
	.section	.rodata,"a",@progbits
	.p2align	6, 0x0
	.amdhsa_kernel _ZN7rocprim17ROCPRIM_400000_NS6detail17trampoline_kernelINS0_14default_configENS1_20scan_config_selectorIfEEZZNS1_9scan_implILNS1_25lookback_scan_determinismE0ELb0ELb0ES3_PKfPffZZZN2at6native31launch_logcumsumexp_cuda_kernelERKNSB_10TensorBaseESF_lENKUlvE_clEvENKUlvE0_clEvEUlffE_fEEDaPvRmT3_T4_T5_mT6_P12ihipStream_tbENKUlT_T0_E_clISt17integral_constantIbLb0EESW_EEDaSR_SS_EUlSR_E_NS1_11comp_targetILNS1_3genE3ELNS1_11target_archE908ELNS1_3gpuE7ELNS1_3repE0EEENS1_30default_config_static_selectorELNS0_4arch9wavefront6targetE1EEEvT1_
		.amdhsa_group_segment_fixed_size 0
		.amdhsa_private_segment_fixed_size 0
		.amdhsa_kernarg_size 96
		.amdhsa_user_sgpr_count 2
		.amdhsa_user_sgpr_dispatch_ptr 0
		.amdhsa_user_sgpr_queue_ptr 0
		.amdhsa_user_sgpr_kernarg_segment_ptr 1
		.amdhsa_user_sgpr_dispatch_id 0
		.amdhsa_user_sgpr_kernarg_preload_length 0
		.amdhsa_user_sgpr_kernarg_preload_offset 0
		.amdhsa_user_sgpr_private_segment_size 0
		.amdhsa_uses_dynamic_stack 0
		.amdhsa_enable_private_segment 0
		.amdhsa_system_sgpr_workgroup_id_x 1
		.amdhsa_system_sgpr_workgroup_id_y 0
		.amdhsa_system_sgpr_workgroup_id_z 0
		.amdhsa_system_sgpr_workgroup_info 0
		.amdhsa_system_vgpr_workitem_id 0
		.amdhsa_next_free_vgpr 1
		.amdhsa_next_free_sgpr 0
		.amdhsa_accum_offset 4
		.amdhsa_reserve_vcc 0
		.amdhsa_float_round_mode_32 0
		.amdhsa_float_round_mode_16_64 0
		.amdhsa_float_denorm_mode_32 3
		.amdhsa_float_denorm_mode_16_64 3
		.amdhsa_dx10_clamp 1
		.amdhsa_ieee_mode 1
		.amdhsa_fp16_overflow 0
		.amdhsa_tg_split 0
		.amdhsa_exception_fp_ieee_invalid_op 0
		.amdhsa_exception_fp_denorm_src 0
		.amdhsa_exception_fp_ieee_div_zero 0
		.amdhsa_exception_fp_ieee_overflow 0
		.amdhsa_exception_fp_ieee_underflow 0
		.amdhsa_exception_fp_ieee_inexact 0
		.amdhsa_exception_int_div_zero 0
	.end_amdhsa_kernel
	.section	.text._ZN7rocprim17ROCPRIM_400000_NS6detail17trampoline_kernelINS0_14default_configENS1_20scan_config_selectorIfEEZZNS1_9scan_implILNS1_25lookback_scan_determinismE0ELb0ELb0ES3_PKfPffZZZN2at6native31launch_logcumsumexp_cuda_kernelERKNSB_10TensorBaseESF_lENKUlvE_clEvENKUlvE0_clEvEUlffE_fEEDaPvRmT3_T4_T5_mT6_P12ihipStream_tbENKUlT_T0_E_clISt17integral_constantIbLb0EESW_EEDaSR_SS_EUlSR_E_NS1_11comp_targetILNS1_3genE3ELNS1_11target_archE908ELNS1_3gpuE7ELNS1_3repE0EEENS1_30default_config_static_selectorELNS0_4arch9wavefront6targetE1EEEvT1_,"axG",@progbits,_ZN7rocprim17ROCPRIM_400000_NS6detail17trampoline_kernelINS0_14default_configENS1_20scan_config_selectorIfEEZZNS1_9scan_implILNS1_25lookback_scan_determinismE0ELb0ELb0ES3_PKfPffZZZN2at6native31launch_logcumsumexp_cuda_kernelERKNSB_10TensorBaseESF_lENKUlvE_clEvENKUlvE0_clEvEUlffE_fEEDaPvRmT3_T4_T5_mT6_P12ihipStream_tbENKUlT_T0_E_clISt17integral_constantIbLb0EESW_EEDaSR_SS_EUlSR_E_NS1_11comp_targetILNS1_3genE3ELNS1_11target_archE908ELNS1_3gpuE7ELNS1_3repE0EEENS1_30default_config_static_selectorELNS0_4arch9wavefront6targetE1EEEvT1_,comdat
.Lfunc_end91:
	.size	_ZN7rocprim17ROCPRIM_400000_NS6detail17trampoline_kernelINS0_14default_configENS1_20scan_config_selectorIfEEZZNS1_9scan_implILNS1_25lookback_scan_determinismE0ELb0ELb0ES3_PKfPffZZZN2at6native31launch_logcumsumexp_cuda_kernelERKNSB_10TensorBaseESF_lENKUlvE_clEvENKUlvE0_clEvEUlffE_fEEDaPvRmT3_T4_T5_mT6_P12ihipStream_tbENKUlT_T0_E_clISt17integral_constantIbLb0EESW_EEDaSR_SS_EUlSR_E_NS1_11comp_targetILNS1_3genE3ELNS1_11target_archE908ELNS1_3gpuE7ELNS1_3repE0EEENS1_30default_config_static_selectorELNS0_4arch9wavefront6targetE1EEEvT1_, .Lfunc_end91-_ZN7rocprim17ROCPRIM_400000_NS6detail17trampoline_kernelINS0_14default_configENS1_20scan_config_selectorIfEEZZNS1_9scan_implILNS1_25lookback_scan_determinismE0ELb0ELb0ES3_PKfPffZZZN2at6native31launch_logcumsumexp_cuda_kernelERKNSB_10TensorBaseESF_lENKUlvE_clEvENKUlvE0_clEvEUlffE_fEEDaPvRmT3_T4_T5_mT6_P12ihipStream_tbENKUlT_T0_E_clISt17integral_constantIbLb0EESW_EEDaSR_SS_EUlSR_E_NS1_11comp_targetILNS1_3genE3ELNS1_11target_archE908ELNS1_3gpuE7ELNS1_3repE0EEENS1_30default_config_static_selectorELNS0_4arch9wavefront6targetE1EEEvT1_
                                        ; -- End function
	.set _ZN7rocprim17ROCPRIM_400000_NS6detail17trampoline_kernelINS0_14default_configENS1_20scan_config_selectorIfEEZZNS1_9scan_implILNS1_25lookback_scan_determinismE0ELb0ELb0ES3_PKfPffZZZN2at6native31launch_logcumsumexp_cuda_kernelERKNSB_10TensorBaseESF_lENKUlvE_clEvENKUlvE0_clEvEUlffE_fEEDaPvRmT3_T4_T5_mT6_P12ihipStream_tbENKUlT_T0_E_clISt17integral_constantIbLb0EESW_EEDaSR_SS_EUlSR_E_NS1_11comp_targetILNS1_3genE3ELNS1_11target_archE908ELNS1_3gpuE7ELNS1_3repE0EEENS1_30default_config_static_selectorELNS0_4arch9wavefront6targetE1EEEvT1_.num_vgpr, 0
	.set _ZN7rocprim17ROCPRIM_400000_NS6detail17trampoline_kernelINS0_14default_configENS1_20scan_config_selectorIfEEZZNS1_9scan_implILNS1_25lookback_scan_determinismE0ELb0ELb0ES3_PKfPffZZZN2at6native31launch_logcumsumexp_cuda_kernelERKNSB_10TensorBaseESF_lENKUlvE_clEvENKUlvE0_clEvEUlffE_fEEDaPvRmT3_T4_T5_mT6_P12ihipStream_tbENKUlT_T0_E_clISt17integral_constantIbLb0EESW_EEDaSR_SS_EUlSR_E_NS1_11comp_targetILNS1_3genE3ELNS1_11target_archE908ELNS1_3gpuE7ELNS1_3repE0EEENS1_30default_config_static_selectorELNS0_4arch9wavefront6targetE1EEEvT1_.num_agpr, 0
	.set _ZN7rocprim17ROCPRIM_400000_NS6detail17trampoline_kernelINS0_14default_configENS1_20scan_config_selectorIfEEZZNS1_9scan_implILNS1_25lookback_scan_determinismE0ELb0ELb0ES3_PKfPffZZZN2at6native31launch_logcumsumexp_cuda_kernelERKNSB_10TensorBaseESF_lENKUlvE_clEvENKUlvE0_clEvEUlffE_fEEDaPvRmT3_T4_T5_mT6_P12ihipStream_tbENKUlT_T0_E_clISt17integral_constantIbLb0EESW_EEDaSR_SS_EUlSR_E_NS1_11comp_targetILNS1_3genE3ELNS1_11target_archE908ELNS1_3gpuE7ELNS1_3repE0EEENS1_30default_config_static_selectorELNS0_4arch9wavefront6targetE1EEEvT1_.numbered_sgpr, 0
	.set _ZN7rocprim17ROCPRIM_400000_NS6detail17trampoline_kernelINS0_14default_configENS1_20scan_config_selectorIfEEZZNS1_9scan_implILNS1_25lookback_scan_determinismE0ELb0ELb0ES3_PKfPffZZZN2at6native31launch_logcumsumexp_cuda_kernelERKNSB_10TensorBaseESF_lENKUlvE_clEvENKUlvE0_clEvEUlffE_fEEDaPvRmT3_T4_T5_mT6_P12ihipStream_tbENKUlT_T0_E_clISt17integral_constantIbLb0EESW_EEDaSR_SS_EUlSR_E_NS1_11comp_targetILNS1_3genE3ELNS1_11target_archE908ELNS1_3gpuE7ELNS1_3repE0EEENS1_30default_config_static_selectorELNS0_4arch9wavefront6targetE1EEEvT1_.num_named_barrier, 0
	.set _ZN7rocprim17ROCPRIM_400000_NS6detail17trampoline_kernelINS0_14default_configENS1_20scan_config_selectorIfEEZZNS1_9scan_implILNS1_25lookback_scan_determinismE0ELb0ELb0ES3_PKfPffZZZN2at6native31launch_logcumsumexp_cuda_kernelERKNSB_10TensorBaseESF_lENKUlvE_clEvENKUlvE0_clEvEUlffE_fEEDaPvRmT3_T4_T5_mT6_P12ihipStream_tbENKUlT_T0_E_clISt17integral_constantIbLb0EESW_EEDaSR_SS_EUlSR_E_NS1_11comp_targetILNS1_3genE3ELNS1_11target_archE908ELNS1_3gpuE7ELNS1_3repE0EEENS1_30default_config_static_selectorELNS0_4arch9wavefront6targetE1EEEvT1_.private_seg_size, 0
	.set _ZN7rocprim17ROCPRIM_400000_NS6detail17trampoline_kernelINS0_14default_configENS1_20scan_config_selectorIfEEZZNS1_9scan_implILNS1_25lookback_scan_determinismE0ELb0ELb0ES3_PKfPffZZZN2at6native31launch_logcumsumexp_cuda_kernelERKNSB_10TensorBaseESF_lENKUlvE_clEvENKUlvE0_clEvEUlffE_fEEDaPvRmT3_T4_T5_mT6_P12ihipStream_tbENKUlT_T0_E_clISt17integral_constantIbLb0EESW_EEDaSR_SS_EUlSR_E_NS1_11comp_targetILNS1_3genE3ELNS1_11target_archE908ELNS1_3gpuE7ELNS1_3repE0EEENS1_30default_config_static_selectorELNS0_4arch9wavefront6targetE1EEEvT1_.uses_vcc, 0
	.set _ZN7rocprim17ROCPRIM_400000_NS6detail17trampoline_kernelINS0_14default_configENS1_20scan_config_selectorIfEEZZNS1_9scan_implILNS1_25lookback_scan_determinismE0ELb0ELb0ES3_PKfPffZZZN2at6native31launch_logcumsumexp_cuda_kernelERKNSB_10TensorBaseESF_lENKUlvE_clEvENKUlvE0_clEvEUlffE_fEEDaPvRmT3_T4_T5_mT6_P12ihipStream_tbENKUlT_T0_E_clISt17integral_constantIbLb0EESW_EEDaSR_SS_EUlSR_E_NS1_11comp_targetILNS1_3genE3ELNS1_11target_archE908ELNS1_3gpuE7ELNS1_3repE0EEENS1_30default_config_static_selectorELNS0_4arch9wavefront6targetE1EEEvT1_.uses_flat_scratch, 0
	.set _ZN7rocprim17ROCPRIM_400000_NS6detail17trampoline_kernelINS0_14default_configENS1_20scan_config_selectorIfEEZZNS1_9scan_implILNS1_25lookback_scan_determinismE0ELb0ELb0ES3_PKfPffZZZN2at6native31launch_logcumsumexp_cuda_kernelERKNSB_10TensorBaseESF_lENKUlvE_clEvENKUlvE0_clEvEUlffE_fEEDaPvRmT3_T4_T5_mT6_P12ihipStream_tbENKUlT_T0_E_clISt17integral_constantIbLb0EESW_EEDaSR_SS_EUlSR_E_NS1_11comp_targetILNS1_3genE3ELNS1_11target_archE908ELNS1_3gpuE7ELNS1_3repE0EEENS1_30default_config_static_selectorELNS0_4arch9wavefront6targetE1EEEvT1_.has_dyn_sized_stack, 0
	.set _ZN7rocprim17ROCPRIM_400000_NS6detail17trampoline_kernelINS0_14default_configENS1_20scan_config_selectorIfEEZZNS1_9scan_implILNS1_25lookback_scan_determinismE0ELb0ELb0ES3_PKfPffZZZN2at6native31launch_logcumsumexp_cuda_kernelERKNSB_10TensorBaseESF_lENKUlvE_clEvENKUlvE0_clEvEUlffE_fEEDaPvRmT3_T4_T5_mT6_P12ihipStream_tbENKUlT_T0_E_clISt17integral_constantIbLb0EESW_EEDaSR_SS_EUlSR_E_NS1_11comp_targetILNS1_3genE3ELNS1_11target_archE908ELNS1_3gpuE7ELNS1_3repE0EEENS1_30default_config_static_selectorELNS0_4arch9wavefront6targetE1EEEvT1_.has_recursion, 0
	.set _ZN7rocprim17ROCPRIM_400000_NS6detail17trampoline_kernelINS0_14default_configENS1_20scan_config_selectorIfEEZZNS1_9scan_implILNS1_25lookback_scan_determinismE0ELb0ELb0ES3_PKfPffZZZN2at6native31launch_logcumsumexp_cuda_kernelERKNSB_10TensorBaseESF_lENKUlvE_clEvENKUlvE0_clEvEUlffE_fEEDaPvRmT3_T4_T5_mT6_P12ihipStream_tbENKUlT_T0_E_clISt17integral_constantIbLb0EESW_EEDaSR_SS_EUlSR_E_NS1_11comp_targetILNS1_3genE3ELNS1_11target_archE908ELNS1_3gpuE7ELNS1_3repE0EEENS1_30default_config_static_selectorELNS0_4arch9wavefront6targetE1EEEvT1_.has_indirect_call, 0
	.section	.AMDGPU.csdata,"",@progbits
; Kernel info:
; codeLenInByte = 0
; TotalNumSgprs: 6
; NumVgprs: 0
; NumAgprs: 0
; TotalNumVgprs: 0
; ScratchSize: 0
; MemoryBound: 0
; FloatMode: 240
; IeeeMode: 1
; LDSByteSize: 0 bytes/workgroup (compile time only)
; SGPRBlocks: 0
; VGPRBlocks: 0
; NumSGPRsForWavesPerEU: 6
; NumVGPRsForWavesPerEU: 1
; AccumOffset: 4
; Occupancy: 8
; WaveLimiterHint : 0
; COMPUTE_PGM_RSRC2:SCRATCH_EN: 0
; COMPUTE_PGM_RSRC2:USER_SGPR: 2
; COMPUTE_PGM_RSRC2:TRAP_HANDLER: 0
; COMPUTE_PGM_RSRC2:TGID_X_EN: 1
; COMPUTE_PGM_RSRC2:TGID_Y_EN: 0
; COMPUTE_PGM_RSRC2:TGID_Z_EN: 0
; COMPUTE_PGM_RSRC2:TIDIG_COMP_CNT: 0
; COMPUTE_PGM_RSRC3_GFX90A:ACCUM_OFFSET: 0
; COMPUTE_PGM_RSRC3_GFX90A:TG_SPLIT: 0
	.section	.text._ZN7rocprim17ROCPRIM_400000_NS6detail17trampoline_kernelINS0_14default_configENS1_20scan_config_selectorIfEEZZNS1_9scan_implILNS1_25lookback_scan_determinismE0ELb0ELb0ES3_PKfPffZZZN2at6native31launch_logcumsumexp_cuda_kernelERKNSB_10TensorBaseESF_lENKUlvE_clEvENKUlvE0_clEvEUlffE_fEEDaPvRmT3_T4_T5_mT6_P12ihipStream_tbENKUlT_T0_E_clISt17integral_constantIbLb0EESW_EEDaSR_SS_EUlSR_E_NS1_11comp_targetILNS1_3genE2ELNS1_11target_archE906ELNS1_3gpuE6ELNS1_3repE0EEENS1_30default_config_static_selectorELNS0_4arch9wavefront6targetE1EEEvT1_,"axG",@progbits,_ZN7rocprim17ROCPRIM_400000_NS6detail17trampoline_kernelINS0_14default_configENS1_20scan_config_selectorIfEEZZNS1_9scan_implILNS1_25lookback_scan_determinismE0ELb0ELb0ES3_PKfPffZZZN2at6native31launch_logcumsumexp_cuda_kernelERKNSB_10TensorBaseESF_lENKUlvE_clEvENKUlvE0_clEvEUlffE_fEEDaPvRmT3_T4_T5_mT6_P12ihipStream_tbENKUlT_T0_E_clISt17integral_constantIbLb0EESW_EEDaSR_SS_EUlSR_E_NS1_11comp_targetILNS1_3genE2ELNS1_11target_archE906ELNS1_3gpuE6ELNS1_3repE0EEENS1_30default_config_static_selectorELNS0_4arch9wavefront6targetE1EEEvT1_,comdat
	.globl	_ZN7rocprim17ROCPRIM_400000_NS6detail17trampoline_kernelINS0_14default_configENS1_20scan_config_selectorIfEEZZNS1_9scan_implILNS1_25lookback_scan_determinismE0ELb0ELb0ES3_PKfPffZZZN2at6native31launch_logcumsumexp_cuda_kernelERKNSB_10TensorBaseESF_lENKUlvE_clEvENKUlvE0_clEvEUlffE_fEEDaPvRmT3_T4_T5_mT6_P12ihipStream_tbENKUlT_T0_E_clISt17integral_constantIbLb0EESW_EEDaSR_SS_EUlSR_E_NS1_11comp_targetILNS1_3genE2ELNS1_11target_archE906ELNS1_3gpuE6ELNS1_3repE0EEENS1_30default_config_static_selectorELNS0_4arch9wavefront6targetE1EEEvT1_ ; -- Begin function _ZN7rocprim17ROCPRIM_400000_NS6detail17trampoline_kernelINS0_14default_configENS1_20scan_config_selectorIfEEZZNS1_9scan_implILNS1_25lookback_scan_determinismE0ELb0ELb0ES3_PKfPffZZZN2at6native31launch_logcumsumexp_cuda_kernelERKNSB_10TensorBaseESF_lENKUlvE_clEvENKUlvE0_clEvEUlffE_fEEDaPvRmT3_T4_T5_mT6_P12ihipStream_tbENKUlT_T0_E_clISt17integral_constantIbLb0EESW_EEDaSR_SS_EUlSR_E_NS1_11comp_targetILNS1_3genE2ELNS1_11target_archE906ELNS1_3gpuE6ELNS1_3repE0EEENS1_30default_config_static_selectorELNS0_4arch9wavefront6targetE1EEEvT1_
	.p2align	8
	.type	_ZN7rocprim17ROCPRIM_400000_NS6detail17trampoline_kernelINS0_14default_configENS1_20scan_config_selectorIfEEZZNS1_9scan_implILNS1_25lookback_scan_determinismE0ELb0ELb0ES3_PKfPffZZZN2at6native31launch_logcumsumexp_cuda_kernelERKNSB_10TensorBaseESF_lENKUlvE_clEvENKUlvE0_clEvEUlffE_fEEDaPvRmT3_T4_T5_mT6_P12ihipStream_tbENKUlT_T0_E_clISt17integral_constantIbLb0EESW_EEDaSR_SS_EUlSR_E_NS1_11comp_targetILNS1_3genE2ELNS1_11target_archE906ELNS1_3gpuE6ELNS1_3repE0EEENS1_30default_config_static_selectorELNS0_4arch9wavefront6targetE1EEEvT1_,@function
_ZN7rocprim17ROCPRIM_400000_NS6detail17trampoline_kernelINS0_14default_configENS1_20scan_config_selectorIfEEZZNS1_9scan_implILNS1_25lookback_scan_determinismE0ELb0ELb0ES3_PKfPffZZZN2at6native31launch_logcumsumexp_cuda_kernelERKNSB_10TensorBaseESF_lENKUlvE_clEvENKUlvE0_clEvEUlffE_fEEDaPvRmT3_T4_T5_mT6_P12ihipStream_tbENKUlT_T0_E_clISt17integral_constantIbLb0EESW_EEDaSR_SS_EUlSR_E_NS1_11comp_targetILNS1_3genE2ELNS1_11target_archE906ELNS1_3gpuE6ELNS1_3repE0EEENS1_30default_config_static_selectorELNS0_4arch9wavefront6targetE1EEEvT1_: ; @_ZN7rocprim17ROCPRIM_400000_NS6detail17trampoline_kernelINS0_14default_configENS1_20scan_config_selectorIfEEZZNS1_9scan_implILNS1_25lookback_scan_determinismE0ELb0ELb0ES3_PKfPffZZZN2at6native31launch_logcumsumexp_cuda_kernelERKNSB_10TensorBaseESF_lENKUlvE_clEvENKUlvE0_clEvEUlffE_fEEDaPvRmT3_T4_T5_mT6_P12ihipStream_tbENKUlT_T0_E_clISt17integral_constantIbLb0EESW_EEDaSR_SS_EUlSR_E_NS1_11comp_targetILNS1_3genE2ELNS1_11target_archE906ELNS1_3gpuE6ELNS1_3repE0EEENS1_30default_config_static_selectorELNS0_4arch9wavefront6targetE1EEEvT1_
; %bb.0:
	.section	.rodata,"a",@progbits
	.p2align	6, 0x0
	.amdhsa_kernel _ZN7rocprim17ROCPRIM_400000_NS6detail17trampoline_kernelINS0_14default_configENS1_20scan_config_selectorIfEEZZNS1_9scan_implILNS1_25lookback_scan_determinismE0ELb0ELb0ES3_PKfPffZZZN2at6native31launch_logcumsumexp_cuda_kernelERKNSB_10TensorBaseESF_lENKUlvE_clEvENKUlvE0_clEvEUlffE_fEEDaPvRmT3_T4_T5_mT6_P12ihipStream_tbENKUlT_T0_E_clISt17integral_constantIbLb0EESW_EEDaSR_SS_EUlSR_E_NS1_11comp_targetILNS1_3genE2ELNS1_11target_archE906ELNS1_3gpuE6ELNS1_3repE0EEENS1_30default_config_static_selectorELNS0_4arch9wavefront6targetE1EEEvT1_
		.amdhsa_group_segment_fixed_size 0
		.amdhsa_private_segment_fixed_size 0
		.amdhsa_kernarg_size 96
		.amdhsa_user_sgpr_count 2
		.amdhsa_user_sgpr_dispatch_ptr 0
		.amdhsa_user_sgpr_queue_ptr 0
		.amdhsa_user_sgpr_kernarg_segment_ptr 1
		.amdhsa_user_sgpr_dispatch_id 0
		.amdhsa_user_sgpr_kernarg_preload_length 0
		.amdhsa_user_sgpr_kernarg_preload_offset 0
		.amdhsa_user_sgpr_private_segment_size 0
		.amdhsa_uses_dynamic_stack 0
		.amdhsa_enable_private_segment 0
		.amdhsa_system_sgpr_workgroup_id_x 1
		.amdhsa_system_sgpr_workgroup_id_y 0
		.amdhsa_system_sgpr_workgroup_id_z 0
		.amdhsa_system_sgpr_workgroup_info 0
		.amdhsa_system_vgpr_workitem_id 0
		.amdhsa_next_free_vgpr 1
		.amdhsa_next_free_sgpr 0
		.amdhsa_accum_offset 4
		.amdhsa_reserve_vcc 0
		.amdhsa_float_round_mode_32 0
		.amdhsa_float_round_mode_16_64 0
		.amdhsa_float_denorm_mode_32 3
		.amdhsa_float_denorm_mode_16_64 3
		.amdhsa_dx10_clamp 1
		.amdhsa_ieee_mode 1
		.amdhsa_fp16_overflow 0
		.amdhsa_tg_split 0
		.amdhsa_exception_fp_ieee_invalid_op 0
		.amdhsa_exception_fp_denorm_src 0
		.amdhsa_exception_fp_ieee_div_zero 0
		.amdhsa_exception_fp_ieee_overflow 0
		.amdhsa_exception_fp_ieee_underflow 0
		.amdhsa_exception_fp_ieee_inexact 0
		.amdhsa_exception_int_div_zero 0
	.end_amdhsa_kernel
	.section	.text._ZN7rocprim17ROCPRIM_400000_NS6detail17trampoline_kernelINS0_14default_configENS1_20scan_config_selectorIfEEZZNS1_9scan_implILNS1_25lookback_scan_determinismE0ELb0ELb0ES3_PKfPffZZZN2at6native31launch_logcumsumexp_cuda_kernelERKNSB_10TensorBaseESF_lENKUlvE_clEvENKUlvE0_clEvEUlffE_fEEDaPvRmT3_T4_T5_mT6_P12ihipStream_tbENKUlT_T0_E_clISt17integral_constantIbLb0EESW_EEDaSR_SS_EUlSR_E_NS1_11comp_targetILNS1_3genE2ELNS1_11target_archE906ELNS1_3gpuE6ELNS1_3repE0EEENS1_30default_config_static_selectorELNS0_4arch9wavefront6targetE1EEEvT1_,"axG",@progbits,_ZN7rocprim17ROCPRIM_400000_NS6detail17trampoline_kernelINS0_14default_configENS1_20scan_config_selectorIfEEZZNS1_9scan_implILNS1_25lookback_scan_determinismE0ELb0ELb0ES3_PKfPffZZZN2at6native31launch_logcumsumexp_cuda_kernelERKNSB_10TensorBaseESF_lENKUlvE_clEvENKUlvE0_clEvEUlffE_fEEDaPvRmT3_T4_T5_mT6_P12ihipStream_tbENKUlT_T0_E_clISt17integral_constantIbLb0EESW_EEDaSR_SS_EUlSR_E_NS1_11comp_targetILNS1_3genE2ELNS1_11target_archE906ELNS1_3gpuE6ELNS1_3repE0EEENS1_30default_config_static_selectorELNS0_4arch9wavefront6targetE1EEEvT1_,comdat
.Lfunc_end92:
	.size	_ZN7rocprim17ROCPRIM_400000_NS6detail17trampoline_kernelINS0_14default_configENS1_20scan_config_selectorIfEEZZNS1_9scan_implILNS1_25lookback_scan_determinismE0ELb0ELb0ES3_PKfPffZZZN2at6native31launch_logcumsumexp_cuda_kernelERKNSB_10TensorBaseESF_lENKUlvE_clEvENKUlvE0_clEvEUlffE_fEEDaPvRmT3_T4_T5_mT6_P12ihipStream_tbENKUlT_T0_E_clISt17integral_constantIbLb0EESW_EEDaSR_SS_EUlSR_E_NS1_11comp_targetILNS1_3genE2ELNS1_11target_archE906ELNS1_3gpuE6ELNS1_3repE0EEENS1_30default_config_static_selectorELNS0_4arch9wavefront6targetE1EEEvT1_, .Lfunc_end92-_ZN7rocprim17ROCPRIM_400000_NS6detail17trampoline_kernelINS0_14default_configENS1_20scan_config_selectorIfEEZZNS1_9scan_implILNS1_25lookback_scan_determinismE0ELb0ELb0ES3_PKfPffZZZN2at6native31launch_logcumsumexp_cuda_kernelERKNSB_10TensorBaseESF_lENKUlvE_clEvENKUlvE0_clEvEUlffE_fEEDaPvRmT3_T4_T5_mT6_P12ihipStream_tbENKUlT_T0_E_clISt17integral_constantIbLb0EESW_EEDaSR_SS_EUlSR_E_NS1_11comp_targetILNS1_3genE2ELNS1_11target_archE906ELNS1_3gpuE6ELNS1_3repE0EEENS1_30default_config_static_selectorELNS0_4arch9wavefront6targetE1EEEvT1_
                                        ; -- End function
	.set _ZN7rocprim17ROCPRIM_400000_NS6detail17trampoline_kernelINS0_14default_configENS1_20scan_config_selectorIfEEZZNS1_9scan_implILNS1_25lookback_scan_determinismE0ELb0ELb0ES3_PKfPffZZZN2at6native31launch_logcumsumexp_cuda_kernelERKNSB_10TensorBaseESF_lENKUlvE_clEvENKUlvE0_clEvEUlffE_fEEDaPvRmT3_T4_T5_mT6_P12ihipStream_tbENKUlT_T0_E_clISt17integral_constantIbLb0EESW_EEDaSR_SS_EUlSR_E_NS1_11comp_targetILNS1_3genE2ELNS1_11target_archE906ELNS1_3gpuE6ELNS1_3repE0EEENS1_30default_config_static_selectorELNS0_4arch9wavefront6targetE1EEEvT1_.num_vgpr, 0
	.set _ZN7rocprim17ROCPRIM_400000_NS6detail17trampoline_kernelINS0_14default_configENS1_20scan_config_selectorIfEEZZNS1_9scan_implILNS1_25lookback_scan_determinismE0ELb0ELb0ES3_PKfPffZZZN2at6native31launch_logcumsumexp_cuda_kernelERKNSB_10TensorBaseESF_lENKUlvE_clEvENKUlvE0_clEvEUlffE_fEEDaPvRmT3_T4_T5_mT6_P12ihipStream_tbENKUlT_T0_E_clISt17integral_constantIbLb0EESW_EEDaSR_SS_EUlSR_E_NS1_11comp_targetILNS1_3genE2ELNS1_11target_archE906ELNS1_3gpuE6ELNS1_3repE0EEENS1_30default_config_static_selectorELNS0_4arch9wavefront6targetE1EEEvT1_.num_agpr, 0
	.set _ZN7rocprim17ROCPRIM_400000_NS6detail17trampoline_kernelINS0_14default_configENS1_20scan_config_selectorIfEEZZNS1_9scan_implILNS1_25lookback_scan_determinismE0ELb0ELb0ES3_PKfPffZZZN2at6native31launch_logcumsumexp_cuda_kernelERKNSB_10TensorBaseESF_lENKUlvE_clEvENKUlvE0_clEvEUlffE_fEEDaPvRmT3_T4_T5_mT6_P12ihipStream_tbENKUlT_T0_E_clISt17integral_constantIbLb0EESW_EEDaSR_SS_EUlSR_E_NS1_11comp_targetILNS1_3genE2ELNS1_11target_archE906ELNS1_3gpuE6ELNS1_3repE0EEENS1_30default_config_static_selectorELNS0_4arch9wavefront6targetE1EEEvT1_.numbered_sgpr, 0
	.set _ZN7rocprim17ROCPRIM_400000_NS6detail17trampoline_kernelINS0_14default_configENS1_20scan_config_selectorIfEEZZNS1_9scan_implILNS1_25lookback_scan_determinismE0ELb0ELb0ES3_PKfPffZZZN2at6native31launch_logcumsumexp_cuda_kernelERKNSB_10TensorBaseESF_lENKUlvE_clEvENKUlvE0_clEvEUlffE_fEEDaPvRmT3_T4_T5_mT6_P12ihipStream_tbENKUlT_T0_E_clISt17integral_constantIbLb0EESW_EEDaSR_SS_EUlSR_E_NS1_11comp_targetILNS1_3genE2ELNS1_11target_archE906ELNS1_3gpuE6ELNS1_3repE0EEENS1_30default_config_static_selectorELNS0_4arch9wavefront6targetE1EEEvT1_.num_named_barrier, 0
	.set _ZN7rocprim17ROCPRIM_400000_NS6detail17trampoline_kernelINS0_14default_configENS1_20scan_config_selectorIfEEZZNS1_9scan_implILNS1_25lookback_scan_determinismE0ELb0ELb0ES3_PKfPffZZZN2at6native31launch_logcumsumexp_cuda_kernelERKNSB_10TensorBaseESF_lENKUlvE_clEvENKUlvE0_clEvEUlffE_fEEDaPvRmT3_T4_T5_mT6_P12ihipStream_tbENKUlT_T0_E_clISt17integral_constantIbLb0EESW_EEDaSR_SS_EUlSR_E_NS1_11comp_targetILNS1_3genE2ELNS1_11target_archE906ELNS1_3gpuE6ELNS1_3repE0EEENS1_30default_config_static_selectorELNS0_4arch9wavefront6targetE1EEEvT1_.private_seg_size, 0
	.set _ZN7rocprim17ROCPRIM_400000_NS6detail17trampoline_kernelINS0_14default_configENS1_20scan_config_selectorIfEEZZNS1_9scan_implILNS1_25lookback_scan_determinismE0ELb0ELb0ES3_PKfPffZZZN2at6native31launch_logcumsumexp_cuda_kernelERKNSB_10TensorBaseESF_lENKUlvE_clEvENKUlvE0_clEvEUlffE_fEEDaPvRmT3_T4_T5_mT6_P12ihipStream_tbENKUlT_T0_E_clISt17integral_constantIbLb0EESW_EEDaSR_SS_EUlSR_E_NS1_11comp_targetILNS1_3genE2ELNS1_11target_archE906ELNS1_3gpuE6ELNS1_3repE0EEENS1_30default_config_static_selectorELNS0_4arch9wavefront6targetE1EEEvT1_.uses_vcc, 0
	.set _ZN7rocprim17ROCPRIM_400000_NS6detail17trampoline_kernelINS0_14default_configENS1_20scan_config_selectorIfEEZZNS1_9scan_implILNS1_25lookback_scan_determinismE0ELb0ELb0ES3_PKfPffZZZN2at6native31launch_logcumsumexp_cuda_kernelERKNSB_10TensorBaseESF_lENKUlvE_clEvENKUlvE0_clEvEUlffE_fEEDaPvRmT3_T4_T5_mT6_P12ihipStream_tbENKUlT_T0_E_clISt17integral_constantIbLb0EESW_EEDaSR_SS_EUlSR_E_NS1_11comp_targetILNS1_3genE2ELNS1_11target_archE906ELNS1_3gpuE6ELNS1_3repE0EEENS1_30default_config_static_selectorELNS0_4arch9wavefront6targetE1EEEvT1_.uses_flat_scratch, 0
	.set _ZN7rocprim17ROCPRIM_400000_NS6detail17trampoline_kernelINS0_14default_configENS1_20scan_config_selectorIfEEZZNS1_9scan_implILNS1_25lookback_scan_determinismE0ELb0ELb0ES3_PKfPffZZZN2at6native31launch_logcumsumexp_cuda_kernelERKNSB_10TensorBaseESF_lENKUlvE_clEvENKUlvE0_clEvEUlffE_fEEDaPvRmT3_T4_T5_mT6_P12ihipStream_tbENKUlT_T0_E_clISt17integral_constantIbLb0EESW_EEDaSR_SS_EUlSR_E_NS1_11comp_targetILNS1_3genE2ELNS1_11target_archE906ELNS1_3gpuE6ELNS1_3repE0EEENS1_30default_config_static_selectorELNS0_4arch9wavefront6targetE1EEEvT1_.has_dyn_sized_stack, 0
	.set _ZN7rocprim17ROCPRIM_400000_NS6detail17trampoline_kernelINS0_14default_configENS1_20scan_config_selectorIfEEZZNS1_9scan_implILNS1_25lookback_scan_determinismE0ELb0ELb0ES3_PKfPffZZZN2at6native31launch_logcumsumexp_cuda_kernelERKNSB_10TensorBaseESF_lENKUlvE_clEvENKUlvE0_clEvEUlffE_fEEDaPvRmT3_T4_T5_mT6_P12ihipStream_tbENKUlT_T0_E_clISt17integral_constantIbLb0EESW_EEDaSR_SS_EUlSR_E_NS1_11comp_targetILNS1_3genE2ELNS1_11target_archE906ELNS1_3gpuE6ELNS1_3repE0EEENS1_30default_config_static_selectorELNS0_4arch9wavefront6targetE1EEEvT1_.has_recursion, 0
	.set _ZN7rocprim17ROCPRIM_400000_NS6detail17trampoline_kernelINS0_14default_configENS1_20scan_config_selectorIfEEZZNS1_9scan_implILNS1_25lookback_scan_determinismE0ELb0ELb0ES3_PKfPffZZZN2at6native31launch_logcumsumexp_cuda_kernelERKNSB_10TensorBaseESF_lENKUlvE_clEvENKUlvE0_clEvEUlffE_fEEDaPvRmT3_T4_T5_mT6_P12ihipStream_tbENKUlT_T0_E_clISt17integral_constantIbLb0EESW_EEDaSR_SS_EUlSR_E_NS1_11comp_targetILNS1_3genE2ELNS1_11target_archE906ELNS1_3gpuE6ELNS1_3repE0EEENS1_30default_config_static_selectorELNS0_4arch9wavefront6targetE1EEEvT1_.has_indirect_call, 0
	.section	.AMDGPU.csdata,"",@progbits
; Kernel info:
; codeLenInByte = 0
; TotalNumSgprs: 6
; NumVgprs: 0
; NumAgprs: 0
; TotalNumVgprs: 0
; ScratchSize: 0
; MemoryBound: 0
; FloatMode: 240
; IeeeMode: 1
; LDSByteSize: 0 bytes/workgroup (compile time only)
; SGPRBlocks: 0
; VGPRBlocks: 0
; NumSGPRsForWavesPerEU: 6
; NumVGPRsForWavesPerEU: 1
; AccumOffset: 4
; Occupancy: 8
; WaveLimiterHint : 0
; COMPUTE_PGM_RSRC2:SCRATCH_EN: 0
; COMPUTE_PGM_RSRC2:USER_SGPR: 2
; COMPUTE_PGM_RSRC2:TRAP_HANDLER: 0
; COMPUTE_PGM_RSRC2:TGID_X_EN: 1
; COMPUTE_PGM_RSRC2:TGID_Y_EN: 0
; COMPUTE_PGM_RSRC2:TGID_Z_EN: 0
; COMPUTE_PGM_RSRC2:TIDIG_COMP_CNT: 0
; COMPUTE_PGM_RSRC3_GFX90A:ACCUM_OFFSET: 0
; COMPUTE_PGM_RSRC3_GFX90A:TG_SPLIT: 0
	.section	.text._ZN7rocprim17ROCPRIM_400000_NS6detail17trampoline_kernelINS0_14default_configENS1_20scan_config_selectorIfEEZZNS1_9scan_implILNS1_25lookback_scan_determinismE0ELb0ELb0ES3_PKfPffZZZN2at6native31launch_logcumsumexp_cuda_kernelERKNSB_10TensorBaseESF_lENKUlvE_clEvENKUlvE0_clEvEUlffE_fEEDaPvRmT3_T4_T5_mT6_P12ihipStream_tbENKUlT_T0_E_clISt17integral_constantIbLb0EESW_EEDaSR_SS_EUlSR_E_NS1_11comp_targetILNS1_3genE10ELNS1_11target_archE1201ELNS1_3gpuE5ELNS1_3repE0EEENS1_30default_config_static_selectorELNS0_4arch9wavefront6targetE1EEEvT1_,"axG",@progbits,_ZN7rocprim17ROCPRIM_400000_NS6detail17trampoline_kernelINS0_14default_configENS1_20scan_config_selectorIfEEZZNS1_9scan_implILNS1_25lookback_scan_determinismE0ELb0ELb0ES3_PKfPffZZZN2at6native31launch_logcumsumexp_cuda_kernelERKNSB_10TensorBaseESF_lENKUlvE_clEvENKUlvE0_clEvEUlffE_fEEDaPvRmT3_T4_T5_mT6_P12ihipStream_tbENKUlT_T0_E_clISt17integral_constantIbLb0EESW_EEDaSR_SS_EUlSR_E_NS1_11comp_targetILNS1_3genE10ELNS1_11target_archE1201ELNS1_3gpuE5ELNS1_3repE0EEENS1_30default_config_static_selectorELNS0_4arch9wavefront6targetE1EEEvT1_,comdat
	.globl	_ZN7rocprim17ROCPRIM_400000_NS6detail17trampoline_kernelINS0_14default_configENS1_20scan_config_selectorIfEEZZNS1_9scan_implILNS1_25lookback_scan_determinismE0ELb0ELb0ES3_PKfPffZZZN2at6native31launch_logcumsumexp_cuda_kernelERKNSB_10TensorBaseESF_lENKUlvE_clEvENKUlvE0_clEvEUlffE_fEEDaPvRmT3_T4_T5_mT6_P12ihipStream_tbENKUlT_T0_E_clISt17integral_constantIbLb0EESW_EEDaSR_SS_EUlSR_E_NS1_11comp_targetILNS1_3genE10ELNS1_11target_archE1201ELNS1_3gpuE5ELNS1_3repE0EEENS1_30default_config_static_selectorELNS0_4arch9wavefront6targetE1EEEvT1_ ; -- Begin function _ZN7rocprim17ROCPRIM_400000_NS6detail17trampoline_kernelINS0_14default_configENS1_20scan_config_selectorIfEEZZNS1_9scan_implILNS1_25lookback_scan_determinismE0ELb0ELb0ES3_PKfPffZZZN2at6native31launch_logcumsumexp_cuda_kernelERKNSB_10TensorBaseESF_lENKUlvE_clEvENKUlvE0_clEvEUlffE_fEEDaPvRmT3_T4_T5_mT6_P12ihipStream_tbENKUlT_T0_E_clISt17integral_constantIbLb0EESW_EEDaSR_SS_EUlSR_E_NS1_11comp_targetILNS1_3genE10ELNS1_11target_archE1201ELNS1_3gpuE5ELNS1_3repE0EEENS1_30default_config_static_selectorELNS0_4arch9wavefront6targetE1EEEvT1_
	.p2align	8
	.type	_ZN7rocprim17ROCPRIM_400000_NS6detail17trampoline_kernelINS0_14default_configENS1_20scan_config_selectorIfEEZZNS1_9scan_implILNS1_25lookback_scan_determinismE0ELb0ELb0ES3_PKfPffZZZN2at6native31launch_logcumsumexp_cuda_kernelERKNSB_10TensorBaseESF_lENKUlvE_clEvENKUlvE0_clEvEUlffE_fEEDaPvRmT3_T4_T5_mT6_P12ihipStream_tbENKUlT_T0_E_clISt17integral_constantIbLb0EESW_EEDaSR_SS_EUlSR_E_NS1_11comp_targetILNS1_3genE10ELNS1_11target_archE1201ELNS1_3gpuE5ELNS1_3repE0EEENS1_30default_config_static_selectorELNS0_4arch9wavefront6targetE1EEEvT1_,@function
_ZN7rocprim17ROCPRIM_400000_NS6detail17trampoline_kernelINS0_14default_configENS1_20scan_config_selectorIfEEZZNS1_9scan_implILNS1_25lookback_scan_determinismE0ELb0ELb0ES3_PKfPffZZZN2at6native31launch_logcumsumexp_cuda_kernelERKNSB_10TensorBaseESF_lENKUlvE_clEvENKUlvE0_clEvEUlffE_fEEDaPvRmT3_T4_T5_mT6_P12ihipStream_tbENKUlT_T0_E_clISt17integral_constantIbLb0EESW_EEDaSR_SS_EUlSR_E_NS1_11comp_targetILNS1_3genE10ELNS1_11target_archE1201ELNS1_3gpuE5ELNS1_3repE0EEENS1_30default_config_static_selectorELNS0_4arch9wavefront6targetE1EEEvT1_: ; @_ZN7rocprim17ROCPRIM_400000_NS6detail17trampoline_kernelINS0_14default_configENS1_20scan_config_selectorIfEEZZNS1_9scan_implILNS1_25lookback_scan_determinismE0ELb0ELb0ES3_PKfPffZZZN2at6native31launch_logcumsumexp_cuda_kernelERKNSB_10TensorBaseESF_lENKUlvE_clEvENKUlvE0_clEvEUlffE_fEEDaPvRmT3_T4_T5_mT6_P12ihipStream_tbENKUlT_T0_E_clISt17integral_constantIbLb0EESW_EEDaSR_SS_EUlSR_E_NS1_11comp_targetILNS1_3genE10ELNS1_11target_archE1201ELNS1_3gpuE5ELNS1_3repE0EEENS1_30default_config_static_selectorELNS0_4arch9wavefront6targetE1EEEvT1_
; %bb.0:
	.section	.rodata,"a",@progbits
	.p2align	6, 0x0
	.amdhsa_kernel _ZN7rocprim17ROCPRIM_400000_NS6detail17trampoline_kernelINS0_14default_configENS1_20scan_config_selectorIfEEZZNS1_9scan_implILNS1_25lookback_scan_determinismE0ELb0ELb0ES3_PKfPffZZZN2at6native31launch_logcumsumexp_cuda_kernelERKNSB_10TensorBaseESF_lENKUlvE_clEvENKUlvE0_clEvEUlffE_fEEDaPvRmT3_T4_T5_mT6_P12ihipStream_tbENKUlT_T0_E_clISt17integral_constantIbLb0EESW_EEDaSR_SS_EUlSR_E_NS1_11comp_targetILNS1_3genE10ELNS1_11target_archE1201ELNS1_3gpuE5ELNS1_3repE0EEENS1_30default_config_static_selectorELNS0_4arch9wavefront6targetE1EEEvT1_
		.amdhsa_group_segment_fixed_size 0
		.amdhsa_private_segment_fixed_size 0
		.amdhsa_kernarg_size 96
		.amdhsa_user_sgpr_count 2
		.amdhsa_user_sgpr_dispatch_ptr 0
		.amdhsa_user_sgpr_queue_ptr 0
		.amdhsa_user_sgpr_kernarg_segment_ptr 1
		.amdhsa_user_sgpr_dispatch_id 0
		.amdhsa_user_sgpr_kernarg_preload_length 0
		.amdhsa_user_sgpr_kernarg_preload_offset 0
		.amdhsa_user_sgpr_private_segment_size 0
		.amdhsa_uses_dynamic_stack 0
		.amdhsa_enable_private_segment 0
		.amdhsa_system_sgpr_workgroup_id_x 1
		.amdhsa_system_sgpr_workgroup_id_y 0
		.amdhsa_system_sgpr_workgroup_id_z 0
		.amdhsa_system_sgpr_workgroup_info 0
		.amdhsa_system_vgpr_workitem_id 0
		.amdhsa_next_free_vgpr 1
		.amdhsa_next_free_sgpr 0
		.amdhsa_accum_offset 4
		.amdhsa_reserve_vcc 0
		.amdhsa_float_round_mode_32 0
		.amdhsa_float_round_mode_16_64 0
		.amdhsa_float_denorm_mode_32 3
		.amdhsa_float_denorm_mode_16_64 3
		.amdhsa_dx10_clamp 1
		.amdhsa_ieee_mode 1
		.amdhsa_fp16_overflow 0
		.amdhsa_tg_split 0
		.amdhsa_exception_fp_ieee_invalid_op 0
		.amdhsa_exception_fp_denorm_src 0
		.amdhsa_exception_fp_ieee_div_zero 0
		.amdhsa_exception_fp_ieee_overflow 0
		.amdhsa_exception_fp_ieee_underflow 0
		.amdhsa_exception_fp_ieee_inexact 0
		.amdhsa_exception_int_div_zero 0
	.end_amdhsa_kernel
	.section	.text._ZN7rocprim17ROCPRIM_400000_NS6detail17trampoline_kernelINS0_14default_configENS1_20scan_config_selectorIfEEZZNS1_9scan_implILNS1_25lookback_scan_determinismE0ELb0ELb0ES3_PKfPffZZZN2at6native31launch_logcumsumexp_cuda_kernelERKNSB_10TensorBaseESF_lENKUlvE_clEvENKUlvE0_clEvEUlffE_fEEDaPvRmT3_T4_T5_mT6_P12ihipStream_tbENKUlT_T0_E_clISt17integral_constantIbLb0EESW_EEDaSR_SS_EUlSR_E_NS1_11comp_targetILNS1_3genE10ELNS1_11target_archE1201ELNS1_3gpuE5ELNS1_3repE0EEENS1_30default_config_static_selectorELNS0_4arch9wavefront6targetE1EEEvT1_,"axG",@progbits,_ZN7rocprim17ROCPRIM_400000_NS6detail17trampoline_kernelINS0_14default_configENS1_20scan_config_selectorIfEEZZNS1_9scan_implILNS1_25lookback_scan_determinismE0ELb0ELb0ES3_PKfPffZZZN2at6native31launch_logcumsumexp_cuda_kernelERKNSB_10TensorBaseESF_lENKUlvE_clEvENKUlvE0_clEvEUlffE_fEEDaPvRmT3_T4_T5_mT6_P12ihipStream_tbENKUlT_T0_E_clISt17integral_constantIbLb0EESW_EEDaSR_SS_EUlSR_E_NS1_11comp_targetILNS1_3genE10ELNS1_11target_archE1201ELNS1_3gpuE5ELNS1_3repE0EEENS1_30default_config_static_selectorELNS0_4arch9wavefront6targetE1EEEvT1_,comdat
.Lfunc_end93:
	.size	_ZN7rocprim17ROCPRIM_400000_NS6detail17trampoline_kernelINS0_14default_configENS1_20scan_config_selectorIfEEZZNS1_9scan_implILNS1_25lookback_scan_determinismE0ELb0ELb0ES3_PKfPffZZZN2at6native31launch_logcumsumexp_cuda_kernelERKNSB_10TensorBaseESF_lENKUlvE_clEvENKUlvE0_clEvEUlffE_fEEDaPvRmT3_T4_T5_mT6_P12ihipStream_tbENKUlT_T0_E_clISt17integral_constantIbLb0EESW_EEDaSR_SS_EUlSR_E_NS1_11comp_targetILNS1_3genE10ELNS1_11target_archE1201ELNS1_3gpuE5ELNS1_3repE0EEENS1_30default_config_static_selectorELNS0_4arch9wavefront6targetE1EEEvT1_, .Lfunc_end93-_ZN7rocprim17ROCPRIM_400000_NS6detail17trampoline_kernelINS0_14default_configENS1_20scan_config_selectorIfEEZZNS1_9scan_implILNS1_25lookback_scan_determinismE0ELb0ELb0ES3_PKfPffZZZN2at6native31launch_logcumsumexp_cuda_kernelERKNSB_10TensorBaseESF_lENKUlvE_clEvENKUlvE0_clEvEUlffE_fEEDaPvRmT3_T4_T5_mT6_P12ihipStream_tbENKUlT_T0_E_clISt17integral_constantIbLb0EESW_EEDaSR_SS_EUlSR_E_NS1_11comp_targetILNS1_3genE10ELNS1_11target_archE1201ELNS1_3gpuE5ELNS1_3repE0EEENS1_30default_config_static_selectorELNS0_4arch9wavefront6targetE1EEEvT1_
                                        ; -- End function
	.set _ZN7rocprim17ROCPRIM_400000_NS6detail17trampoline_kernelINS0_14default_configENS1_20scan_config_selectorIfEEZZNS1_9scan_implILNS1_25lookback_scan_determinismE0ELb0ELb0ES3_PKfPffZZZN2at6native31launch_logcumsumexp_cuda_kernelERKNSB_10TensorBaseESF_lENKUlvE_clEvENKUlvE0_clEvEUlffE_fEEDaPvRmT3_T4_T5_mT6_P12ihipStream_tbENKUlT_T0_E_clISt17integral_constantIbLb0EESW_EEDaSR_SS_EUlSR_E_NS1_11comp_targetILNS1_3genE10ELNS1_11target_archE1201ELNS1_3gpuE5ELNS1_3repE0EEENS1_30default_config_static_selectorELNS0_4arch9wavefront6targetE1EEEvT1_.num_vgpr, 0
	.set _ZN7rocprim17ROCPRIM_400000_NS6detail17trampoline_kernelINS0_14default_configENS1_20scan_config_selectorIfEEZZNS1_9scan_implILNS1_25lookback_scan_determinismE0ELb0ELb0ES3_PKfPffZZZN2at6native31launch_logcumsumexp_cuda_kernelERKNSB_10TensorBaseESF_lENKUlvE_clEvENKUlvE0_clEvEUlffE_fEEDaPvRmT3_T4_T5_mT6_P12ihipStream_tbENKUlT_T0_E_clISt17integral_constantIbLb0EESW_EEDaSR_SS_EUlSR_E_NS1_11comp_targetILNS1_3genE10ELNS1_11target_archE1201ELNS1_3gpuE5ELNS1_3repE0EEENS1_30default_config_static_selectorELNS0_4arch9wavefront6targetE1EEEvT1_.num_agpr, 0
	.set _ZN7rocprim17ROCPRIM_400000_NS6detail17trampoline_kernelINS0_14default_configENS1_20scan_config_selectorIfEEZZNS1_9scan_implILNS1_25lookback_scan_determinismE0ELb0ELb0ES3_PKfPffZZZN2at6native31launch_logcumsumexp_cuda_kernelERKNSB_10TensorBaseESF_lENKUlvE_clEvENKUlvE0_clEvEUlffE_fEEDaPvRmT3_T4_T5_mT6_P12ihipStream_tbENKUlT_T0_E_clISt17integral_constantIbLb0EESW_EEDaSR_SS_EUlSR_E_NS1_11comp_targetILNS1_3genE10ELNS1_11target_archE1201ELNS1_3gpuE5ELNS1_3repE0EEENS1_30default_config_static_selectorELNS0_4arch9wavefront6targetE1EEEvT1_.numbered_sgpr, 0
	.set _ZN7rocprim17ROCPRIM_400000_NS6detail17trampoline_kernelINS0_14default_configENS1_20scan_config_selectorIfEEZZNS1_9scan_implILNS1_25lookback_scan_determinismE0ELb0ELb0ES3_PKfPffZZZN2at6native31launch_logcumsumexp_cuda_kernelERKNSB_10TensorBaseESF_lENKUlvE_clEvENKUlvE0_clEvEUlffE_fEEDaPvRmT3_T4_T5_mT6_P12ihipStream_tbENKUlT_T0_E_clISt17integral_constantIbLb0EESW_EEDaSR_SS_EUlSR_E_NS1_11comp_targetILNS1_3genE10ELNS1_11target_archE1201ELNS1_3gpuE5ELNS1_3repE0EEENS1_30default_config_static_selectorELNS0_4arch9wavefront6targetE1EEEvT1_.num_named_barrier, 0
	.set _ZN7rocprim17ROCPRIM_400000_NS6detail17trampoline_kernelINS0_14default_configENS1_20scan_config_selectorIfEEZZNS1_9scan_implILNS1_25lookback_scan_determinismE0ELb0ELb0ES3_PKfPffZZZN2at6native31launch_logcumsumexp_cuda_kernelERKNSB_10TensorBaseESF_lENKUlvE_clEvENKUlvE0_clEvEUlffE_fEEDaPvRmT3_T4_T5_mT6_P12ihipStream_tbENKUlT_T0_E_clISt17integral_constantIbLb0EESW_EEDaSR_SS_EUlSR_E_NS1_11comp_targetILNS1_3genE10ELNS1_11target_archE1201ELNS1_3gpuE5ELNS1_3repE0EEENS1_30default_config_static_selectorELNS0_4arch9wavefront6targetE1EEEvT1_.private_seg_size, 0
	.set _ZN7rocprim17ROCPRIM_400000_NS6detail17trampoline_kernelINS0_14default_configENS1_20scan_config_selectorIfEEZZNS1_9scan_implILNS1_25lookback_scan_determinismE0ELb0ELb0ES3_PKfPffZZZN2at6native31launch_logcumsumexp_cuda_kernelERKNSB_10TensorBaseESF_lENKUlvE_clEvENKUlvE0_clEvEUlffE_fEEDaPvRmT3_T4_T5_mT6_P12ihipStream_tbENKUlT_T0_E_clISt17integral_constantIbLb0EESW_EEDaSR_SS_EUlSR_E_NS1_11comp_targetILNS1_3genE10ELNS1_11target_archE1201ELNS1_3gpuE5ELNS1_3repE0EEENS1_30default_config_static_selectorELNS0_4arch9wavefront6targetE1EEEvT1_.uses_vcc, 0
	.set _ZN7rocprim17ROCPRIM_400000_NS6detail17trampoline_kernelINS0_14default_configENS1_20scan_config_selectorIfEEZZNS1_9scan_implILNS1_25lookback_scan_determinismE0ELb0ELb0ES3_PKfPffZZZN2at6native31launch_logcumsumexp_cuda_kernelERKNSB_10TensorBaseESF_lENKUlvE_clEvENKUlvE0_clEvEUlffE_fEEDaPvRmT3_T4_T5_mT6_P12ihipStream_tbENKUlT_T0_E_clISt17integral_constantIbLb0EESW_EEDaSR_SS_EUlSR_E_NS1_11comp_targetILNS1_3genE10ELNS1_11target_archE1201ELNS1_3gpuE5ELNS1_3repE0EEENS1_30default_config_static_selectorELNS0_4arch9wavefront6targetE1EEEvT1_.uses_flat_scratch, 0
	.set _ZN7rocprim17ROCPRIM_400000_NS6detail17trampoline_kernelINS0_14default_configENS1_20scan_config_selectorIfEEZZNS1_9scan_implILNS1_25lookback_scan_determinismE0ELb0ELb0ES3_PKfPffZZZN2at6native31launch_logcumsumexp_cuda_kernelERKNSB_10TensorBaseESF_lENKUlvE_clEvENKUlvE0_clEvEUlffE_fEEDaPvRmT3_T4_T5_mT6_P12ihipStream_tbENKUlT_T0_E_clISt17integral_constantIbLb0EESW_EEDaSR_SS_EUlSR_E_NS1_11comp_targetILNS1_3genE10ELNS1_11target_archE1201ELNS1_3gpuE5ELNS1_3repE0EEENS1_30default_config_static_selectorELNS0_4arch9wavefront6targetE1EEEvT1_.has_dyn_sized_stack, 0
	.set _ZN7rocprim17ROCPRIM_400000_NS6detail17trampoline_kernelINS0_14default_configENS1_20scan_config_selectorIfEEZZNS1_9scan_implILNS1_25lookback_scan_determinismE0ELb0ELb0ES3_PKfPffZZZN2at6native31launch_logcumsumexp_cuda_kernelERKNSB_10TensorBaseESF_lENKUlvE_clEvENKUlvE0_clEvEUlffE_fEEDaPvRmT3_T4_T5_mT6_P12ihipStream_tbENKUlT_T0_E_clISt17integral_constantIbLb0EESW_EEDaSR_SS_EUlSR_E_NS1_11comp_targetILNS1_3genE10ELNS1_11target_archE1201ELNS1_3gpuE5ELNS1_3repE0EEENS1_30default_config_static_selectorELNS0_4arch9wavefront6targetE1EEEvT1_.has_recursion, 0
	.set _ZN7rocprim17ROCPRIM_400000_NS6detail17trampoline_kernelINS0_14default_configENS1_20scan_config_selectorIfEEZZNS1_9scan_implILNS1_25lookback_scan_determinismE0ELb0ELb0ES3_PKfPffZZZN2at6native31launch_logcumsumexp_cuda_kernelERKNSB_10TensorBaseESF_lENKUlvE_clEvENKUlvE0_clEvEUlffE_fEEDaPvRmT3_T4_T5_mT6_P12ihipStream_tbENKUlT_T0_E_clISt17integral_constantIbLb0EESW_EEDaSR_SS_EUlSR_E_NS1_11comp_targetILNS1_3genE10ELNS1_11target_archE1201ELNS1_3gpuE5ELNS1_3repE0EEENS1_30default_config_static_selectorELNS0_4arch9wavefront6targetE1EEEvT1_.has_indirect_call, 0
	.section	.AMDGPU.csdata,"",@progbits
; Kernel info:
; codeLenInByte = 0
; TotalNumSgprs: 6
; NumVgprs: 0
; NumAgprs: 0
; TotalNumVgprs: 0
; ScratchSize: 0
; MemoryBound: 0
; FloatMode: 240
; IeeeMode: 1
; LDSByteSize: 0 bytes/workgroup (compile time only)
; SGPRBlocks: 0
; VGPRBlocks: 0
; NumSGPRsForWavesPerEU: 6
; NumVGPRsForWavesPerEU: 1
; AccumOffset: 4
; Occupancy: 8
; WaveLimiterHint : 0
; COMPUTE_PGM_RSRC2:SCRATCH_EN: 0
; COMPUTE_PGM_RSRC2:USER_SGPR: 2
; COMPUTE_PGM_RSRC2:TRAP_HANDLER: 0
; COMPUTE_PGM_RSRC2:TGID_X_EN: 1
; COMPUTE_PGM_RSRC2:TGID_Y_EN: 0
; COMPUTE_PGM_RSRC2:TGID_Z_EN: 0
; COMPUTE_PGM_RSRC2:TIDIG_COMP_CNT: 0
; COMPUTE_PGM_RSRC3_GFX90A:ACCUM_OFFSET: 0
; COMPUTE_PGM_RSRC3_GFX90A:TG_SPLIT: 0
	.section	.text._ZN7rocprim17ROCPRIM_400000_NS6detail17trampoline_kernelINS0_14default_configENS1_20scan_config_selectorIfEEZZNS1_9scan_implILNS1_25lookback_scan_determinismE0ELb0ELb0ES3_PKfPffZZZN2at6native31launch_logcumsumexp_cuda_kernelERKNSB_10TensorBaseESF_lENKUlvE_clEvENKUlvE0_clEvEUlffE_fEEDaPvRmT3_T4_T5_mT6_P12ihipStream_tbENKUlT_T0_E_clISt17integral_constantIbLb0EESW_EEDaSR_SS_EUlSR_E_NS1_11comp_targetILNS1_3genE10ELNS1_11target_archE1200ELNS1_3gpuE4ELNS1_3repE0EEENS1_30default_config_static_selectorELNS0_4arch9wavefront6targetE1EEEvT1_,"axG",@progbits,_ZN7rocprim17ROCPRIM_400000_NS6detail17trampoline_kernelINS0_14default_configENS1_20scan_config_selectorIfEEZZNS1_9scan_implILNS1_25lookback_scan_determinismE0ELb0ELb0ES3_PKfPffZZZN2at6native31launch_logcumsumexp_cuda_kernelERKNSB_10TensorBaseESF_lENKUlvE_clEvENKUlvE0_clEvEUlffE_fEEDaPvRmT3_T4_T5_mT6_P12ihipStream_tbENKUlT_T0_E_clISt17integral_constantIbLb0EESW_EEDaSR_SS_EUlSR_E_NS1_11comp_targetILNS1_3genE10ELNS1_11target_archE1200ELNS1_3gpuE4ELNS1_3repE0EEENS1_30default_config_static_selectorELNS0_4arch9wavefront6targetE1EEEvT1_,comdat
	.globl	_ZN7rocprim17ROCPRIM_400000_NS6detail17trampoline_kernelINS0_14default_configENS1_20scan_config_selectorIfEEZZNS1_9scan_implILNS1_25lookback_scan_determinismE0ELb0ELb0ES3_PKfPffZZZN2at6native31launch_logcumsumexp_cuda_kernelERKNSB_10TensorBaseESF_lENKUlvE_clEvENKUlvE0_clEvEUlffE_fEEDaPvRmT3_T4_T5_mT6_P12ihipStream_tbENKUlT_T0_E_clISt17integral_constantIbLb0EESW_EEDaSR_SS_EUlSR_E_NS1_11comp_targetILNS1_3genE10ELNS1_11target_archE1200ELNS1_3gpuE4ELNS1_3repE0EEENS1_30default_config_static_selectorELNS0_4arch9wavefront6targetE1EEEvT1_ ; -- Begin function _ZN7rocprim17ROCPRIM_400000_NS6detail17trampoline_kernelINS0_14default_configENS1_20scan_config_selectorIfEEZZNS1_9scan_implILNS1_25lookback_scan_determinismE0ELb0ELb0ES3_PKfPffZZZN2at6native31launch_logcumsumexp_cuda_kernelERKNSB_10TensorBaseESF_lENKUlvE_clEvENKUlvE0_clEvEUlffE_fEEDaPvRmT3_T4_T5_mT6_P12ihipStream_tbENKUlT_T0_E_clISt17integral_constantIbLb0EESW_EEDaSR_SS_EUlSR_E_NS1_11comp_targetILNS1_3genE10ELNS1_11target_archE1200ELNS1_3gpuE4ELNS1_3repE0EEENS1_30default_config_static_selectorELNS0_4arch9wavefront6targetE1EEEvT1_
	.p2align	8
	.type	_ZN7rocprim17ROCPRIM_400000_NS6detail17trampoline_kernelINS0_14default_configENS1_20scan_config_selectorIfEEZZNS1_9scan_implILNS1_25lookback_scan_determinismE0ELb0ELb0ES3_PKfPffZZZN2at6native31launch_logcumsumexp_cuda_kernelERKNSB_10TensorBaseESF_lENKUlvE_clEvENKUlvE0_clEvEUlffE_fEEDaPvRmT3_T4_T5_mT6_P12ihipStream_tbENKUlT_T0_E_clISt17integral_constantIbLb0EESW_EEDaSR_SS_EUlSR_E_NS1_11comp_targetILNS1_3genE10ELNS1_11target_archE1200ELNS1_3gpuE4ELNS1_3repE0EEENS1_30default_config_static_selectorELNS0_4arch9wavefront6targetE1EEEvT1_,@function
_ZN7rocprim17ROCPRIM_400000_NS6detail17trampoline_kernelINS0_14default_configENS1_20scan_config_selectorIfEEZZNS1_9scan_implILNS1_25lookback_scan_determinismE0ELb0ELb0ES3_PKfPffZZZN2at6native31launch_logcumsumexp_cuda_kernelERKNSB_10TensorBaseESF_lENKUlvE_clEvENKUlvE0_clEvEUlffE_fEEDaPvRmT3_T4_T5_mT6_P12ihipStream_tbENKUlT_T0_E_clISt17integral_constantIbLb0EESW_EEDaSR_SS_EUlSR_E_NS1_11comp_targetILNS1_3genE10ELNS1_11target_archE1200ELNS1_3gpuE4ELNS1_3repE0EEENS1_30default_config_static_selectorELNS0_4arch9wavefront6targetE1EEEvT1_: ; @_ZN7rocprim17ROCPRIM_400000_NS6detail17trampoline_kernelINS0_14default_configENS1_20scan_config_selectorIfEEZZNS1_9scan_implILNS1_25lookback_scan_determinismE0ELb0ELb0ES3_PKfPffZZZN2at6native31launch_logcumsumexp_cuda_kernelERKNSB_10TensorBaseESF_lENKUlvE_clEvENKUlvE0_clEvEUlffE_fEEDaPvRmT3_T4_T5_mT6_P12ihipStream_tbENKUlT_T0_E_clISt17integral_constantIbLb0EESW_EEDaSR_SS_EUlSR_E_NS1_11comp_targetILNS1_3genE10ELNS1_11target_archE1200ELNS1_3gpuE4ELNS1_3repE0EEENS1_30default_config_static_selectorELNS0_4arch9wavefront6targetE1EEEvT1_
; %bb.0:
	.section	.rodata,"a",@progbits
	.p2align	6, 0x0
	.amdhsa_kernel _ZN7rocprim17ROCPRIM_400000_NS6detail17trampoline_kernelINS0_14default_configENS1_20scan_config_selectorIfEEZZNS1_9scan_implILNS1_25lookback_scan_determinismE0ELb0ELb0ES3_PKfPffZZZN2at6native31launch_logcumsumexp_cuda_kernelERKNSB_10TensorBaseESF_lENKUlvE_clEvENKUlvE0_clEvEUlffE_fEEDaPvRmT3_T4_T5_mT6_P12ihipStream_tbENKUlT_T0_E_clISt17integral_constantIbLb0EESW_EEDaSR_SS_EUlSR_E_NS1_11comp_targetILNS1_3genE10ELNS1_11target_archE1200ELNS1_3gpuE4ELNS1_3repE0EEENS1_30default_config_static_selectorELNS0_4arch9wavefront6targetE1EEEvT1_
		.amdhsa_group_segment_fixed_size 0
		.amdhsa_private_segment_fixed_size 0
		.amdhsa_kernarg_size 96
		.amdhsa_user_sgpr_count 2
		.amdhsa_user_sgpr_dispatch_ptr 0
		.amdhsa_user_sgpr_queue_ptr 0
		.amdhsa_user_sgpr_kernarg_segment_ptr 1
		.amdhsa_user_sgpr_dispatch_id 0
		.amdhsa_user_sgpr_kernarg_preload_length 0
		.amdhsa_user_sgpr_kernarg_preload_offset 0
		.amdhsa_user_sgpr_private_segment_size 0
		.amdhsa_uses_dynamic_stack 0
		.amdhsa_enable_private_segment 0
		.amdhsa_system_sgpr_workgroup_id_x 1
		.amdhsa_system_sgpr_workgroup_id_y 0
		.amdhsa_system_sgpr_workgroup_id_z 0
		.amdhsa_system_sgpr_workgroup_info 0
		.amdhsa_system_vgpr_workitem_id 0
		.amdhsa_next_free_vgpr 1
		.amdhsa_next_free_sgpr 0
		.amdhsa_accum_offset 4
		.amdhsa_reserve_vcc 0
		.amdhsa_float_round_mode_32 0
		.amdhsa_float_round_mode_16_64 0
		.amdhsa_float_denorm_mode_32 3
		.amdhsa_float_denorm_mode_16_64 3
		.amdhsa_dx10_clamp 1
		.amdhsa_ieee_mode 1
		.amdhsa_fp16_overflow 0
		.amdhsa_tg_split 0
		.amdhsa_exception_fp_ieee_invalid_op 0
		.amdhsa_exception_fp_denorm_src 0
		.amdhsa_exception_fp_ieee_div_zero 0
		.amdhsa_exception_fp_ieee_overflow 0
		.amdhsa_exception_fp_ieee_underflow 0
		.amdhsa_exception_fp_ieee_inexact 0
		.amdhsa_exception_int_div_zero 0
	.end_amdhsa_kernel
	.section	.text._ZN7rocprim17ROCPRIM_400000_NS6detail17trampoline_kernelINS0_14default_configENS1_20scan_config_selectorIfEEZZNS1_9scan_implILNS1_25lookback_scan_determinismE0ELb0ELb0ES3_PKfPffZZZN2at6native31launch_logcumsumexp_cuda_kernelERKNSB_10TensorBaseESF_lENKUlvE_clEvENKUlvE0_clEvEUlffE_fEEDaPvRmT3_T4_T5_mT6_P12ihipStream_tbENKUlT_T0_E_clISt17integral_constantIbLb0EESW_EEDaSR_SS_EUlSR_E_NS1_11comp_targetILNS1_3genE10ELNS1_11target_archE1200ELNS1_3gpuE4ELNS1_3repE0EEENS1_30default_config_static_selectorELNS0_4arch9wavefront6targetE1EEEvT1_,"axG",@progbits,_ZN7rocprim17ROCPRIM_400000_NS6detail17trampoline_kernelINS0_14default_configENS1_20scan_config_selectorIfEEZZNS1_9scan_implILNS1_25lookback_scan_determinismE0ELb0ELb0ES3_PKfPffZZZN2at6native31launch_logcumsumexp_cuda_kernelERKNSB_10TensorBaseESF_lENKUlvE_clEvENKUlvE0_clEvEUlffE_fEEDaPvRmT3_T4_T5_mT6_P12ihipStream_tbENKUlT_T0_E_clISt17integral_constantIbLb0EESW_EEDaSR_SS_EUlSR_E_NS1_11comp_targetILNS1_3genE10ELNS1_11target_archE1200ELNS1_3gpuE4ELNS1_3repE0EEENS1_30default_config_static_selectorELNS0_4arch9wavefront6targetE1EEEvT1_,comdat
.Lfunc_end94:
	.size	_ZN7rocprim17ROCPRIM_400000_NS6detail17trampoline_kernelINS0_14default_configENS1_20scan_config_selectorIfEEZZNS1_9scan_implILNS1_25lookback_scan_determinismE0ELb0ELb0ES3_PKfPffZZZN2at6native31launch_logcumsumexp_cuda_kernelERKNSB_10TensorBaseESF_lENKUlvE_clEvENKUlvE0_clEvEUlffE_fEEDaPvRmT3_T4_T5_mT6_P12ihipStream_tbENKUlT_T0_E_clISt17integral_constantIbLb0EESW_EEDaSR_SS_EUlSR_E_NS1_11comp_targetILNS1_3genE10ELNS1_11target_archE1200ELNS1_3gpuE4ELNS1_3repE0EEENS1_30default_config_static_selectorELNS0_4arch9wavefront6targetE1EEEvT1_, .Lfunc_end94-_ZN7rocprim17ROCPRIM_400000_NS6detail17trampoline_kernelINS0_14default_configENS1_20scan_config_selectorIfEEZZNS1_9scan_implILNS1_25lookback_scan_determinismE0ELb0ELb0ES3_PKfPffZZZN2at6native31launch_logcumsumexp_cuda_kernelERKNSB_10TensorBaseESF_lENKUlvE_clEvENKUlvE0_clEvEUlffE_fEEDaPvRmT3_T4_T5_mT6_P12ihipStream_tbENKUlT_T0_E_clISt17integral_constantIbLb0EESW_EEDaSR_SS_EUlSR_E_NS1_11comp_targetILNS1_3genE10ELNS1_11target_archE1200ELNS1_3gpuE4ELNS1_3repE0EEENS1_30default_config_static_selectorELNS0_4arch9wavefront6targetE1EEEvT1_
                                        ; -- End function
	.set _ZN7rocprim17ROCPRIM_400000_NS6detail17trampoline_kernelINS0_14default_configENS1_20scan_config_selectorIfEEZZNS1_9scan_implILNS1_25lookback_scan_determinismE0ELb0ELb0ES3_PKfPffZZZN2at6native31launch_logcumsumexp_cuda_kernelERKNSB_10TensorBaseESF_lENKUlvE_clEvENKUlvE0_clEvEUlffE_fEEDaPvRmT3_T4_T5_mT6_P12ihipStream_tbENKUlT_T0_E_clISt17integral_constantIbLb0EESW_EEDaSR_SS_EUlSR_E_NS1_11comp_targetILNS1_3genE10ELNS1_11target_archE1200ELNS1_3gpuE4ELNS1_3repE0EEENS1_30default_config_static_selectorELNS0_4arch9wavefront6targetE1EEEvT1_.num_vgpr, 0
	.set _ZN7rocprim17ROCPRIM_400000_NS6detail17trampoline_kernelINS0_14default_configENS1_20scan_config_selectorIfEEZZNS1_9scan_implILNS1_25lookback_scan_determinismE0ELb0ELb0ES3_PKfPffZZZN2at6native31launch_logcumsumexp_cuda_kernelERKNSB_10TensorBaseESF_lENKUlvE_clEvENKUlvE0_clEvEUlffE_fEEDaPvRmT3_T4_T5_mT6_P12ihipStream_tbENKUlT_T0_E_clISt17integral_constantIbLb0EESW_EEDaSR_SS_EUlSR_E_NS1_11comp_targetILNS1_3genE10ELNS1_11target_archE1200ELNS1_3gpuE4ELNS1_3repE0EEENS1_30default_config_static_selectorELNS0_4arch9wavefront6targetE1EEEvT1_.num_agpr, 0
	.set _ZN7rocprim17ROCPRIM_400000_NS6detail17trampoline_kernelINS0_14default_configENS1_20scan_config_selectorIfEEZZNS1_9scan_implILNS1_25lookback_scan_determinismE0ELb0ELb0ES3_PKfPffZZZN2at6native31launch_logcumsumexp_cuda_kernelERKNSB_10TensorBaseESF_lENKUlvE_clEvENKUlvE0_clEvEUlffE_fEEDaPvRmT3_T4_T5_mT6_P12ihipStream_tbENKUlT_T0_E_clISt17integral_constantIbLb0EESW_EEDaSR_SS_EUlSR_E_NS1_11comp_targetILNS1_3genE10ELNS1_11target_archE1200ELNS1_3gpuE4ELNS1_3repE0EEENS1_30default_config_static_selectorELNS0_4arch9wavefront6targetE1EEEvT1_.numbered_sgpr, 0
	.set _ZN7rocprim17ROCPRIM_400000_NS6detail17trampoline_kernelINS0_14default_configENS1_20scan_config_selectorIfEEZZNS1_9scan_implILNS1_25lookback_scan_determinismE0ELb0ELb0ES3_PKfPffZZZN2at6native31launch_logcumsumexp_cuda_kernelERKNSB_10TensorBaseESF_lENKUlvE_clEvENKUlvE0_clEvEUlffE_fEEDaPvRmT3_T4_T5_mT6_P12ihipStream_tbENKUlT_T0_E_clISt17integral_constantIbLb0EESW_EEDaSR_SS_EUlSR_E_NS1_11comp_targetILNS1_3genE10ELNS1_11target_archE1200ELNS1_3gpuE4ELNS1_3repE0EEENS1_30default_config_static_selectorELNS0_4arch9wavefront6targetE1EEEvT1_.num_named_barrier, 0
	.set _ZN7rocprim17ROCPRIM_400000_NS6detail17trampoline_kernelINS0_14default_configENS1_20scan_config_selectorIfEEZZNS1_9scan_implILNS1_25lookback_scan_determinismE0ELb0ELb0ES3_PKfPffZZZN2at6native31launch_logcumsumexp_cuda_kernelERKNSB_10TensorBaseESF_lENKUlvE_clEvENKUlvE0_clEvEUlffE_fEEDaPvRmT3_T4_T5_mT6_P12ihipStream_tbENKUlT_T0_E_clISt17integral_constantIbLb0EESW_EEDaSR_SS_EUlSR_E_NS1_11comp_targetILNS1_3genE10ELNS1_11target_archE1200ELNS1_3gpuE4ELNS1_3repE0EEENS1_30default_config_static_selectorELNS0_4arch9wavefront6targetE1EEEvT1_.private_seg_size, 0
	.set _ZN7rocprim17ROCPRIM_400000_NS6detail17trampoline_kernelINS0_14default_configENS1_20scan_config_selectorIfEEZZNS1_9scan_implILNS1_25lookback_scan_determinismE0ELb0ELb0ES3_PKfPffZZZN2at6native31launch_logcumsumexp_cuda_kernelERKNSB_10TensorBaseESF_lENKUlvE_clEvENKUlvE0_clEvEUlffE_fEEDaPvRmT3_T4_T5_mT6_P12ihipStream_tbENKUlT_T0_E_clISt17integral_constantIbLb0EESW_EEDaSR_SS_EUlSR_E_NS1_11comp_targetILNS1_3genE10ELNS1_11target_archE1200ELNS1_3gpuE4ELNS1_3repE0EEENS1_30default_config_static_selectorELNS0_4arch9wavefront6targetE1EEEvT1_.uses_vcc, 0
	.set _ZN7rocprim17ROCPRIM_400000_NS6detail17trampoline_kernelINS0_14default_configENS1_20scan_config_selectorIfEEZZNS1_9scan_implILNS1_25lookback_scan_determinismE0ELb0ELb0ES3_PKfPffZZZN2at6native31launch_logcumsumexp_cuda_kernelERKNSB_10TensorBaseESF_lENKUlvE_clEvENKUlvE0_clEvEUlffE_fEEDaPvRmT3_T4_T5_mT6_P12ihipStream_tbENKUlT_T0_E_clISt17integral_constantIbLb0EESW_EEDaSR_SS_EUlSR_E_NS1_11comp_targetILNS1_3genE10ELNS1_11target_archE1200ELNS1_3gpuE4ELNS1_3repE0EEENS1_30default_config_static_selectorELNS0_4arch9wavefront6targetE1EEEvT1_.uses_flat_scratch, 0
	.set _ZN7rocprim17ROCPRIM_400000_NS6detail17trampoline_kernelINS0_14default_configENS1_20scan_config_selectorIfEEZZNS1_9scan_implILNS1_25lookback_scan_determinismE0ELb0ELb0ES3_PKfPffZZZN2at6native31launch_logcumsumexp_cuda_kernelERKNSB_10TensorBaseESF_lENKUlvE_clEvENKUlvE0_clEvEUlffE_fEEDaPvRmT3_T4_T5_mT6_P12ihipStream_tbENKUlT_T0_E_clISt17integral_constantIbLb0EESW_EEDaSR_SS_EUlSR_E_NS1_11comp_targetILNS1_3genE10ELNS1_11target_archE1200ELNS1_3gpuE4ELNS1_3repE0EEENS1_30default_config_static_selectorELNS0_4arch9wavefront6targetE1EEEvT1_.has_dyn_sized_stack, 0
	.set _ZN7rocprim17ROCPRIM_400000_NS6detail17trampoline_kernelINS0_14default_configENS1_20scan_config_selectorIfEEZZNS1_9scan_implILNS1_25lookback_scan_determinismE0ELb0ELb0ES3_PKfPffZZZN2at6native31launch_logcumsumexp_cuda_kernelERKNSB_10TensorBaseESF_lENKUlvE_clEvENKUlvE0_clEvEUlffE_fEEDaPvRmT3_T4_T5_mT6_P12ihipStream_tbENKUlT_T0_E_clISt17integral_constantIbLb0EESW_EEDaSR_SS_EUlSR_E_NS1_11comp_targetILNS1_3genE10ELNS1_11target_archE1200ELNS1_3gpuE4ELNS1_3repE0EEENS1_30default_config_static_selectorELNS0_4arch9wavefront6targetE1EEEvT1_.has_recursion, 0
	.set _ZN7rocprim17ROCPRIM_400000_NS6detail17trampoline_kernelINS0_14default_configENS1_20scan_config_selectorIfEEZZNS1_9scan_implILNS1_25lookback_scan_determinismE0ELb0ELb0ES3_PKfPffZZZN2at6native31launch_logcumsumexp_cuda_kernelERKNSB_10TensorBaseESF_lENKUlvE_clEvENKUlvE0_clEvEUlffE_fEEDaPvRmT3_T4_T5_mT6_P12ihipStream_tbENKUlT_T0_E_clISt17integral_constantIbLb0EESW_EEDaSR_SS_EUlSR_E_NS1_11comp_targetILNS1_3genE10ELNS1_11target_archE1200ELNS1_3gpuE4ELNS1_3repE0EEENS1_30default_config_static_selectorELNS0_4arch9wavefront6targetE1EEEvT1_.has_indirect_call, 0
	.section	.AMDGPU.csdata,"",@progbits
; Kernel info:
; codeLenInByte = 0
; TotalNumSgprs: 6
; NumVgprs: 0
; NumAgprs: 0
; TotalNumVgprs: 0
; ScratchSize: 0
; MemoryBound: 0
; FloatMode: 240
; IeeeMode: 1
; LDSByteSize: 0 bytes/workgroup (compile time only)
; SGPRBlocks: 0
; VGPRBlocks: 0
; NumSGPRsForWavesPerEU: 6
; NumVGPRsForWavesPerEU: 1
; AccumOffset: 4
; Occupancy: 8
; WaveLimiterHint : 0
; COMPUTE_PGM_RSRC2:SCRATCH_EN: 0
; COMPUTE_PGM_RSRC2:USER_SGPR: 2
; COMPUTE_PGM_RSRC2:TRAP_HANDLER: 0
; COMPUTE_PGM_RSRC2:TGID_X_EN: 1
; COMPUTE_PGM_RSRC2:TGID_Y_EN: 0
; COMPUTE_PGM_RSRC2:TGID_Z_EN: 0
; COMPUTE_PGM_RSRC2:TIDIG_COMP_CNT: 0
; COMPUTE_PGM_RSRC3_GFX90A:ACCUM_OFFSET: 0
; COMPUTE_PGM_RSRC3_GFX90A:TG_SPLIT: 0
	.section	.text._ZN7rocprim17ROCPRIM_400000_NS6detail17trampoline_kernelINS0_14default_configENS1_20scan_config_selectorIfEEZZNS1_9scan_implILNS1_25lookback_scan_determinismE0ELb0ELb0ES3_PKfPffZZZN2at6native31launch_logcumsumexp_cuda_kernelERKNSB_10TensorBaseESF_lENKUlvE_clEvENKUlvE0_clEvEUlffE_fEEDaPvRmT3_T4_T5_mT6_P12ihipStream_tbENKUlT_T0_E_clISt17integral_constantIbLb0EESW_EEDaSR_SS_EUlSR_E_NS1_11comp_targetILNS1_3genE9ELNS1_11target_archE1100ELNS1_3gpuE3ELNS1_3repE0EEENS1_30default_config_static_selectorELNS0_4arch9wavefront6targetE1EEEvT1_,"axG",@progbits,_ZN7rocprim17ROCPRIM_400000_NS6detail17trampoline_kernelINS0_14default_configENS1_20scan_config_selectorIfEEZZNS1_9scan_implILNS1_25lookback_scan_determinismE0ELb0ELb0ES3_PKfPffZZZN2at6native31launch_logcumsumexp_cuda_kernelERKNSB_10TensorBaseESF_lENKUlvE_clEvENKUlvE0_clEvEUlffE_fEEDaPvRmT3_T4_T5_mT6_P12ihipStream_tbENKUlT_T0_E_clISt17integral_constantIbLb0EESW_EEDaSR_SS_EUlSR_E_NS1_11comp_targetILNS1_3genE9ELNS1_11target_archE1100ELNS1_3gpuE3ELNS1_3repE0EEENS1_30default_config_static_selectorELNS0_4arch9wavefront6targetE1EEEvT1_,comdat
	.globl	_ZN7rocprim17ROCPRIM_400000_NS6detail17trampoline_kernelINS0_14default_configENS1_20scan_config_selectorIfEEZZNS1_9scan_implILNS1_25lookback_scan_determinismE0ELb0ELb0ES3_PKfPffZZZN2at6native31launch_logcumsumexp_cuda_kernelERKNSB_10TensorBaseESF_lENKUlvE_clEvENKUlvE0_clEvEUlffE_fEEDaPvRmT3_T4_T5_mT6_P12ihipStream_tbENKUlT_T0_E_clISt17integral_constantIbLb0EESW_EEDaSR_SS_EUlSR_E_NS1_11comp_targetILNS1_3genE9ELNS1_11target_archE1100ELNS1_3gpuE3ELNS1_3repE0EEENS1_30default_config_static_selectorELNS0_4arch9wavefront6targetE1EEEvT1_ ; -- Begin function _ZN7rocprim17ROCPRIM_400000_NS6detail17trampoline_kernelINS0_14default_configENS1_20scan_config_selectorIfEEZZNS1_9scan_implILNS1_25lookback_scan_determinismE0ELb0ELb0ES3_PKfPffZZZN2at6native31launch_logcumsumexp_cuda_kernelERKNSB_10TensorBaseESF_lENKUlvE_clEvENKUlvE0_clEvEUlffE_fEEDaPvRmT3_T4_T5_mT6_P12ihipStream_tbENKUlT_T0_E_clISt17integral_constantIbLb0EESW_EEDaSR_SS_EUlSR_E_NS1_11comp_targetILNS1_3genE9ELNS1_11target_archE1100ELNS1_3gpuE3ELNS1_3repE0EEENS1_30default_config_static_selectorELNS0_4arch9wavefront6targetE1EEEvT1_
	.p2align	8
	.type	_ZN7rocprim17ROCPRIM_400000_NS6detail17trampoline_kernelINS0_14default_configENS1_20scan_config_selectorIfEEZZNS1_9scan_implILNS1_25lookback_scan_determinismE0ELb0ELb0ES3_PKfPffZZZN2at6native31launch_logcumsumexp_cuda_kernelERKNSB_10TensorBaseESF_lENKUlvE_clEvENKUlvE0_clEvEUlffE_fEEDaPvRmT3_T4_T5_mT6_P12ihipStream_tbENKUlT_T0_E_clISt17integral_constantIbLb0EESW_EEDaSR_SS_EUlSR_E_NS1_11comp_targetILNS1_3genE9ELNS1_11target_archE1100ELNS1_3gpuE3ELNS1_3repE0EEENS1_30default_config_static_selectorELNS0_4arch9wavefront6targetE1EEEvT1_,@function
_ZN7rocprim17ROCPRIM_400000_NS6detail17trampoline_kernelINS0_14default_configENS1_20scan_config_selectorIfEEZZNS1_9scan_implILNS1_25lookback_scan_determinismE0ELb0ELb0ES3_PKfPffZZZN2at6native31launch_logcumsumexp_cuda_kernelERKNSB_10TensorBaseESF_lENKUlvE_clEvENKUlvE0_clEvEUlffE_fEEDaPvRmT3_T4_T5_mT6_P12ihipStream_tbENKUlT_T0_E_clISt17integral_constantIbLb0EESW_EEDaSR_SS_EUlSR_E_NS1_11comp_targetILNS1_3genE9ELNS1_11target_archE1100ELNS1_3gpuE3ELNS1_3repE0EEENS1_30default_config_static_selectorELNS0_4arch9wavefront6targetE1EEEvT1_: ; @_ZN7rocprim17ROCPRIM_400000_NS6detail17trampoline_kernelINS0_14default_configENS1_20scan_config_selectorIfEEZZNS1_9scan_implILNS1_25lookback_scan_determinismE0ELb0ELb0ES3_PKfPffZZZN2at6native31launch_logcumsumexp_cuda_kernelERKNSB_10TensorBaseESF_lENKUlvE_clEvENKUlvE0_clEvEUlffE_fEEDaPvRmT3_T4_T5_mT6_P12ihipStream_tbENKUlT_T0_E_clISt17integral_constantIbLb0EESW_EEDaSR_SS_EUlSR_E_NS1_11comp_targetILNS1_3genE9ELNS1_11target_archE1100ELNS1_3gpuE3ELNS1_3repE0EEENS1_30default_config_static_selectorELNS0_4arch9wavefront6targetE1EEEvT1_
; %bb.0:
	.section	.rodata,"a",@progbits
	.p2align	6, 0x0
	.amdhsa_kernel _ZN7rocprim17ROCPRIM_400000_NS6detail17trampoline_kernelINS0_14default_configENS1_20scan_config_selectorIfEEZZNS1_9scan_implILNS1_25lookback_scan_determinismE0ELb0ELb0ES3_PKfPffZZZN2at6native31launch_logcumsumexp_cuda_kernelERKNSB_10TensorBaseESF_lENKUlvE_clEvENKUlvE0_clEvEUlffE_fEEDaPvRmT3_T4_T5_mT6_P12ihipStream_tbENKUlT_T0_E_clISt17integral_constantIbLb0EESW_EEDaSR_SS_EUlSR_E_NS1_11comp_targetILNS1_3genE9ELNS1_11target_archE1100ELNS1_3gpuE3ELNS1_3repE0EEENS1_30default_config_static_selectorELNS0_4arch9wavefront6targetE1EEEvT1_
		.amdhsa_group_segment_fixed_size 0
		.amdhsa_private_segment_fixed_size 0
		.amdhsa_kernarg_size 96
		.amdhsa_user_sgpr_count 2
		.amdhsa_user_sgpr_dispatch_ptr 0
		.amdhsa_user_sgpr_queue_ptr 0
		.amdhsa_user_sgpr_kernarg_segment_ptr 1
		.amdhsa_user_sgpr_dispatch_id 0
		.amdhsa_user_sgpr_kernarg_preload_length 0
		.amdhsa_user_sgpr_kernarg_preload_offset 0
		.amdhsa_user_sgpr_private_segment_size 0
		.amdhsa_uses_dynamic_stack 0
		.amdhsa_enable_private_segment 0
		.amdhsa_system_sgpr_workgroup_id_x 1
		.amdhsa_system_sgpr_workgroup_id_y 0
		.amdhsa_system_sgpr_workgroup_id_z 0
		.amdhsa_system_sgpr_workgroup_info 0
		.amdhsa_system_vgpr_workitem_id 0
		.amdhsa_next_free_vgpr 1
		.amdhsa_next_free_sgpr 0
		.amdhsa_accum_offset 4
		.amdhsa_reserve_vcc 0
		.amdhsa_float_round_mode_32 0
		.amdhsa_float_round_mode_16_64 0
		.amdhsa_float_denorm_mode_32 3
		.amdhsa_float_denorm_mode_16_64 3
		.amdhsa_dx10_clamp 1
		.amdhsa_ieee_mode 1
		.amdhsa_fp16_overflow 0
		.amdhsa_tg_split 0
		.amdhsa_exception_fp_ieee_invalid_op 0
		.amdhsa_exception_fp_denorm_src 0
		.amdhsa_exception_fp_ieee_div_zero 0
		.amdhsa_exception_fp_ieee_overflow 0
		.amdhsa_exception_fp_ieee_underflow 0
		.amdhsa_exception_fp_ieee_inexact 0
		.amdhsa_exception_int_div_zero 0
	.end_amdhsa_kernel
	.section	.text._ZN7rocprim17ROCPRIM_400000_NS6detail17trampoline_kernelINS0_14default_configENS1_20scan_config_selectorIfEEZZNS1_9scan_implILNS1_25lookback_scan_determinismE0ELb0ELb0ES3_PKfPffZZZN2at6native31launch_logcumsumexp_cuda_kernelERKNSB_10TensorBaseESF_lENKUlvE_clEvENKUlvE0_clEvEUlffE_fEEDaPvRmT3_T4_T5_mT6_P12ihipStream_tbENKUlT_T0_E_clISt17integral_constantIbLb0EESW_EEDaSR_SS_EUlSR_E_NS1_11comp_targetILNS1_3genE9ELNS1_11target_archE1100ELNS1_3gpuE3ELNS1_3repE0EEENS1_30default_config_static_selectorELNS0_4arch9wavefront6targetE1EEEvT1_,"axG",@progbits,_ZN7rocprim17ROCPRIM_400000_NS6detail17trampoline_kernelINS0_14default_configENS1_20scan_config_selectorIfEEZZNS1_9scan_implILNS1_25lookback_scan_determinismE0ELb0ELb0ES3_PKfPffZZZN2at6native31launch_logcumsumexp_cuda_kernelERKNSB_10TensorBaseESF_lENKUlvE_clEvENKUlvE0_clEvEUlffE_fEEDaPvRmT3_T4_T5_mT6_P12ihipStream_tbENKUlT_T0_E_clISt17integral_constantIbLb0EESW_EEDaSR_SS_EUlSR_E_NS1_11comp_targetILNS1_3genE9ELNS1_11target_archE1100ELNS1_3gpuE3ELNS1_3repE0EEENS1_30default_config_static_selectorELNS0_4arch9wavefront6targetE1EEEvT1_,comdat
.Lfunc_end95:
	.size	_ZN7rocprim17ROCPRIM_400000_NS6detail17trampoline_kernelINS0_14default_configENS1_20scan_config_selectorIfEEZZNS1_9scan_implILNS1_25lookback_scan_determinismE0ELb0ELb0ES3_PKfPffZZZN2at6native31launch_logcumsumexp_cuda_kernelERKNSB_10TensorBaseESF_lENKUlvE_clEvENKUlvE0_clEvEUlffE_fEEDaPvRmT3_T4_T5_mT6_P12ihipStream_tbENKUlT_T0_E_clISt17integral_constantIbLb0EESW_EEDaSR_SS_EUlSR_E_NS1_11comp_targetILNS1_3genE9ELNS1_11target_archE1100ELNS1_3gpuE3ELNS1_3repE0EEENS1_30default_config_static_selectorELNS0_4arch9wavefront6targetE1EEEvT1_, .Lfunc_end95-_ZN7rocprim17ROCPRIM_400000_NS6detail17trampoline_kernelINS0_14default_configENS1_20scan_config_selectorIfEEZZNS1_9scan_implILNS1_25lookback_scan_determinismE0ELb0ELb0ES3_PKfPffZZZN2at6native31launch_logcumsumexp_cuda_kernelERKNSB_10TensorBaseESF_lENKUlvE_clEvENKUlvE0_clEvEUlffE_fEEDaPvRmT3_T4_T5_mT6_P12ihipStream_tbENKUlT_T0_E_clISt17integral_constantIbLb0EESW_EEDaSR_SS_EUlSR_E_NS1_11comp_targetILNS1_3genE9ELNS1_11target_archE1100ELNS1_3gpuE3ELNS1_3repE0EEENS1_30default_config_static_selectorELNS0_4arch9wavefront6targetE1EEEvT1_
                                        ; -- End function
	.set _ZN7rocprim17ROCPRIM_400000_NS6detail17trampoline_kernelINS0_14default_configENS1_20scan_config_selectorIfEEZZNS1_9scan_implILNS1_25lookback_scan_determinismE0ELb0ELb0ES3_PKfPffZZZN2at6native31launch_logcumsumexp_cuda_kernelERKNSB_10TensorBaseESF_lENKUlvE_clEvENKUlvE0_clEvEUlffE_fEEDaPvRmT3_T4_T5_mT6_P12ihipStream_tbENKUlT_T0_E_clISt17integral_constantIbLb0EESW_EEDaSR_SS_EUlSR_E_NS1_11comp_targetILNS1_3genE9ELNS1_11target_archE1100ELNS1_3gpuE3ELNS1_3repE0EEENS1_30default_config_static_selectorELNS0_4arch9wavefront6targetE1EEEvT1_.num_vgpr, 0
	.set _ZN7rocprim17ROCPRIM_400000_NS6detail17trampoline_kernelINS0_14default_configENS1_20scan_config_selectorIfEEZZNS1_9scan_implILNS1_25lookback_scan_determinismE0ELb0ELb0ES3_PKfPffZZZN2at6native31launch_logcumsumexp_cuda_kernelERKNSB_10TensorBaseESF_lENKUlvE_clEvENKUlvE0_clEvEUlffE_fEEDaPvRmT3_T4_T5_mT6_P12ihipStream_tbENKUlT_T0_E_clISt17integral_constantIbLb0EESW_EEDaSR_SS_EUlSR_E_NS1_11comp_targetILNS1_3genE9ELNS1_11target_archE1100ELNS1_3gpuE3ELNS1_3repE0EEENS1_30default_config_static_selectorELNS0_4arch9wavefront6targetE1EEEvT1_.num_agpr, 0
	.set _ZN7rocprim17ROCPRIM_400000_NS6detail17trampoline_kernelINS0_14default_configENS1_20scan_config_selectorIfEEZZNS1_9scan_implILNS1_25lookback_scan_determinismE0ELb0ELb0ES3_PKfPffZZZN2at6native31launch_logcumsumexp_cuda_kernelERKNSB_10TensorBaseESF_lENKUlvE_clEvENKUlvE0_clEvEUlffE_fEEDaPvRmT3_T4_T5_mT6_P12ihipStream_tbENKUlT_T0_E_clISt17integral_constantIbLb0EESW_EEDaSR_SS_EUlSR_E_NS1_11comp_targetILNS1_3genE9ELNS1_11target_archE1100ELNS1_3gpuE3ELNS1_3repE0EEENS1_30default_config_static_selectorELNS0_4arch9wavefront6targetE1EEEvT1_.numbered_sgpr, 0
	.set _ZN7rocprim17ROCPRIM_400000_NS6detail17trampoline_kernelINS0_14default_configENS1_20scan_config_selectorIfEEZZNS1_9scan_implILNS1_25lookback_scan_determinismE0ELb0ELb0ES3_PKfPffZZZN2at6native31launch_logcumsumexp_cuda_kernelERKNSB_10TensorBaseESF_lENKUlvE_clEvENKUlvE0_clEvEUlffE_fEEDaPvRmT3_T4_T5_mT6_P12ihipStream_tbENKUlT_T0_E_clISt17integral_constantIbLb0EESW_EEDaSR_SS_EUlSR_E_NS1_11comp_targetILNS1_3genE9ELNS1_11target_archE1100ELNS1_3gpuE3ELNS1_3repE0EEENS1_30default_config_static_selectorELNS0_4arch9wavefront6targetE1EEEvT1_.num_named_barrier, 0
	.set _ZN7rocprim17ROCPRIM_400000_NS6detail17trampoline_kernelINS0_14default_configENS1_20scan_config_selectorIfEEZZNS1_9scan_implILNS1_25lookback_scan_determinismE0ELb0ELb0ES3_PKfPffZZZN2at6native31launch_logcumsumexp_cuda_kernelERKNSB_10TensorBaseESF_lENKUlvE_clEvENKUlvE0_clEvEUlffE_fEEDaPvRmT3_T4_T5_mT6_P12ihipStream_tbENKUlT_T0_E_clISt17integral_constantIbLb0EESW_EEDaSR_SS_EUlSR_E_NS1_11comp_targetILNS1_3genE9ELNS1_11target_archE1100ELNS1_3gpuE3ELNS1_3repE0EEENS1_30default_config_static_selectorELNS0_4arch9wavefront6targetE1EEEvT1_.private_seg_size, 0
	.set _ZN7rocprim17ROCPRIM_400000_NS6detail17trampoline_kernelINS0_14default_configENS1_20scan_config_selectorIfEEZZNS1_9scan_implILNS1_25lookback_scan_determinismE0ELb0ELb0ES3_PKfPffZZZN2at6native31launch_logcumsumexp_cuda_kernelERKNSB_10TensorBaseESF_lENKUlvE_clEvENKUlvE0_clEvEUlffE_fEEDaPvRmT3_T4_T5_mT6_P12ihipStream_tbENKUlT_T0_E_clISt17integral_constantIbLb0EESW_EEDaSR_SS_EUlSR_E_NS1_11comp_targetILNS1_3genE9ELNS1_11target_archE1100ELNS1_3gpuE3ELNS1_3repE0EEENS1_30default_config_static_selectorELNS0_4arch9wavefront6targetE1EEEvT1_.uses_vcc, 0
	.set _ZN7rocprim17ROCPRIM_400000_NS6detail17trampoline_kernelINS0_14default_configENS1_20scan_config_selectorIfEEZZNS1_9scan_implILNS1_25lookback_scan_determinismE0ELb0ELb0ES3_PKfPffZZZN2at6native31launch_logcumsumexp_cuda_kernelERKNSB_10TensorBaseESF_lENKUlvE_clEvENKUlvE0_clEvEUlffE_fEEDaPvRmT3_T4_T5_mT6_P12ihipStream_tbENKUlT_T0_E_clISt17integral_constantIbLb0EESW_EEDaSR_SS_EUlSR_E_NS1_11comp_targetILNS1_3genE9ELNS1_11target_archE1100ELNS1_3gpuE3ELNS1_3repE0EEENS1_30default_config_static_selectorELNS0_4arch9wavefront6targetE1EEEvT1_.uses_flat_scratch, 0
	.set _ZN7rocprim17ROCPRIM_400000_NS6detail17trampoline_kernelINS0_14default_configENS1_20scan_config_selectorIfEEZZNS1_9scan_implILNS1_25lookback_scan_determinismE0ELb0ELb0ES3_PKfPffZZZN2at6native31launch_logcumsumexp_cuda_kernelERKNSB_10TensorBaseESF_lENKUlvE_clEvENKUlvE0_clEvEUlffE_fEEDaPvRmT3_T4_T5_mT6_P12ihipStream_tbENKUlT_T0_E_clISt17integral_constantIbLb0EESW_EEDaSR_SS_EUlSR_E_NS1_11comp_targetILNS1_3genE9ELNS1_11target_archE1100ELNS1_3gpuE3ELNS1_3repE0EEENS1_30default_config_static_selectorELNS0_4arch9wavefront6targetE1EEEvT1_.has_dyn_sized_stack, 0
	.set _ZN7rocprim17ROCPRIM_400000_NS6detail17trampoline_kernelINS0_14default_configENS1_20scan_config_selectorIfEEZZNS1_9scan_implILNS1_25lookback_scan_determinismE0ELb0ELb0ES3_PKfPffZZZN2at6native31launch_logcumsumexp_cuda_kernelERKNSB_10TensorBaseESF_lENKUlvE_clEvENKUlvE0_clEvEUlffE_fEEDaPvRmT3_T4_T5_mT6_P12ihipStream_tbENKUlT_T0_E_clISt17integral_constantIbLb0EESW_EEDaSR_SS_EUlSR_E_NS1_11comp_targetILNS1_3genE9ELNS1_11target_archE1100ELNS1_3gpuE3ELNS1_3repE0EEENS1_30default_config_static_selectorELNS0_4arch9wavefront6targetE1EEEvT1_.has_recursion, 0
	.set _ZN7rocprim17ROCPRIM_400000_NS6detail17trampoline_kernelINS0_14default_configENS1_20scan_config_selectorIfEEZZNS1_9scan_implILNS1_25lookback_scan_determinismE0ELb0ELb0ES3_PKfPffZZZN2at6native31launch_logcumsumexp_cuda_kernelERKNSB_10TensorBaseESF_lENKUlvE_clEvENKUlvE0_clEvEUlffE_fEEDaPvRmT3_T4_T5_mT6_P12ihipStream_tbENKUlT_T0_E_clISt17integral_constantIbLb0EESW_EEDaSR_SS_EUlSR_E_NS1_11comp_targetILNS1_3genE9ELNS1_11target_archE1100ELNS1_3gpuE3ELNS1_3repE0EEENS1_30default_config_static_selectorELNS0_4arch9wavefront6targetE1EEEvT1_.has_indirect_call, 0
	.section	.AMDGPU.csdata,"",@progbits
; Kernel info:
; codeLenInByte = 0
; TotalNumSgprs: 6
; NumVgprs: 0
; NumAgprs: 0
; TotalNumVgprs: 0
; ScratchSize: 0
; MemoryBound: 0
; FloatMode: 240
; IeeeMode: 1
; LDSByteSize: 0 bytes/workgroup (compile time only)
; SGPRBlocks: 0
; VGPRBlocks: 0
; NumSGPRsForWavesPerEU: 6
; NumVGPRsForWavesPerEU: 1
; AccumOffset: 4
; Occupancy: 8
; WaveLimiterHint : 0
; COMPUTE_PGM_RSRC2:SCRATCH_EN: 0
; COMPUTE_PGM_RSRC2:USER_SGPR: 2
; COMPUTE_PGM_RSRC2:TRAP_HANDLER: 0
; COMPUTE_PGM_RSRC2:TGID_X_EN: 1
; COMPUTE_PGM_RSRC2:TGID_Y_EN: 0
; COMPUTE_PGM_RSRC2:TGID_Z_EN: 0
; COMPUTE_PGM_RSRC2:TIDIG_COMP_CNT: 0
; COMPUTE_PGM_RSRC3_GFX90A:ACCUM_OFFSET: 0
; COMPUTE_PGM_RSRC3_GFX90A:TG_SPLIT: 0
	.section	.text._ZN7rocprim17ROCPRIM_400000_NS6detail17trampoline_kernelINS0_14default_configENS1_20scan_config_selectorIfEEZZNS1_9scan_implILNS1_25lookback_scan_determinismE0ELb0ELb0ES3_PKfPffZZZN2at6native31launch_logcumsumexp_cuda_kernelERKNSB_10TensorBaseESF_lENKUlvE_clEvENKUlvE0_clEvEUlffE_fEEDaPvRmT3_T4_T5_mT6_P12ihipStream_tbENKUlT_T0_E_clISt17integral_constantIbLb0EESW_EEDaSR_SS_EUlSR_E_NS1_11comp_targetILNS1_3genE8ELNS1_11target_archE1030ELNS1_3gpuE2ELNS1_3repE0EEENS1_30default_config_static_selectorELNS0_4arch9wavefront6targetE1EEEvT1_,"axG",@progbits,_ZN7rocprim17ROCPRIM_400000_NS6detail17trampoline_kernelINS0_14default_configENS1_20scan_config_selectorIfEEZZNS1_9scan_implILNS1_25lookback_scan_determinismE0ELb0ELb0ES3_PKfPffZZZN2at6native31launch_logcumsumexp_cuda_kernelERKNSB_10TensorBaseESF_lENKUlvE_clEvENKUlvE0_clEvEUlffE_fEEDaPvRmT3_T4_T5_mT6_P12ihipStream_tbENKUlT_T0_E_clISt17integral_constantIbLb0EESW_EEDaSR_SS_EUlSR_E_NS1_11comp_targetILNS1_3genE8ELNS1_11target_archE1030ELNS1_3gpuE2ELNS1_3repE0EEENS1_30default_config_static_selectorELNS0_4arch9wavefront6targetE1EEEvT1_,comdat
	.globl	_ZN7rocprim17ROCPRIM_400000_NS6detail17trampoline_kernelINS0_14default_configENS1_20scan_config_selectorIfEEZZNS1_9scan_implILNS1_25lookback_scan_determinismE0ELb0ELb0ES3_PKfPffZZZN2at6native31launch_logcumsumexp_cuda_kernelERKNSB_10TensorBaseESF_lENKUlvE_clEvENKUlvE0_clEvEUlffE_fEEDaPvRmT3_T4_T5_mT6_P12ihipStream_tbENKUlT_T0_E_clISt17integral_constantIbLb0EESW_EEDaSR_SS_EUlSR_E_NS1_11comp_targetILNS1_3genE8ELNS1_11target_archE1030ELNS1_3gpuE2ELNS1_3repE0EEENS1_30default_config_static_selectorELNS0_4arch9wavefront6targetE1EEEvT1_ ; -- Begin function _ZN7rocprim17ROCPRIM_400000_NS6detail17trampoline_kernelINS0_14default_configENS1_20scan_config_selectorIfEEZZNS1_9scan_implILNS1_25lookback_scan_determinismE0ELb0ELb0ES3_PKfPffZZZN2at6native31launch_logcumsumexp_cuda_kernelERKNSB_10TensorBaseESF_lENKUlvE_clEvENKUlvE0_clEvEUlffE_fEEDaPvRmT3_T4_T5_mT6_P12ihipStream_tbENKUlT_T0_E_clISt17integral_constantIbLb0EESW_EEDaSR_SS_EUlSR_E_NS1_11comp_targetILNS1_3genE8ELNS1_11target_archE1030ELNS1_3gpuE2ELNS1_3repE0EEENS1_30default_config_static_selectorELNS0_4arch9wavefront6targetE1EEEvT1_
	.p2align	8
	.type	_ZN7rocprim17ROCPRIM_400000_NS6detail17trampoline_kernelINS0_14default_configENS1_20scan_config_selectorIfEEZZNS1_9scan_implILNS1_25lookback_scan_determinismE0ELb0ELb0ES3_PKfPffZZZN2at6native31launch_logcumsumexp_cuda_kernelERKNSB_10TensorBaseESF_lENKUlvE_clEvENKUlvE0_clEvEUlffE_fEEDaPvRmT3_T4_T5_mT6_P12ihipStream_tbENKUlT_T0_E_clISt17integral_constantIbLb0EESW_EEDaSR_SS_EUlSR_E_NS1_11comp_targetILNS1_3genE8ELNS1_11target_archE1030ELNS1_3gpuE2ELNS1_3repE0EEENS1_30default_config_static_selectorELNS0_4arch9wavefront6targetE1EEEvT1_,@function
_ZN7rocprim17ROCPRIM_400000_NS6detail17trampoline_kernelINS0_14default_configENS1_20scan_config_selectorIfEEZZNS1_9scan_implILNS1_25lookback_scan_determinismE0ELb0ELb0ES3_PKfPffZZZN2at6native31launch_logcumsumexp_cuda_kernelERKNSB_10TensorBaseESF_lENKUlvE_clEvENKUlvE0_clEvEUlffE_fEEDaPvRmT3_T4_T5_mT6_P12ihipStream_tbENKUlT_T0_E_clISt17integral_constantIbLb0EESW_EEDaSR_SS_EUlSR_E_NS1_11comp_targetILNS1_3genE8ELNS1_11target_archE1030ELNS1_3gpuE2ELNS1_3repE0EEENS1_30default_config_static_selectorELNS0_4arch9wavefront6targetE1EEEvT1_: ; @_ZN7rocprim17ROCPRIM_400000_NS6detail17trampoline_kernelINS0_14default_configENS1_20scan_config_selectorIfEEZZNS1_9scan_implILNS1_25lookback_scan_determinismE0ELb0ELb0ES3_PKfPffZZZN2at6native31launch_logcumsumexp_cuda_kernelERKNSB_10TensorBaseESF_lENKUlvE_clEvENKUlvE0_clEvEUlffE_fEEDaPvRmT3_T4_T5_mT6_P12ihipStream_tbENKUlT_T0_E_clISt17integral_constantIbLb0EESW_EEDaSR_SS_EUlSR_E_NS1_11comp_targetILNS1_3genE8ELNS1_11target_archE1030ELNS1_3gpuE2ELNS1_3repE0EEENS1_30default_config_static_selectorELNS0_4arch9wavefront6targetE1EEEvT1_
; %bb.0:
	.section	.rodata,"a",@progbits
	.p2align	6, 0x0
	.amdhsa_kernel _ZN7rocprim17ROCPRIM_400000_NS6detail17trampoline_kernelINS0_14default_configENS1_20scan_config_selectorIfEEZZNS1_9scan_implILNS1_25lookback_scan_determinismE0ELb0ELb0ES3_PKfPffZZZN2at6native31launch_logcumsumexp_cuda_kernelERKNSB_10TensorBaseESF_lENKUlvE_clEvENKUlvE0_clEvEUlffE_fEEDaPvRmT3_T4_T5_mT6_P12ihipStream_tbENKUlT_T0_E_clISt17integral_constantIbLb0EESW_EEDaSR_SS_EUlSR_E_NS1_11comp_targetILNS1_3genE8ELNS1_11target_archE1030ELNS1_3gpuE2ELNS1_3repE0EEENS1_30default_config_static_selectorELNS0_4arch9wavefront6targetE1EEEvT1_
		.amdhsa_group_segment_fixed_size 0
		.amdhsa_private_segment_fixed_size 0
		.amdhsa_kernarg_size 96
		.amdhsa_user_sgpr_count 2
		.amdhsa_user_sgpr_dispatch_ptr 0
		.amdhsa_user_sgpr_queue_ptr 0
		.amdhsa_user_sgpr_kernarg_segment_ptr 1
		.amdhsa_user_sgpr_dispatch_id 0
		.amdhsa_user_sgpr_kernarg_preload_length 0
		.amdhsa_user_sgpr_kernarg_preload_offset 0
		.amdhsa_user_sgpr_private_segment_size 0
		.amdhsa_uses_dynamic_stack 0
		.amdhsa_enable_private_segment 0
		.amdhsa_system_sgpr_workgroup_id_x 1
		.amdhsa_system_sgpr_workgroup_id_y 0
		.amdhsa_system_sgpr_workgroup_id_z 0
		.amdhsa_system_sgpr_workgroup_info 0
		.amdhsa_system_vgpr_workitem_id 0
		.amdhsa_next_free_vgpr 1
		.amdhsa_next_free_sgpr 0
		.amdhsa_accum_offset 4
		.amdhsa_reserve_vcc 0
		.amdhsa_float_round_mode_32 0
		.amdhsa_float_round_mode_16_64 0
		.amdhsa_float_denorm_mode_32 3
		.amdhsa_float_denorm_mode_16_64 3
		.amdhsa_dx10_clamp 1
		.amdhsa_ieee_mode 1
		.amdhsa_fp16_overflow 0
		.amdhsa_tg_split 0
		.amdhsa_exception_fp_ieee_invalid_op 0
		.amdhsa_exception_fp_denorm_src 0
		.amdhsa_exception_fp_ieee_div_zero 0
		.amdhsa_exception_fp_ieee_overflow 0
		.amdhsa_exception_fp_ieee_underflow 0
		.amdhsa_exception_fp_ieee_inexact 0
		.amdhsa_exception_int_div_zero 0
	.end_amdhsa_kernel
	.section	.text._ZN7rocprim17ROCPRIM_400000_NS6detail17trampoline_kernelINS0_14default_configENS1_20scan_config_selectorIfEEZZNS1_9scan_implILNS1_25lookback_scan_determinismE0ELb0ELb0ES3_PKfPffZZZN2at6native31launch_logcumsumexp_cuda_kernelERKNSB_10TensorBaseESF_lENKUlvE_clEvENKUlvE0_clEvEUlffE_fEEDaPvRmT3_T4_T5_mT6_P12ihipStream_tbENKUlT_T0_E_clISt17integral_constantIbLb0EESW_EEDaSR_SS_EUlSR_E_NS1_11comp_targetILNS1_3genE8ELNS1_11target_archE1030ELNS1_3gpuE2ELNS1_3repE0EEENS1_30default_config_static_selectorELNS0_4arch9wavefront6targetE1EEEvT1_,"axG",@progbits,_ZN7rocprim17ROCPRIM_400000_NS6detail17trampoline_kernelINS0_14default_configENS1_20scan_config_selectorIfEEZZNS1_9scan_implILNS1_25lookback_scan_determinismE0ELb0ELb0ES3_PKfPffZZZN2at6native31launch_logcumsumexp_cuda_kernelERKNSB_10TensorBaseESF_lENKUlvE_clEvENKUlvE0_clEvEUlffE_fEEDaPvRmT3_T4_T5_mT6_P12ihipStream_tbENKUlT_T0_E_clISt17integral_constantIbLb0EESW_EEDaSR_SS_EUlSR_E_NS1_11comp_targetILNS1_3genE8ELNS1_11target_archE1030ELNS1_3gpuE2ELNS1_3repE0EEENS1_30default_config_static_selectorELNS0_4arch9wavefront6targetE1EEEvT1_,comdat
.Lfunc_end96:
	.size	_ZN7rocprim17ROCPRIM_400000_NS6detail17trampoline_kernelINS0_14default_configENS1_20scan_config_selectorIfEEZZNS1_9scan_implILNS1_25lookback_scan_determinismE0ELb0ELb0ES3_PKfPffZZZN2at6native31launch_logcumsumexp_cuda_kernelERKNSB_10TensorBaseESF_lENKUlvE_clEvENKUlvE0_clEvEUlffE_fEEDaPvRmT3_T4_T5_mT6_P12ihipStream_tbENKUlT_T0_E_clISt17integral_constantIbLb0EESW_EEDaSR_SS_EUlSR_E_NS1_11comp_targetILNS1_3genE8ELNS1_11target_archE1030ELNS1_3gpuE2ELNS1_3repE0EEENS1_30default_config_static_selectorELNS0_4arch9wavefront6targetE1EEEvT1_, .Lfunc_end96-_ZN7rocprim17ROCPRIM_400000_NS6detail17trampoline_kernelINS0_14default_configENS1_20scan_config_selectorIfEEZZNS1_9scan_implILNS1_25lookback_scan_determinismE0ELb0ELb0ES3_PKfPffZZZN2at6native31launch_logcumsumexp_cuda_kernelERKNSB_10TensorBaseESF_lENKUlvE_clEvENKUlvE0_clEvEUlffE_fEEDaPvRmT3_T4_T5_mT6_P12ihipStream_tbENKUlT_T0_E_clISt17integral_constantIbLb0EESW_EEDaSR_SS_EUlSR_E_NS1_11comp_targetILNS1_3genE8ELNS1_11target_archE1030ELNS1_3gpuE2ELNS1_3repE0EEENS1_30default_config_static_selectorELNS0_4arch9wavefront6targetE1EEEvT1_
                                        ; -- End function
	.set _ZN7rocprim17ROCPRIM_400000_NS6detail17trampoline_kernelINS0_14default_configENS1_20scan_config_selectorIfEEZZNS1_9scan_implILNS1_25lookback_scan_determinismE0ELb0ELb0ES3_PKfPffZZZN2at6native31launch_logcumsumexp_cuda_kernelERKNSB_10TensorBaseESF_lENKUlvE_clEvENKUlvE0_clEvEUlffE_fEEDaPvRmT3_T4_T5_mT6_P12ihipStream_tbENKUlT_T0_E_clISt17integral_constantIbLb0EESW_EEDaSR_SS_EUlSR_E_NS1_11comp_targetILNS1_3genE8ELNS1_11target_archE1030ELNS1_3gpuE2ELNS1_3repE0EEENS1_30default_config_static_selectorELNS0_4arch9wavefront6targetE1EEEvT1_.num_vgpr, 0
	.set _ZN7rocprim17ROCPRIM_400000_NS6detail17trampoline_kernelINS0_14default_configENS1_20scan_config_selectorIfEEZZNS1_9scan_implILNS1_25lookback_scan_determinismE0ELb0ELb0ES3_PKfPffZZZN2at6native31launch_logcumsumexp_cuda_kernelERKNSB_10TensorBaseESF_lENKUlvE_clEvENKUlvE0_clEvEUlffE_fEEDaPvRmT3_T4_T5_mT6_P12ihipStream_tbENKUlT_T0_E_clISt17integral_constantIbLb0EESW_EEDaSR_SS_EUlSR_E_NS1_11comp_targetILNS1_3genE8ELNS1_11target_archE1030ELNS1_3gpuE2ELNS1_3repE0EEENS1_30default_config_static_selectorELNS0_4arch9wavefront6targetE1EEEvT1_.num_agpr, 0
	.set _ZN7rocprim17ROCPRIM_400000_NS6detail17trampoline_kernelINS0_14default_configENS1_20scan_config_selectorIfEEZZNS1_9scan_implILNS1_25lookback_scan_determinismE0ELb0ELb0ES3_PKfPffZZZN2at6native31launch_logcumsumexp_cuda_kernelERKNSB_10TensorBaseESF_lENKUlvE_clEvENKUlvE0_clEvEUlffE_fEEDaPvRmT3_T4_T5_mT6_P12ihipStream_tbENKUlT_T0_E_clISt17integral_constantIbLb0EESW_EEDaSR_SS_EUlSR_E_NS1_11comp_targetILNS1_3genE8ELNS1_11target_archE1030ELNS1_3gpuE2ELNS1_3repE0EEENS1_30default_config_static_selectorELNS0_4arch9wavefront6targetE1EEEvT1_.numbered_sgpr, 0
	.set _ZN7rocprim17ROCPRIM_400000_NS6detail17trampoline_kernelINS0_14default_configENS1_20scan_config_selectorIfEEZZNS1_9scan_implILNS1_25lookback_scan_determinismE0ELb0ELb0ES3_PKfPffZZZN2at6native31launch_logcumsumexp_cuda_kernelERKNSB_10TensorBaseESF_lENKUlvE_clEvENKUlvE0_clEvEUlffE_fEEDaPvRmT3_T4_T5_mT6_P12ihipStream_tbENKUlT_T0_E_clISt17integral_constantIbLb0EESW_EEDaSR_SS_EUlSR_E_NS1_11comp_targetILNS1_3genE8ELNS1_11target_archE1030ELNS1_3gpuE2ELNS1_3repE0EEENS1_30default_config_static_selectorELNS0_4arch9wavefront6targetE1EEEvT1_.num_named_barrier, 0
	.set _ZN7rocprim17ROCPRIM_400000_NS6detail17trampoline_kernelINS0_14default_configENS1_20scan_config_selectorIfEEZZNS1_9scan_implILNS1_25lookback_scan_determinismE0ELb0ELb0ES3_PKfPffZZZN2at6native31launch_logcumsumexp_cuda_kernelERKNSB_10TensorBaseESF_lENKUlvE_clEvENKUlvE0_clEvEUlffE_fEEDaPvRmT3_T4_T5_mT6_P12ihipStream_tbENKUlT_T0_E_clISt17integral_constantIbLb0EESW_EEDaSR_SS_EUlSR_E_NS1_11comp_targetILNS1_3genE8ELNS1_11target_archE1030ELNS1_3gpuE2ELNS1_3repE0EEENS1_30default_config_static_selectorELNS0_4arch9wavefront6targetE1EEEvT1_.private_seg_size, 0
	.set _ZN7rocprim17ROCPRIM_400000_NS6detail17trampoline_kernelINS0_14default_configENS1_20scan_config_selectorIfEEZZNS1_9scan_implILNS1_25lookback_scan_determinismE0ELb0ELb0ES3_PKfPffZZZN2at6native31launch_logcumsumexp_cuda_kernelERKNSB_10TensorBaseESF_lENKUlvE_clEvENKUlvE0_clEvEUlffE_fEEDaPvRmT3_T4_T5_mT6_P12ihipStream_tbENKUlT_T0_E_clISt17integral_constantIbLb0EESW_EEDaSR_SS_EUlSR_E_NS1_11comp_targetILNS1_3genE8ELNS1_11target_archE1030ELNS1_3gpuE2ELNS1_3repE0EEENS1_30default_config_static_selectorELNS0_4arch9wavefront6targetE1EEEvT1_.uses_vcc, 0
	.set _ZN7rocprim17ROCPRIM_400000_NS6detail17trampoline_kernelINS0_14default_configENS1_20scan_config_selectorIfEEZZNS1_9scan_implILNS1_25lookback_scan_determinismE0ELb0ELb0ES3_PKfPffZZZN2at6native31launch_logcumsumexp_cuda_kernelERKNSB_10TensorBaseESF_lENKUlvE_clEvENKUlvE0_clEvEUlffE_fEEDaPvRmT3_T4_T5_mT6_P12ihipStream_tbENKUlT_T0_E_clISt17integral_constantIbLb0EESW_EEDaSR_SS_EUlSR_E_NS1_11comp_targetILNS1_3genE8ELNS1_11target_archE1030ELNS1_3gpuE2ELNS1_3repE0EEENS1_30default_config_static_selectorELNS0_4arch9wavefront6targetE1EEEvT1_.uses_flat_scratch, 0
	.set _ZN7rocprim17ROCPRIM_400000_NS6detail17trampoline_kernelINS0_14default_configENS1_20scan_config_selectorIfEEZZNS1_9scan_implILNS1_25lookback_scan_determinismE0ELb0ELb0ES3_PKfPffZZZN2at6native31launch_logcumsumexp_cuda_kernelERKNSB_10TensorBaseESF_lENKUlvE_clEvENKUlvE0_clEvEUlffE_fEEDaPvRmT3_T4_T5_mT6_P12ihipStream_tbENKUlT_T0_E_clISt17integral_constantIbLb0EESW_EEDaSR_SS_EUlSR_E_NS1_11comp_targetILNS1_3genE8ELNS1_11target_archE1030ELNS1_3gpuE2ELNS1_3repE0EEENS1_30default_config_static_selectorELNS0_4arch9wavefront6targetE1EEEvT1_.has_dyn_sized_stack, 0
	.set _ZN7rocprim17ROCPRIM_400000_NS6detail17trampoline_kernelINS0_14default_configENS1_20scan_config_selectorIfEEZZNS1_9scan_implILNS1_25lookback_scan_determinismE0ELb0ELb0ES3_PKfPffZZZN2at6native31launch_logcumsumexp_cuda_kernelERKNSB_10TensorBaseESF_lENKUlvE_clEvENKUlvE0_clEvEUlffE_fEEDaPvRmT3_T4_T5_mT6_P12ihipStream_tbENKUlT_T0_E_clISt17integral_constantIbLb0EESW_EEDaSR_SS_EUlSR_E_NS1_11comp_targetILNS1_3genE8ELNS1_11target_archE1030ELNS1_3gpuE2ELNS1_3repE0EEENS1_30default_config_static_selectorELNS0_4arch9wavefront6targetE1EEEvT1_.has_recursion, 0
	.set _ZN7rocprim17ROCPRIM_400000_NS6detail17trampoline_kernelINS0_14default_configENS1_20scan_config_selectorIfEEZZNS1_9scan_implILNS1_25lookback_scan_determinismE0ELb0ELb0ES3_PKfPffZZZN2at6native31launch_logcumsumexp_cuda_kernelERKNSB_10TensorBaseESF_lENKUlvE_clEvENKUlvE0_clEvEUlffE_fEEDaPvRmT3_T4_T5_mT6_P12ihipStream_tbENKUlT_T0_E_clISt17integral_constantIbLb0EESW_EEDaSR_SS_EUlSR_E_NS1_11comp_targetILNS1_3genE8ELNS1_11target_archE1030ELNS1_3gpuE2ELNS1_3repE0EEENS1_30default_config_static_selectorELNS0_4arch9wavefront6targetE1EEEvT1_.has_indirect_call, 0
	.section	.AMDGPU.csdata,"",@progbits
; Kernel info:
; codeLenInByte = 0
; TotalNumSgprs: 6
; NumVgprs: 0
; NumAgprs: 0
; TotalNumVgprs: 0
; ScratchSize: 0
; MemoryBound: 0
; FloatMode: 240
; IeeeMode: 1
; LDSByteSize: 0 bytes/workgroup (compile time only)
; SGPRBlocks: 0
; VGPRBlocks: 0
; NumSGPRsForWavesPerEU: 6
; NumVGPRsForWavesPerEU: 1
; AccumOffset: 4
; Occupancy: 8
; WaveLimiterHint : 0
; COMPUTE_PGM_RSRC2:SCRATCH_EN: 0
; COMPUTE_PGM_RSRC2:USER_SGPR: 2
; COMPUTE_PGM_RSRC2:TRAP_HANDLER: 0
; COMPUTE_PGM_RSRC2:TGID_X_EN: 1
; COMPUTE_PGM_RSRC2:TGID_Y_EN: 0
; COMPUTE_PGM_RSRC2:TGID_Z_EN: 0
; COMPUTE_PGM_RSRC2:TIDIG_COMP_CNT: 0
; COMPUTE_PGM_RSRC3_GFX90A:ACCUM_OFFSET: 0
; COMPUTE_PGM_RSRC3_GFX90A:TG_SPLIT: 0
	.section	.text._ZN7rocprim17ROCPRIM_400000_NS6detail17trampoline_kernelINS0_14default_configENS1_25transform_config_selectorIfLb1EEEZNS1_14transform_implILb1ES3_S5_PfS7_NS0_8identityIfEEEE10hipError_tT2_T3_mT4_P12ihipStream_tbEUlT_E_NS1_11comp_targetILNS1_3genE0ELNS1_11target_archE4294967295ELNS1_3gpuE0ELNS1_3repE0EEENS1_30default_config_static_selectorELNS0_4arch9wavefront6targetE1EEEvT1_,"axG",@progbits,_ZN7rocprim17ROCPRIM_400000_NS6detail17trampoline_kernelINS0_14default_configENS1_25transform_config_selectorIfLb1EEEZNS1_14transform_implILb1ES3_S5_PfS7_NS0_8identityIfEEEE10hipError_tT2_T3_mT4_P12ihipStream_tbEUlT_E_NS1_11comp_targetILNS1_3genE0ELNS1_11target_archE4294967295ELNS1_3gpuE0ELNS1_3repE0EEENS1_30default_config_static_selectorELNS0_4arch9wavefront6targetE1EEEvT1_,comdat
	.protected	_ZN7rocprim17ROCPRIM_400000_NS6detail17trampoline_kernelINS0_14default_configENS1_25transform_config_selectorIfLb1EEEZNS1_14transform_implILb1ES3_S5_PfS7_NS0_8identityIfEEEE10hipError_tT2_T3_mT4_P12ihipStream_tbEUlT_E_NS1_11comp_targetILNS1_3genE0ELNS1_11target_archE4294967295ELNS1_3gpuE0ELNS1_3repE0EEENS1_30default_config_static_selectorELNS0_4arch9wavefront6targetE1EEEvT1_ ; -- Begin function _ZN7rocprim17ROCPRIM_400000_NS6detail17trampoline_kernelINS0_14default_configENS1_25transform_config_selectorIfLb1EEEZNS1_14transform_implILb1ES3_S5_PfS7_NS0_8identityIfEEEE10hipError_tT2_T3_mT4_P12ihipStream_tbEUlT_E_NS1_11comp_targetILNS1_3genE0ELNS1_11target_archE4294967295ELNS1_3gpuE0ELNS1_3repE0EEENS1_30default_config_static_selectorELNS0_4arch9wavefront6targetE1EEEvT1_
	.globl	_ZN7rocprim17ROCPRIM_400000_NS6detail17trampoline_kernelINS0_14default_configENS1_25transform_config_selectorIfLb1EEEZNS1_14transform_implILb1ES3_S5_PfS7_NS0_8identityIfEEEE10hipError_tT2_T3_mT4_P12ihipStream_tbEUlT_E_NS1_11comp_targetILNS1_3genE0ELNS1_11target_archE4294967295ELNS1_3gpuE0ELNS1_3repE0EEENS1_30default_config_static_selectorELNS0_4arch9wavefront6targetE1EEEvT1_
	.p2align	8
	.type	_ZN7rocprim17ROCPRIM_400000_NS6detail17trampoline_kernelINS0_14default_configENS1_25transform_config_selectorIfLb1EEEZNS1_14transform_implILb1ES3_S5_PfS7_NS0_8identityIfEEEE10hipError_tT2_T3_mT4_P12ihipStream_tbEUlT_E_NS1_11comp_targetILNS1_3genE0ELNS1_11target_archE4294967295ELNS1_3gpuE0ELNS1_3repE0EEENS1_30default_config_static_selectorELNS0_4arch9wavefront6targetE1EEEvT1_,@function
_ZN7rocprim17ROCPRIM_400000_NS6detail17trampoline_kernelINS0_14default_configENS1_25transform_config_selectorIfLb1EEEZNS1_14transform_implILb1ES3_S5_PfS7_NS0_8identityIfEEEE10hipError_tT2_T3_mT4_P12ihipStream_tbEUlT_E_NS1_11comp_targetILNS1_3genE0ELNS1_11target_archE4294967295ELNS1_3gpuE0ELNS1_3repE0EEENS1_30default_config_static_selectorELNS0_4arch9wavefront6targetE1EEEvT1_: ; @_ZN7rocprim17ROCPRIM_400000_NS6detail17trampoline_kernelINS0_14default_configENS1_25transform_config_selectorIfLb1EEEZNS1_14transform_implILb1ES3_S5_PfS7_NS0_8identityIfEEEE10hipError_tT2_T3_mT4_P12ihipStream_tbEUlT_E_NS1_11comp_targetILNS1_3genE0ELNS1_11target_archE4294967295ELNS1_3gpuE0ELNS1_3repE0EEENS1_30default_config_static_selectorELNS0_4arch9wavefront6targetE1EEEvT1_
; %bb.0:
	s_load_dwordx8 s[4:11], s[0:1], 0x0
	s_load_dword s3, s[0:1], 0x28
	s_waitcnt lgkmcnt(0)
	s_lshl_b64 s[0:1], s[6:7], 2
	s_add_u32 s6, s4, s0
	s_addc_u32 s7, s5, s1
	s_add_u32 s9, s10, s0
	s_addc_u32 s10, s11, s1
	s_lshl_b32 s0, s2, 8
	s_mov_b32 s1, 0
	s_add_i32 s3, s3, -1
	s_lshl_b64 s[4:5], s[0:1], 2
	s_add_u32 s6, s6, s4
	s_addc_u32 s7, s7, s5
	s_cmp_lg_u32 s2, s3
	s_mov_b64 s[2:3], -1
	s_cbranch_scc0 .LBB97_2
; %bb.1:
	v_lshlrev_b32_e32 v1, 3, v0
	global_load_dwordx2 v[2:3], v1, s[6:7]
	s_add_u32 s2, s9, s4
	s_addc_u32 s3, s10, s5
	s_waitcnt vmcnt(0)
	global_store_dwordx2 v1, v[2:3], s[2:3]
	s_mov_b64 s[2:3], 0
.LBB97_2:
	s_andn2_b64 vcc, exec, s[2:3]
	s_cbranch_vccnz .LBB97_11
; %bb.3:
	s_sub_i32 s2, s8, s0
	v_mov_b32_e32 v2, 0
	v_cmp_gt_u32_e32 vcc, s2, v0
	v_mov_b32_e32 v3, v2
	s_and_saveexec_b64 s[0:1], vcc
	s_cbranch_execz .LBB97_5
; %bb.4:
	v_lshlrev_b32_e32 v1, 2, v0
	global_load_dword v4, v1, s[6:7]
	v_mov_b32_e32 v5, v2
	s_waitcnt vmcnt(0)
	v_mov_b64_e32 v[2:3], v[4:5]
.LBB97_5:
	s_or_b64 exec, exec, s[0:1]
	v_or_b32_e32 v1, 0x80, v0
	v_cmp_gt_u32_e64 s[0:1], s2, v1
	v_cmp_le_u32_e64 s[2:3], s2, v1
	s_and_saveexec_b64 s[12:13], s[2:3]
	s_xor_b64 s[2:3], exec, s[12:13]
	s_andn2_saveexec_b64 s[2:3], s[2:3]
	s_cbranch_execz .LBB97_7
; %bb.6:
	v_lshlrev_b32_e32 v1, 2, v0
	global_load_dword v3, v1, s[6:7] offset:512
.LBB97_7:
	s_or_b64 exec, exec, s[2:3]
	s_add_u32 s2, s9, s4
	v_mov_b32_e32 v1, 0
	s_addc_u32 s3, s10, s5
	v_lshlrev_b32_e32 v0, 2, v0
	v_cndmask_b32_e32 v2, 0, v2, vcc
	v_lshl_add_u64 v[0:1], s[2:3], 0, v[0:1]
	s_and_saveexec_b64 s[2:3], vcc
	s_cbranch_execz .LBB97_9
; %bb.8:
	global_store_dword v[0:1], v2, off
.LBB97_9:
	s_or_b64 exec, exec, s[2:3]
	s_and_saveexec_b64 s[2:3], s[0:1]
	s_cbranch_execz .LBB97_11
; %bb.10:
	s_waitcnt vmcnt(0)
	v_cndmask_b32_e64 v2, 0, v3, s[0:1]
	global_store_dword v[0:1], v2, off offset:512
.LBB97_11:
	s_endpgm
	.section	.rodata,"a",@progbits
	.p2align	6, 0x0
	.amdhsa_kernel _ZN7rocprim17ROCPRIM_400000_NS6detail17trampoline_kernelINS0_14default_configENS1_25transform_config_selectorIfLb1EEEZNS1_14transform_implILb1ES3_S5_PfS7_NS0_8identityIfEEEE10hipError_tT2_T3_mT4_P12ihipStream_tbEUlT_E_NS1_11comp_targetILNS1_3genE0ELNS1_11target_archE4294967295ELNS1_3gpuE0ELNS1_3repE0EEENS1_30default_config_static_selectorELNS0_4arch9wavefront6targetE1EEEvT1_
		.amdhsa_group_segment_fixed_size 0
		.amdhsa_private_segment_fixed_size 0
		.amdhsa_kernarg_size 296
		.amdhsa_user_sgpr_count 2
		.amdhsa_user_sgpr_dispatch_ptr 0
		.amdhsa_user_sgpr_queue_ptr 0
		.amdhsa_user_sgpr_kernarg_segment_ptr 1
		.amdhsa_user_sgpr_dispatch_id 0
		.amdhsa_user_sgpr_kernarg_preload_length 0
		.amdhsa_user_sgpr_kernarg_preload_offset 0
		.amdhsa_user_sgpr_private_segment_size 0
		.amdhsa_uses_dynamic_stack 0
		.amdhsa_enable_private_segment 0
		.amdhsa_system_sgpr_workgroup_id_x 1
		.amdhsa_system_sgpr_workgroup_id_y 0
		.amdhsa_system_sgpr_workgroup_id_z 0
		.amdhsa_system_sgpr_workgroup_info 0
		.amdhsa_system_vgpr_workitem_id 0
		.amdhsa_next_free_vgpr 6
		.amdhsa_next_free_sgpr 14
		.amdhsa_accum_offset 8
		.amdhsa_reserve_vcc 1
		.amdhsa_float_round_mode_32 0
		.amdhsa_float_round_mode_16_64 0
		.amdhsa_float_denorm_mode_32 3
		.amdhsa_float_denorm_mode_16_64 3
		.amdhsa_dx10_clamp 1
		.amdhsa_ieee_mode 1
		.amdhsa_fp16_overflow 0
		.amdhsa_tg_split 0
		.amdhsa_exception_fp_ieee_invalid_op 0
		.amdhsa_exception_fp_denorm_src 0
		.amdhsa_exception_fp_ieee_div_zero 0
		.amdhsa_exception_fp_ieee_overflow 0
		.amdhsa_exception_fp_ieee_underflow 0
		.amdhsa_exception_fp_ieee_inexact 0
		.amdhsa_exception_int_div_zero 0
	.end_amdhsa_kernel
	.section	.text._ZN7rocprim17ROCPRIM_400000_NS6detail17trampoline_kernelINS0_14default_configENS1_25transform_config_selectorIfLb1EEEZNS1_14transform_implILb1ES3_S5_PfS7_NS0_8identityIfEEEE10hipError_tT2_T3_mT4_P12ihipStream_tbEUlT_E_NS1_11comp_targetILNS1_3genE0ELNS1_11target_archE4294967295ELNS1_3gpuE0ELNS1_3repE0EEENS1_30default_config_static_selectorELNS0_4arch9wavefront6targetE1EEEvT1_,"axG",@progbits,_ZN7rocprim17ROCPRIM_400000_NS6detail17trampoline_kernelINS0_14default_configENS1_25transform_config_selectorIfLb1EEEZNS1_14transform_implILb1ES3_S5_PfS7_NS0_8identityIfEEEE10hipError_tT2_T3_mT4_P12ihipStream_tbEUlT_E_NS1_11comp_targetILNS1_3genE0ELNS1_11target_archE4294967295ELNS1_3gpuE0ELNS1_3repE0EEENS1_30default_config_static_selectorELNS0_4arch9wavefront6targetE1EEEvT1_,comdat
.Lfunc_end97:
	.size	_ZN7rocprim17ROCPRIM_400000_NS6detail17trampoline_kernelINS0_14default_configENS1_25transform_config_selectorIfLb1EEEZNS1_14transform_implILb1ES3_S5_PfS7_NS0_8identityIfEEEE10hipError_tT2_T3_mT4_P12ihipStream_tbEUlT_E_NS1_11comp_targetILNS1_3genE0ELNS1_11target_archE4294967295ELNS1_3gpuE0ELNS1_3repE0EEENS1_30default_config_static_selectorELNS0_4arch9wavefront6targetE1EEEvT1_, .Lfunc_end97-_ZN7rocprim17ROCPRIM_400000_NS6detail17trampoline_kernelINS0_14default_configENS1_25transform_config_selectorIfLb1EEEZNS1_14transform_implILb1ES3_S5_PfS7_NS0_8identityIfEEEE10hipError_tT2_T3_mT4_P12ihipStream_tbEUlT_E_NS1_11comp_targetILNS1_3genE0ELNS1_11target_archE4294967295ELNS1_3gpuE0ELNS1_3repE0EEENS1_30default_config_static_selectorELNS0_4arch9wavefront6targetE1EEEvT1_
                                        ; -- End function
	.set _ZN7rocprim17ROCPRIM_400000_NS6detail17trampoline_kernelINS0_14default_configENS1_25transform_config_selectorIfLb1EEEZNS1_14transform_implILb1ES3_S5_PfS7_NS0_8identityIfEEEE10hipError_tT2_T3_mT4_P12ihipStream_tbEUlT_E_NS1_11comp_targetILNS1_3genE0ELNS1_11target_archE4294967295ELNS1_3gpuE0ELNS1_3repE0EEENS1_30default_config_static_selectorELNS0_4arch9wavefront6targetE1EEEvT1_.num_vgpr, 6
	.set _ZN7rocprim17ROCPRIM_400000_NS6detail17trampoline_kernelINS0_14default_configENS1_25transform_config_selectorIfLb1EEEZNS1_14transform_implILb1ES3_S5_PfS7_NS0_8identityIfEEEE10hipError_tT2_T3_mT4_P12ihipStream_tbEUlT_E_NS1_11comp_targetILNS1_3genE0ELNS1_11target_archE4294967295ELNS1_3gpuE0ELNS1_3repE0EEENS1_30default_config_static_selectorELNS0_4arch9wavefront6targetE1EEEvT1_.num_agpr, 0
	.set _ZN7rocprim17ROCPRIM_400000_NS6detail17trampoline_kernelINS0_14default_configENS1_25transform_config_selectorIfLb1EEEZNS1_14transform_implILb1ES3_S5_PfS7_NS0_8identityIfEEEE10hipError_tT2_T3_mT4_P12ihipStream_tbEUlT_E_NS1_11comp_targetILNS1_3genE0ELNS1_11target_archE4294967295ELNS1_3gpuE0ELNS1_3repE0EEENS1_30default_config_static_selectorELNS0_4arch9wavefront6targetE1EEEvT1_.numbered_sgpr, 14
	.set _ZN7rocprim17ROCPRIM_400000_NS6detail17trampoline_kernelINS0_14default_configENS1_25transform_config_selectorIfLb1EEEZNS1_14transform_implILb1ES3_S5_PfS7_NS0_8identityIfEEEE10hipError_tT2_T3_mT4_P12ihipStream_tbEUlT_E_NS1_11comp_targetILNS1_3genE0ELNS1_11target_archE4294967295ELNS1_3gpuE0ELNS1_3repE0EEENS1_30default_config_static_selectorELNS0_4arch9wavefront6targetE1EEEvT1_.num_named_barrier, 0
	.set _ZN7rocprim17ROCPRIM_400000_NS6detail17trampoline_kernelINS0_14default_configENS1_25transform_config_selectorIfLb1EEEZNS1_14transform_implILb1ES3_S5_PfS7_NS0_8identityIfEEEE10hipError_tT2_T3_mT4_P12ihipStream_tbEUlT_E_NS1_11comp_targetILNS1_3genE0ELNS1_11target_archE4294967295ELNS1_3gpuE0ELNS1_3repE0EEENS1_30default_config_static_selectorELNS0_4arch9wavefront6targetE1EEEvT1_.private_seg_size, 0
	.set _ZN7rocprim17ROCPRIM_400000_NS6detail17trampoline_kernelINS0_14default_configENS1_25transform_config_selectorIfLb1EEEZNS1_14transform_implILb1ES3_S5_PfS7_NS0_8identityIfEEEE10hipError_tT2_T3_mT4_P12ihipStream_tbEUlT_E_NS1_11comp_targetILNS1_3genE0ELNS1_11target_archE4294967295ELNS1_3gpuE0ELNS1_3repE0EEENS1_30default_config_static_selectorELNS0_4arch9wavefront6targetE1EEEvT1_.uses_vcc, 1
	.set _ZN7rocprim17ROCPRIM_400000_NS6detail17trampoline_kernelINS0_14default_configENS1_25transform_config_selectorIfLb1EEEZNS1_14transform_implILb1ES3_S5_PfS7_NS0_8identityIfEEEE10hipError_tT2_T3_mT4_P12ihipStream_tbEUlT_E_NS1_11comp_targetILNS1_3genE0ELNS1_11target_archE4294967295ELNS1_3gpuE0ELNS1_3repE0EEENS1_30default_config_static_selectorELNS0_4arch9wavefront6targetE1EEEvT1_.uses_flat_scratch, 0
	.set _ZN7rocprim17ROCPRIM_400000_NS6detail17trampoline_kernelINS0_14default_configENS1_25transform_config_selectorIfLb1EEEZNS1_14transform_implILb1ES3_S5_PfS7_NS0_8identityIfEEEE10hipError_tT2_T3_mT4_P12ihipStream_tbEUlT_E_NS1_11comp_targetILNS1_3genE0ELNS1_11target_archE4294967295ELNS1_3gpuE0ELNS1_3repE0EEENS1_30default_config_static_selectorELNS0_4arch9wavefront6targetE1EEEvT1_.has_dyn_sized_stack, 0
	.set _ZN7rocprim17ROCPRIM_400000_NS6detail17trampoline_kernelINS0_14default_configENS1_25transform_config_selectorIfLb1EEEZNS1_14transform_implILb1ES3_S5_PfS7_NS0_8identityIfEEEE10hipError_tT2_T3_mT4_P12ihipStream_tbEUlT_E_NS1_11comp_targetILNS1_3genE0ELNS1_11target_archE4294967295ELNS1_3gpuE0ELNS1_3repE0EEENS1_30default_config_static_selectorELNS0_4arch9wavefront6targetE1EEEvT1_.has_recursion, 0
	.set _ZN7rocprim17ROCPRIM_400000_NS6detail17trampoline_kernelINS0_14default_configENS1_25transform_config_selectorIfLb1EEEZNS1_14transform_implILb1ES3_S5_PfS7_NS0_8identityIfEEEE10hipError_tT2_T3_mT4_P12ihipStream_tbEUlT_E_NS1_11comp_targetILNS1_3genE0ELNS1_11target_archE4294967295ELNS1_3gpuE0ELNS1_3repE0EEENS1_30default_config_static_selectorELNS0_4arch9wavefront6targetE1EEEvT1_.has_indirect_call, 0
	.section	.AMDGPU.csdata,"",@progbits
; Kernel info:
; codeLenInByte = 308
; TotalNumSgprs: 20
; NumVgprs: 6
; NumAgprs: 0
; TotalNumVgprs: 6
; ScratchSize: 0
; MemoryBound: 0
; FloatMode: 240
; IeeeMode: 1
; LDSByteSize: 0 bytes/workgroup (compile time only)
; SGPRBlocks: 2
; VGPRBlocks: 0
; NumSGPRsForWavesPerEU: 20
; NumVGPRsForWavesPerEU: 6
; AccumOffset: 8
; Occupancy: 8
; WaveLimiterHint : 0
; COMPUTE_PGM_RSRC2:SCRATCH_EN: 0
; COMPUTE_PGM_RSRC2:USER_SGPR: 2
; COMPUTE_PGM_RSRC2:TRAP_HANDLER: 0
; COMPUTE_PGM_RSRC2:TGID_X_EN: 1
; COMPUTE_PGM_RSRC2:TGID_Y_EN: 0
; COMPUTE_PGM_RSRC2:TGID_Z_EN: 0
; COMPUTE_PGM_RSRC2:TIDIG_COMP_CNT: 0
; COMPUTE_PGM_RSRC3_GFX90A:ACCUM_OFFSET: 1
; COMPUTE_PGM_RSRC3_GFX90A:TG_SPLIT: 0
	.section	.text._ZN7rocprim17ROCPRIM_400000_NS6detail17trampoline_kernelINS0_14default_configENS1_25transform_config_selectorIfLb1EEEZNS1_14transform_implILb1ES3_S5_PfS7_NS0_8identityIfEEEE10hipError_tT2_T3_mT4_P12ihipStream_tbEUlT_E_NS1_11comp_targetILNS1_3genE10ELNS1_11target_archE1201ELNS1_3gpuE5ELNS1_3repE0EEENS1_30default_config_static_selectorELNS0_4arch9wavefront6targetE1EEEvT1_,"axG",@progbits,_ZN7rocprim17ROCPRIM_400000_NS6detail17trampoline_kernelINS0_14default_configENS1_25transform_config_selectorIfLb1EEEZNS1_14transform_implILb1ES3_S5_PfS7_NS0_8identityIfEEEE10hipError_tT2_T3_mT4_P12ihipStream_tbEUlT_E_NS1_11comp_targetILNS1_3genE10ELNS1_11target_archE1201ELNS1_3gpuE5ELNS1_3repE0EEENS1_30default_config_static_selectorELNS0_4arch9wavefront6targetE1EEEvT1_,comdat
	.protected	_ZN7rocprim17ROCPRIM_400000_NS6detail17trampoline_kernelINS0_14default_configENS1_25transform_config_selectorIfLb1EEEZNS1_14transform_implILb1ES3_S5_PfS7_NS0_8identityIfEEEE10hipError_tT2_T3_mT4_P12ihipStream_tbEUlT_E_NS1_11comp_targetILNS1_3genE10ELNS1_11target_archE1201ELNS1_3gpuE5ELNS1_3repE0EEENS1_30default_config_static_selectorELNS0_4arch9wavefront6targetE1EEEvT1_ ; -- Begin function _ZN7rocprim17ROCPRIM_400000_NS6detail17trampoline_kernelINS0_14default_configENS1_25transform_config_selectorIfLb1EEEZNS1_14transform_implILb1ES3_S5_PfS7_NS0_8identityIfEEEE10hipError_tT2_T3_mT4_P12ihipStream_tbEUlT_E_NS1_11comp_targetILNS1_3genE10ELNS1_11target_archE1201ELNS1_3gpuE5ELNS1_3repE0EEENS1_30default_config_static_selectorELNS0_4arch9wavefront6targetE1EEEvT1_
	.globl	_ZN7rocprim17ROCPRIM_400000_NS6detail17trampoline_kernelINS0_14default_configENS1_25transform_config_selectorIfLb1EEEZNS1_14transform_implILb1ES3_S5_PfS7_NS0_8identityIfEEEE10hipError_tT2_T3_mT4_P12ihipStream_tbEUlT_E_NS1_11comp_targetILNS1_3genE10ELNS1_11target_archE1201ELNS1_3gpuE5ELNS1_3repE0EEENS1_30default_config_static_selectorELNS0_4arch9wavefront6targetE1EEEvT1_
	.p2align	8
	.type	_ZN7rocprim17ROCPRIM_400000_NS6detail17trampoline_kernelINS0_14default_configENS1_25transform_config_selectorIfLb1EEEZNS1_14transform_implILb1ES3_S5_PfS7_NS0_8identityIfEEEE10hipError_tT2_T3_mT4_P12ihipStream_tbEUlT_E_NS1_11comp_targetILNS1_3genE10ELNS1_11target_archE1201ELNS1_3gpuE5ELNS1_3repE0EEENS1_30default_config_static_selectorELNS0_4arch9wavefront6targetE1EEEvT1_,@function
_ZN7rocprim17ROCPRIM_400000_NS6detail17trampoline_kernelINS0_14default_configENS1_25transform_config_selectorIfLb1EEEZNS1_14transform_implILb1ES3_S5_PfS7_NS0_8identityIfEEEE10hipError_tT2_T3_mT4_P12ihipStream_tbEUlT_E_NS1_11comp_targetILNS1_3genE10ELNS1_11target_archE1201ELNS1_3gpuE5ELNS1_3repE0EEENS1_30default_config_static_selectorELNS0_4arch9wavefront6targetE1EEEvT1_: ; @_ZN7rocprim17ROCPRIM_400000_NS6detail17trampoline_kernelINS0_14default_configENS1_25transform_config_selectorIfLb1EEEZNS1_14transform_implILb1ES3_S5_PfS7_NS0_8identityIfEEEE10hipError_tT2_T3_mT4_P12ihipStream_tbEUlT_E_NS1_11comp_targetILNS1_3genE10ELNS1_11target_archE1201ELNS1_3gpuE5ELNS1_3repE0EEENS1_30default_config_static_selectorELNS0_4arch9wavefront6targetE1EEEvT1_
; %bb.0:
	.section	.rodata,"a",@progbits
	.p2align	6, 0x0
	.amdhsa_kernel _ZN7rocprim17ROCPRIM_400000_NS6detail17trampoline_kernelINS0_14default_configENS1_25transform_config_selectorIfLb1EEEZNS1_14transform_implILb1ES3_S5_PfS7_NS0_8identityIfEEEE10hipError_tT2_T3_mT4_P12ihipStream_tbEUlT_E_NS1_11comp_targetILNS1_3genE10ELNS1_11target_archE1201ELNS1_3gpuE5ELNS1_3repE0EEENS1_30default_config_static_selectorELNS0_4arch9wavefront6targetE1EEEvT1_
		.amdhsa_group_segment_fixed_size 0
		.amdhsa_private_segment_fixed_size 0
		.amdhsa_kernarg_size 40
		.amdhsa_user_sgpr_count 2
		.amdhsa_user_sgpr_dispatch_ptr 0
		.amdhsa_user_sgpr_queue_ptr 0
		.amdhsa_user_sgpr_kernarg_segment_ptr 1
		.amdhsa_user_sgpr_dispatch_id 0
		.amdhsa_user_sgpr_kernarg_preload_length 0
		.amdhsa_user_sgpr_kernarg_preload_offset 0
		.amdhsa_user_sgpr_private_segment_size 0
		.amdhsa_uses_dynamic_stack 0
		.amdhsa_enable_private_segment 0
		.amdhsa_system_sgpr_workgroup_id_x 1
		.amdhsa_system_sgpr_workgroup_id_y 0
		.amdhsa_system_sgpr_workgroup_id_z 0
		.amdhsa_system_sgpr_workgroup_info 0
		.amdhsa_system_vgpr_workitem_id 0
		.amdhsa_next_free_vgpr 1
		.amdhsa_next_free_sgpr 0
		.amdhsa_accum_offset 4
		.amdhsa_reserve_vcc 0
		.amdhsa_float_round_mode_32 0
		.amdhsa_float_round_mode_16_64 0
		.amdhsa_float_denorm_mode_32 3
		.amdhsa_float_denorm_mode_16_64 3
		.amdhsa_dx10_clamp 1
		.amdhsa_ieee_mode 1
		.amdhsa_fp16_overflow 0
		.amdhsa_tg_split 0
		.amdhsa_exception_fp_ieee_invalid_op 0
		.amdhsa_exception_fp_denorm_src 0
		.amdhsa_exception_fp_ieee_div_zero 0
		.amdhsa_exception_fp_ieee_overflow 0
		.amdhsa_exception_fp_ieee_underflow 0
		.amdhsa_exception_fp_ieee_inexact 0
		.amdhsa_exception_int_div_zero 0
	.end_amdhsa_kernel
	.section	.text._ZN7rocprim17ROCPRIM_400000_NS6detail17trampoline_kernelINS0_14default_configENS1_25transform_config_selectorIfLb1EEEZNS1_14transform_implILb1ES3_S5_PfS7_NS0_8identityIfEEEE10hipError_tT2_T3_mT4_P12ihipStream_tbEUlT_E_NS1_11comp_targetILNS1_3genE10ELNS1_11target_archE1201ELNS1_3gpuE5ELNS1_3repE0EEENS1_30default_config_static_selectorELNS0_4arch9wavefront6targetE1EEEvT1_,"axG",@progbits,_ZN7rocprim17ROCPRIM_400000_NS6detail17trampoline_kernelINS0_14default_configENS1_25transform_config_selectorIfLb1EEEZNS1_14transform_implILb1ES3_S5_PfS7_NS0_8identityIfEEEE10hipError_tT2_T3_mT4_P12ihipStream_tbEUlT_E_NS1_11comp_targetILNS1_3genE10ELNS1_11target_archE1201ELNS1_3gpuE5ELNS1_3repE0EEENS1_30default_config_static_selectorELNS0_4arch9wavefront6targetE1EEEvT1_,comdat
.Lfunc_end98:
	.size	_ZN7rocprim17ROCPRIM_400000_NS6detail17trampoline_kernelINS0_14default_configENS1_25transform_config_selectorIfLb1EEEZNS1_14transform_implILb1ES3_S5_PfS7_NS0_8identityIfEEEE10hipError_tT2_T3_mT4_P12ihipStream_tbEUlT_E_NS1_11comp_targetILNS1_3genE10ELNS1_11target_archE1201ELNS1_3gpuE5ELNS1_3repE0EEENS1_30default_config_static_selectorELNS0_4arch9wavefront6targetE1EEEvT1_, .Lfunc_end98-_ZN7rocprim17ROCPRIM_400000_NS6detail17trampoline_kernelINS0_14default_configENS1_25transform_config_selectorIfLb1EEEZNS1_14transform_implILb1ES3_S5_PfS7_NS0_8identityIfEEEE10hipError_tT2_T3_mT4_P12ihipStream_tbEUlT_E_NS1_11comp_targetILNS1_3genE10ELNS1_11target_archE1201ELNS1_3gpuE5ELNS1_3repE0EEENS1_30default_config_static_selectorELNS0_4arch9wavefront6targetE1EEEvT1_
                                        ; -- End function
	.set _ZN7rocprim17ROCPRIM_400000_NS6detail17trampoline_kernelINS0_14default_configENS1_25transform_config_selectorIfLb1EEEZNS1_14transform_implILb1ES3_S5_PfS7_NS0_8identityIfEEEE10hipError_tT2_T3_mT4_P12ihipStream_tbEUlT_E_NS1_11comp_targetILNS1_3genE10ELNS1_11target_archE1201ELNS1_3gpuE5ELNS1_3repE0EEENS1_30default_config_static_selectorELNS0_4arch9wavefront6targetE1EEEvT1_.num_vgpr, 0
	.set _ZN7rocprim17ROCPRIM_400000_NS6detail17trampoline_kernelINS0_14default_configENS1_25transform_config_selectorIfLb1EEEZNS1_14transform_implILb1ES3_S5_PfS7_NS0_8identityIfEEEE10hipError_tT2_T3_mT4_P12ihipStream_tbEUlT_E_NS1_11comp_targetILNS1_3genE10ELNS1_11target_archE1201ELNS1_3gpuE5ELNS1_3repE0EEENS1_30default_config_static_selectorELNS0_4arch9wavefront6targetE1EEEvT1_.num_agpr, 0
	.set _ZN7rocprim17ROCPRIM_400000_NS6detail17trampoline_kernelINS0_14default_configENS1_25transform_config_selectorIfLb1EEEZNS1_14transform_implILb1ES3_S5_PfS7_NS0_8identityIfEEEE10hipError_tT2_T3_mT4_P12ihipStream_tbEUlT_E_NS1_11comp_targetILNS1_3genE10ELNS1_11target_archE1201ELNS1_3gpuE5ELNS1_3repE0EEENS1_30default_config_static_selectorELNS0_4arch9wavefront6targetE1EEEvT1_.numbered_sgpr, 0
	.set _ZN7rocprim17ROCPRIM_400000_NS6detail17trampoline_kernelINS0_14default_configENS1_25transform_config_selectorIfLb1EEEZNS1_14transform_implILb1ES3_S5_PfS7_NS0_8identityIfEEEE10hipError_tT2_T3_mT4_P12ihipStream_tbEUlT_E_NS1_11comp_targetILNS1_3genE10ELNS1_11target_archE1201ELNS1_3gpuE5ELNS1_3repE0EEENS1_30default_config_static_selectorELNS0_4arch9wavefront6targetE1EEEvT1_.num_named_barrier, 0
	.set _ZN7rocprim17ROCPRIM_400000_NS6detail17trampoline_kernelINS0_14default_configENS1_25transform_config_selectorIfLb1EEEZNS1_14transform_implILb1ES3_S5_PfS7_NS0_8identityIfEEEE10hipError_tT2_T3_mT4_P12ihipStream_tbEUlT_E_NS1_11comp_targetILNS1_3genE10ELNS1_11target_archE1201ELNS1_3gpuE5ELNS1_3repE0EEENS1_30default_config_static_selectorELNS0_4arch9wavefront6targetE1EEEvT1_.private_seg_size, 0
	.set _ZN7rocprim17ROCPRIM_400000_NS6detail17trampoline_kernelINS0_14default_configENS1_25transform_config_selectorIfLb1EEEZNS1_14transform_implILb1ES3_S5_PfS7_NS0_8identityIfEEEE10hipError_tT2_T3_mT4_P12ihipStream_tbEUlT_E_NS1_11comp_targetILNS1_3genE10ELNS1_11target_archE1201ELNS1_3gpuE5ELNS1_3repE0EEENS1_30default_config_static_selectorELNS0_4arch9wavefront6targetE1EEEvT1_.uses_vcc, 0
	.set _ZN7rocprim17ROCPRIM_400000_NS6detail17trampoline_kernelINS0_14default_configENS1_25transform_config_selectorIfLb1EEEZNS1_14transform_implILb1ES3_S5_PfS7_NS0_8identityIfEEEE10hipError_tT2_T3_mT4_P12ihipStream_tbEUlT_E_NS1_11comp_targetILNS1_3genE10ELNS1_11target_archE1201ELNS1_3gpuE5ELNS1_3repE0EEENS1_30default_config_static_selectorELNS0_4arch9wavefront6targetE1EEEvT1_.uses_flat_scratch, 0
	.set _ZN7rocprim17ROCPRIM_400000_NS6detail17trampoline_kernelINS0_14default_configENS1_25transform_config_selectorIfLb1EEEZNS1_14transform_implILb1ES3_S5_PfS7_NS0_8identityIfEEEE10hipError_tT2_T3_mT4_P12ihipStream_tbEUlT_E_NS1_11comp_targetILNS1_3genE10ELNS1_11target_archE1201ELNS1_3gpuE5ELNS1_3repE0EEENS1_30default_config_static_selectorELNS0_4arch9wavefront6targetE1EEEvT1_.has_dyn_sized_stack, 0
	.set _ZN7rocprim17ROCPRIM_400000_NS6detail17trampoline_kernelINS0_14default_configENS1_25transform_config_selectorIfLb1EEEZNS1_14transform_implILb1ES3_S5_PfS7_NS0_8identityIfEEEE10hipError_tT2_T3_mT4_P12ihipStream_tbEUlT_E_NS1_11comp_targetILNS1_3genE10ELNS1_11target_archE1201ELNS1_3gpuE5ELNS1_3repE0EEENS1_30default_config_static_selectorELNS0_4arch9wavefront6targetE1EEEvT1_.has_recursion, 0
	.set _ZN7rocprim17ROCPRIM_400000_NS6detail17trampoline_kernelINS0_14default_configENS1_25transform_config_selectorIfLb1EEEZNS1_14transform_implILb1ES3_S5_PfS7_NS0_8identityIfEEEE10hipError_tT2_T3_mT4_P12ihipStream_tbEUlT_E_NS1_11comp_targetILNS1_3genE10ELNS1_11target_archE1201ELNS1_3gpuE5ELNS1_3repE0EEENS1_30default_config_static_selectorELNS0_4arch9wavefront6targetE1EEEvT1_.has_indirect_call, 0
	.section	.AMDGPU.csdata,"",@progbits
; Kernel info:
; codeLenInByte = 0
; TotalNumSgprs: 6
; NumVgprs: 0
; NumAgprs: 0
; TotalNumVgprs: 0
; ScratchSize: 0
; MemoryBound: 0
; FloatMode: 240
; IeeeMode: 1
; LDSByteSize: 0 bytes/workgroup (compile time only)
; SGPRBlocks: 0
; VGPRBlocks: 0
; NumSGPRsForWavesPerEU: 6
; NumVGPRsForWavesPerEU: 1
; AccumOffset: 4
; Occupancy: 8
; WaveLimiterHint : 0
; COMPUTE_PGM_RSRC2:SCRATCH_EN: 0
; COMPUTE_PGM_RSRC2:USER_SGPR: 2
; COMPUTE_PGM_RSRC2:TRAP_HANDLER: 0
; COMPUTE_PGM_RSRC2:TGID_X_EN: 1
; COMPUTE_PGM_RSRC2:TGID_Y_EN: 0
; COMPUTE_PGM_RSRC2:TGID_Z_EN: 0
; COMPUTE_PGM_RSRC2:TIDIG_COMP_CNT: 0
; COMPUTE_PGM_RSRC3_GFX90A:ACCUM_OFFSET: 0
; COMPUTE_PGM_RSRC3_GFX90A:TG_SPLIT: 0
	.section	.text._ZN7rocprim17ROCPRIM_400000_NS6detail17trampoline_kernelINS0_14default_configENS1_25transform_config_selectorIfLb1EEEZNS1_14transform_implILb1ES3_S5_PfS7_NS0_8identityIfEEEE10hipError_tT2_T3_mT4_P12ihipStream_tbEUlT_E_NS1_11comp_targetILNS1_3genE5ELNS1_11target_archE942ELNS1_3gpuE9ELNS1_3repE0EEENS1_30default_config_static_selectorELNS0_4arch9wavefront6targetE1EEEvT1_,"axG",@progbits,_ZN7rocprim17ROCPRIM_400000_NS6detail17trampoline_kernelINS0_14default_configENS1_25transform_config_selectorIfLb1EEEZNS1_14transform_implILb1ES3_S5_PfS7_NS0_8identityIfEEEE10hipError_tT2_T3_mT4_P12ihipStream_tbEUlT_E_NS1_11comp_targetILNS1_3genE5ELNS1_11target_archE942ELNS1_3gpuE9ELNS1_3repE0EEENS1_30default_config_static_selectorELNS0_4arch9wavefront6targetE1EEEvT1_,comdat
	.protected	_ZN7rocprim17ROCPRIM_400000_NS6detail17trampoline_kernelINS0_14default_configENS1_25transform_config_selectorIfLb1EEEZNS1_14transform_implILb1ES3_S5_PfS7_NS0_8identityIfEEEE10hipError_tT2_T3_mT4_P12ihipStream_tbEUlT_E_NS1_11comp_targetILNS1_3genE5ELNS1_11target_archE942ELNS1_3gpuE9ELNS1_3repE0EEENS1_30default_config_static_selectorELNS0_4arch9wavefront6targetE1EEEvT1_ ; -- Begin function _ZN7rocprim17ROCPRIM_400000_NS6detail17trampoline_kernelINS0_14default_configENS1_25transform_config_selectorIfLb1EEEZNS1_14transform_implILb1ES3_S5_PfS7_NS0_8identityIfEEEE10hipError_tT2_T3_mT4_P12ihipStream_tbEUlT_E_NS1_11comp_targetILNS1_3genE5ELNS1_11target_archE942ELNS1_3gpuE9ELNS1_3repE0EEENS1_30default_config_static_selectorELNS0_4arch9wavefront6targetE1EEEvT1_
	.globl	_ZN7rocprim17ROCPRIM_400000_NS6detail17trampoline_kernelINS0_14default_configENS1_25transform_config_selectorIfLb1EEEZNS1_14transform_implILb1ES3_S5_PfS7_NS0_8identityIfEEEE10hipError_tT2_T3_mT4_P12ihipStream_tbEUlT_E_NS1_11comp_targetILNS1_3genE5ELNS1_11target_archE942ELNS1_3gpuE9ELNS1_3repE0EEENS1_30default_config_static_selectorELNS0_4arch9wavefront6targetE1EEEvT1_
	.p2align	8
	.type	_ZN7rocprim17ROCPRIM_400000_NS6detail17trampoline_kernelINS0_14default_configENS1_25transform_config_selectorIfLb1EEEZNS1_14transform_implILb1ES3_S5_PfS7_NS0_8identityIfEEEE10hipError_tT2_T3_mT4_P12ihipStream_tbEUlT_E_NS1_11comp_targetILNS1_3genE5ELNS1_11target_archE942ELNS1_3gpuE9ELNS1_3repE0EEENS1_30default_config_static_selectorELNS0_4arch9wavefront6targetE1EEEvT1_,@function
_ZN7rocprim17ROCPRIM_400000_NS6detail17trampoline_kernelINS0_14default_configENS1_25transform_config_selectorIfLb1EEEZNS1_14transform_implILb1ES3_S5_PfS7_NS0_8identityIfEEEE10hipError_tT2_T3_mT4_P12ihipStream_tbEUlT_E_NS1_11comp_targetILNS1_3genE5ELNS1_11target_archE942ELNS1_3gpuE9ELNS1_3repE0EEENS1_30default_config_static_selectorELNS0_4arch9wavefront6targetE1EEEvT1_: ; @_ZN7rocprim17ROCPRIM_400000_NS6detail17trampoline_kernelINS0_14default_configENS1_25transform_config_selectorIfLb1EEEZNS1_14transform_implILb1ES3_S5_PfS7_NS0_8identityIfEEEE10hipError_tT2_T3_mT4_P12ihipStream_tbEUlT_E_NS1_11comp_targetILNS1_3genE5ELNS1_11target_archE942ELNS1_3gpuE9ELNS1_3repE0EEENS1_30default_config_static_selectorELNS0_4arch9wavefront6targetE1EEEvT1_
; %bb.0:
	.section	.rodata,"a",@progbits
	.p2align	6, 0x0
	.amdhsa_kernel _ZN7rocprim17ROCPRIM_400000_NS6detail17trampoline_kernelINS0_14default_configENS1_25transform_config_selectorIfLb1EEEZNS1_14transform_implILb1ES3_S5_PfS7_NS0_8identityIfEEEE10hipError_tT2_T3_mT4_P12ihipStream_tbEUlT_E_NS1_11comp_targetILNS1_3genE5ELNS1_11target_archE942ELNS1_3gpuE9ELNS1_3repE0EEENS1_30default_config_static_selectorELNS0_4arch9wavefront6targetE1EEEvT1_
		.amdhsa_group_segment_fixed_size 0
		.amdhsa_private_segment_fixed_size 0
		.amdhsa_kernarg_size 40
		.amdhsa_user_sgpr_count 2
		.amdhsa_user_sgpr_dispatch_ptr 0
		.amdhsa_user_sgpr_queue_ptr 0
		.amdhsa_user_sgpr_kernarg_segment_ptr 1
		.amdhsa_user_sgpr_dispatch_id 0
		.amdhsa_user_sgpr_kernarg_preload_length 0
		.amdhsa_user_sgpr_kernarg_preload_offset 0
		.amdhsa_user_sgpr_private_segment_size 0
		.amdhsa_uses_dynamic_stack 0
		.amdhsa_enable_private_segment 0
		.amdhsa_system_sgpr_workgroup_id_x 1
		.amdhsa_system_sgpr_workgroup_id_y 0
		.amdhsa_system_sgpr_workgroup_id_z 0
		.amdhsa_system_sgpr_workgroup_info 0
		.amdhsa_system_vgpr_workitem_id 0
		.amdhsa_next_free_vgpr 1
		.amdhsa_next_free_sgpr 0
		.amdhsa_accum_offset 4
		.amdhsa_reserve_vcc 0
		.amdhsa_float_round_mode_32 0
		.amdhsa_float_round_mode_16_64 0
		.amdhsa_float_denorm_mode_32 3
		.amdhsa_float_denorm_mode_16_64 3
		.amdhsa_dx10_clamp 1
		.amdhsa_ieee_mode 1
		.amdhsa_fp16_overflow 0
		.amdhsa_tg_split 0
		.amdhsa_exception_fp_ieee_invalid_op 0
		.amdhsa_exception_fp_denorm_src 0
		.amdhsa_exception_fp_ieee_div_zero 0
		.amdhsa_exception_fp_ieee_overflow 0
		.amdhsa_exception_fp_ieee_underflow 0
		.amdhsa_exception_fp_ieee_inexact 0
		.amdhsa_exception_int_div_zero 0
	.end_amdhsa_kernel
	.section	.text._ZN7rocprim17ROCPRIM_400000_NS6detail17trampoline_kernelINS0_14default_configENS1_25transform_config_selectorIfLb1EEEZNS1_14transform_implILb1ES3_S5_PfS7_NS0_8identityIfEEEE10hipError_tT2_T3_mT4_P12ihipStream_tbEUlT_E_NS1_11comp_targetILNS1_3genE5ELNS1_11target_archE942ELNS1_3gpuE9ELNS1_3repE0EEENS1_30default_config_static_selectorELNS0_4arch9wavefront6targetE1EEEvT1_,"axG",@progbits,_ZN7rocprim17ROCPRIM_400000_NS6detail17trampoline_kernelINS0_14default_configENS1_25transform_config_selectorIfLb1EEEZNS1_14transform_implILb1ES3_S5_PfS7_NS0_8identityIfEEEE10hipError_tT2_T3_mT4_P12ihipStream_tbEUlT_E_NS1_11comp_targetILNS1_3genE5ELNS1_11target_archE942ELNS1_3gpuE9ELNS1_3repE0EEENS1_30default_config_static_selectorELNS0_4arch9wavefront6targetE1EEEvT1_,comdat
.Lfunc_end99:
	.size	_ZN7rocprim17ROCPRIM_400000_NS6detail17trampoline_kernelINS0_14default_configENS1_25transform_config_selectorIfLb1EEEZNS1_14transform_implILb1ES3_S5_PfS7_NS0_8identityIfEEEE10hipError_tT2_T3_mT4_P12ihipStream_tbEUlT_E_NS1_11comp_targetILNS1_3genE5ELNS1_11target_archE942ELNS1_3gpuE9ELNS1_3repE0EEENS1_30default_config_static_selectorELNS0_4arch9wavefront6targetE1EEEvT1_, .Lfunc_end99-_ZN7rocprim17ROCPRIM_400000_NS6detail17trampoline_kernelINS0_14default_configENS1_25transform_config_selectorIfLb1EEEZNS1_14transform_implILb1ES3_S5_PfS7_NS0_8identityIfEEEE10hipError_tT2_T3_mT4_P12ihipStream_tbEUlT_E_NS1_11comp_targetILNS1_3genE5ELNS1_11target_archE942ELNS1_3gpuE9ELNS1_3repE0EEENS1_30default_config_static_selectorELNS0_4arch9wavefront6targetE1EEEvT1_
                                        ; -- End function
	.set _ZN7rocprim17ROCPRIM_400000_NS6detail17trampoline_kernelINS0_14default_configENS1_25transform_config_selectorIfLb1EEEZNS1_14transform_implILb1ES3_S5_PfS7_NS0_8identityIfEEEE10hipError_tT2_T3_mT4_P12ihipStream_tbEUlT_E_NS1_11comp_targetILNS1_3genE5ELNS1_11target_archE942ELNS1_3gpuE9ELNS1_3repE0EEENS1_30default_config_static_selectorELNS0_4arch9wavefront6targetE1EEEvT1_.num_vgpr, 0
	.set _ZN7rocprim17ROCPRIM_400000_NS6detail17trampoline_kernelINS0_14default_configENS1_25transform_config_selectorIfLb1EEEZNS1_14transform_implILb1ES3_S5_PfS7_NS0_8identityIfEEEE10hipError_tT2_T3_mT4_P12ihipStream_tbEUlT_E_NS1_11comp_targetILNS1_3genE5ELNS1_11target_archE942ELNS1_3gpuE9ELNS1_3repE0EEENS1_30default_config_static_selectorELNS0_4arch9wavefront6targetE1EEEvT1_.num_agpr, 0
	.set _ZN7rocprim17ROCPRIM_400000_NS6detail17trampoline_kernelINS0_14default_configENS1_25transform_config_selectorIfLb1EEEZNS1_14transform_implILb1ES3_S5_PfS7_NS0_8identityIfEEEE10hipError_tT2_T3_mT4_P12ihipStream_tbEUlT_E_NS1_11comp_targetILNS1_3genE5ELNS1_11target_archE942ELNS1_3gpuE9ELNS1_3repE0EEENS1_30default_config_static_selectorELNS0_4arch9wavefront6targetE1EEEvT1_.numbered_sgpr, 0
	.set _ZN7rocprim17ROCPRIM_400000_NS6detail17trampoline_kernelINS0_14default_configENS1_25transform_config_selectorIfLb1EEEZNS1_14transform_implILb1ES3_S5_PfS7_NS0_8identityIfEEEE10hipError_tT2_T3_mT4_P12ihipStream_tbEUlT_E_NS1_11comp_targetILNS1_3genE5ELNS1_11target_archE942ELNS1_3gpuE9ELNS1_3repE0EEENS1_30default_config_static_selectorELNS0_4arch9wavefront6targetE1EEEvT1_.num_named_barrier, 0
	.set _ZN7rocprim17ROCPRIM_400000_NS6detail17trampoline_kernelINS0_14default_configENS1_25transform_config_selectorIfLb1EEEZNS1_14transform_implILb1ES3_S5_PfS7_NS0_8identityIfEEEE10hipError_tT2_T3_mT4_P12ihipStream_tbEUlT_E_NS1_11comp_targetILNS1_3genE5ELNS1_11target_archE942ELNS1_3gpuE9ELNS1_3repE0EEENS1_30default_config_static_selectorELNS0_4arch9wavefront6targetE1EEEvT1_.private_seg_size, 0
	.set _ZN7rocprim17ROCPRIM_400000_NS6detail17trampoline_kernelINS0_14default_configENS1_25transform_config_selectorIfLb1EEEZNS1_14transform_implILb1ES3_S5_PfS7_NS0_8identityIfEEEE10hipError_tT2_T3_mT4_P12ihipStream_tbEUlT_E_NS1_11comp_targetILNS1_3genE5ELNS1_11target_archE942ELNS1_3gpuE9ELNS1_3repE0EEENS1_30default_config_static_selectorELNS0_4arch9wavefront6targetE1EEEvT1_.uses_vcc, 0
	.set _ZN7rocprim17ROCPRIM_400000_NS6detail17trampoline_kernelINS0_14default_configENS1_25transform_config_selectorIfLb1EEEZNS1_14transform_implILb1ES3_S5_PfS7_NS0_8identityIfEEEE10hipError_tT2_T3_mT4_P12ihipStream_tbEUlT_E_NS1_11comp_targetILNS1_3genE5ELNS1_11target_archE942ELNS1_3gpuE9ELNS1_3repE0EEENS1_30default_config_static_selectorELNS0_4arch9wavefront6targetE1EEEvT1_.uses_flat_scratch, 0
	.set _ZN7rocprim17ROCPRIM_400000_NS6detail17trampoline_kernelINS0_14default_configENS1_25transform_config_selectorIfLb1EEEZNS1_14transform_implILb1ES3_S5_PfS7_NS0_8identityIfEEEE10hipError_tT2_T3_mT4_P12ihipStream_tbEUlT_E_NS1_11comp_targetILNS1_3genE5ELNS1_11target_archE942ELNS1_3gpuE9ELNS1_3repE0EEENS1_30default_config_static_selectorELNS0_4arch9wavefront6targetE1EEEvT1_.has_dyn_sized_stack, 0
	.set _ZN7rocprim17ROCPRIM_400000_NS6detail17trampoline_kernelINS0_14default_configENS1_25transform_config_selectorIfLb1EEEZNS1_14transform_implILb1ES3_S5_PfS7_NS0_8identityIfEEEE10hipError_tT2_T3_mT4_P12ihipStream_tbEUlT_E_NS1_11comp_targetILNS1_3genE5ELNS1_11target_archE942ELNS1_3gpuE9ELNS1_3repE0EEENS1_30default_config_static_selectorELNS0_4arch9wavefront6targetE1EEEvT1_.has_recursion, 0
	.set _ZN7rocprim17ROCPRIM_400000_NS6detail17trampoline_kernelINS0_14default_configENS1_25transform_config_selectorIfLb1EEEZNS1_14transform_implILb1ES3_S5_PfS7_NS0_8identityIfEEEE10hipError_tT2_T3_mT4_P12ihipStream_tbEUlT_E_NS1_11comp_targetILNS1_3genE5ELNS1_11target_archE942ELNS1_3gpuE9ELNS1_3repE0EEENS1_30default_config_static_selectorELNS0_4arch9wavefront6targetE1EEEvT1_.has_indirect_call, 0
	.section	.AMDGPU.csdata,"",@progbits
; Kernel info:
; codeLenInByte = 0
; TotalNumSgprs: 6
; NumVgprs: 0
; NumAgprs: 0
; TotalNumVgprs: 0
; ScratchSize: 0
; MemoryBound: 0
; FloatMode: 240
; IeeeMode: 1
; LDSByteSize: 0 bytes/workgroup (compile time only)
; SGPRBlocks: 0
; VGPRBlocks: 0
; NumSGPRsForWavesPerEU: 6
; NumVGPRsForWavesPerEU: 1
; AccumOffset: 4
; Occupancy: 8
; WaveLimiterHint : 0
; COMPUTE_PGM_RSRC2:SCRATCH_EN: 0
; COMPUTE_PGM_RSRC2:USER_SGPR: 2
; COMPUTE_PGM_RSRC2:TRAP_HANDLER: 0
; COMPUTE_PGM_RSRC2:TGID_X_EN: 1
; COMPUTE_PGM_RSRC2:TGID_Y_EN: 0
; COMPUTE_PGM_RSRC2:TGID_Z_EN: 0
; COMPUTE_PGM_RSRC2:TIDIG_COMP_CNT: 0
; COMPUTE_PGM_RSRC3_GFX90A:ACCUM_OFFSET: 0
; COMPUTE_PGM_RSRC3_GFX90A:TG_SPLIT: 0
	.section	.text._ZN7rocprim17ROCPRIM_400000_NS6detail17trampoline_kernelINS0_14default_configENS1_25transform_config_selectorIfLb1EEEZNS1_14transform_implILb1ES3_S5_PfS7_NS0_8identityIfEEEE10hipError_tT2_T3_mT4_P12ihipStream_tbEUlT_E_NS1_11comp_targetILNS1_3genE4ELNS1_11target_archE910ELNS1_3gpuE8ELNS1_3repE0EEENS1_30default_config_static_selectorELNS0_4arch9wavefront6targetE1EEEvT1_,"axG",@progbits,_ZN7rocprim17ROCPRIM_400000_NS6detail17trampoline_kernelINS0_14default_configENS1_25transform_config_selectorIfLb1EEEZNS1_14transform_implILb1ES3_S5_PfS7_NS0_8identityIfEEEE10hipError_tT2_T3_mT4_P12ihipStream_tbEUlT_E_NS1_11comp_targetILNS1_3genE4ELNS1_11target_archE910ELNS1_3gpuE8ELNS1_3repE0EEENS1_30default_config_static_selectorELNS0_4arch9wavefront6targetE1EEEvT1_,comdat
	.protected	_ZN7rocprim17ROCPRIM_400000_NS6detail17trampoline_kernelINS0_14default_configENS1_25transform_config_selectorIfLb1EEEZNS1_14transform_implILb1ES3_S5_PfS7_NS0_8identityIfEEEE10hipError_tT2_T3_mT4_P12ihipStream_tbEUlT_E_NS1_11comp_targetILNS1_3genE4ELNS1_11target_archE910ELNS1_3gpuE8ELNS1_3repE0EEENS1_30default_config_static_selectorELNS0_4arch9wavefront6targetE1EEEvT1_ ; -- Begin function _ZN7rocprim17ROCPRIM_400000_NS6detail17trampoline_kernelINS0_14default_configENS1_25transform_config_selectorIfLb1EEEZNS1_14transform_implILb1ES3_S5_PfS7_NS0_8identityIfEEEE10hipError_tT2_T3_mT4_P12ihipStream_tbEUlT_E_NS1_11comp_targetILNS1_3genE4ELNS1_11target_archE910ELNS1_3gpuE8ELNS1_3repE0EEENS1_30default_config_static_selectorELNS0_4arch9wavefront6targetE1EEEvT1_
	.globl	_ZN7rocprim17ROCPRIM_400000_NS6detail17trampoline_kernelINS0_14default_configENS1_25transform_config_selectorIfLb1EEEZNS1_14transform_implILb1ES3_S5_PfS7_NS0_8identityIfEEEE10hipError_tT2_T3_mT4_P12ihipStream_tbEUlT_E_NS1_11comp_targetILNS1_3genE4ELNS1_11target_archE910ELNS1_3gpuE8ELNS1_3repE0EEENS1_30default_config_static_selectorELNS0_4arch9wavefront6targetE1EEEvT1_
	.p2align	8
	.type	_ZN7rocprim17ROCPRIM_400000_NS6detail17trampoline_kernelINS0_14default_configENS1_25transform_config_selectorIfLb1EEEZNS1_14transform_implILb1ES3_S5_PfS7_NS0_8identityIfEEEE10hipError_tT2_T3_mT4_P12ihipStream_tbEUlT_E_NS1_11comp_targetILNS1_3genE4ELNS1_11target_archE910ELNS1_3gpuE8ELNS1_3repE0EEENS1_30default_config_static_selectorELNS0_4arch9wavefront6targetE1EEEvT1_,@function
_ZN7rocprim17ROCPRIM_400000_NS6detail17trampoline_kernelINS0_14default_configENS1_25transform_config_selectorIfLb1EEEZNS1_14transform_implILb1ES3_S5_PfS7_NS0_8identityIfEEEE10hipError_tT2_T3_mT4_P12ihipStream_tbEUlT_E_NS1_11comp_targetILNS1_3genE4ELNS1_11target_archE910ELNS1_3gpuE8ELNS1_3repE0EEENS1_30default_config_static_selectorELNS0_4arch9wavefront6targetE1EEEvT1_: ; @_ZN7rocprim17ROCPRIM_400000_NS6detail17trampoline_kernelINS0_14default_configENS1_25transform_config_selectorIfLb1EEEZNS1_14transform_implILb1ES3_S5_PfS7_NS0_8identityIfEEEE10hipError_tT2_T3_mT4_P12ihipStream_tbEUlT_E_NS1_11comp_targetILNS1_3genE4ELNS1_11target_archE910ELNS1_3gpuE8ELNS1_3repE0EEENS1_30default_config_static_selectorELNS0_4arch9wavefront6targetE1EEEvT1_
; %bb.0:
	.section	.rodata,"a",@progbits
	.p2align	6, 0x0
	.amdhsa_kernel _ZN7rocprim17ROCPRIM_400000_NS6detail17trampoline_kernelINS0_14default_configENS1_25transform_config_selectorIfLb1EEEZNS1_14transform_implILb1ES3_S5_PfS7_NS0_8identityIfEEEE10hipError_tT2_T3_mT4_P12ihipStream_tbEUlT_E_NS1_11comp_targetILNS1_3genE4ELNS1_11target_archE910ELNS1_3gpuE8ELNS1_3repE0EEENS1_30default_config_static_selectorELNS0_4arch9wavefront6targetE1EEEvT1_
		.amdhsa_group_segment_fixed_size 0
		.amdhsa_private_segment_fixed_size 0
		.amdhsa_kernarg_size 40
		.amdhsa_user_sgpr_count 2
		.amdhsa_user_sgpr_dispatch_ptr 0
		.amdhsa_user_sgpr_queue_ptr 0
		.amdhsa_user_sgpr_kernarg_segment_ptr 1
		.amdhsa_user_sgpr_dispatch_id 0
		.amdhsa_user_sgpr_kernarg_preload_length 0
		.amdhsa_user_sgpr_kernarg_preload_offset 0
		.amdhsa_user_sgpr_private_segment_size 0
		.amdhsa_uses_dynamic_stack 0
		.amdhsa_enable_private_segment 0
		.amdhsa_system_sgpr_workgroup_id_x 1
		.amdhsa_system_sgpr_workgroup_id_y 0
		.amdhsa_system_sgpr_workgroup_id_z 0
		.amdhsa_system_sgpr_workgroup_info 0
		.amdhsa_system_vgpr_workitem_id 0
		.amdhsa_next_free_vgpr 1
		.amdhsa_next_free_sgpr 0
		.amdhsa_accum_offset 4
		.amdhsa_reserve_vcc 0
		.amdhsa_float_round_mode_32 0
		.amdhsa_float_round_mode_16_64 0
		.amdhsa_float_denorm_mode_32 3
		.amdhsa_float_denorm_mode_16_64 3
		.amdhsa_dx10_clamp 1
		.amdhsa_ieee_mode 1
		.amdhsa_fp16_overflow 0
		.amdhsa_tg_split 0
		.amdhsa_exception_fp_ieee_invalid_op 0
		.amdhsa_exception_fp_denorm_src 0
		.amdhsa_exception_fp_ieee_div_zero 0
		.amdhsa_exception_fp_ieee_overflow 0
		.amdhsa_exception_fp_ieee_underflow 0
		.amdhsa_exception_fp_ieee_inexact 0
		.amdhsa_exception_int_div_zero 0
	.end_amdhsa_kernel
	.section	.text._ZN7rocprim17ROCPRIM_400000_NS6detail17trampoline_kernelINS0_14default_configENS1_25transform_config_selectorIfLb1EEEZNS1_14transform_implILb1ES3_S5_PfS7_NS0_8identityIfEEEE10hipError_tT2_T3_mT4_P12ihipStream_tbEUlT_E_NS1_11comp_targetILNS1_3genE4ELNS1_11target_archE910ELNS1_3gpuE8ELNS1_3repE0EEENS1_30default_config_static_selectorELNS0_4arch9wavefront6targetE1EEEvT1_,"axG",@progbits,_ZN7rocprim17ROCPRIM_400000_NS6detail17trampoline_kernelINS0_14default_configENS1_25transform_config_selectorIfLb1EEEZNS1_14transform_implILb1ES3_S5_PfS7_NS0_8identityIfEEEE10hipError_tT2_T3_mT4_P12ihipStream_tbEUlT_E_NS1_11comp_targetILNS1_3genE4ELNS1_11target_archE910ELNS1_3gpuE8ELNS1_3repE0EEENS1_30default_config_static_selectorELNS0_4arch9wavefront6targetE1EEEvT1_,comdat
.Lfunc_end100:
	.size	_ZN7rocprim17ROCPRIM_400000_NS6detail17trampoline_kernelINS0_14default_configENS1_25transform_config_selectorIfLb1EEEZNS1_14transform_implILb1ES3_S5_PfS7_NS0_8identityIfEEEE10hipError_tT2_T3_mT4_P12ihipStream_tbEUlT_E_NS1_11comp_targetILNS1_3genE4ELNS1_11target_archE910ELNS1_3gpuE8ELNS1_3repE0EEENS1_30default_config_static_selectorELNS0_4arch9wavefront6targetE1EEEvT1_, .Lfunc_end100-_ZN7rocprim17ROCPRIM_400000_NS6detail17trampoline_kernelINS0_14default_configENS1_25transform_config_selectorIfLb1EEEZNS1_14transform_implILb1ES3_S5_PfS7_NS0_8identityIfEEEE10hipError_tT2_T3_mT4_P12ihipStream_tbEUlT_E_NS1_11comp_targetILNS1_3genE4ELNS1_11target_archE910ELNS1_3gpuE8ELNS1_3repE0EEENS1_30default_config_static_selectorELNS0_4arch9wavefront6targetE1EEEvT1_
                                        ; -- End function
	.set _ZN7rocprim17ROCPRIM_400000_NS6detail17trampoline_kernelINS0_14default_configENS1_25transform_config_selectorIfLb1EEEZNS1_14transform_implILb1ES3_S5_PfS7_NS0_8identityIfEEEE10hipError_tT2_T3_mT4_P12ihipStream_tbEUlT_E_NS1_11comp_targetILNS1_3genE4ELNS1_11target_archE910ELNS1_3gpuE8ELNS1_3repE0EEENS1_30default_config_static_selectorELNS0_4arch9wavefront6targetE1EEEvT1_.num_vgpr, 0
	.set _ZN7rocprim17ROCPRIM_400000_NS6detail17trampoline_kernelINS0_14default_configENS1_25transform_config_selectorIfLb1EEEZNS1_14transform_implILb1ES3_S5_PfS7_NS0_8identityIfEEEE10hipError_tT2_T3_mT4_P12ihipStream_tbEUlT_E_NS1_11comp_targetILNS1_3genE4ELNS1_11target_archE910ELNS1_3gpuE8ELNS1_3repE0EEENS1_30default_config_static_selectorELNS0_4arch9wavefront6targetE1EEEvT1_.num_agpr, 0
	.set _ZN7rocprim17ROCPRIM_400000_NS6detail17trampoline_kernelINS0_14default_configENS1_25transform_config_selectorIfLb1EEEZNS1_14transform_implILb1ES3_S5_PfS7_NS0_8identityIfEEEE10hipError_tT2_T3_mT4_P12ihipStream_tbEUlT_E_NS1_11comp_targetILNS1_3genE4ELNS1_11target_archE910ELNS1_3gpuE8ELNS1_3repE0EEENS1_30default_config_static_selectorELNS0_4arch9wavefront6targetE1EEEvT1_.numbered_sgpr, 0
	.set _ZN7rocprim17ROCPRIM_400000_NS6detail17trampoline_kernelINS0_14default_configENS1_25transform_config_selectorIfLb1EEEZNS1_14transform_implILb1ES3_S5_PfS7_NS0_8identityIfEEEE10hipError_tT2_T3_mT4_P12ihipStream_tbEUlT_E_NS1_11comp_targetILNS1_3genE4ELNS1_11target_archE910ELNS1_3gpuE8ELNS1_3repE0EEENS1_30default_config_static_selectorELNS0_4arch9wavefront6targetE1EEEvT1_.num_named_barrier, 0
	.set _ZN7rocprim17ROCPRIM_400000_NS6detail17trampoline_kernelINS0_14default_configENS1_25transform_config_selectorIfLb1EEEZNS1_14transform_implILb1ES3_S5_PfS7_NS0_8identityIfEEEE10hipError_tT2_T3_mT4_P12ihipStream_tbEUlT_E_NS1_11comp_targetILNS1_3genE4ELNS1_11target_archE910ELNS1_3gpuE8ELNS1_3repE0EEENS1_30default_config_static_selectorELNS0_4arch9wavefront6targetE1EEEvT1_.private_seg_size, 0
	.set _ZN7rocprim17ROCPRIM_400000_NS6detail17trampoline_kernelINS0_14default_configENS1_25transform_config_selectorIfLb1EEEZNS1_14transform_implILb1ES3_S5_PfS7_NS0_8identityIfEEEE10hipError_tT2_T3_mT4_P12ihipStream_tbEUlT_E_NS1_11comp_targetILNS1_3genE4ELNS1_11target_archE910ELNS1_3gpuE8ELNS1_3repE0EEENS1_30default_config_static_selectorELNS0_4arch9wavefront6targetE1EEEvT1_.uses_vcc, 0
	.set _ZN7rocprim17ROCPRIM_400000_NS6detail17trampoline_kernelINS0_14default_configENS1_25transform_config_selectorIfLb1EEEZNS1_14transform_implILb1ES3_S5_PfS7_NS0_8identityIfEEEE10hipError_tT2_T3_mT4_P12ihipStream_tbEUlT_E_NS1_11comp_targetILNS1_3genE4ELNS1_11target_archE910ELNS1_3gpuE8ELNS1_3repE0EEENS1_30default_config_static_selectorELNS0_4arch9wavefront6targetE1EEEvT1_.uses_flat_scratch, 0
	.set _ZN7rocprim17ROCPRIM_400000_NS6detail17trampoline_kernelINS0_14default_configENS1_25transform_config_selectorIfLb1EEEZNS1_14transform_implILb1ES3_S5_PfS7_NS0_8identityIfEEEE10hipError_tT2_T3_mT4_P12ihipStream_tbEUlT_E_NS1_11comp_targetILNS1_3genE4ELNS1_11target_archE910ELNS1_3gpuE8ELNS1_3repE0EEENS1_30default_config_static_selectorELNS0_4arch9wavefront6targetE1EEEvT1_.has_dyn_sized_stack, 0
	.set _ZN7rocprim17ROCPRIM_400000_NS6detail17trampoline_kernelINS0_14default_configENS1_25transform_config_selectorIfLb1EEEZNS1_14transform_implILb1ES3_S5_PfS7_NS0_8identityIfEEEE10hipError_tT2_T3_mT4_P12ihipStream_tbEUlT_E_NS1_11comp_targetILNS1_3genE4ELNS1_11target_archE910ELNS1_3gpuE8ELNS1_3repE0EEENS1_30default_config_static_selectorELNS0_4arch9wavefront6targetE1EEEvT1_.has_recursion, 0
	.set _ZN7rocprim17ROCPRIM_400000_NS6detail17trampoline_kernelINS0_14default_configENS1_25transform_config_selectorIfLb1EEEZNS1_14transform_implILb1ES3_S5_PfS7_NS0_8identityIfEEEE10hipError_tT2_T3_mT4_P12ihipStream_tbEUlT_E_NS1_11comp_targetILNS1_3genE4ELNS1_11target_archE910ELNS1_3gpuE8ELNS1_3repE0EEENS1_30default_config_static_selectorELNS0_4arch9wavefront6targetE1EEEvT1_.has_indirect_call, 0
	.section	.AMDGPU.csdata,"",@progbits
; Kernel info:
; codeLenInByte = 0
; TotalNumSgprs: 6
; NumVgprs: 0
; NumAgprs: 0
; TotalNumVgprs: 0
; ScratchSize: 0
; MemoryBound: 0
; FloatMode: 240
; IeeeMode: 1
; LDSByteSize: 0 bytes/workgroup (compile time only)
; SGPRBlocks: 0
; VGPRBlocks: 0
; NumSGPRsForWavesPerEU: 6
; NumVGPRsForWavesPerEU: 1
; AccumOffset: 4
; Occupancy: 8
; WaveLimiterHint : 0
; COMPUTE_PGM_RSRC2:SCRATCH_EN: 0
; COMPUTE_PGM_RSRC2:USER_SGPR: 2
; COMPUTE_PGM_RSRC2:TRAP_HANDLER: 0
; COMPUTE_PGM_RSRC2:TGID_X_EN: 1
; COMPUTE_PGM_RSRC2:TGID_Y_EN: 0
; COMPUTE_PGM_RSRC2:TGID_Z_EN: 0
; COMPUTE_PGM_RSRC2:TIDIG_COMP_CNT: 0
; COMPUTE_PGM_RSRC3_GFX90A:ACCUM_OFFSET: 0
; COMPUTE_PGM_RSRC3_GFX90A:TG_SPLIT: 0
	.section	.text._ZN7rocprim17ROCPRIM_400000_NS6detail17trampoline_kernelINS0_14default_configENS1_25transform_config_selectorIfLb1EEEZNS1_14transform_implILb1ES3_S5_PfS7_NS0_8identityIfEEEE10hipError_tT2_T3_mT4_P12ihipStream_tbEUlT_E_NS1_11comp_targetILNS1_3genE3ELNS1_11target_archE908ELNS1_3gpuE7ELNS1_3repE0EEENS1_30default_config_static_selectorELNS0_4arch9wavefront6targetE1EEEvT1_,"axG",@progbits,_ZN7rocprim17ROCPRIM_400000_NS6detail17trampoline_kernelINS0_14default_configENS1_25transform_config_selectorIfLb1EEEZNS1_14transform_implILb1ES3_S5_PfS7_NS0_8identityIfEEEE10hipError_tT2_T3_mT4_P12ihipStream_tbEUlT_E_NS1_11comp_targetILNS1_3genE3ELNS1_11target_archE908ELNS1_3gpuE7ELNS1_3repE0EEENS1_30default_config_static_selectorELNS0_4arch9wavefront6targetE1EEEvT1_,comdat
	.protected	_ZN7rocprim17ROCPRIM_400000_NS6detail17trampoline_kernelINS0_14default_configENS1_25transform_config_selectorIfLb1EEEZNS1_14transform_implILb1ES3_S5_PfS7_NS0_8identityIfEEEE10hipError_tT2_T3_mT4_P12ihipStream_tbEUlT_E_NS1_11comp_targetILNS1_3genE3ELNS1_11target_archE908ELNS1_3gpuE7ELNS1_3repE0EEENS1_30default_config_static_selectorELNS0_4arch9wavefront6targetE1EEEvT1_ ; -- Begin function _ZN7rocprim17ROCPRIM_400000_NS6detail17trampoline_kernelINS0_14default_configENS1_25transform_config_selectorIfLb1EEEZNS1_14transform_implILb1ES3_S5_PfS7_NS0_8identityIfEEEE10hipError_tT2_T3_mT4_P12ihipStream_tbEUlT_E_NS1_11comp_targetILNS1_3genE3ELNS1_11target_archE908ELNS1_3gpuE7ELNS1_3repE0EEENS1_30default_config_static_selectorELNS0_4arch9wavefront6targetE1EEEvT1_
	.globl	_ZN7rocprim17ROCPRIM_400000_NS6detail17trampoline_kernelINS0_14default_configENS1_25transform_config_selectorIfLb1EEEZNS1_14transform_implILb1ES3_S5_PfS7_NS0_8identityIfEEEE10hipError_tT2_T3_mT4_P12ihipStream_tbEUlT_E_NS1_11comp_targetILNS1_3genE3ELNS1_11target_archE908ELNS1_3gpuE7ELNS1_3repE0EEENS1_30default_config_static_selectorELNS0_4arch9wavefront6targetE1EEEvT1_
	.p2align	8
	.type	_ZN7rocprim17ROCPRIM_400000_NS6detail17trampoline_kernelINS0_14default_configENS1_25transform_config_selectorIfLb1EEEZNS1_14transform_implILb1ES3_S5_PfS7_NS0_8identityIfEEEE10hipError_tT2_T3_mT4_P12ihipStream_tbEUlT_E_NS1_11comp_targetILNS1_3genE3ELNS1_11target_archE908ELNS1_3gpuE7ELNS1_3repE0EEENS1_30default_config_static_selectorELNS0_4arch9wavefront6targetE1EEEvT1_,@function
_ZN7rocprim17ROCPRIM_400000_NS6detail17trampoline_kernelINS0_14default_configENS1_25transform_config_selectorIfLb1EEEZNS1_14transform_implILb1ES3_S5_PfS7_NS0_8identityIfEEEE10hipError_tT2_T3_mT4_P12ihipStream_tbEUlT_E_NS1_11comp_targetILNS1_3genE3ELNS1_11target_archE908ELNS1_3gpuE7ELNS1_3repE0EEENS1_30default_config_static_selectorELNS0_4arch9wavefront6targetE1EEEvT1_: ; @_ZN7rocprim17ROCPRIM_400000_NS6detail17trampoline_kernelINS0_14default_configENS1_25transform_config_selectorIfLb1EEEZNS1_14transform_implILb1ES3_S5_PfS7_NS0_8identityIfEEEE10hipError_tT2_T3_mT4_P12ihipStream_tbEUlT_E_NS1_11comp_targetILNS1_3genE3ELNS1_11target_archE908ELNS1_3gpuE7ELNS1_3repE0EEENS1_30default_config_static_selectorELNS0_4arch9wavefront6targetE1EEEvT1_
; %bb.0:
	.section	.rodata,"a",@progbits
	.p2align	6, 0x0
	.amdhsa_kernel _ZN7rocprim17ROCPRIM_400000_NS6detail17trampoline_kernelINS0_14default_configENS1_25transform_config_selectorIfLb1EEEZNS1_14transform_implILb1ES3_S5_PfS7_NS0_8identityIfEEEE10hipError_tT2_T3_mT4_P12ihipStream_tbEUlT_E_NS1_11comp_targetILNS1_3genE3ELNS1_11target_archE908ELNS1_3gpuE7ELNS1_3repE0EEENS1_30default_config_static_selectorELNS0_4arch9wavefront6targetE1EEEvT1_
		.amdhsa_group_segment_fixed_size 0
		.amdhsa_private_segment_fixed_size 0
		.amdhsa_kernarg_size 40
		.amdhsa_user_sgpr_count 2
		.amdhsa_user_sgpr_dispatch_ptr 0
		.amdhsa_user_sgpr_queue_ptr 0
		.amdhsa_user_sgpr_kernarg_segment_ptr 1
		.amdhsa_user_sgpr_dispatch_id 0
		.amdhsa_user_sgpr_kernarg_preload_length 0
		.amdhsa_user_sgpr_kernarg_preload_offset 0
		.amdhsa_user_sgpr_private_segment_size 0
		.amdhsa_uses_dynamic_stack 0
		.amdhsa_enable_private_segment 0
		.amdhsa_system_sgpr_workgroup_id_x 1
		.amdhsa_system_sgpr_workgroup_id_y 0
		.amdhsa_system_sgpr_workgroup_id_z 0
		.amdhsa_system_sgpr_workgroup_info 0
		.amdhsa_system_vgpr_workitem_id 0
		.amdhsa_next_free_vgpr 1
		.amdhsa_next_free_sgpr 0
		.amdhsa_accum_offset 4
		.amdhsa_reserve_vcc 0
		.amdhsa_float_round_mode_32 0
		.amdhsa_float_round_mode_16_64 0
		.amdhsa_float_denorm_mode_32 3
		.amdhsa_float_denorm_mode_16_64 3
		.amdhsa_dx10_clamp 1
		.amdhsa_ieee_mode 1
		.amdhsa_fp16_overflow 0
		.amdhsa_tg_split 0
		.amdhsa_exception_fp_ieee_invalid_op 0
		.amdhsa_exception_fp_denorm_src 0
		.amdhsa_exception_fp_ieee_div_zero 0
		.amdhsa_exception_fp_ieee_overflow 0
		.amdhsa_exception_fp_ieee_underflow 0
		.amdhsa_exception_fp_ieee_inexact 0
		.amdhsa_exception_int_div_zero 0
	.end_amdhsa_kernel
	.section	.text._ZN7rocprim17ROCPRIM_400000_NS6detail17trampoline_kernelINS0_14default_configENS1_25transform_config_selectorIfLb1EEEZNS1_14transform_implILb1ES3_S5_PfS7_NS0_8identityIfEEEE10hipError_tT2_T3_mT4_P12ihipStream_tbEUlT_E_NS1_11comp_targetILNS1_3genE3ELNS1_11target_archE908ELNS1_3gpuE7ELNS1_3repE0EEENS1_30default_config_static_selectorELNS0_4arch9wavefront6targetE1EEEvT1_,"axG",@progbits,_ZN7rocprim17ROCPRIM_400000_NS6detail17trampoline_kernelINS0_14default_configENS1_25transform_config_selectorIfLb1EEEZNS1_14transform_implILb1ES3_S5_PfS7_NS0_8identityIfEEEE10hipError_tT2_T3_mT4_P12ihipStream_tbEUlT_E_NS1_11comp_targetILNS1_3genE3ELNS1_11target_archE908ELNS1_3gpuE7ELNS1_3repE0EEENS1_30default_config_static_selectorELNS0_4arch9wavefront6targetE1EEEvT1_,comdat
.Lfunc_end101:
	.size	_ZN7rocprim17ROCPRIM_400000_NS6detail17trampoline_kernelINS0_14default_configENS1_25transform_config_selectorIfLb1EEEZNS1_14transform_implILb1ES3_S5_PfS7_NS0_8identityIfEEEE10hipError_tT2_T3_mT4_P12ihipStream_tbEUlT_E_NS1_11comp_targetILNS1_3genE3ELNS1_11target_archE908ELNS1_3gpuE7ELNS1_3repE0EEENS1_30default_config_static_selectorELNS0_4arch9wavefront6targetE1EEEvT1_, .Lfunc_end101-_ZN7rocprim17ROCPRIM_400000_NS6detail17trampoline_kernelINS0_14default_configENS1_25transform_config_selectorIfLb1EEEZNS1_14transform_implILb1ES3_S5_PfS7_NS0_8identityIfEEEE10hipError_tT2_T3_mT4_P12ihipStream_tbEUlT_E_NS1_11comp_targetILNS1_3genE3ELNS1_11target_archE908ELNS1_3gpuE7ELNS1_3repE0EEENS1_30default_config_static_selectorELNS0_4arch9wavefront6targetE1EEEvT1_
                                        ; -- End function
	.set _ZN7rocprim17ROCPRIM_400000_NS6detail17trampoline_kernelINS0_14default_configENS1_25transform_config_selectorIfLb1EEEZNS1_14transform_implILb1ES3_S5_PfS7_NS0_8identityIfEEEE10hipError_tT2_T3_mT4_P12ihipStream_tbEUlT_E_NS1_11comp_targetILNS1_3genE3ELNS1_11target_archE908ELNS1_3gpuE7ELNS1_3repE0EEENS1_30default_config_static_selectorELNS0_4arch9wavefront6targetE1EEEvT1_.num_vgpr, 0
	.set _ZN7rocprim17ROCPRIM_400000_NS6detail17trampoline_kernelINS0_14default_configENS1_25transform_config_selectorIfLb1EEEZNS1_14transform_implILb1ES3_S5_PfS7_NS0_8identityIfEEEE10hipError_tT2_T3_mT4_P12ihipStream_tbEUlT_E_NS1_11comp_targetILNS1_3genE3ELNS1_11target_archE908ELNS1_3gpuE7ELNS1_3repE0EEENS1_30default_config_static_selectorELNS0_4arch9wavefront6targetE1EEEvT1_.num_agpr, 0
	.set _ZN7rocprim17ROCPRIM_400000_NS6detail17trampoline_kernelINS0_14default_configENS1_25transform_config_selectorIfLb1EEEZNS1_14transform_implILb1ES3_S5_PfS7_NS0_8identityIfEEEE10hipError_tT2_T3_mT4_P12ihipStream_tbEUlT_E_NS1_11comp_targetILNS1_3genE3ELNS1_11target_archE908ELNS1_3gpuE7ELNS1_3repE0EEENS1_30default_config_static_selectorELNS0_4arch9wavefront6targetE1EEEvT1_.numbered_sgpr, 0
	.set _ZN7rocprim17ROCPRIM_400000_NS6detail17trampoline_kernelINS0_14default_configENS1_25transform_config_selectorIfLb1EEEZNS1_14transform_implILb1ES3_S5_PfS7_NS0_8identityIfEEEE10hipError_tT2_T3_mT4_P12ihipStream_tbEUlT_E_NS1_11comp_targetILNS1_3genE3ELNS1_11target_archE908ELNS1_3gpuE7ELNS1_3repE0EEENS1_30default_config_static_selectorELNS0_4arch9wavefront6targetE1EEEvT1_.num_named_barrier, 0
	.set _ZN7rocprim17ROCPRIM_400000_NS6detail17trampoline_kernelINS0_14default_configENS1_25transform_config_selectorIfLb1EEEZNS1_14transform_implILb1ES3_S5_PfS7_NS0_8identityIfEEEE10hipError_tT2_T3_mT4_P12ihipStream_tbEUlT_E_NS1_11comp_targetILNS1_3genE3ELNS1_11target_archE908ELNS1_3gpuE7ELNS1_3repE0EEENS1_30default_config_static_selectorELNS0_4arch9wavefront6targetE1EEEvT1_.private_seg_size, 0
	.set _ZN7rocprim17ROCPRIM_400000_NS6detail17trampoline_kernelINS0_14default_configENS1_25transform_config_selectorIfLb1EEEZNS1_14transform_implILb1ES3_S5_PfS7_NS0_8identityIfEEEE10hipError_tT2_T3_mT4_P12ihipStream_tbEUlT_E_NS1_11comp_targetILNS1_3genE3ELNS1_11target_archE908ELNS1_3gpuE7ELNS1_3repE0EEENS1_30default_config_static_selectorELNS0_4arch9wavefront6targetE1EEEvT1_.uses_vcc, 0
	.set _ZN7rocprim17ROCPRIM_400000_NS6detail17trampoline_kernelINS0_14default_configENS1_25transform_config_selectorIfLb1EEEZNS1_14transform_implILb1ES3_S5_PfS7_NS0_8identityIfEEEE10hipError_tT2_T3_mT4_P12ihipStream_tbEUlT_E_NS1_11comp_targetILNS1_3genE3ELNS1_11target_archE908ELNS1_3gpuE7ELNS1_3repE0EEENS1_30default_config_static_selectorELNS0_4arch9wavefront6targetE1EEEvT1_.uses_flat_scratch, 0
	.set _ZN7rocprim17ROCPRIM_400000_NS6detail17trampoline_kernelINS0_14default_configENS1_25transform_config_selectorIfLb1EEEZNS1_14transform_implILb1ES3_S5_PfS7_NS0_8identityIfEEEE10hipError_tT2_T3_mT4_P12ihipStream_tbEUlT_E_NS1_11comp_targetILNS1_3genE3ELNS1_11target_archE908ELNS1_3gpuE7ELNS1_3repE0EEENS1_30default_config_static_selectorELNS0_4arch9wavefront6targetE1EEEvT1_.has_dyn_sized_stack, 0
	.set _ZN7rocprim17ROCPRIM_400000_NS6detail17trampoline_kernelINS0_14default_configENS1_25transform_config_selectorIfLb1EEEZNS1_14transform_implILb1ES3_S5_PfS7_NS0_8identityIfEEEE10hipError_tT2_T3_mT4_P12ihipStream_tbEUlT_E_NS1_11comp_targetILNS1_3genE3ELNS1_11target_archE908ELNS1_3gpuE7ELNS1_3repE0EEENS1_30default_config_static_selectorELNS0_4arch9wavefront6targetE1EEEvT1_.has_recursion, 0
	.set _ZN7rocprim17ROCPRIM_400000_NS6detail17trampoline_kernelINS0_14default_configENS1_25transform_config_selectorIfLb1EEEZNS1_14transform_implILb1ES3_S5_PfS7_NS0_8identityIfEEEE10hipError_tT2_T3_mT4_P12ihipStream_tbEUlT_E_NS1_11comp_targetILNS1_3genE3ELNS1_11target_archE908ELNS1_3gpuE7ELNS1_3repE0EEENS1_30default_config_static_selectorELNS0_4arch9wavefront6targetE1EEEvT1_.has_indirect_call, 0
	.section	.AMDGPU.csdata,"",@progbits
; Kernel info:
; codeLenInByte = 0
; TotalNumSgprs: 6
; NumVgprs: 0
; NumAgprs: 0
; TotalNumVgprs: 0
; ScratchSize: 0
; MemoryBound: 0
; FloatMode: 240
; IeeeMode: 1
; LDSByteSize: 0 bytes/workgroup (compile time only)
; SGPRBlocks: 0
; VGPRBlocks: 0
; NumSGPRsForWavesPerEU: 6
; NumVGPRsForWavesPerEU: 1
; AccumOffset: 4
; Occupancy: 8
; WaveLimiterHint : 0
; COMPUTE_PGM_RSRC2:SCRATCH_EN: 0
; COMPUTE_PGM_RSRC2:USER_SGPR: 2
; COMPUTE_PGM_RSRC2:TRAP_HANDLER: 0
; COMPUTE_PGM_RSRC2:TGID_X_EN: 1
; COMPUTE_PGM_RSRC2:TGID_Y_EN: 0
; COMPUTE_PGM_RSRC2:TGID_Z_EN: 0
; COMPUTE_PGM_RSRC2:TIDIG_COMP_CNT: 0
; COMPUTE_PGM_RSRC3_GFX90A:ACCUM_OFFSET: 0
; COMPUTE_PGM_RSRC3_GFX90A:TG_SPLIT: 0
	.section	.text._ZN7rocprim17ROCPRIM_400000_NS6detail17trampoline_kernelINS0_14default_configENS1_25transform_config_selectorIfLb1EEEZNS1_14transform_implILb1ES3_S5_PfS7_NS0_8identityIfEEEE10hipError_tT2_T3_mT4_P12ihipStream_tbEUlT_E_NS1_11comp_targetILNS1_3genE2ELNS1_11target_archE906ELNS1_3gpuE6ELNS1_3repE0EEENS1_30default_config_static_selectorELNS0_4arch9wavefront6targetE1EEEvT1_,"axG",@progbits,_ZN7rocprim17ROCPRIM_400000_NS6detail17trampoline_kernelINS0_14default_configENS1_25transform_config_selectorIfLb1EEEZNS1_14transform_implILb1ES3_S5_PfS7_NS0_8identityIfEEEE10hipError_tT2_T3_mT4_P12ihipStream_tbEUlT_E_NS1_11comp_targetILNS1_3genE2ELNS1_11target_archE906ELNS1_3gpuE6ELNS1_3repE0EEENS1_30default_config_static_selectorELNS0_4arch9wavefront6targetE1EEEvT1_,comdat
	.protected	_ZN7rocprim17ROCPRIM_400000_NS6detail17trampoline_kernelINS0_14default_configENS1_25transform_config_selectorIfLb1EEEZNS1_14transform_implILb1ES3_S5_PfS7_NS0_8identityIfEEEE10hipError_tT2_T3_mT4_P12ihipStream_tbEUlT_E_NS1_11comp_targetILNS1_3genE2ELNS1_11target_archE906ELNS1_3gpuE6ELNS1_3repE0EEENS1_30default_config_static_selectorELNS0_4arch9wavefront6targetE1EEEvT1_ ; -- Begin function _ZN7rocprim17ROCPRIM_400000_NS6detail17trampoline_kernelINS0_14default_configENS1_25transform_config_selectorIfLb1EEEZNS1_14transform_implILb1ES3_S5_PfS7_NS0_8identityIfEEEE10hipError_tT2_T3_mT4_P12ihipStream_tbEUlT_E_NS1_11comp_targetILNS1_3genE2ELNS1_11target_archE906ELNS1_3gpuE6ELNS1_3repE0EEENS1_30default_config_static_selectorELNS0_4arch9wavefront6targetE1EEEvT1_
	.globl	_ZN7rocprim17ROCPRIM_400000_NS6detail17trampoline_kernelINS0_14default_configENS1_25transform_config_selectorIfLb1EEEZNS1_14transform_implILb1ES3_S5_PfS7_NS0_8identityIfEEEE10hipError_tT2_T3_mT4_P12ihipStream_tbEUlT_E_NS1_11comp_targetILNS1_3genE2ELNS1_11target_archE906ELNS1_3gpuE6ELNS1_3repE0EEENS1_30default_config_static_selectorELNS0_4arch9wavefront6targetE1EEEvT1_
	.p2align	8
	.type	_ZN7rocprim17ROCPRIM_400000_NS6detail17trampoline_kernelINS0_14default_configENS1_25transform_config_selectorIfLb1EEEZNS1_14transform_implILb1ES3_S5_PfS7_NS0_8identityIfEEEE10hipError_tT2_T3_mT4_P12ihipStream_tbEUlT_E_NS1_11comp_targetILNS1_3genE2ELNS1_11target_archE906ELNS1_3gpuE6ELNS1_3repE0EEENS1_30default_config_static_selectorELNS0_4arch9wavefront6targetE1EEEvT1_,@function
_ZN7rocprim17ROCPRIM_400000_NS6detail17trampoline_kernelINS0_14default_configENS1_25transform_config_selectorIfLb1EEEZNS1_14transform_implILb1ES3_S5_PfS7_NS0_8identityIfEEEE10hipError_tT2_T3_mT4_P12ihipStream_tbEUlT_E_NS1_11comp_targetILNS1_3genE2ELNS1_11target_archE906ELNS1_3gpuE6ELNS1_3repE0EEENS1_30default_config_static_selectorELNS0_4arch9wavefront6targetE1EEEvT1_: ; @_ZN7rocprim17ROCPRIM_400000_NS6detail17trampoline_kernelINS0_14default_configENS1_25transform_config_selectorIfLb1EEEZNS1_14transform_implILb1ES3_S5_PfS7_NS0_8identityIfEEEE10hipError_tT2_T3_mT4_P12ihipStream_tbEUlT_E_NS1_11comp_targetILNS1_3genE2ELNS1_11target_archE906ELNS1_3gpuE6ELNS1_3repE0EEENS1_30default_config_static_selectorELNS0_4arch9wavefront6targetE1EEEvT1_
; %bb.0:
	.section	.rodata,"a",@progbits
	.p2align	6, 0x0
	.amdhsa_kernel _ZN7rocprim17ROCPRIM_400000_NS6detail17trampoline_kernelINS0_14default_configENS1_25transform_config_selectorIfLb1EEEZNS1_14transform_implILb1ES3_S5_PfS7_NS0_8identityIfEEEE10hipError_tT2_T3_mT4_P12ihipStream_tbEUlT_E_NS1_11comp_targetILNS1_3genE2ELNS1_11target_archE906ELNS1_3gpuE6ELNS1_3repE0EEENS1_30default_config_static_selectorELNS0_4arch9wavefront6targetE1EEEvT1_
		.amdhsa_group_segment_fixed_size 0
		.amdhsa_private_segment_fixed_size 0
		.amdhsa_kernarg_size 40
		.amdhsa_user_sgpr_count 2
		.amdhsa_user_sgpr_dispatch_ptr 0
		.amdhsa_user_sgpr_queue_ptr 0
		.amdhsa_user_sgpr_kernarg_segment_ptr 1
		.amdhsa_user_sgpr_dispatch_id 0
		.amdhsa_user_sgpr_kernarg_preload_length 0
		.amdhsa_user_sgpr_kernarg_preload_offset 0
		.amdhsa_user_sgpr_private_segment_size 0
		.amdhsa_uses_dynamic_stack 0
		.amdhsa_enable_private_segment 0
		.amdhsa_system_sgpr_workgroup_id_x 1
		.amdhsa_system_sgpr_workgroup_id_y 0
		.amdhsa_system_sgpr_workgroup_id_z 0
		.amdhsa_system_sgpr_workgroup_info 0
		.amdhsa_system_vgpr_workitem_id 0
		.amdhsa_next_free_vgpr 1
		.amdhsa_next_free_sgpr 0
		.amdhsa_accum_offset 4
		.amdhsa_reserve_vcc 0
		.amdhsa_float_round_mode_32 0
		.amdhsa_float_round_mode_16_64 0
		.amdhsa_float_denorm_mode_32 3
		.amdhsa_float_denorm_mode_16_64 3
		.amdhsa_dx10_clamp 1
		.amdhsa_ieee_mode 1
		.amdhsa_fp16_overflow 0
		.amdhsa_tg_split 0
		.amdhsa_exception_fp_ieee_invalid_op 0
		.amdhsa_exception_fp_denorm_src 0
		.amdhsa_exception_fp_ieee_div_zero 0
		.amdhsa_exception_fp_ieee_overflow 0
		.amdhsa_exception_fp_ieee_underflow 0
		.amdhsa_exception_fp_ieee_inexact 0
		.amdhsa_exception_int_div_zero 0
	.end_amdhsa_kernel
	.section	.text._ZN7rocprim17ROCPRIM_400000_NS6detail17trampoline_kernelINS0_14default_configENS1_25transform_config_selectorIfLb1EEEZNS1_14transform_implILb1ES3_S5_PfS7_NS0_8identityIfEEEE10hipError_tT2_T3_mT4_P12ihipStream_tbEUlT_E_NS1_11comp_targetILNS1_3genE2ELNS1_11target_archE906ELNS1_3gpuE6ELNS1_3repE0EEENS1_30default_config_static_selectorELNS0_4arch9wavefront6targetE1EEEvT1_,"axG",@progbits,_ZN7rocprim17ROCPRIM_400000_NS6detail17trampoline_kernelINS0_14default_configENS1_25transform_config_selectorIfLb1EEEZNS1_14transform_implILb1ES3_S5_PfS7_NS0_8identityIfEEEE10hipError_tT2_T3_mT4_P12ihipStream_tbEUlT_E_NS1_11comp_targetILNS1_3genE2ELNS1_11target_archE906ELNS1_3gpuE6ELNS1_3repE0EEENS1_30default_config_static_selectorELNS0_4arch9wavefront6targetE1EEEvT1_,comdat
.Lfunc_end102:
	.size	_ZN7rocprim17ROCPRIM_400000_NS6detail17trampoline_kernelINS0_14default_configENS1_25transform_config_selectorIfLb1EEEZNS1_14transform_implILb1ES3_S5_PfS7_NS0_8identityIfEEEE10hipError_tT2_T3_mT4_P12ihipStream_tbEUlT_E_NS1_11comp_targetILNS1_3genE2ELNS1_11target_archE906ELNS1_3gpuE6ELNS1_3repE0EEENS1_30default_config_static_selectorELNS0_4arch9wavefront6targetE1EEEvT1_, .Lfunc_end102-_ZN7rocprim17ROCPRIM_400000_NS6detail17trampoline_kernelINS0_14default_configENS1_25transform_config_selectorIfLb1EEEZNS1_14transform_implILb1ES3_S5_PfS7_NS0_8identityIfEEEE10hipError_tT2_T3_mT4_P12ihipStream_tbEUlT_E_NS1_11comp_targetILNS1_3genE2ELNS1_11target_archE906ELNS1_3gpuE6ELNS1_3repE0EEENS1_30default_config_static_selectorELNS0_4arch9wavefront6targetE1EEEvT1_
                                        ; -- End function
	.set _ZN7rocprim17ROCPRIM_400000_NS6detail17trampoline_kernelINS0_14default_configENS1_25transform_config_selectorIfLb1EEEZNS1_14transform_implILb1ES3_S5_PfS7_NS0_8identityIfEEEE10hipError_tT2_T3_mT4_P12ihipStream_tbEUlT_E_NS1_11comp_targetILNS1_3genE2ELNS1_11target_archE906ELNS1_3gpuE6ELNS1_3repE0EEENS1_30default_config_static_selectorELNS0_4arch9wavefront6targetE1EEEvT1_.num_vgpr, 0
	.set _ZN7rocprim17ROCPRIM_400000_NS6detail17trampoline_kernelINS0_14default_configENS1_25transform_config_selectorIfLb1EEEZNS1_14transform_implILb1ES3_S5_PfS7_NS0_8identityIfEEEE10hipError_tT2_T3_mT4_P12ihipStream_tbEUlT_E_NS1_11comp_targetILNS1_3genE2ELNS1_11target_archE906ELNS1_3gpuE6ELNS1_3repE0EEENS1_30default_config_static_selectorELNS0_4arch9wavefront6targetE1EEEvT1_.num_agpr, 0
	.set _ZN7rocprim17ROCPRIM_400000_NS6detail17trampoline_kernelINS0_14default_configENS1_25transform_config_selectorIfLb1EEEZNS1_14transform_implILb1ES3_S5_PfS7_NS0_8identityIfEEEE10hipError_tT2_T3_mT4_P12ihipStream_tbEUlT_E_NS1_11comp_targetILNS1_3genE2ELNS1_11target_archE906ELNS1_3gpuE6ELNS1_3repE0EEENS1_30default_config_static_selectorELNS0_4arch9wavefront6targetE1EEEvT1_.numbered_sgpr, 0
	.set _ZN7rocprim17ROCPRIM_400000_NS6detail17trampoline_kernelINS0_14default_configENS1_25transform_config_selectorIfLb1EEEZNS1_14transform_implILb1ES3_S5_PfS7_NS0_8identityIfEEEE10hipError_tT2_T3_mT4_P12ihipStream_tbEUlT_E_NS1_11comp_targetILNS1_3genE2ELNS1_11target_archE906ELNS1_3gpuE6ELNS1_3repE0EEENS1_30default_config_static_selectorELNS0_4arch9wavefront6targetE1EEEvT1_.num_named_barrier, 0
	.set _ZN7rocprim17ROCPRIM_400000_NS6detail17trampoline_kernelINS0_14default_configENS1_25transform_config_selectorIfLb1EEEZNS1_14transform_implILb1ES3_S5_PfS7_NS0_8identityIfEEEE10hipError_tT2_T3_mT4_P12ihipStream_tbEUlT_E_NS1_11comp_targetILNS1_3genE2ELNS1_11target_archE906ELNS1_3gpuE6ELNS1_3repE0EEENS1_30default_config_static_selectorELNS0_4arch9wavefront6targetE1EEEvT1_.private_seg_size, 0
	.set _ZN7rocprim17ROCPRIM_400000_NS6detail17trampoline_kernelINS0_14default_configENS1_25transform_config_selectorIfLb1EEEZNS1_14transform_implILb1ES3_S5_PfS7_NS0_8identityIfEEEE10hipError_tT2_T3_mT4_P12ihipStream_tbEUlT_E_NS1_11comp_targetILNS1_3genE2ELNS1_11target_archE906ELNS1_3gpuE6ELNS1_3repE0EEENS1_30default_config_static_selectorELNS0_4arch9wavefront6targetE1EEEvT1_.uses_vcc, 0
	.set _ZN7rocprim17ROCPRIM_400000_NS6detail17trampoline_kernelINS0_14default_configENS1_25transform_config_selectorIfLb1EEEZNS1_14transform_implILb1ES3_S5_PfS7_NS0_8identityIfEEEE10hipError_tT2_T3_mT4_P12ihipStream_tbEUlT_E_NS1_11comp_targetILNS1_3genE2ELNS1_11target_archE906ELNS1_3gpuE6ELNS1_3repE0EEENS1_30default_config_static_selectorELNS0_4arch9wavefront6targetE1EEEvT1_.uses_flat_scratch, 0
	.set _ZN7rocprim17ROCPRIM_400000_NS6detail17trampoline_kernelINS0_14default_configENS1_25transform_config_selectorIfLb1EEEZNS1_14transform_implILb1ES3_S5_PfS7_NS0_8identityIfEEEE10hipError_tT2_T3_mT4_P12ihipStream_tbEUlT_E_NS1_11comp_targetILNS1_3genE2ELNS1_11target_archE906ELNS1_3gpuE6ELNS1_3repE0EEENS1_30default_config_static_selectorELNS0_4arch9wavefront6targetE1EEEvT1_.has_dyn_sized_stack, 0
	.set _ZN7rocprim17ROCPRIM_400000_NS6detail17trampoline_kernelINS0_14default_configENS1_25transform_config_selectorIfLb1EEEZNS1_14transform_implILb1ES3_S5_PfS7_NS0_8identityIfEEEE10hipError_tT2_T3_mT4_P12ihipStream_tbEUlT_E_NS1_11comp_targetILNS1_3genE2ELNS1_11target_archE906ELNS1_3gpuE6ELNS1_3repE0EEENS1_30default_config_static_selectorELNS0_4arch9wavefront6targetE1EEEvT1_.has_recursion, 0
	.set _ZN7rocprim17ROCPRIM_400000_NS6detail17trampoline_kernelINS0_14default_configENS1_25transform_config_selectorIfLb1EEEZNS1_14transform_implILb1ES3_S5_PfS7_NS0_8identityIfEEEE10hipError_tT2_T3_mT4_P12ihipStream_tbEUlT_E_NS1_11comp_targetILNS1_3genE2ELNS1_11target_archE906ELNS1_3gpuE6ELNS1_3repE0EEENS1_30default_config_static_selectorELNS0_4arch9wavefront6targetE1EEEvT1_.has_indirect_call, 0
	.section	.AMDGPU.csdata,"",@progbits
; Kernel info:
; codeLenInByte = 0
; TotalNumSgprs: 6
; NumVgprs: 0
; NumAgprs: 0
; TotalNumVgprs: 0
; ScratchSize: 0
; MemoryBound: 0
; FloatMode: 240
; IeeeMode: 1
; LDSByteSize: 0 bytes/workgroup (compile time only)
; SGPRBlocks: 0
; VGPRBlocks: 0
; NumSGPRsForWavesPerEU: 6
; NumVGPRsForWavesPerEU: 1
; AccumOffset: 4
; Occupancy: 8
; WaveLimiterHint : 0
; COMPUTE_PGM_RSRC2:SCRATCH_EN: 0
; COMPUTE_PGM_RSRC2:USER_SGPR: 2
; COMPUTE_PGM_RSRC2:TRAP_HANDLER: 0
; COMPUTE_PGM_RSRC2:TGID_X_EN: 1
; COMPUTE_PGM_RSRC2:TGID_Y_EN: 0
; COMPUTE_PGM_RSRC2:TGID_Z_EN: 0
; COMPUTE_PGM_RSRC2:TIDIG_COMP_CNT: 0
; COMPUTE_PGM_RSRC3_GFX90A:ACCUM_OFFSET: 0
; COMPUTE_PGM_RSRC3_GFX90A:TG_SPLIT: 0
	.section	.text._ZN7rocprim17ROCPRIM_400000_NS6detail17trampoline_kernelINS0_14default_configENS1_25transform_config_selectorIfLb1EEEZNS1_14transform_implILb1ES3_S5_PfS7_NS0_8identityIfEEEE10hipError_tT2_T3_mT4_P12ihipStream_tbEUlT_E_NS1_11comp_targetILNS1_3genE9ELNS1_11target_archE1100ELNS1_3gpuE3ELNS1_3repE0EEENS1_30default_config_static_selectorELNS0_4arch9wavefront6targetE1EEEvT1_,"axG",@progbits,_ZN7rocprim17ROCPRIM_400000_NS6detail17trampoline_kernelINS0_14default_configENS1_25transform_config_selectorIfLb1EEEZNS1_14transform_implILb1ES3_S5_PfS7_NS0_8identityIfEEEE10hipError_tT2_T3_mT4_P12ihipStream_tbEUlT_E_NS1_11comp_targetILNS1_3genE9ELNS1_11target_archE1100ELNS1_3gpuE3ELNS1_3repE0EEENS1_30default_config_static_selectorELNS0_4arch9wavefront6targetE1EEEvT1_,comdat
	.protected	_ZN7rocprim17ROCPRIM_400000_NS6detail17trampoline_kernelINS0_14default_configENS1_25transform_config_selectorIfLb1EEEZNS1_14transform_implILb1ES3_S5_PfS7_NS0_8identityIfEEEE10hipError_tT2_T3_mT4_P12ihipStream_tbEUlT_E_NS1_11comp_targetILNS1_3genE9ELNS1_11target_archE1100ELNS1_3gpuE3ELNS1_3repE0EEENS1_30default_config_static_selectorELNS0_4arch9wavefront6targetE1EEEvT1_ ; -- Begin function _ZN7rocprim17ROCPRIM_400000_NS6detail17trampoline_kernelINS0_14default_configENS1_25transform_config_selectorIfLb1EEEZNS1_14transform_implILb1ES3_S5_PfS7_NS0_8identityIfEEEE10hipError_tT2_T3_mT4_P12ihipStream_tbEUlT_E_NS1_11comp_targetILNS1_3genE9ELNS1_11target_archE1100ELNS1_3gpuE3ELNS1_3repE0EEENS1_30default_config_static_selectorELNS0_4arch9wavefront6targetE1EEEvT1_
	.globl	_ZN7rocprim17ROCPRIM_400000_NS6detail17trampoline_kernelINS0_14default_configENS1_25transform_config_selectorIfLb1EEEZNS1_14transform_implILb1ES3_S5_PfS7_NS0_8identityIfEEEE10hipError_tT2_T3_mT4_P12ihipStream_tbEUlT_E_NS1_11comp_targetILNS1_3genE9ELNS1_11target_archE1100ELNS1_3gpuE3ELNS1_3repE0EEENS1_30default_config_static_selectorELNS0_4arch9wavefront6targetE1EEEvT1_
	.p2align	8
	.type	_ZN7rocprim17ROCPRIM_400000_NS6detail17trampoline_kernelINS0_14default_configENS1_25transform_config_selectorIfLb1EEEZNS1_14transform_implILb1ES3_S5_PfS7_NS0_8identityIfEEEE10hipError_tT2_T3_mT4_P12ihipStream_tbEUlT_E_NS1_11comp_targetILNS1_3genE9ELNS1_11target_archE1100ELNS1_3gpuE3ELNS1_3repE0EEENS1_30default_config_static_selectorELNS0_4arch9wavefront6targetE1EEEvT1_,@function
_ZN7rocprim17ROCPRIM_400000_NS6detail17trampoline_kernelINS0_14default_configENS1_25transform_config_selectorIfLb1EEEZNS1_14transform_implILb1ES3_S5_PfS7_NS0_8identityIfEEEE10hipError_tT2_T3_mT4_P12ihipStream_tbEUlT_E_NS1_11comp_targetILNS1_3genE9ELNS1_11target_archE1100ELNS1_3gpuE3ELNS1_3repE0EEENS1_30default_config_static_selectorELNS0_4arch9wavefront6targetE1EEEvT1_: ; @_ZN7rocprim17ROCPRIM_400000_NS6detail17trampoline_kernelINS0_14default_configENS1_25transform_config_selectorIfLb1EEEZNS1_14transform_implILb1ES3_S5_PfS7_NS0_8identityIfEEEE10hipError_tT2_T3_mT4_P12ihipStream_tbEUlT_E_NS1_11comp_targetILNS1_3genE9ELNS1_11target_archE1100ELNS1_3gpuE3ELNS1_3repE0EEENS1_30default_config_static_selectorELNS0_4arch9wavefront6targetE1EEEvT1_
; %bb.0:
	.section	.rodata,"a",@progbits
	.p2align	6, 0x0
	.amdhsa_kernel _ZN7rocprim17ROCPRIM_400000_NS6detail17trampoline_kernelINS0_14default_configENS1_25transform_config_selectorIfLb1EEEZNS1_14transform_implILb1ES3_S5_PfS7_NS0_8identityIfEEEE10hipError_tT2_T3_mT4_P12ihipStream_tbEUlT_E_NS1_11comp_targetILNS1_3genE9ELNS1_11target_archE1100ELNS1_3gpuE3ELNS1_3repE0EEENS1_30default_config_static_selectorELNS0_4arch9wavefront6targetE1EEEvT1_
		.amdhsa_group_segment_fixed_size 0
		.amdhsa_private_segment_fixed_size 0
		.amdhsa_kernarg_size 40
		.amdhsa_user_sgpr_count 2
		.amdhsa_user_sgpr_dispatch_ptr 0
		.amdhsa_user_sgpr_queue_ptr 0
		.amdhsa_user_sgpr_kernarg_segment_ptr 1
		.amdhsa_user_sgpr_dispatch_id 0
		.amdhsa_user_sgpr_kernarg_preload_length 0
		.amdhsa_user_sgpr_kernarg_preload_offset 0
		.amdhsa_user_sgpr_private_segment_size 0
		.amdhsa_uses_dynamic_stack 0
		.amdhsa_enable_private_segment 0
		.amdhsa_system_sgpr_workgroup_id_x 1
		.amdhsa_system_sgpr_workgroup_id_y 0
		.amdhsa_system_sgpr_workgroup_id_z 0
		.amdhsa_system_sgpr_workgroup_info 0
		.amdhsa_system_vgpr_workitem_id 0
		.amdhsa_next_free_vgpr 1
		.amdhsa_next_free_sgpr 0
		.amdhsa_accum_offset 4
		.amdhsa_reserve_vcc 0
		.amdhsa_float_round_mode_32 0
		.amdhsa_float_round_mode_16_64 0
		.amdhsa_float_denorm_mode_32 3
		.amdhsa_float_denorm_mode_16_64 3
		.amdhsa_dx10_clamp 1
		.amdhsa_ieee_mode 1
		.amdhsa_fp16_overflow 0
		.amdhsa_tg_split 0
		.amdhsa_exception_fp_ieee_invalid_op 0
		.amdhsa_exception_fp_denorm_src 0
		.amdhsa_exception_fp_ieee_div_zero 0
		.amdhsa_exception_fp_ieee_overflow 0
		.amdhsa_exception_fp_ieee_underflow 0
		.amdhsa_exception_fp_ieee_inexact 0
		.amdhsa_exception_int_div_zero 0
	.end_amdhsa_kernel
	.section	.text._ZN7rocprim17ROCPRIM_400000_NS6detail17trampoline_kernelINS0_14default_configENS1_25transform_config_selectorIfLb1EEEZNS1_14transform_implILb1ES3_S5_PfS7_NS0_8identityIfEEEE10hipError_tT2_T3_mT4_P12ihipStream_tbEUlT_E_NS1_11comp_targetILNS1_3genE9ELNS1_11target_archE1100ELNS1_3gpuE3ELNS1_3repE0EEENS1_30default_config_static_selectorELNS0_4arch9wavefront6targetE1EEEvT1_,"axG",@progbits,_ZN7rocprim17ROCPRIM_400000_NS6detail17trampoline_kernelINS0_14default_configENS1_25transform_config_selectorIfLb1EEEZNS1_14transform_implILb1ES3_S5_PfS7_NS0_8identityIfEEEE10hipError_tT2_T3_mT4_P12ihipStream_tbEUlT_E_NS1_11comp_targetILNS1_3genE9ELNS1_11target_archE1100ELNS1_3gpuE3ELNS1_3repE0EEENS1_30default_config_static_selectorELNS0_4arch9wavefront6targetE1EEEvT1_,comdat
.Lfunc_end103:
	.size	_ZN7rocprim17ROCPRIM_400000_NS6detail17trampoline_kernelINS0_14default_configENS1_25transform_config_selectorIfLb1EEEZNS1_14transform_implILb1ES3_S5_PfS7_NS0_8identityIfEEEE10hipError_tT2_T3_mT4_P12ihipStream_tbEUlT_E_NS1_11comp_targetILNS1_3genE9ELNS1_11target_archE1100ELNS1_3gpuE3ELNS1_3repE0EEENS1_30default_config_static_selectorELNS0_4arch9wavefront6targetE1EEEvT1_, .Lfunc_end103-_ZN7rocprim17ROCPRIM_400000_NS6detail17trampoline_kernelINS0_14default_configENS1_25transform_config_selectorIfLb1EEEZNS1_14transform_implILb1ES3_S5_PfS7_NS0_8identityIfEEEE10hipError_tT2_T3_mT4_P12ihipStream_tbEUlT_E_NS1_11comp_targetILNS1_3genE9ELNS1_11target_archE1100ELNS1_3gpuE3ELNS1_3repE0EEENS1_30default_config_static_selectorELNS0_4arch9wavefront6targetE1EEEvT1_
                                        ; -- End function
	.set _ZN7rocprim17ROCPRIM_400000_NS6detail17trampoline_kernelINS0_14default_configENS1_25transform_config_selectorIfLb1EEEZNS1_14transform_implILb1ES3_S5_PfS7_NS0_8identityIfEEEE10hipError_tT2_T3_mT4_P12ihipStream_tbEUlT_E_NS1_11comp_targetILNS1_3genE9ELNS1_11target_archE1100ELNS1_3gpuE3ELNS1_3repE0EEENS1_30default_config_static_selectorELNS0_4arch9wavefront6targetE1EEEvT1_.num_vgpr, 0
	.set _ZN7rocprim17ROCPRIM_400000_NS6detail17trampoline_kernelINS0_14default_configENS1_25transform_config_selectorIfLb1EEEZNS1_14transform_implILb1ES3_S5_PfS7_NS0_8identityIfEEEE10hipError_tT2_T3_mT4_P12ihipStream_tbEUlT_E_NS1_11comp_targetILNS1_3genE9ELNS1_11target_archE1100ELNS1_3gpuE3ELNS1_3repE0EEENS1_30default_config_static_selectorELNS0_4arch9wavefront6targetE1EEEvT1_.num_agpr, 0
	.set _ZN7rocprim17ROCPRIM_400000_NS6detail17trampoline_kernelINS0_14default_configENS1_25transform_config_selectorIfLb1EEEZNS1_14transform_implILb1ES3_S5_PfS7_NS0_8identityIfEEEE10hipError_tT2_T3_mT4_P12ihipStream_tbEUlT_E_NS1_11comp_targetILNS1_3genE9ELNS1_11target_archE1100ELNS1_3gpuE3ELNS1_3repE0EEENS1_30default_config_static_selectorELNS0_4arch9wavefront6targetE1EEEvT1_.numbered_sgpr, 0
	.set _ZN7rocprim17ROCPRIM_400000_NS6detail17trampoline_kernelINS0_14default_configENS1_25transform_config_selectorIfLb1EEEZNS1_14transform_implILb1ES3_S5_PfS7_NS0_8identityIfEEEE10hipError_tT2_T3_mT4_P12ihipStream_tbEUlT_E_NS1_11comp_targetILNS1_3genE9ELNS1_11target_archE1100ELNS1_3gpuE3ELNS1_3repE0EEENS1_30default_config_static_selectorELNS0_4arch9wavefront6targetE1EEEvT1_.num_named_barrier, 0
	.set _ZN7rocprim17ROCPRIM_400000_NS6detail17trampoline_kernelINS0_14default_configENS1_25transform_config_selectorIfLb1EEEZNS1_14transform_implILb1ES3_S5_PfS7_NS0_8identityIfEEEE10hipError_tT2_T3_mT4_P12ihipStream_tbEUlT_E_NS1_11comp_targetILNS1_3genE9ELNS1_11target_archE1100ELNS1_3gpuE3ELNS1_3repE0EEENS1_30default_config_static_selectorELNS0_4arch9wavefront6targetE1EEEvT1_.private_seg_size, 0
	.set _ZN7rocprim17ROCPRIM_400000_NS6detail17trampoline_kernelINS0_14default_configENS1_25transform_config_selectorIfLb1EEEZNS1_14transform_implILb1ES3_S5_PfS7_NS0_8identityIfEEEE10hipError_tT2_T3_mT4_P12ihipStream_tbEUlT_E_NS1_11comp_targetILNS1_3genE9ELNS1_11target_archE1100ELNS1_3gpuE3ELNS1_3repE0EEENS1_30default_config_static_selectorELNS0_4arch9wavefront6targetE1EEEvT1_.uses_vcc, 0
	.set _ZN7rocprim17ROCPRIM_400000_NS6detail17trampoline_kernelINS0_14default_configENS1_25transform_config_selectorIfLb1EEEZNS1_14transform_implILb1ES3_S5_PfS7_NS0_8identityIfEEEE10hipError_tT2_T3_mT4_P12ihipStream_tbEUlT_E_NS1_11comp_targetILNS1_3genE9ELNS1_11target_archE1100ELNS1_3gpuE3ELNS1_3repE0EEENS1_30default_config_static_selectorELNS0_4arch9wavefront6targetE1EEEvT1_.uses_flat_scratch, 0
	.set _ZN7rocprim17ROCPRIM_400000_NS6detail17trampoline_kernelINS0_14default_configENS1_25transform_config_selectorIfLb1EEEZNS1_14transform_implILb1ES3_S5_PfS7_NS0_8identityIfEEEE10hipError_tT2_T3_mT4_P12ihipStream_tbEUlT_E_NS1_11comp_targetILNS1_3genE9ELNS1_11target_archE1100ELNS1_3gpuE3ELNS1_3repE0EEENS1_30default_config_static_selectorELNS0_4arch9wavefront6targetE1EEEvT1_.has_dyn_sized_stack, 0
	.set _ZN7rocprim17ROCPRIM_400000_NS6detail17trampoline_kernelINS0_14default_configENS1_25transform_config_selectorIfLb1EEEZNS1_14transform_implILb1ES3_S5_PfS7_NS0_8identityIfEEEE10hipError_tT2_T3_mT4_P12ihipStream_tbEUlT_E_NS1_11comp_targetILNS1_3genE9ELNS1_11target_archE1100ELNS1_3gpuE3ELNS1_3repE0EEENS1_30default_config_static_selectorELNS0_4arch9wavefront6targetE1EEEvT1_.has_recursion, 0
	.set _ZN7rocprim17ROCPRIM_400000_NS6detail17trampoline_kernelINS0_14default_configENS1_25transform_config_selectorIfLb1EEEZNS1_14transform_implILb1ES3_S5_PfS7_NS0_8identityIfEEEE10hipError_tT2_T3_mT4_P12ihipStream_tbEUlT_E_NS1_11comp_targetILNS1_3genE9ELNS1_11target_archE1100ELNS1_3gpuE3ELNS1_3repE0EEENS1_30default_config_static_selectorELNS0_4arch9wavefront6targetE1EEEvT1_.has_indirect_call, 0
	.section	.AMDGPU.csdata,"",@progbits
; Kernel info:
; codeLenInByte = 0
; TotalNumSgprs: 6
; NumVgprs: 0
; NumAgprs: 0
; TotalNumVgprs: 0
; ScratchSize: 0
; MemoryBound: 0
; FloatMode: 240
; IeeeMode: 1
; LDSByteSize: 0 bytes/workgroup (compile time only)
; SGPRBlocks: 0
; VGPRBlocks: 0
; NumSGPRsForWavesPerEU: 6
; NumVGPRsForWavesPerEU: 1
; AccumOffset: 4
; Occupancy: 8
; WaveLimiterHint : 0
; COMPUTE_PGM_RSRC2:SCRATCH_EN: 0
; COMPUTE_PGM_RSRC2:USER_SGPR: 2
; COMPUTE_PGM_RSRC2:TRAP_HANDLER: 0
; COMPUTE_PGM_RSRC2:TGID_X_EN: 1
; COMPUTE_PGM_RSRC2:TGID_Y_EN: 0
; COMPUTE_PGM_RSRC2:TGID_Z_EN: 0
; COMPUTE_PGM_RSRC2:TIDIG_COMP_CNT: 0
; COMPUTE_PGM_RSRC3_GFX90A:ACCUM_OFFSET: 0
; COMPUTE_PGM_RSRC3_GFX90A:TG_SPLIT: 0
	.section	.text._ZN7rocprim17ROCPRIM_400000_NS6detail17trampoline_kernelINS0_14default_configENS1_25transform_config_selectorIfLb1EEEZNS1_14transform_implILb1ES3_S5_PfS7_NS0_8identityIfEEEE10hipError_tT2_T3_mT4_P12ihipStream_tbEUlT_E_NS1_11comp_targetILNS1_3genE8ELNS1_11target_archE1030ELNS1_3gpuE2ELNS1_3repE0EEENS1_30default_config_static_selectorELNS0_4arch9wavefront6targetE1EEEvT1_,"axG",@progbits,_ZN7rocprim17ROCPRIM_400000_NS6detail17trampoline_kernelINS0_14default_configENS1_25transform_config_selectorIfLb1EEEZNS1_14transform_implILb1ES3_S5_PfS7_NS0_8identityIfEEEE10hipError_tT2_T3_mT4_P12ihipStream_tbEUlT_E_NS1_11comp_targetILNS1_3genE8ELNS1_11target_archE1030ELNS1_3gpuE2ELNS1_3repE0EEENS1_30default_config_static_selectorELNS0_4arch9wavefront6targetE1EEEvT1_,comdat
	.protected	_ZN7rocprim17ROCPRIM_400000_NS6detail17trampoline_kernelINS0_14default_configENS1_25transform_config_selectorIfLb1EEEZNS1_14transform_implILb1ES3_S5_PfS7_NS0_8identityIfEEEE10hipError_tT2_T3_mT4_P12ihipStream_tbEUlT_E_NS1_11comp_targetILNS1_3genE8ELNS1_11target_archE1030ELNS1_3gpuE2ELNS1_3repE0EEENS1_30default_config_static_selectorELNS0_4arch9wavefront6targetE1EEEvT1_ ; -- Begin function _ZN7rocprim17ROCPRIM_400000_NS6detail17trampoline_kernelINS0_14default_configENS1_25transform_config_selectorIfLb1EEEZNS1_14transform_implILb1ES3_S5_PfS7_NS0_8identityIfEEEE10hipError_tT2_T3_mT4_P12ihipStream_tbEUlT_E_NS1_11comp_targetILNS1_3genE8ELNS1_11target_archE1030ELNS1_3gpuE2ELNS1_3repE0EEENS1_30default_config_static_selectorELNS0_4arch9wavefront6targetE1EEEvT1_
	.globl	_ZN7rocprim17ROCPRIM_400000_NS6detail17trampoline_kernelINS0_14default_configENS1_25transform_config_selectorIfLb1EEEZNS1_14transform_implILb1ES3_S5_PfS7_NS0_8identityIfEEEE10hipError_tT2_T3_mT4_P12ihipStream_tbEUlT_E_NS1_11comp_targetILNS1_3genE8ELNS1_11target_archE1030ELNS1_3gpuE2ELNS1_3repE0EEENS1_30default_config_static_selectorELNS0_4arch9wavefront6targetE1EEEvT1_
	.p2align	8
	.type	_ZN7rocprim17ROCPRIM_400000_NS6detail17trampoline_kernelINS0_14default_configENS1_25transform_config_selectorIfLb1EEEZNS1_14transform_implILb1ES3_S5_PfS7_NS0_8identityIfEEEE10hipError_tT2_T3_mT4_P12ihipStream_tbEUlT_E_NS1_11comp_targetILNS1_3genE8ELNS1_11target_archE1030ELNS1_3gpuE2ELNS1_3repE0EEENS1_30default_config_static_selectorELNS0_4arch9wavefront6targetE1EEEvT1_,@function
_ZN7rocprim17ROCPRIM_400000_NS6detail17trampoline_kernelINS0_14default_configENS1_25transform_config_selectorIfLb1EEEZNS1_14transform_implILb1ES3_S5_PfS7_NS0_8identityIfEEEE10hipError_tT2_T3_mT4_P12ihipStream_tbEUlT_E_NS1_11comp_targetILNS1_3genE8ELNS1_11target_archE1030ELNS1_3gpuE2ELNS1_3repE0EEENS1_30default_config_static_selectorELNS0_4arch9wavefront6targetE1EEEvT1_: ; @_ZN7rocprim17ROCPRIM_400000_NS6detail17trampoline_kernelINS0_14default_configENS1_25transform_config_selectorIfLb1EEEZNS1_14transform_implILb1ES3_S5_PfS7_NS0_8identityIfEEEE10hipError_tT2_T3_mT4_P12ihipStream_tbEUlT_E_NS1_11comp_targetILNS1_3genE8ELNS1_11target_archE1030ELNS1_3gpuE2ELNS1_3repE0EEENS1_30default_config_static_selectorELNS0_4arch9wavefront6targetE1EEEvT1_
; %bb.0:
	.section	.rodata,"a",@progbits
	.p2align	6, 0x0
	.amdhsa_kernel _ZN7rocprim17ROCPRIM_400000_NS6detail17trampoline_kernelINS0_14default_configENS1_25transform_config_selectorIfLb1EEEZNS1_14transform_implILb1ES3_S5_PfS7_NS0_8identityIfEEEE10hipError_tT2_T3_mT4_P12ihipStream_tbEUlT_E_NS1_11comp_targetILNS1_3genE8ELNS1_11target_archE1030ELNS1_3gpuE2ELNS1_3repE0EEENS1_30default_config_static_selectorELNS0_4arch9wavefront6targetE1EEEvT1_
		.amdhsa_group_segment_fixed_size 0
		.amdhsa_private_segment_fixed_size 0
		.amdhsa_kernarg_size 40
		.amdhsa_user_sgpr_count 2
		.amdhsa_user_sgpr_dispatch_ptr 0
		.amdhsa_user_sgpr_queue_ptr 0
		.amdhsa_user_sgpr_kernarg_segment_ptr 1
		.amdhsa_user_sgpr_dispatch_id 0
		.amdhsa_user_sgpr_kernarg_preload_length 0
		.amdhsa_user_sgpr_kernarg_preload_offset 0
		.amdhsa_user_sgpr_private_segment_size 0
		.amdhsa_uses_dynamic_stack 0
		.amdhsa_enable_private_segment 0
		.amdhsa_system_sgpr_workgroup_id_x 1
		.amdhsa_system_sgpr_workgroup_id_y 0
		.amdhsa_system_sgpr_workgroup_id_z 0
		.amdhsa_system_sgpr_workgroup_info 0
		.amdhsa_system_vgpr_workitem_id 0
		.amdhsa_next_free_vgpr 1
		.amdhsa_next_free_sgpr 0
		.amdhsa_accum_offset 4
		.amdhsa_reserve_vcc 0
		.amdhsa_float_round_mode_32 0
		.amdhsa_float_round_mode_16_64 0
		.amdhsa_float_denorm_mode_32 3
		.amdhsa_float_denorm_mode_16_64 3
		.amdhsa_dx10_clamp 1
		.amdhsa_ieee_mode 1
		.amdhsa_fp16_overflow 0
		.amdhsa_tg_split 0
		.amdhsa_exception_fp_ieee_invalid_op 0
		.amdhsa_exception_fp_denorm_src 0
		.amdhsa_exception_fp_ieee_div_zero 0
		.amdhsa_exception_fp_ieee_overflow 0
		.amdhsa_exception_fp_ieee_underflow 0
		.amdhsa_exception_fp_ieee_inexact 0
		.amdhsa_exception_int_div_zero 0
	.end_amdhsa_kernel
	.section	.text._ZN7rocprim17ROCPRIM_400000_NS6detail17trampoline_kernelINS0_14default_configENS1_25transform_config_selectorIfLb1EEEZNS1_14transform_implILb1ES3_S5_PfS7_NS0_8identityIfEEEE10hipError_tT2_T3_mT4_P12ihipStream_tbEUlT_E_NS1_11comp_targetILNS1_3genE8ELNS1_11target_archE1030ELNS1_3gpuE2ELNS1_3repE0EEENS1_30default_config_static_selectorELNS0_4arch9wavefront6targetE1EEEvT1_,"axG",@progbits,_ZN7rocprim17ROCPRIM_400000_NS6detail17trampoline_kernelINS0_14default_configENS1_25transform_config_selectorIfLb1EEEZNS1_14transform_implILb1ES3_S5_PfS7_NS0_8identityIfEEEE10hipError_tT2_T3_mT4_P12ihipStream_tbEUlT_E_NS1_11comp_targetILNS1_3genE8ELNS1_11target_archE1030ELNS1_3gpuE2ELNS1_3repE0EEENS1_30default_config_static_selectorELNS0_4arch9wavefront6targetE1EEEvT1_,comdat
.Lfunc_end104:
	.size	_ZN7rocprim17ROCPRIM_400000_NS6detail17trampoline_kernelINS0_14default_configENS1_25transform_config_selectorIfLb1EEEZNS1_14transform_implILb1ES3_S5_PfS7_NS0_8identityIfEEEE10hipError_tT2_T3_mT4_P12ihipStream_tbEUlT_E_NS1_11comp_targetILNS1_3genE8ELNS1_11target_archE1030ELNS1_3gpuE2ELNS1_3repE0EEENS1_30default_config_static_selectorELNS0_4arch9wavefront6targetE1EEEvT1_, .Lfunc_end104-_ZN7rocprim17ROCPRIM_400000_NS6detail17trampoline_kernelINS0_14default_configENS1_25transform_config_selectorIfLb1EEEZNS1_14transform_implILb1ES3_S5_PfS7_NS0_8identityIfEEEE10hipError_tT2_T3_mT4_P12ihipStream_tbEUlT_E_NS1_11comp_targetILNS1_3genE8ELNS1_11target_archE1030ELNS1_3gpuE2ELNS1_3repE0EEENS1_30default_config_static_selectorELNS0_4arch9wavefront6targetE1EEEvT1_
                                        ; -- End function
	.set _ZN7rocprim17ROCPRIM_400000_NS6detail17trampoline_kernelINS0_14default_configENS1_25transform_config_selectorIfLb1EEEZNS1_14transform_implILb1ES3_S5_PfS7_NS0_8identityIfEEEE10hipError_tT2_T3_mT4_P12ihipStream_tbEUlT_E_NS1_11comp_targetILNS1_3genE8ELNS1_11target_archE1030ELNS1_3gpuE2ELNS1_3repE0EEENS1_30default_config_static_selectorELNS0_4arch9wavefront6targetE1EEEvT1_.num_vgpr, 0
	.set _ZN7rocprim17ROCPRIM_400000_NS6detail17trampoline_kernelINS0_14default_configENS1_25transform_config_selectorIfLb1EEEZNS1_14transform_implILb1ES3_S5_PfS7_NS0_8identityIfEEEE10hipError_tT2_T3_mT4_P12ihipStream_tbEUlT_E_NS1_11comp_targetILNS1_3genE8ELNS1_11target_archE1030ELNS1_3gpuE2ELNS1_3repE0EEENS1_30default_config_static_selectorELNS0_4arch9wavefront6targetE1EEEvT1_.num_agpr, 0
	.set _ZN7rocprim17ROCPRIM_400000_NS6detail17trampoline_kernelINS0_14default_configENS1_25transform_config_selectorIfLb1EEEZNS1_14transform_implILb1ES3_S5_PfS7_NS0_8identityIfEEEE10hipError_tT2_T3_mT4_P12ihipStream_tbEUlT_E_NS1_11comp_targetILNS1_3genE8ELNS1_11target_archE1030ELNS1_3gpuE2ELNS1_3repE0EEENS1_30default_config_static_selectorELNS0_4arch9wavefront6targetE1EEEvT1_.numbered_sgpr, 0
	.set _ZN7rocprim17ROCPRIM_400000_NS6detail17trampoline_kernelINS0_14default_configENS1_25transform_config_selectorIfLb1EEEZNS1_14transform_implILb1ES3_S5_PfS7_NS0_8identityIfEEEE10hipError_tT2_T3_mT4_P12ihipStream_tbEUlT_E_NS1_11comp_targetILNS1_3genE8ELNS1_11target_archE1030ELNS1_3gpuE2ELNS1_3repE0EEENS1_30default_config_static_selectorELNS0_4arch9wavefront6targetE1EEEvT1_.num_named_barrier, 0
	.set _ZN7rocprim17ROCPRIM_400000_NS6detail17trampoline_kernelINS0_14default_configENS1_25transform_config_selectorIfLb1EEEZNS1_14transform_implILb1ES3_S5_PfS7_NS0_8identityIfEEEE10hipError_tT2_T3_mT4_P12ihipStream_tbEUlT_E_NS1_11comp_targetILNS1_3genE8ELNS1_11target_archE1030ELNS1_3gpuE2ELNS1_3repE0EEENS1_30default_config_static_selectorELNS0_4arch9wavefront6targetE1EEEvT1_.private_seg_size, 0
	.set _ZN7rocprim17ROCPRIM_400000_NS6detail17trampoline_kernelINS0_14default_configENS1_25transform_config_selectorIfLb1EEEZNS1_14transform_implILb1ES3_S5_PfS7_NS0_8identityIfEEEE10hipError_tT2_T3_mT4_P12ihipStream_tbEUlT_E_NS1_11comp_targetILNS1_3genE8ELNS1_11target_archE1030ELNS1_3gpuE2ELNS1_3repE0EEENS1_30default_config_static_selectorELNS0_4arch9wavefront6targetE1EEEvT1_.uses_vcc, 0
	.set _ZN7rocprim17ROCPRIM_400000_NS6detail17trampoline_kernelINS0_14default_configENS1_25transform_config_selectorIfLb1EEEZNS1_14transform_implILb1ES3_S5_PfS7_NS0_8identityIfEEEE10hipError_tT2_T3_mT4_P12ihipStream_tbEUlT_E_NS1_11comp_targetILNS1_3genE8ELNS1_11target_archE1030ELNS1_3gpuE2ELNS1_3repE0EEENS1_30default_config_static_selectorELNS0_4arch9wavefront6targetE1EEEvT1_.uses_flat_scratch, 0
	.set _ZN7rocprim17ROCPRIM_400000_NS6detail17trampoline_kernelINS0_14default_configENS1_25transform_config_selectorIfLb1EEEZNS1_14transform_implILb1ES3_S5_PfS7_NS0_8identityIfEEEE10hipError_tT2_T3_mT4_P12ihipStream_tbEUlT_E_NS1_11comp_targetILNS1_3genE8ELNS1_11target_archE1030ELNS1_3gpuE2ELNS1_3repE0EEENS1_30default_config_static_selectorELNS0_4arch9wavefront6targetE1EEEvT1_.has_dyn_sized_stack, 0
	.set _ZN7rocprim17ROCPRIM_400000_NS6detail17trampoline_kernelINS0_14default_configENS1_25transform_config_selectorIfLb1EEEZNS1_14transform_implILb1ES3_S5_PfS7_NS0_8identityIfEEEE10hipError_tT2_T3_mT4_P12ihipStream_tbEUlT_E_NS1_11comp_targetILNS1_3genE8ELNS1_11target_archE1030ELNS1_3gpuE2ELNS1_3repE0EEENS1_30default_config_static_selectorELNS0_4arch9wavefront6targetE1EEEvT1_.has_recursion, 0
	.set _ZN7rocprim17ROCPRIM_400000_NS6detail17trampoline_kernelINS0_14default_configENS1_25transform_config_selectorIfLb1EEEZNS1_14transform_implILb1ES3_S5_PfS7_NS0_8identityIfEEEE10hipError_tT2_T3_mT4_P12ihipStream_tbEUlT_E_NS1_11comp_targetILNS1_3genE8ELNS1_11target_archE1030ELNS1_3gpuE2ELNS1_3repE0EEENS1_30default_config_static_selectorELNS0_4arch9wavefront6targetE1EEEvT1_.has_indirect_call, 0
	.section	.AMDGPU.csdata,"",@progbits
; Kernel info:
; codeLenInByte = 0
; TotalNumSgprs: 6
; NumVgprs: 0
; NumAgprs: 0
; TotalNumVgprs: 0
; ScratchSize: 0
; MemoryBound: 0
; FloatMode: 240
; IeeeMode: 1
; LDSByteSize: 0 bytes/workgroup (compile time only)
; SGPRBlocks: 0
; VGPRBlocks: 0
; NumSGPRsForWavesPerEU: 6
; NumVGPRsForWavesPerEU: 1
; AccumOffset: 4
; Occupancy: 8
; WaveLimiterHint : 0
; COMPUTE_PGM_RSRC2:SCRATCH_EN: 0
; COMPUTE_PGM_RSRC2:USER_SGPR: 2
; COMPUTE_PGM_RSRC2:TRAP_HANDLER: 0
; COMPUTE_PGM_RSRC2:TGID_X_EN: 1
; COMPUTE_PGM_RSRC2:TGID_Y_EN: 0
; COMPUTE_PGM_RSRC2:TGID_Z_EN: 0
; COMPUTE_PGM_RSRC2:TIDIG_COMP_CNT: 0
; COMPUTE_PGM_RSRC3_GFX90A:ACCUM_OFFSET: 0
; COMPUTE_PGM_RSRC3_GFX90A:TG_SPLIT: 0
	.section	.text._ZN7rocprim17ROCPRIM_400000_NS6detail17trampoline_kernelINS0_14default_configENS1_20scan_config_selectorIfEEZZNS1_9scan_implILNS1_25lookback_scan_determinismE0ELb0ELb0ES3_PKfPffZZZN2at6native31launch_logcumsumexp_cuda_kernelERKNSB_10TensorBaseESF_lENKUlvE_clEvENKUlvE0_clEvEUlffE_fEEDaPvRmT3_T4_T5_mT6_P12ihipStream_tbENKUlT_T0_E_clISt17integral_constantIbLb0EESW_EEDaSR_SS_EUlSR_E0_NS1_11comp_targetILNS1_3genE0ELNS1_11target_archE4294967295ELNS1_3gpuE0ELNS1_3repE0EEENS1_30default_config_static_selectorELNS0_4arch9wavefront6targetE1EEEvT1_,"axG",@progbits,_ZN7rocprim17ROCPRIM_400000_NS6detail17trampoline_kernelINS0_14default_configENS1_20scan_config_selectorIfEEZZNS1_9scan_implILNS1_25lookback_scan_determinismE0ELb0ELb0ES3_PKfPffZZZN2at6native31launch_logcumsumexp_cuda_kernelERKNSB_10TensorBaseESF_lENKUlvE_clEvENKUlvE0_clEvEUlffE_fEEDaPvRmT3_T4_T5_mT6_P12ihipStream_tbENKUlT_T0_E_clISt17integral_constantIbLb0EESW_EEDaSR_SS_EUlSR_E0_NS1_11comp_targetILNS1_3genE0ELNS1_11target_archE4294967295ELNS1_3gpuE0ELNS1_3repE0EEENS1_30default_config_static_selectorELNS0_4arch9wavefront6targetE1EEEvT1_,comdat
	.globl	_ZN7rocprim17ROCPRIM_400000_NS6detail17trampoline_kernelINS0_14default_configENS1_20scan_config_selectorIfEEZZNS1_9scan_implILNS1_25lookback_scan_determinismE0ELb0ELb0ES3_PKfPffZZZN2at6native31launch_logcumsumexp_cuda_kernelERKNSB_10TensorBaseESF_lENKUlvE_clEvENKUlvE0_clEvEUlffE_fEEDaPvRmT3_T4_T5_mT6_P12ihipStream_tbENKUlT_T0_E_clISt17integral_constantIbLb0EESW_EEDaSR_SS_EUlSR_E0_NS1_11comp_targetILNS1_3genE0ELNS1_11target_archE4294967295ELNS1_3gpuE0ELNS1_3repE0EEENS1_30default_config_static_selectorELNS0_4arch9wavefront6targetE1EEEvT1_ ; -- Begin function _ZN7rocprim17ROCPRIM_400000_NS6detail17trampoline_kernelINS0_14default_configENS1_20scan_config_selectorIfEEZZNS1_9scan_implILNS1_25lookback_scan_determinismE0ELb0ELb0ES3_PKfPffZZZN2at6native31launch_logcumsumexp_cuda_kernelERKNSB_10TensorBaseESF_lENKUlvE_clEvENKUlvE0_clEvEUlffE_fEEDaPvRmT3_T4_T5_mT6_P12ihipStream_tbENKUlT_T0_E_clISt17integral_constantIbLb0EESW_EEDaSR_SS_EUlSR_E0_NS1_11comp_targetILNS1_3genE0ELNS1_11target_archE4294967295ELNS1_3gpuE0ELNS1_3repE0EEENS1_30default_config_static_selectorELNS0_4arch9wavefront6targetE1EEEvT1_
	.p2align	8
	.type	_ZN7rocprim17ROCPRIM_400000_NS6detail17trampoline_kernelINS0_14default_configENS1_20scan_config_selectorIfEEZZNS1_9scan_implILNS1_25lookback_scan_determinismE0ELb0ELb0ES3_PKfPffZZZN2at6native31launch_logcumsumexp_cuda_kernelERKNSB_10TensorBaseESF_lENKUlvE_clEvENKUlvE0_clEvEUlffE_fEEDaPvRmT3_T4_T5_mT6_P12ihipStream_tbENKUlT_T0_E_clISt17integral_constantIbLb0EESW_EEDaSR_SS_EUlSR_E0_NS1_11comp_targetILNS1_3genE0ELNS1_11target_archE4294967295ELNS1_3gpuE0ELNS1_3repE0EEENS1_30default_config_static_selectorELNS0_4arch9wavefront6targetE1EEEvT1_,@function
_ZN7rocprim17ROCPRIM_400000_NS6detail17trampoline_kernelINS0_14default_configENS1_20scan_config_selectorIfEEZZNS1_9scan_implILNS1_25lookback_scan_determinismE0ELb0ELb0ES3_PKfPffZZZN2at6native31launch_logcumsumexp_cuda_kernelERKNSB_10TensorBaseESF_lENKUlvE_clEvENKUlvE0_clEvEUlffE_fEEDaPvRmT3_T4_T5_mT6_P12ihipStream_tbENKUlT_T0_E_clISt17integral_constantIbLb0EESW_EEDaSR_SS_EUlSR_E0_NS1_11comp_targetILNS1_3genE0ELNS1_11target_archE4294967295ELNS1_3gpuE0ELNS1_3repE0EEENS1_30default_config_static_selectorELNS0_4arch9wavefront6targetE1EEEvT1_: ; @_ZN7rocprim17ROCPRIM_400000_NS6detail17trampoline_kernelINS0_14default_configENS1_20scan_config_selectorIfEEZZNS1_9scan_implILNS1_25lookback_scan_determinismE0ELb0ELb0ES3_PKfPffZZZN2at6native31launch_logcumsumexp_cuda_kernelERKNSB_10TensorBaseESF_lENKUlvE_clEvENKUlvE0_clEvEUlffE_fEEDaPvRmT3_T4_T5_mT6_P12ihipStream_tbENKUlT_T0_E_clISt17integral_constantIbLb0EESW_EEDaSR_SS_EUlSR_E0_NS1_11comp_targetILNS1_3genE0ELNS1_11target_archE4294967295ELNS1_3gpuE0ELNS1_3repE0EEENS1_30default_config_static_selectorELNS0_4arch9wavefront6targetE1EEEvT1_
; %bb.0:
	s_load_dwordx4 s[28:31], s[0:1], 0x0
	v_lshlrev_b32_e32 v14, 2, v0
	s_waitcnt lgkmcnt(0)
	s_load_dword s31, s[28:29], 0x0
	v_cmp_gt_u32_e32 vcc, s30, v0
	s_waitcnt lgkmcnt(0)
	v_mov_b32_e32 v1, s31
	s_and_saveexec_b64 s[2:3], vcc
	s_cbranch_execz .LBB105_2
; %bb.1:
	global_load_dword v1, v14, s[28:29]
.LBB105_2:
	s_or_b64 exec, exec, s[2:3]
	v_or_b32_e32 v2, 0x100, v0
	v_cmp_gt_u32_e64 s[26:27], s30, v2
	v_mov_b32_e32 v2, s31
	s_and_saveexec_b64 s[2:3], s[26:27]
	s_cbranch_execz .LBB105_4
; %bb.3:
	global_load_dword v2, v14, s[28:29] offset:1024
.LBB105_4:
	s_or_b64 exec, exec, s[2:3]
	v_or_b32_e32 v3, 0x200, v0
	v_cmp_gt_u32_e64 s[2:3], s30, v3
	v_mov_b32_e32 v3, s31
	s_and_saveexec_b64 s[4:5], s[2:3]
	s_cbranch_execz .LBB105_6
; %bb.5:
	global_load_dword v3, v14, s[28:29] offset:2048
.LBB105_6:
	;; [unrolled: 9-line block ×3, first 2 shown]
	s_or_b64 exec, exec, s[6:7]
	v_or_b32_e32 v6, 0x400, v0
	v_cmp_gt_u32_e64 s[6:7], s30, v6
	v_mov_b32_e32 v5, s31
	s_and_saveexec_b64 s[8:9], s[6:7]
	s_cbranch_execz .LBB105_10
; %bb.9:
	v_lshlrev_b32_e32 v5, 2, v6
	global_load_dword v5, v5, s[28:29]
.LBB105_10:
	s_or_b64 exec, exec, s[8:9]
	v_or_b32_e32 v7, 0x500, v0
	v_cmp_gt_u32_e64 s[8:9], s30, v7
	v_mov_b32_e32 v6, s31
	s_and_saveexec_b64 s[10:11], s[8:9]
	s_cbranch_execz .LBB105_12
; %bb.11:
	v_lshlrev_b32_e32 v6, 2, v7
	global_load_dword v6, v6, s[28:29]
.LBB105_12:
	;; [unrolled: 10-line block ×10, first 2 shown]
	s_or_b64 exec, exec, s[30:31]
	s_waitcnt vmcnt(0)
	ds_write2st64_b32 v14, v1, v2 offset1:4
	ds_write2st64_b32 v14, v3, v4 offset0:8 offset1:12
	ds_write2st64_b32 v14, v5, v6 offset0:16 offset1:20
	;; [unrolled: 1-line block ×6, first 2 shown]
	v_mad_u32_u24 v1, v0, 52, v14
	s_waitcnt lgkmcnt(0)
	s_barrier
	ds_read2_b64 v[2:5], v1 offset1:1
	ds_read2_b64 v[10:13], v1 offset0:2 offset1:3
	ds_read2_b64 v[6:9], v1 offset0:4 offset1:5
	ds_read_b64 v[16:17], v1 offset:48
	s_movk_i32 s33, 0x1f8
	s_waitcnt lgkmcnt(3)
	v_max_f32_e32 v24, v3, v3
	v_max_f32_e32 v32, v2, v2
	v_min_f32_e32 v31, v32, v24
	v_cmp_u_f32_e64 s[56:57], v2, v2
	v_cmp_u_f32_e64 s[28:29], v3, v3
	v_max_f32_e32 v33, v32, v24
	v_cndmask_b32_e64 v1, v31, v2, s[56:57]
	v_cndmask_b32_e64 v15, v1, v3, s[28:29]
	;; [unrolled: 1-line block ×4, first 2 shown]
	v_cmp_neq_f32_e64 s[30:31], v15, v1
	v_cmp_class_f32_e64 s[34:35], v15, s33
	s_or_b64 s[30:31], s[30:31], s[34:35]
	v_mov_b32_e32 v35, v2
	s_waitcnt lgkmcnt(0)
	s_barrier
	s_and_saveexec_b64 s[34:35], s[30:31]
	s_cbranch_execz .LBB105_30
; %bb.29:
	v_sub_f32_e32 v15, v15, v1
	s_mov_b32 s30, 0x3fb8aa3b
	v_mul_f32_e32 v18, 0x3fb8aa3b, v15
	v_fma_f32 v19, v15, s30, -v18
	v_rndne_f32_e32 v20, v18
	v_fmamk_f32 v19, v15, 0x32a5705f, v19
	v_sub_f32_e32 v18, v18, v20
	v_add_f32_e32 v18, v18, v19
	v_exp_f32_e32 v18, v18
	v_cvt_i32_f32_e32 v19, v20
	s_mov_b32 s30, 0xc2ce8ed0
	v_cmp_ngt_f32_e64 s[30:31], s30, v15
	v_mov_b32_e32 v25, 0x7f800000
	v_ldexp_f32 v18, v18, v19
	v_cndmask_b32_e64 v18, 0, v18, s[30:31]
	s_mov_b32 s30, 0x42b17218
	v_cmp_nlt_f32_e64 s[30:31], s30, v15
	s_mov_b32 s36, 0x7f800000
	s_nop 0
	v_cndmask_b32_e64 v15, v25, v18, s[30:31]
	v_add_f32_e32 v20, 1.0, v15
	v_add_f32_e32 v18, -1.0, v20
	v_sub_f32_e32 v19, v18, v20
	v_add_f32_e32 v19, 1.0, v19
	v_sub_f32_e32 v18, v15, v18
	v_add_f32_e32 v21, v18, v19
	v_frexp_mant_f32_e32 v22, v20
	s_mov_b32 s30, 0x3f2aaaab
	v_cvt_f64_f32_e32 v[18:19], v20
	v_frexp_exp_i32_f64_e32 v18, v[18:19]
	v_cmp_gt_f32_e64 s[30:31], s30, v22
	s_nop 1
	v_subbrev_co_u32_e64 v28, s[30:31], 0, v18, s[30:31]
	v_sub_u32_e32 v18, 0, v28
	v_ldexp_f32 v19, v20, v18
	v_add_f32_e32 v20, -1.0, v19
	v_add_f32_e32 v22, 1.0, v19
	v_ldexp_f32 v18, v21, v18
	v_add_f32_e32 v21, 1.0, v20
	v_add_f32_e32 v23, -1.0, v22
	v_sub_f32_e32 v21, v19, v21
	v_sub_f32_e32 v19, v19, v23
	v_add_f32_e32 v21, v18, v21
	v_add_f32_e32 v18, v18, v19
	;; [unrolled: 1-line block ×3, first 2 shown]
	v_rcp_f32_e32 v34, v29
	v_sub_f32_e32 v19, v22, v29
	v_add_f32_e32 v30, v18, v19
	v_add_f32_e32 v19, v20, v21
	v_mul_f32_e32 v36, v19, v34
	v_sub_f32_e32 v18, v20, v19
	v_mul_f32_e32 v20, v29, v36
	v_fma_f32 v22, v36, v29, -v20
	v_fmac_f32_e32 v22, v36, v30
	v_add_f32_e32 v35, v21, v18
	v_add_f32_e32 v18, v20, v22
	v_sub_f32_e32 v21, v19, v18
	v_pk_add_f32 v[26:27], v[18:19], v[20:21] neg_lo:[0,1] neg_hi:[0,1]
	v_mov_b32_e32 v23, v18
	v_pk_add_f32 v[18:19], v[26:27], v[22:23] neg_lo:[0,1] neg_hi:[0,1]
	s_mov_b32 s30, 0x3f317218
	v_add_f32_e32 v19, v35, v19
	v_add_f32_e32 v18, v18, v19
	;; [unrolled: 1-line block ×3, first 2 shown]
	v_mul_f32_e32 v35, v34, v19
	v_mul_f32_e32 v20, v29, v35
	v_fma_f32 v22, v35, v29, -v20
	v_fmac_f32_e32 v22, v35, v30
	v_sub_f32_e32 v21, v21, v19
	v_add_f32_e32 v29, v18, v21
	v_add_f32_e32 v18, v20, v22
	v_sub_f32_e32 v21, v19, v18
	v_pk_add_f32 v[26:27], v[18:19], v[20:21] neg_lo:[0,1] neg_hi:[0,1]
	v_mov_b32_e32 v23, v18
	v_pk_add_f32 v[18:19], v[26:27], v[22:23] neg_lo:[0,1] neg_hi:[0,1]
	v_cvt_f32_i32_e32 v20, v28
	v_add_f32_e32 v19, v29, v19
	v_add_f32_e32 v18, v18, v19
	;; [unrolled: 1-line block ×4, first 2 shown]
	v_sub_f32_e32 v19, v21, v36
	v_mul_f32_e32 v18, v34, v18
	v_sub_f32_e32 v19, v35, v19
	v_add_f32_e32 v18, v19, v18
	v_add_f32_e32 v22, v21, v18
	v_mul_f32_e32 v26, v22, v22
	v_mov_b32_e32 v19, 0x3ecc95a3
	v_sub_f32_e32 v21, v22, v21
	v_fmac_f32_e32 v19, 0x3e9b6dac, v26
	v_sub_f32_e32 v18, v18, v21
	v_fmaak_f32 v19, v26, v19, 0x3f2aaada
	v_ldexp_f32 v27, v18, 1
	v_mul_f32_e32 v21, v22, v26
	v_mov_b32_e32 v18, 0x3f317218
	v_pk_mul_f32 v[18:19], v[20:21], v[18:19]
	v_ldexp_f32 v23, v22, 1
	v_fma_f32 v21, v20, s30, -v18
	v_fmamk_f32 v22, v20, 0xb102e308, v21
	v_pk_add_f32 v[20:21], v[18:19], v[22:23]
	v_mov_b32_e32 v26, v18
	v_sub_f32_e32 v23, v21, v23
	v_sub_f32_e32 v23, v19, v23
	v_add_f32_e32 v27, v27, v23
	v_pk_add_f32 v[18:19], v[20:21], v[18:19] neg_lo:[0,1] neg_hi:[0,1]
	v_pk_add_f32 v[28:29], v[20:21], v[26:27]
	v_mov_b32_e32 v23, v20
	v_mov_b32_e32 v19, v29
	v_pk_add_f32 v[34:35], v[22:23], v[18:19] neg_lo:[0,1] neg_hi:[0,1]
	v_pk_add_f32 v[18:19], v[22:23], v[18:19]
	v_mov_b32_e32 v26, v27
	v_pk_add_f32 v[22:23], v[18:19], v[20:21] op_sel:[1,0] op_sel_hi:[0,1] neg_lo:[0,1] neg_hi:[0,1]
	v_pk_add_f32 v[36:37], v[28:29], v[22:23] op_sel_hi:[1,0] neg_lo:[0,1] neg_hi:[0,1]
	v_mov_b32_e32 v28, v29
	v_mov_b32_e32 v29, v19
	v_pk_mov_b32 v[22:23], v[20:21], v[22:23] op_sel:[1,0]
	v_mov_b32_e32 v27, v20
	v_pk_add_f32 v[22:23], v[28:29], v[22:23] neg_lo:[0,1] neg_hi:[0,1]
	v_mov_b32_e32 v36, v34
	v_pk_add_f32 v[20:21], v[26:27], v[22:23] neg_lo:[0,1] neg_hi:[0,1]
	v_mov_b32_e32 v35, v19
	v_pk_add_f32 v[22:23], v[36:37], v[20:21]
	v_cmp_neq_f32_e64 s[30:31], s36, v15
	v_pk_add_f32 v[26:27], v[22:23], v[22:23] op_sel:[0,1] op_sel_hi:[1,0]
	s_nop 0
	v_pk_add_f32 v[18:19], v[18:19], v[26:27] op_sel:[1,0] op_sel_hi:[0,1]
	v_mov_b32_e32 v23, v18
	v_pk_add_f32 v[28:29], v[22:23], v[34:35] neg_lo:[0,1] neg_hi:[0,1]
	v_mov_b32_e32 v21, v26
	v_sub_f32_e32 v19, v22, v28
	v_pk_add_f32 v[20:21], v[20:21], v[28:29] neg_lo:[0,1] neg_hi:[0,1]
	v_sub_f32_e32 v19, v34, v19
	v_add_f32_e32 v19, v20, v19
	v_add_f32_e32 v19, v19, v21
	v_add_f32_e32 v18, v18, v19
	v_cndmask_b32_e64 v18, v25, v18, s[30:31]
	s_mov_b32 s30, 0x33800000
	v_cmp_lt_f32_e64 s[30:31], |v15|, s30
	s_nop 1
	v_cndmask_b32_e64 v15, v18, v15, s[30:31]
	v_add_f32_e32 v35, v1, v15
.LBB105_30:
	s_or_b64 exec, exec, s[34:35]
	v_max_f32_e32 v15, v35, v35
	v_max_f32_e32 v1, v4, v4
	v_min_f32_e32 v18, v15, v1
	v_cmp_u_f32_e64 s[34:35], v35, v35
	v_max_f32_e32 v15, v15, v1
	v_cmp_u_f32_e64 s[30:31], v4, v4
	v_cndmask_b32_e64 v18, v18, v35, s[34:35]
	v_cndmask_b32_e64 v15, v15, v35, s[34:35]
	;; [unrolled: 1-line block ×4, first 2 shown]
	v_cmp_neq_f32_e64 s[34:35], v18, v15
	v_cmp_class_f32_e64 s[36:37], v18, s33
	s_or_b64 s[34:35], s[34:35], s[36:37]
	s_and_saveexec_b64 s[36:37], s[34:35]
	s_cbranch_execz .LBB105_32
; %bb.31:
	v_sub_f32_e32 v18, v18, v15
	s_mov_b32 s33, 0x3fb8aa3b
	v_mul_f32_e32 v19, 0x3fb8aa3b, v18
	v_fma_f32 v20, v18, s33, -v19
	v_rndne_f32_e32 v21, v19
	v_fmamk_f32 v20, v18, 0x32a5705f, v20
	v_sub_f32_e32 v19, v19, v21
	v_add_f32_e32 v19, v19, v20
	v_exp_f32_e32 v19, v19
	v_cvt_i32_f32_e32 v20, v21
	s_mov_b32 s33, 0xc2ce8ed0
	v_cmp_ngt_f32_e64 s[34:35], s33, v18
	s_mov_b32 s33, 0x42b17218
	v_ldexp_f32 v19, v19, v20
	v_cndmask_b32_e64 v19, 0, v19, s[34:35]
	v_mov_b32_e32 v25, 0x7f800000
	v_cmp_nlt_f32_e64 s[34:35], s33, v18
	s_mov_b32 s33, 0x3f2aaaab
	s_mov_b32 s38, 0x7f800000
	v_cndmask_b32_e64 v30, v25, v19, s[34:35]
	v_add_f32_e32 v20, 1.0, v30
	v_add_f32_e32 v18, -1.0, v20
	v_sub_f32_e32 v19, v18, v20
	v_add_f32_e32 v19, 1.0, v19
	v_sub_f32_e32 v18, v30, v18
	v_add_f32_e32 v21, v18, v19
	v_frexp_mant_f32_e32 v22, v20
	v_cvt_f64_f32_e32 v[18:19], v20
	v_frexp_exp_i32_f64_e32 v18, v[18:19]
	v_cmp_gt_f32_e64 s[34:35], s33, v22
	s_mov_b32 s33, 0x3f317218
	s_nop 0
	v_subbrev_co_u32_e64 v28, s[34:35], 0, v18, s[34:35]
	v_sub_u32_e32 v18, 0, v28
	v_ldexp_f32 v19, v20, v18
	v_add_f32_e32 v20, -1.0, v19
	v_add_f32_e32 v22, 1.0, v19
	v_ldexp_f32 v18, v21, v18
	v_add_f32_e32 v21, 1.0, v20
	v_add_f32_e32 v23, -1.0, v22
	v_sub_f32_e32 v21, v19, v21
	v_sub_f32_e32 v19, v19, v23
	v_add_f32_e32 v21, v18, v21
	v_add_f32_e32 v18, v18, v19
	;; [unrolled: 1-line block ×3, first 2 shown]
	v_rcp_f32_e32 v35, v29
	v_sub_f32_e32 v19, v22, v29
	v_add_f32_e32 v34, v18, v19
	v_add_f32_e32 v19, v20, v21
	v_mul_f32_e32 v37, v19, v35
	v_sub_f32_e32 v18, v20, v19
	v_mul_f32_e32 v20, v29, v37
	v_fma_f32 v22, v37, v29, -v20
	v_fmac_f32_e32 v22, v37, v34
	v_add_f32_e32 v36, v21, v18
	v_add_f32_e32 v18, v20, v22
	v_sub_f32_e32 v21, v19, v18
	v_pk_add_f32 v[26:27], v[18:19], v[20:21] neg_lo:[0,1] neg_hi:[0,1]
	v_mov_b32_e32 v23, v18
	v_pk_add_f32 v[18:19], v[26:27], v[22:23] neg_lo:[0,1] neg_hi:[0,1]
	v_cmp_neq_f32_e64 s[34:35], s38, v30
	v_add_f32_e32 v19, v36, v19
	v_add_f32_e32 v18, v18, v19
	;; [unrolled: 1-line block ×3, first 2 shown]
	v_mul_f32_e32 v36, v35, v19
	v_mul_f32_e32 v20, v29, v36
	v_fma_f32 v22, v36, v29, -v20
	v_fmac_f32_e32 v22, v36, v34
	v_sub_f32_e32 v21, v21, v19
	v_add_f32_e32 v29, v18, v21
	v_add_f32_e32 v18, v20, v22
	v_sub_f32_e32 v21, v19, v18
	v_pk_add_f32 v[26:27], v[18:19], v[20:21] neg_lo:[0,1] neg_hi:[0,1]
	v_mov_b32_e32 v23, v18
	v_pk_add_f32 v[18:19], v[26:27], v[22:23] neg_lo:[0,1] neg_hi:[0,1]
	v_cvt_f32_i32_e32 v20, v28
	v_add_f32_e32 v19, v29, v19
	v_add_f32_e32 v18, v18, v19
	;; [unrolled: 1-line block ×4, first 2 shown]
	v_sub_f32_e32 v19, v21, v37
	v_mul_f32_e32 v18, v35, v18
	v_sub_f32_e32 v19, v36, v19
	v_add_f32_e32 v18, v19, v18
	v_add_f32_e32 v22, v21, v18
	v_mul_f32_e32 v26, v22, v22
	v_mov_b32_e32 v19, 0x3ecc95a3
	v_sub_f32_e32 v21, v22, v21
	v_fmac_f32_e32 v19, 0x3e9b6dac, v26
	v_sub_f32_e32 v18, v18, v21
	v_fmaak_f32 v19, v26, v19, 0x3f2aaada
	v_ldexp_f32 v27, v18, 1
	v_mul_f32_e32 v21, v22, v26
	v_mov_b32_e32 v18, 0x3f317218
	v_pk_mul_f32 v[18:19], v[20:21], v[18:19]
	v_ldexp_f32 v23, v22, 1
	v_fma_f32 v21, v20, s33, -v18
	v_fmamk_f32 v22, v20, 0xb102e308, v21
	v_pk_add_f32 v[20:21], v[18:19], v[22:23]
	v_mov_b32_e32 v26, v18
	v_sub_f32_e32 v23, v21, v23
	v_sub_f32_e32 v23, v19, v23
	v_add_f32_e32 v27, v27, v23
	v_pk_add_f32 v[18:19], v[20:21], v[18:19] neg_lo:[0,1] neg_hi:[0,1]
	v_pk_add_f32 v[28:29], v[20:21], v[26:27]
	v_mov_b32_e32 v23, v20
	v_mov_b32_e32 v19, v29
	v_pk_add_f32 v[34:35], v[22:23], v[18:19] neg_lo:[0,1] neg_hi:[0,1]
	v_pk_add_f32 v[18:19], v[22:23], v[18:19]
	v_mov_b32_e32 v26, v27
	v_pk_add_f32 v[22:23], v[18:19], v[20:21] op_sel:[1,0] op_sel_hi:[0,1] neg_lo:[0,1] neg_hi:[0,1]
	v_pk_add_f32 v[36:37], v[28:29], v[22:23] op_sel_hi:[1,0] neg_lo:[0,1] neg_hi:[0,1]
	v_mov_b32_e32 v28, v29
	v_mov_b32_e32 v29, v19
	v_pk_mov_b32 v[22:23], v[20:21], v[22:23] op_sel:[1,0]
	v_mov_b32_e32 v27, v20
	v_pk_add_f32 v[22:23], v[28:29], v[22:23] neg_lo:[0,1] neg_hi:[0,1]
	v_mov_b32_e32 v36, v34
	v_pk_add_f32 v[20:21], v[26:27], v[22:23] neg_lo:[0,1] neg_hi:[0,1]
	v_mov_b32_e32 v35, v19
	v_pk_add_f32 v[22:23], v[36:37], v[20:21]
	s_mov_b32 s33, 0x33800000
	v_pk_add_f32 v[26:27], v[22:23], v[22:23] op_sel:[0,1] op_sel_hi:[1,0]
	s_nop 0
	v_pk_add_f32 v[18:19], v[18:19], v[26:27] op_sel:[1,0] op_sel_hi:[0,1]
	v_mov_b32_e32 v23, v18
	v_pk_add_f32 v[28:29], v[22:23], v[34:35] neg_lo:[0,1] neg_hi:[0,1]
	v_mov_b32_e32 v21, v26
	v_sub_f32_e32 v19, v22, v28
	v_pk_add_f32 v[20:21], v[20:21], v[28:29] neg_lo:[0,1] neg_hi:[0,1]
	v_sub_f32_e32 v19, v34, v19
	v_add_f32_e32 v19, v20, v19
	v_add_f32_e32 v19, v19, v21
	;; [unrolled: 1-line block ×3, first 2 shown]
	v_cndmask_b32_e64 v18, v25, v18, s[34:35]
	v_cmp_lt_f32_e64 s[34:35], |v30|, s33
	s_nop 1
	v_cndmask_b32_e64 v18, v18, v30, s[34:35]
	v_add_f32_e32 v35, v15, v18
.LBB105_32:
	s_or_b64 exec, exec, s[36:37]
	v_max_f32_e32 v18, v35, v35
	v_max_f32_e32 v15, v5, v5
	v_min_f32_e32 v19, v18, v15
	v_cmp_u_f32_e64 s[36:37], v35, v35
	v_max_f32_e32 v18, v18, v15
	v_cmp_u_f32_e64 s[34:35], v5, v5
	v_cndmask_b32_e64 v19, v19, v35, s[36:37]
	v_cndmask_b32_e64 v18, v18, v35, s[36:37]
	;; [unrolled: 1-line block ×4, first 2 shown]
	s_movk_i32 s33, 0x1f8
	v_cmp_neq_f32_e64 s[36:37], v19, v18
	v_cmp_class_f32_e64 s[38:39], v19, s33
	s_or_b64 s[36:37], s[36:37], s[38:39]
	s_and_saveexec_b64 s[38:39], s[36:37]
	s_cbranch_execz .LBB105_34
; %bb.33:
	v_sub_f32_e32 v19, v19, v18
	s_mov_b32 s36, 0x3fb8aa3b
	v_mul_f32_e32 v20, 0x3fb8aa3b, v19
	v_fma_f32 v21, v19, s36, -v20
	v_rndne_f32_e32 v22, v20
	v_fmamk_f32 v21, v19, 0x32a5705f, v21
	v_sub_f32_e32 v20, v20, v22
	v_add_f32_e32 v20, v20, v21
	v_exp_f32_e32 v20, v20
	v_cvt_i32_f32_e32 v21, v22
	s_mov_b32 s36, 0xc2ce8ed0
	v_cmp_ngt_f32_e64 s[36:37], s36, v19
	v_mov_b32_e32 v25, 0x7f800000
	v_ldexp_f32 v20, v20, v21
	v_cndmask_b32_e64 v20, 0, v20, s[36:37]
	s_mov_b32 s36, 0x42b17218
	v_cmp_nlt_f32_e64 s[36:37], s36, v19
	s_mov_b32 s40, 0x7f800000
	s_nop 0
	v_cndmask_b32_e64 v19, v25, v20, s[36:37]
	v_add_f32_e32 v22, 1.0, v19
	v_add_f32_e32 v20, -1.0, v22
	v_sub_f32_e32 v21, v20, v22
	v_add_f32_e32 v21, 1.0, v21
	v_sub_f32_e32 v20, v19, v20
	v_add_f32_e32 v23, v20, v21
	v_frexp_mant_f32_e32 v26, v22
	s_mov_b32 s36, 0x3f2aaaab
	v_cvt_f64_f32_e32 v[20:21], v22
	v_frexp_exp_i32_f64_e32 v20, v[20:21]
	v_cmp_gt_f32_e64 s[36:37], s36, v26
	s_nop 1
	v_subbrev_co_u32_e64 v30, s[36:37], 0, v20, s[36:37]
	v_sub_u32_e32 v20, 0, v30
	v_ldexp_f32 v21, v22, v20
	v_add_f32_e32 v22, -1.0, v21
	v_add_f32_e32 v26, 1.0, v21
	v_ldexp_f32 v20, v23, v20
	v_add_f32_e32 v23, 1.0, v22
	v_add_f32_e32 v27, -1.0, v26
	v_sub_f32_e32 v23, v21, v23
	v_sub_f32_e32 v21, v21, v27
	v_add_f32_e32 v23, v20, v23
	v_add_f32_e32 v20, v20, v21
	;; [unrolled: 1-line block ×3, first 2 shown]
	v_rcp_f32_e32 v36, v34
	v_sub_f32_e32 v21, v26, v34
	v_add_f32_e32 v35, v20, v21
	v_add_f32_e32 v21, v22, v23
	v_mul_f32_e32 v38, v21, v36
	v_sub_f32_e32 v20, v22, v21
	v_mul_f32_e32 v22, v34, v38
	v_fma_f32 v26, v38, v34, -v22
	v_fmac_f32_e32 v26, v38, v35
	v_add_f32_e32 v37, v23, v20
	v_add_f32_e32 v20, v22, v26
	v_sub_f32_e32 v23, v21, v20
	v_pk_add_f32 v[28:29], v[20:21], v[22:23] neg_lo:[0,1] neg_hi:[0,1]
	v_mov_b32_e32 v27, v20
	v_pk_add_f32 v[20:21], v[28:29], v[26:27] neg_lo:[0,1] neg_hi:[0,1]
	s_mov_b32 s36, 0x3f317218
	v_add_f32_e32 v21, v37, v21
	v_add_f32_e32 v20, v20, v21
	;; [unrolled: 1-line block ×3, first 2 shown]
	v_mul_f32_e32 v37, v36, v21
	v_mul_f32_e32 v22, v34, v37
	v_fma_f32 v26, v37, v34, -v22
	v_fmac_f32_e32 v26, v37, v35
	v_sub_f32_e32 v23, v23, v21
	v_add_f32_e32 v34, v20, v23
	v_add_f32_e32 v20, v22, v26
	v_sub_f32_e32 v23, v21, v20
	v_pk_add_f32 v[28:29], v[20:21], v[22:23] neg_lo:[0,1] neg_hi:[0,1]
	v_mov_b32_e32 v27, v20
	v_pk_add_f32 v[20:21], v[28:29], v[26:27] neg_lo:[0,1] neg_hi:[0,1]
	v_cvt_f32_i32_e32 v22, v30
	v_add_f32_e32 v21, v34, v21
	v_add_f32_e32 v20, v20, v21
	;; [unrolled: 1-line block ×4, first 2 shown]
	v_sub_f32_e32 v21, v23, v38
	v_mul_f32_e32 v20, v36, v20
	v_sub_f32_e32 v21, v37, v21
	v_add_f32_e32 v20, v21, v20
	v_add_f32_e32 v26, v23, v20
	v_mul_f32_e32 v28, v26, v26
	v_mov_b32_e32 v21, 0x3ecc95a3
	v_sub_f32_e32 v23, v26, v23
	v_fmac_f32_e32 v21, 0x3e9b6dac, v28
	v_sub_f32_e32 v20, v20, v23
	v_fmaak_f32 v21, v28, v21, 0x3f2aaada
	v_ldexp_f32 v29, v20, 1
	v_mul_f32_e32 v23, v26, v28
	v_mov_b32_e32 v20, 0x3f317218
	v_pk_mul_f32 v[20:21], v[22:23], v[20:21]
	v_ldexp_f32 v27, v26, 1
	v_fma_f32 v23, v22, s36, -v20
	v_fmamk_f32 v26, v22, 0xb102e308, v23
	v_pk_add_f32 v[22:23], v[20:21], v[26:27]
	v_mov_b32_e32 v28, v20
	v_sub_f32_e32 v27, v23, v27
	v_sub_f32_e32 v27, v21, v27
	v_add_f32_e32 v29, v29, v27
	v_pk_add_f32 v[20:21], v[22:23], v[20:21] neg_lo:[0,1] neg_hi:[0,1]
	v_pk_add_f32 v[34:35], v[22:23], v[28:29]
	v_mov_b32_e32 v27, v22
	v_mov_b32_e32 v21, v35
	v_pk_add_f32 v[36:37], v[26:27], v[20:21] neg_lo:[0,1] neg_hi:[0,1]
	v_pk_add_f32 v[20:21], v[26:27], v[20:21]
	v_mov_b32_e32 v28, v29
	v_pk_add_f32 v[26:27], v[20:21], v[22:23] op_sel:[1,0] op_sel_hi:[0,1] neg_lo:[0,1] neg_hi:[0,1]
	v_pk_add_f32 v[38:39], v[34:35], v[26:27] op_sel_hi:[1,0] neg_lo:[0,1] neg_hi:[0,1]
	v_mov_b32_e32 v34, v35
	v_mov_b32_e32 v35, v21
	v_pk_mov_b32 v[26:27], v[22:23], v[26:27] op_sel:[1,0]
	v_mov_b32_e32 v29, v22
	v_pk_add_f32 v[26:27], v[34:35], v[26:27] neg_lo:[0,1] neg_hi:[0,1]
	v_mov_b32_e32 v38, v36
	v_pk_add_f32 v[22:23], v[28:29], v[26:27] neg_lo:[0,1] neg_hi:[0,1]
	v_mov_b32_e32 v37, v21
	v_pk_add_f32 v[26:27], v[38:39], v[22:23]
	v_cmp_neq_f32_e64 s[36:37], s40, v19
	v_pk_add_f32 v[28:29], v[26:27], v[26:27] op_sel:[0,1] op_sel_hi:[1,0]
	s_nop 0
	v_pk_add_f32 v[20:21], v[20:21], v[28:29] op_sel:[1,0] op_sel_hi:[0,1]
	v_mov_b32_e32 v27, v20
	v_pk_add_f32 v[34:35], v[26:27], v[36:37] neg_lo:[0,1] neg_hi:[0,1]
	v_mov_b32_e32 v23, v28
	v_sub_f32_e32 v21, v26, v34
	v_pk_add_f32 v[22:23], v[22:23], v[34:35] neg_lo:[0,1] neg_hi:[0,1]
	v_sub_f32_e32 v21, v36, v21
	v_add_f32_e32 v21, v22, v21
	v_add_f32_e32 v21, v21, v23
	;; [unrolled: 1-line block ×3, first 2 shown]
	v_cndmask_b32_e64 v20, v25, v20, s[36:37]
	s_mov_b32 s36, 0x33800000
	v_cmp_lt_f32_e64 s[36:37], |v19|, s36
	s_nop 1
	v_cndmask_b32_e64 v19, v20, v19, s[36:37]
	v_add_f32_e32 v35, v18, v19
.LBB105_34:
	s_or_b64 exec, exec, s[38:39]
	v_max_f32_e32 v18, v35, v35
	v_max_f32_e32 v20, v10, v10
	v_min_f32_e32 v19, v18, v20
	v_cmp_u_f32_e64 s[38:39], v35, v35
	v_max_f32_e32 v18, v18, v20
	v_cmp_u_f32_e64 s[36:37], v10, v10
	v_cndmask_b32_e64 v19, v19, v35, s[38:39]
	v_cndmask_b32_e64 v18, v18, v35, s[38:39]
	;; [unrolled: 1-line block ×4, first 2 shown]
	v_cmp_neq_f32_e64 s[38:39], v19, v18
	v_cmp_class_f32_e64 s[40:41], v19, s33
	s_or_b64 s[38:39], s[38:39], s[40:41]
	s_and_saveexec_b64 s[40:41], s[38:39]
	s_cbranch_execz .LBB105_36
; %bb.35:
	v_sub_f32_e32 v19, v19, v18
	s_mov_b32 s33, 0x3fb8aa3b
	v_mul_f32_e32 v21, 0x3fb8aa3b, v19
	v_fma_f32 v22, v19, s33, -v21
	v_rndne_f32_e32 v23, v21
	v_fmamk_f32 v22, v19, 0x32a5705f, v22
	v_sub_f32_e32 v21, v21, v23
	v_add_f32_e32 v21, v21, v22
	v_exp_f32_e32 v21, v21
	v_cvt_i32_f32_e32 v22, v23
	s_mov_b32 s33, 0xc2ce8ed0
	v_cmp_ngt_f32_e64 s[38:39], s33, v19
	s_mov_b32 s33, 0x42b17218
	v_ldexp_f32 v21, v21, v22
	v_cndmask_b32_e64 v21, 0, v21, s[38:39]
	v_mov_b32_e32 v25, 0x7f800000
	v_cmp_nlt_f32_e64 s[38:39], s33, v19
	s_mov_b32 s33, 0x3f2aaaab
	s_mov_b32 s42, 0x7f800000
	v_cndmask_b32_e64 v19, v25, v21, s[38:39]
	v_add_f32_e32 v21, 1.0, v19
	v_add_f32_e32 v22, -1.0, v21
	v_sub_f32_e32 v23, v22, v21
	v_add_f32_e32 v23, 1.0, v23
	v_sub_f32_e32 v22, v19, v22
	v_add_f32_e32 v26, v22, v23
	v_frexp_mant_f32_e32 v27, v21
	v_cvt_f64_f32_e32 v[22:23], v21
	v_frexp_exp_i32_f64_e32 v22, v[22:23]
	v_cmp_gt_f32_e64 s[38:39], s33, v27
	s_mov_b32 s33, 0x3f317218
	s_nop 0
	v_subbrev_co_u32_e64 v30, s[38:39], 0, v22, s[38:39]
	v_sub_u32_e32 v22, 0, v30
	v_ldexp_f32 v21, v21, v22
	v_ldexp_f32 v22, v26, v22
	v_add_f32_e32 v26, -1.0, v21
	v_add_f32_e32 v23, 1.0, v26
	v_sub_f32_e32 v23, v21, v23
	v_add_f32_e32 v27, v22, v23
	v_add_f32_e32 v23, 1.0, v21
	v_add_f32_e32 v28, -1.0, v23
	v_sub_f32_e32 v21, v21, v28
	v_add_f32_e32 v21, v22, v21
	v_add_f32_e32 v36, v23, v21
	v_rcp_f32_e32 v37, v36
	v_sub_f32_e32 v22, v23, v36
	v_add_f32_e32 v23, v26, v27
	v_add_f32_e32 v21, v21, v22
	v_mul_f32_e32 v39, v23, v37
	v_sub_f32_e32 v22, v26, v23
	v_mul_f32_e32 v26, v36, v39
	v_fma_f32 v28, v39, v36, -v26
	v_fmac_f32_e32 v28, v39, v21
	v_add_f32_e32 v38, v27, v22
	v_add_f32_e32 v22, v26, v28
	v_sub_f32_e32 v27, v23, v22
	v_pk_add_f32 v[34:35], v[22:23], v[26:27] neg_lo:[0,1] neg_hi:[0,1]
	v_mov_b32_e32 v29, v22
	v_pk_add_f32 v[22:23], v[34:35], v[28:29] neg_lo:[0,1] neg_hi:[0,1]
	v_cmp_neq_f32_e64 s[38:39], s42, v19
	v_add_f32_e32 v23, v38, v23
	v_add_f32_e32 v22, v22, v23
	;; [unrolled: 1-line block ×3, first 2 shown]
	v_mul_f32_e32 v38, v37, v23
	v_mul_f32_e32 v26, v36, v38
	v_fma_f32 v28, v38, v36, -v26
	v_fmac_f32_e32 v28, v38, v21
	v_sub_f32_e32 v21, v27, v23
	v_add_f32_e32 v21, v22, v21
	v_add_f32_e32 v22, v26, v28
	v_sub_f32_e32 v27, v23, v22
	v_pk_add_f32 v[34:35], v[22:23], v[26:27] neg_lo:[0,1] neg_hi:[0,1]
	v_mov_b32_e32 v29, v22
	v_pk_add_f32 v[22:23], v[34:35], v[28:29] neg_lo:[0,1] neg_hi:[0,1]
	v_cvt_f32_i32_e32 v26, v30
	v_add_f32_e32 v21, v21, v23
	v_add_f32_e32 v21, v22, v21
	;; [unrolled: 1-line block ×4, first 2 shown]
	v_sub_f32_e32 v23, v22, v39
	v_mul_f32_e32 v21, v37, v21
	v_sub_f32_e32 v23, v38, v23
	v_add_f32_e32 v21, v23, v21
	v_add_f32_e32 v27, v22, v21
	v_mul_f32_e32 v28, v27, v27
	v_mov_b32_e32 v23, 0x3ecc95a3
	v_fmac_f32_e32 v23, 0x3e9b6dac, v28
	v_sub_f32_e32 v22, v27, v22
	v_fmaak_f32 v23, v28, v23, 0x3f2aaada
	v_sub_f32_e32 v21, v21, v22
	v_ldexp_f32 v29, v27, 1
	v_mul_f32_e32 v27, v27, v28
	v_mov_b32_e32 v22, 0x3f317218
	v_pk_mul_f32 v[22:23], v[26:27], v[22:23]
	v_ldexp_f32 v21, v21, 1
	v_fma_f32 v27, v26, s33, -v22
	v_fmamk_f32 v28, v26, 0xb102e308, v27
	v_pk_add_f32 v[26:27], v[22:23], v[28:29]
	v_mov_b32_e32 v34, v22
	v_sub_f32_e32 v29, v27, v29
	v_sub_f32_e32 v29, v23, v29
	v_add_f32_e32 v35, v21, v29
	v_pk_add_f32 v[22:23], v[26:27], v[22:23] neg_lo:[0,1] neg_hi:[0,1]
	v_pk_add_f32 v[36:37], v[26:27], v[34:35]
	v_mov_b32_e32 v29, v26
	v_mov_b32_e32 v23, v37
	v_pk_add_f32 v[38:39], v[28:29], v[22:23] neg_lo:[0,1] neg_hi:[0,1]
	v_pk_add_f32 v[22:23], v[28:29], v[22:23]
	v_mov_b32_e32 v34, v35
	v_pk_add_f32 v[28:29], v[22:23], v[26:27] op_sel:[1,0] op_sel_hi:[0,1] neg_lo:[0,1] neg_hi:[0,1]
	v_pk_add_f32 v[40:41], v[36:37], v[28:29] op_sel_hi:[1,0] neg_lo:[0,1] neg_hi:[0,1]
	v_mov_b32_e32 v36, v37
	v_mov_b32_e32 v37, v23
	v_pk_mov_b32 v[28:29], v[26:27], v[28:29] op_sel:[1,0]
	v_mov_b32_e32 v35, v26
	v_pk_add_f32 v[28:29], v[36:37], v[28:29] neg_lo:[0,1] neg_hi:[0,1]
	v_mov_b32_e32 v40, v38
	v_pk_add_f32 v[26:27], v[34:35], v[28:29] neg_lo:[0,1] neg_hi:[0,1]
	v_mov_b32_e32 v39, v23
	v_pk_add_f32 v[28:29], v[40:41], v[26:27]
	s_mov_b32 s33, 0x33800000
	v_pk_add_f32 v[34:35], v[28:29], v[28:29] op_sel:[0,1] op_sel_hi:[1,0]
	s_nop 0
	v_pk_add_f32 v[22:23], v[22:23], v[34:35] op_sel:[1,0] op_sel_hi:[0,1]
	v_mov_b32_e32 v29, v22
	v_pk_add_f32 v[36:37], v[28:29], v[38:39] neg_lo:[0,1] neg_hi:[0,1]
	v_mov_b32_e32 v27, v34
	v_sub_f32_e32 v21, v28, v36
	v_pk_add_f32 v[26:27], v[26:27], v[36:37] neg_lo:[0,1] neg_hi:[0,1]
	v_sub_f32_e32 v21, v38, v21
	v_add_f32_e32 v21, v26, v21
	v_add_f32_e32 v21, v21, v27
	;; [unrolled: 1-line block ×3, first 2 shown]
	v_cndmask_b32_e64 v21, v25, v21, s[38:39]
	v_cmp_lt_f32_e64 s[38:39], |v19|, s33
	s_nop 1
	v_cndmask_b32_e64 v19, v21, v19, s[38:39]
	v_add_f32_e32 v35, v18, v19
.LBB105_36:
	s_or_b64 exec, exec, s[40:41]
	v_max_f32_e32 v18, v35, v35
	v_max_f32_e32 v21, v11, v11
	v_min_f32_e32 v19, v18, v21
	v_cmp_u_f32_e64 s[40:41], v35, v35
	v_max_f32_e32 v18, v18, v21
	v_cmp_u_f32_e64 s[38:39], v11, v11
	v_cndmask_b32_e64 v19, v19, v35, s[40:41]
	v_cndmask_b32_e64 v18, v18, v35, s[40:41]
	;; [unrolled: 1-line block ×4, first 2 shown]
	s_movk_i32 s33, 0x1f8
	v_cmp_neq_f32_e64 s[40:41], v19, v18
	v_cmp_class_f32_e64 s[42:43], v19, s33
	s_or_b64 s[40:41], s[40:41], s[42:43]
	s_and_saveexec_b64 s[42:43], s[40:41]
	s_cbranch_execz .LBB105_38
; %bb.37:
	v_sub_f32_e32 v19, v19, v18
	s_mov_b32 s40, 0x3fb8aa3b
	v_mul_f32_e32 v22, 0x3fb8aa3b, v19
	v_fma_f32 v23, v19, s40, -v22
	v_rndne_f32_e32 v25, v22
	v_fmamk_f32 v23, v19, 0x32a5705f, v23
	v_sub_f32_e32 v22, v22, v25
	v_add_f32_e32 v22, v22, v23
	v_exp_f32_e32 v22, v22
	v_cvt_i32_f32_e32 v23, v25
	s_mov_b32 s40, 0xc2ce8ed0
	v_cmp_ngt_f32_e64 s[40:41], s40, v19
	v_mov_b32_e32 v25, 0x7f800000
	v_ldexp_f32 v22, v22, v23
	v_cndmask_b32_e64 v22, 0, v22, s[40:41]
	s_mov_b32 s40, 0x42b17218
	v_cmp_nlt_f32_e64 s[40:41], s40, v19
	s_mov_b32 s44, 0x7f800000
	s_nop 0
	v_cndmask_b32_e64 v19, v25, v22, s[40:41]
	v_add_f32_e32 v26, 1.0, v19
	v_add_f32_e32 v22, -1.0, v26
	v_sub_f32_e32 v23, v22, v26
	v_add_f32_e32 v23, 1.0, v23
	v_sub_f32_e32 v22, v19, v22
	v_add_f32_e32 v27, v22, v23
	v_frexp_mant_f32_e32 v28, v26
	s_mov_b32 s40, 0x3f2aaaab
	v_cvt_f64_f32_e32 v[22:23], v26
	v_frexp_exp_i32_f64_e32 v22, v[22:23]
	v_cmp_gt_f32_e64 s[40:41], s40, v28
	s_nop 1
	v_subbrev_co_u32_e64 v30, s[40:41], 0, v22, s[40:41]
	v_sub_u32_e32 v22, 0, v30
	v_ldexp_f32 v23, v26, v22
	v_add_f32_e32 v26, -1.0, v23
	v_add_f32_e32 v28, 1.0, v23
	v_ldexp_f32 v22, v27, v22
	v_add_f32_e32 v27, 1.0, v26
	v_add_f32_e32 v29, -1.0, v28
	v_sub_f32_e32 v27, v23, v27
	v_sub_f32_e32 v23, v23, v29
	v_add_f32_e32 v27, v22, v27
	v_add_f32_e32 v22, v22, v23
	;; [unrolled: 1-line block ×3, first 2 shown]
	v_rcp_f32_e32 v38, v36
	v_sub_f32_e32 v23, v28, v36
	v_add_f32_e32 v37, v22, v23
	v_add_f32_e32 v23, v26, v27
	v_mul_f32_e32 v40, v23, v38
	v_sub_f32_e32 v22, v26, v23
	v_mul_f32_e32 v26, v36, v40
	v_fma_f32 v28, v40, v36, -v26
	v_fmac_f32_e32 v28, v40, v37
	v_add_f32_e32 v39, v27, v22
	v_add_f32_e32 v22, v26, v28
	v_sub_f32_e32 v27, v23, v22
	v_pk_add_f32 v[34:35], v[22:23], v[26:27] neg_lo:[0,1] neg_hi:[0,1]
	v_mov_b32_e32 v29, v22
	v_pk_add_f32 v[22:23], v[34:35], v[28:29] neg_lo:[0,1] neg_hi:[0,1]
	s_mov_b32 s40, 0x3f317218
	v_add_f32_e32 v23, v39, v23
	v_add_f32_e32 v22, v22, v23
	;; [unrolled: 1-line block ×3, first 2 shown]
	v_mul_f32_e32 v39, v38, v23
	v_mul_f32_e32 v26, v36, v39
	v_fma_f32 v28, v39, v36, -v26
	v_fmac_f32_e32 v28, v39, v37
	v_sub_f32_e32 v27, v27, v23
	v_add_f32_e32 v36, v22, v27
	v_add_f32_e32 v22, v26, v28
	v_sub_f32_e32 v27, v23, v22
	v_pk_add_f32 v[34:35], v[22:23], v[26:27] neg_lo:[0,1] neg_hi:[0,1]
	v_mov_b32_e32 v29, v22
	v_pk_add_f32 v[22:23], v[34:35], v[28:29] neg_lo:[0,1] neg_hi:[0,1]
	v_cvt_f32_i32_e32 v26, v30
	v_add_f32_e32 v23, v36, v23
	v_add_f32_e32 v22, v22, v23
	;; [unrolled: 1-line block ×4, first 2 shown]
	v_sub_f32_e32 v23, v27, v40
	v_mul_f32_e32 v22, v38, v22
	v_sub_f32_e32 v23, v39, v23
	v_add_f32_e32 v22, v23, v22
	v_add_f32_e32 v28, v27, v22
	v_mul_f32_e32 v34, v28, v28
	v_mov_b32_e32 v23, 0x3ecc95a3
	v_sub_f32_e32 v27, v28, v27
	v_fmac_f32_e32 v23, 0x3e9b6dac, v34
	v_sub_f32_e32 v22, v22, v27
	v_fmaak_f32 v23, v34, v23, 0x3f2aaada
	v_ldexp_f32 v30, v22, 1
	v_mul_f32_e32 v27, v28, v34
	v_mov_b32_e32 v22, 0x3f317218
	v_pk_mul_f32 v[22:23], v[26:27], v[22:23]
	v_ldexp_f32 v29, v28, 1
	v_fma_f32 v27, v26, s40, -v22
	v_fmamk_f32 v28, v26, 0xb102e308, v27
	v_pk_add_f32 v[26:27], v[22:23], v[28:29]
	v_mov_b32_e32 v34, v22
	v_sub_f32_e32 v29, v27, v29
	v_sub_f32_e32 v29, v23, v29
	v_add_f32_e32 v35, v30, v29
	v_pk_add_f32 v[22:23], v[26:27], v[22:23] neg_lo:[0,1] neg_hi:[0,1]
	v_pk_add_f32 v[36:37], v[26:27], v[34:35]
	v_mov_b32_e32 v29, v26
	v_mov_b32_e32 v23, v37
	v_pk_add_f32 v[38:39], v[28:29], v[22:23] neg_lo:[0,1] neg_hi:[0,1]
	v_pk_add_f32 v[22:23], v[28:29], v[22:23]
	v_mov_b32_e32 v34, v35
	v_pk_add_f32 v[28:29], v[22:23], v[26:27] op_sel:[1,0] op_sel_hi:[0,1] neg_lo:[0,1] neg_hi:[0,1]
	v_pk_add_f32 v[40:41], v[36:37], v[28:29] op_sel_hi:[1,0] neg_lo:[0,1] neg_hi:[0,1]
	v_mov_b32_e32 v36, v37
	v_mov_b32_e32 v37, v23
	v_pk_mov_b32 v[28:29], v[26:27], v[28:29] op_sel:[1,0]
	v_mov_b32_e32 v35, v26
	v_pk_add_f32 v[28:29], v[36:37], v[28:29] neg_lo:[0,1] neg_hi:[0,1]
	v_mov_b32_e32 v40, v38
	v_pk_add_f32 v[26:27], v[34:35], v[28:29] neg_lo:[0,1] neg_hi:[0,1]
	v_mov_b32_e32 v39, v23
	v_pk_add_f32 v[28:29], v[40:41], v[26:27]
	v_cmp_neq_f32_e64 s[40:41], s44, v19
	v_pk_add_f32 v[34:35], v[28:29], v[28:29] op_sel:[0,1] op_sel_hi:[1,0]
	s_nop 0
	v_pk_add_f32 v[22:23], v[22:23], v[34:35] op_sel:[1,0] op_sel_hi:[0,1]
	v_mov_b32_e32 v29, v22
	v_pk_add_f32 v[36:37], v[28:29], v[38:39] neg_lo:[0,1] neg_hi:[0,1]
	v_mov_b32_e32 v27, v34
	v_sub_f32_e32 v23, v28, v36
	v_pk_add_f32 v[26:27], v[26:27], v[36:37] neg_lo:[0,1] neg_hi:[0,1]
	v_sub_f32_e32 v23, v38, v23
	v_add_f32_e32 v23, v26, v23
	v_add_f32_e32 v23, v23, v27
	;; [unrolled: 1-line block ×3, first 2 shown]
	v_cndmask_b32_e64 v22, v25, v22, s[40:41]
	s_mov_b32 s40, 0x33800000
	v_cmp_lt_f32_e64 s[40:41], |v19|, s40
	s_nop 1
	v_cndmask_b32_e64 v19, v22, v19, s[40:41]
	v_add_f32_e32 v35, v18, v19
.LBB105_38:
	s_or_b64 exec, exec, s[42:43]
	v_max_f32_e32 v18, v35, v35
	v_max_f32_e32 v22, v12, v12
	v_min_f32_e32 v19, v18, v22
	v_cmp_u_f32_e64 s[42:43], v35, v35
	v_max_f32_e32 v18, v18, v22
	v_cmp_u_f32_e64 s[40:41], v12, v12
	v_cndmask_b32_e64 v19, v19, v35, s[42:43]
	v_cndmask_b32_e64 v18, v18, v35, s[42:43]
	;; [unrolled: 1-line block ×4, first 2 shown]
	v_cmp_neq_f32_e64 s[42:43], v19, v18
	v_cmp_class_f32_e64 s[44:45], v19, s33
	s_or_b64 s[42:43], s[42:43], s[44:45]
	s_and_saveexec_b64 s[44:45], s[42:43]
	s_cbranch_execz .LBB105_40
; %bb.39:
	v_sub_f32_e32 v19, v19, v18
	s_mov_b32 s33, 0x3fb8aa3b
	v_mul_f32_e32 v23, 0x3fb8aa3b, v19
	v_fma_f32 v25, v19, s33, -v23
	v_rndne_f32_e32 v26, v23
	v_fmamk_f32 v25, v19, 0x32a5705f, v25
	v_sub_f32_e32 v23, v23, v26
	v_add_f32_e32 v23, v23, v25
	v_exp_f32_e32 v23, v23
	v_cvt_i32_f32_e32 v25, v26
	s_mov_b32 s33, 0xc2ce8ed0
	v_cmp_ngt_f32_e64 s[42:43], s33, v19
	s_mov_b32 s33, 0x42b17218
	v_ldexp_f32 v23, v23, v25
	v_cndmask_b32_e64 v23, 0, v23, s[42:43]
	v_mov_b32_e32 v25, 0x7f800000
	v_cmp_nlt_f32_e64 s[42:43], s33, v19
	s_mov_b32 s33, 0x3f2aaaab
	s_mov_b32 s46, 0x7f800000
	v_cndmask_b32_e64 v19, v25, v23, s[42:43]
	v_add_f32_e32 v23, 1.0, v19
	v_add_f32_e32 v26, -1.0, v23
	v_sub_f32_e32 v27, v26, v23
	v_add_f32_e32 v27, 1.0, v27
	v_sub_f32_e32 v26, v19, v26
	v_add_f32_e32 v28, v26, v27
	v_frexp_mant_f32_e32 v29, v23
	v_cvt_f64_f32_e32 v[26:27], v23
	v_frexp_exp_i32_f64_e32 v26, v[26:27]
	v_cmp_gt_f32_e64 s[42:43], s33, v29
	s_mov_b32 s33, 0x3f317218
	s_nop 0
	v_subbrev_co_u32_e64 v30, s[42:43], 0, v26, s[42:43]
	v_sub_u32_e32 v26, 0, v30
	v_ldexp_f32 v23, v23, v26
	v_ldexp_f32 v26, v28, v26
	v_add_f32_e32 v28, -1.0, v23
	v_add_f32_e32 v27, 1.0, v28
	v_sub_f32_e32 v27, v23, v27
	v_add_f32_e32 v29, v26, v27
	v_add_f32_e32 v27, 1.0, v23
	v_add_f32_e32 v34, -1.0, v27
	v_sub_f32_e32 v23, v23, v34
	v_add_f32_e32 v23, v26, v23
	v_add_f32_e32 v38, v27, v23
	v_rcp_f32_e32 v39, v38
	v_sub_f32_e32 v26, v27, v38
	v_add_f32_e32 v27, v28, v29
	v_add_f32_e32 v23, v23, v26
	v_mul_f32_e32 v41, v27, v39
	v_sub_f32_e32 v26, v28, v27
	v_mul_f32_e32 v28, v38, v41
	v_fma_f32 v34, v41, v38, -v28
	v_fmac_f32_e32 v34, v41, v23
	v_add_f32_e32 v40, v29, v26
	v_add_f32_e32 v26, v28, v34
	v_sub_f32_e32 v29, v27, v26
	v_pk_add_f32 v[36:37], v[26:27], v[28:29] neg_lo:[0,1] neg_hi:[0,1]
	v_mov_b32_e32 v35, v26
	v_pk_add_f32 v[26:27], v[36:37], v[34:35] neg_lo:[0,1] neg_hi:[0,1]
	v_cmp_neq_f32_e64 s[42:43], s46, v19
	v_add_f32_e32 v27, v40, v27
	v_add_f32_e32 v26, v26, v27
	;; [unrolled: 1-line block ×3, first 2 shown]
	v_mul_f32_e32 v40, v39, v27
	v_mul_f32_e32 v28, v38, v40
	v_fma_f32 v34, v40, v38, -v28
	v_fmac_f32_e32 v34, v40, v23
	v_sub_f32_e32 v23, v29, v27
	v_add_f32_e32 v23, v26, v23
	v_add_f32_e32 v26, v28, v34
	v_sub_f32_e32 v29, v27, v26
	v_pk_add_f32 v[36:37], v[26:27], v[28:29] neg_lo:[0,1] neg_hi:[0,1]
	v_mov_b32_e32 v35, v26
	v_pk_add_f32 v[26:27], v[36:37], v[34:35] neg_lo:[0,1] neg_hi:[0,1]
	v_cvt_f32_i32_e32 v28, v30
	v_add_f32_e32 v23, v23, v27
	v_add_f32_e32 v23, v26, v23
	;; [unrolled: 1-line block ×4, first 2 shown]
	v_sub_f32_e32 v27, v26, v41
	v_mul_f32_e32 v23, v39, v23
	v_sub_f32_e32 v27, v40, v27
	v_add_f32_e32 v23, v27, v23
	v_add_f32_e32 v29, v26, v23
	v_mul_f32_e32 v34, v29, v29
	v_mov_b32_e32 v27, 0x3ecc95a3
	v_fmac_f32_e32 v27, 0x3e9b6dac, v34
	v_sub_f32_e32 v26, v29, v26
	v_fmaak_f32 v27, v34, v27, 0x3f2aaada
	v_sub_f32_e32 v23, v23, v26
	v_ldexp_f32 v35, v29, 1
	v_mul_f32_e32 v29, v29, v34
	v_mov_b32_e32 v26, 0x3f317218
	v_pk_mul_f32 v[26:27], v[28:29], v[26:27]
	v_ldexp_f32 v23, v23, 1
	v_fma_f32 v29, v28, s33, -v26
	v_fmamk_f32 v34, v28, 0xb102e308, v29
	v_pk_add_f32 v[28:29], v[26:27], v[34:35]
	v_mov_b32_e32 v36, v26
	v_sub_f32_e32 v30, v29, v35
	v_sub_f32_e32 v30, v27, v30
	v_add_f32_e32 v37, v23, v30
	v_pk_add_f32 v[26:27], v[28:29], v[26:27] neg_lo:[0,1] neg_hi:[0,1]
	v_pk_add_f32 v[38:39], v[28:29], v[36:37]
	v_mov_b32_e32 v35, v28
	v_mov_b32_e32 v27, v39
	v_pk_add_f32 v[40:41], v[34:35], v[26:27] neg_lo:[0,1] neg_hi:[0,1]
	v_pk_add_f32 v[26:27], v[34:35], v[26:27]
	v_mov_b32_e32 v36, v37
	v_pk_add_f32 v[34:35], v[26:27], v[28:29] op_sel:[1,0] op_sel_hi:[0,1] neg_lo:[0,1] neg_hi:[0,1]
	v_pk_add_f32 v[42:43], v[38:39], v[34:35] op_sel_hi:[1,0] neg_lo:[0,1] neg_hi:[0,1]
	v_mov_b32_e32 v38, v39
	v_mov_b32_e32 v39, v27
	v_pk_mov_b32 v[34:35], v[28:29], v[34:35] op_sel:[1,0]
	v_mov_b32_e32 v37, v28
	v_pk_add_f32 v[34:35], v[38:39], v[34:35] neg_lo:[0,1] neg_hi:[0,1]
	v_mov_b32_e32 v42, v40
	v_pk_add_f32 v[28:29], v[36:37], v[34:35] neg_lo:[0,1] neg_hi:[0,1]
	v_mov_b32_e32 v41, v27
	v_pk_add_f32 v[34:35], v[42:43], v[28:29]
	s_mov_b32 s33, 0x33800000
	v_pk_add_f32 v[36:37], v[34:35], v[34:35] op_sel:[0,1] op_sel_hi:[1,0]
	s_nop 0
	v_pk_add_f32 v[26:27], v[26:27], v[36:37] op_sel:[1,0] op_sel_hi:[0,1]
	v_mov_b32_e32 v35, v26
	v_pk_add_f32 v[38:39], v[34:35], v[40:41] neg_lo:[0,1] neg_hi:[0,1]
	v_mov_b32_e32 v29, v36
	v_sub_f32_e32 v23, v34, v38
	v_pk_add_f32 v[28:29], v[28:29], v[38:39] neg_lo:[0,1] neg_hi:[0,1]
	v_sub_f32_e32 v23, v40, v23
	v_add_f32_e32 v23, v28, v23
	v_add_f32_e32 v23, v23, v29
	v_add_f32_e32 v23, v26, v23
	v_cndmask_b32_e64 v23, v25, v23, s[42:43]
	v_cmp_lt_f32_e64 s[42:43], |v19|, s33
	s_nop 1
	v_cndmask_b32_e64 v19, v23, v19, s[42:43]
	v_add_f32_e32 v35, v18, v19
.LBB105_40:
	s_or_b64 exec, exec, s[44:45]
	v_max_f32_e32 v18, v35, v35
	v_max_f32_e32 v23, v13, v13
	v_min_f32_e32 v19, v18, v23
	v_cmp_u_f32_e64 s[44:45], v35, v35
	v_max_f32_e32 v18, v18, v23
	v_cmp_u_f32_e64 s[42:43], v13, v13
	v_cndmask_b32_e64 v19, v19, v35, s[44:45]
	v_cndmask_b32_e64 v18, v18, v35, s[44:45]
	;; [unrolled: 1-line block ×4, first 2 shown]
	s_movk_i32 s33, 0x1f8
	v_cmp_neq_f32_e64 s[44:45], v19, v18
	v_cmp_class_f32_e64 s[46:47], v19, s33
	s_or_b64 s[44:45], s[44:45], s[46:47]
	s_and_saveexec_b64 s[46:47], s[44:45]
	s_cbranch_execz .LBB105_42
; %bb.41:
	v_sub_f32_e32 v19, v19, v18
	s_mov_b32 s44, 0x3fb8aa3b
	v_mul_f32_e32 v25, 0x3fb8aa3b, v19
	v_fma_f32 v26, v19, s44, -v25
	v_rndne_f32_e32 v27, v25
	v_fmamk_f32 v26, v19, 0x32a5705f, v26
	v_sub_f32_e32 v25, v25, v27
	v_add_f32_e32 v25, v25, v26
	v_exp_f32_e32 v25, v25
	v_cvt_i32_f32_e32 v26, v27
	s_mov_b32 s44, 0xc2ce8ed0
	v_cmp_ngt_f32_e64 s[44:45], s44, v19
	v_mov_b32_e32 v30, 0x7f800000
	v_ldexp_f32 v25, v25, v26
	v_cndmask_b32_e64 v25, 0, v25, s[44:45]
	s_mov_b32 s44, 0x42b17218
	v_cmp_nlt_f32_e64 s[44:45], s44, v19
	s_mov_b32 s48, 0x7f800000
	s_nop 0
	v_cndmask_b32_e64 v19, v30, v25, s[44:45]
	v_add_f32_e32 v25, 1.0, v19
	v_add_f32_e32 v26, -1.0, v25
	v_sub_f32_e32 v27, v26, v25
	v_add_f32_e32 v27, 1.0, v27
	v_sub_f32_e32 v26, v19, v26
	v_add_f32_e32 v28, v26, v27
	v_frexp_mant_f32_e32 v29, v25
	s_mov_b32 s44, 0x3f2aaaab
	v_cvt_f64_f32_e32 v[26:27], v25
	v_frexp_exp_i32_f64_e32 v26, v[26:27]
	v_cmp_gt_f32_e64 s[44:45], s44, v29
	s_nop 1
	v_subbrev_co_u32_e64 v38, s[44:45], 0, v26, s[44:45]
	v_sub_u32_e32 v26, 0, v38
	v_ldexp_f32 v25, v25, v26
	v_ldexp_f32 v26, v28, v26
	v_add_f32_e32 v28, -1.0, v25
	v_add_f32_e32 v27, 1.0, v28
	v_sub_f32_e32 v27, v25, v27
	v_add_f32_e32 v29, v26, v27
	v_add_f32_e32 v27, 1.0, v25
	v_add_f32_e32 v34, -1.0, v27
	v_sub_f32_e32 v25, v25, v34
	v_add_f32_e32 v25, v26, v25
	v_add_f32_e32 v39, v27, v25
	v_rcp_f32_e32 v40, v39
	v_sub_f32_e32 v26, v27, v39
	v_add_f32_e32 v27, v28, v29
	v_add_f32_e32 v25, v25, v26
	v_mul_f32_e32 v42, v27, v40
	v_sub_f32_e32 v26, v28, v27
	v_mul_f32_e32 v28, v39, v42
	v_fma_f32 v34, v42, v39, -v28
	v_fmac_f32_e32 v34, v42, v25
	v_add_f32_e32 v41, v29, v26
	v_add_f32_e32 v26, v28, v34
	v_sub_f32_e32 v29, v27, v26
	v_pk_add_f32 v[36:37], v[26:27], v[28:29] neg_lo:[0,1] neg_hi:[0,1]
	v_mov_b32_e32 v35, v26
	v_pk_add_f32 v[26:27], v[36:37], v[34:35] neg_lo:[0,1] neg_hi:[0,1]
	s_mov_b32 s44, 0x3f317218
	v_add_f32_e32 v27, v41, v27
	v_add_f32_e32 v26, v26, v27
	;; [unrolled: 1-line block ×3, first 2 shown]
	v_mul_f32_e32 v41, v40, v27
	v_mul_f32_e32 v28, v39, v41
	v_fma_f32 v34, v41, v39, -v28
	v_fmac_f32_e32 v34, v41, v25
	v_sub_f32_e32 v25, v29, v27
	v_add_f32_e32 v25, v26, v25
	v_add_f32_e32 v26, v28, v34
	v_sub_f32_e32 v29, v27, v26
	v_pk_add_f32 v[36:37], v[26:27], v[28:29] neg_lo:[0,1] neg_hi:[0,1]
	v_mov_b32_e32 v35, v26
	v_pk_add_f32 v[26:27], v[36:37], v[34:35] neg_lo:[0,1] neg_hi:[0,1]
	v_cvt_f32_i32_e32 v28, v38
	v_add_f32_e32 v25, v25, v27
	v_add_f32_e32 v25, v26, v25
	;; [unrolled: 1-line block ×4, first 2 shown]
	v_sub_f32_e32 v27, v26, v42
	v_mul_f32_e32 v25, v40, v25
	v_sub_f32_e32 v27, v41, v27
	v_add_f32_e32 v25, v27, v25
	v_add_f32_e32 v29, v26, v25
	v_mul_f32_e32 v34, v29, v29
	v_mov_b32_e32 v27, 0x3ecc95a3
	v_fmac_f32_e32 v27, 0x3e9b6dac, v34
	v_sub_f32_e32 v26, v29, v26
	v_fmaak_f32 v27, v34, v27, 0x3f2aaada
	v_sub_f32_e32 v25, v25, v26
	v_ldexp_f32 v35, v29, 1
	v_mul_f32_e32 v29, v29, v34
	v_mov_b32_e32 v26, 0x3f317218
	v_pk_mul_f32 v[26:27], v[28:29], v[26:27]
	v_ldexp_f32 v25, v25, 1
	v_fma_f32 v29, v28, s44, -v26
	v_fmamk_f32 v34, v28, 0xb102e308, v29
	v_pk_add_f32 v[28:29], v[26:27], v[34:35]
	v_mov_b32_e32 v36, v26
	v_sub_f32_e32 v35, v29, v35
	v_sub_f32_e32 v35, v27, v35
	v_add_f32_e32 v37, v25, v35
	v_pk_add_f32 v[26:27], v[28:29], v[26:27] neg_lo:[0,1] neg_hi:[0,1]
	v_pk_add_f32 v[38:39], v[28:29], v[36:37]
	v_mov_b32_e32 v35, v28
	v_mov_b32_e32 v27, v39
	v_pk_add_f32 v[40:41], v[34:35], v[26:27] neg_lo:[0,1] neg_hi:[0,1]
	v_pk_add_f32 v[26:27], v[34:35], v[26:27]
	v_mov_b32_e32 v36, v37
	v_pk_add_f32 v[34:35], v[26:27], v[28:29] op_sel:[1,0] op_sel_hi:[0,1] neg_lo:[0,1] neg_hi:[0,1]
	v_pk_add_f32 v[42:43], v[38:39], v[34:35] op_sel_hi:[1,0] neg_lo:[0,1] neg_hi:[0,1]
	v_mov_b32_e32 v38, v39
	v_mov_b32_e32 v39, v27
	v_pk_mov_b32 v[34:35], v[28:29], v[34:35] op_sel:[1,0]
	v_mov_b32_e32 v37, v28
	v_pk_add_f32 v[34:35], v[38:39], v[34:35] neg_lo:[0,1] neg_hi:[0,1]
	v_mov_b32_e32 v42, v40
	v_pk_add_f32 v[28:29], v[36:37], v[34:35] neg_lo:[0,1] neg_hi:[0,1]
	v_mov_b32_e32 v41, v27
	v_pk_add_f32 v[34:35], v[42:43], v[28:29]
	v_cmp_neq_f32_e64 s[44:45], s48, v19
	v_pk_add_f32 v[36:37], v[34:35], v[34:35] op_sel:[0,1] op_sel_hi:[1,0]
	s_nop 0
	v_pk_add_f32 v[26:27], v[26:27], v[36:37] op_sel:[1,0] op_sel_hi:[0,1]
	v_mov_b32_e32 v35, v26
	v_pk_add_f32 v[38:39], v[34:35], v[40:41] neg_lo:[0,1] neg_hi:[0,1]
	v_mov_b32_e32 v29, v36
	v_sub_f32_e32 v25, v34, v38
	v_pk_add_f32 v[28:29], v[28:29], v[38:39] neg_lo:[0,1] neg_hi:[0,1]
	v_sub_f32_e32 v25, v40, v25
	v_add_f32_e32 v25, v28, v25
	v_add_f32_e32 v25, v25, v29
	;; [unrolled: 1-line block ×3, first 2 shown]
	v_cndmask_b32_e64 v25, v30, v25, s[44:45]
	s_mov_b32 s44, 0x33800000
	v_cmp_lt_f32_e64 s[44:45], |v19|, s44
	s_nop 1
	v_cndmask_b32_e64 v19, v25, v19, s[44:45]
	v_add_f32_e32 v35, v18, v19
.LBB105_42:
	s_or_b64 exec, exec, s[46:47]
	v_max_f32_e32 v18, v35, v35
	v_max_f32_e32 v25, v6, v6
	v_min_f32_e32 v19, v18, v25
	v_cmp_u_f32_e64 s[46:47], v35, v35
	v_max_f32_e32 v18, v18, v25
	v_cmp_u_f32_e64 s[44:45], v6, v6
	v_cndmask_b32_e64 v19, v19, v35, s[46:47]
	v_cndmask_b32_e64 v18, v18, v35, s[46:47]
	;; [unrolled: 1-line block ×4, first 2 shown]
	v_cmp_neq_f32_e64 s[46:47], v19, v18
	v_cmp_class_f32_e64 s[48:49], v19, s33
	s_or_b64 s[46:47], s[46:47], s[48:49]
	s_and_saveexec_b64 s[48:49], s[46:47]
	s_cbranch_execz .LBB105_44
; %bb.43:
	v_sub_f32_e32 v19, v19, v18
	s_mov_b32 s33, 0x3fb8aa3b
	v_mul_f32_e32 v26, 0x3fb8aa3b, v19
	v_fma_f32 v27, v19, s33, -v26
	v_rndne_f32_e32 v28, v26
	v_fmamk_f32 v27, v19, 0x32a5705f, v27
	v_sub_f32_e32 v26, v26, v28
	v_add_f32_e32 v26, v26, v27
	v_exp_f32_e32 v26, v26
	v_cvt_i32_f32_e32 v27, v28
	s_mov_b32 s33, 0xc2ce8ed0
	v_cmp_ngt_f32_e64 s[46:47], s33, v19
	s_mov_b32 s33, 0x42b17218
	v_ldexp_f32 v26, v26, v27
	v_cndmask_b32_e64 v26, 0, v26, s[46:47]
	v_mov_b32_e32 v30, 0x7f800000
	v_cmp_nlt_f32_e64 s[46:47], s33, v19
	s_mov_b32 s33, 0x3f2aaaab
	s_mov_b32 s50, 0x7f800000
	v_cndmask_b32_e64 v19, v30, v26, s[46:47]
	v_add_f32_e32 v28, 1.0, v19
	v_add_f32_e32 v26, -1.0, v28
	v_sub_f32_e32 v27, v26, v28
	v_add_f32_e32 v27, 1.0, v27
	v_sub_f32_e32 v26, v19, v26
	v_add_f32_e32 v29, v26, v27
	v_frexp_mant_f32_e32 v34, v28
	v_cvt_f64_f32_e32 v[26:27], v28
	v_frexp_exp_i32_f64_e32 v26, v[26:27]
	v_cmp_gt_f32_e64 s[46:47], s33, v34
	s_mov_b32 s33, 0x3f317218
	s_nop 0
	v_subbrev_co_u32_e64 v38, s[46:47], 0, v26, s[46:47]
	v_sub_u32_e32 v26, 0, v38
	v_ldexp_f32 v27, v28, v26
	v_add_f32_e32 v28, -1.0, v27
	v_add_f32_e32 v34, 1.0, v27
	v_ldexp_f32 v26, v29, v26
	v_add_f32_e32 v29, 1.0, v28
	v_add_f32_e32 v35, -1.0, v34
	v_sub_f32_e32 v29, v27, v29
	v_sub_f32_e32 v27, v27, v35
	v_add_f32_e32 v29, v26, v29
	v_add_f32_e32 v26, v26, v27
	v_add_f32_e32 v39, v34, v26
	v_rcp_f32_e32 v41, v39
	v_sub_f32_e32 v27, v34, v39
	v_add_f32_e32 v40, v26, v27
	v_add_f32_e32 v27, v28, v29
	v_mul_f32_e32 v43, v27, v41
	v_sub_f32_e32 v26, v28, v27
	v_mul_f32_e32 v28, v39, v43
	v_fma_f32 v34, v43, v39, -v28
	v_fmac_f32_e32 v34, v43, v40
	v_add_f32_e32 v42, v29, v26
	v_add_f32_e32 v26, v28, v34
	v_sub_f32_e32 v29, v27, v26
	v_pk_add_f32 v[36:37], v[26:27], v[28:29] neg_lo:[0,1] neg_hi:[0,1]
	v_mov_b32_e32 v35, v26
	v_pk_add_f32 v[26:27], v[36:37], v[34:35] neg_lo:[0,1] neg_hi:[0,1]
	v_cmp_neq_f32_e64 s[46:47], s50, v19
	v_add_f32_e32 v27, v42, v27
	v_add_f32_e32 v26, v26, v27
	;; [unrolled: 1-line block ×3, first 2 shown]
	v_mul_f32_e32 v42, v41, v27
	v_mul_f32_e32 v28, v39, v42
	v_fma_f32 v34, v42, v39, -v28
	v_fmac_f32_e32 v34, v42, v40
	v_sub_f32_e32 v29, v29, v27
	v_add_f32_e32 v39, v26, v29
	v_add_f32_e32 v26, v28, v34
	v_sub_f32_e32 v29, v27, v26
	v_pk_add_f32 v[36:37], v[26:27], v[28:29] neg_lo:[0,1] neg_hi:[0,1]
	v_mov_b32_e32 v35, v26
	v_pk_add_f32 v[26:27], v[36:37], v[34:35] neg_lo:[0,1] neg_hi:[0,1]
	v_cvt_f32_i32_e32 v28, v38
	v_add_f32_e32 v27, v39, v27
	v_add_f32_e32 v26, v26, v27
	;; [unrolled: 1-line block ×4, first 2 shown]
	v_sub_f32_e32 v27, v29, v43
	v_mul_f32_e32 v26, v41, v26
	v_sub_f32_e32 v27, v42, v27
	v_add_f32_e32 v26, v27, v26
	v_add_f32_e32 v34, v29, v26
	v_mul_f32_e32 v36, v34, v34
	v_mov_b32_e32 v27, 0x3ecc95a3
	v_sub_f32_e32 v29, v34, v29
	v_fmac_f32_e32 v27, 0x3e9b6dac, v36
	v_sub_f32_e32 v26, v26, v29
	v_fmaak_f32 v27, v36, v27, 0x3f2aaada
	v_ldexp_f32 v37, v26, 1
	v_mul_f32_e32 v29, v34, v36
	v_mov_b32_e32 v26, 0x3f317218
	v_pk_mul_f32 v[26:27], v[28:29], v[26:27]
	v_ldexp_f32 v35, v34, 1
	v_fma_f32 v29, v28, s33, -v26
	v_fmamk_f32 v34, v28, 0xb102e308, v29
	v_pk_add_f32 v[28:29], v[26:27], v[34:35]
	v_mov_b32_e32 v36, v26
	v_sub_f32_e32 v35, v29, v35
	v_sub_f32_e32 v35, v27, v35
	v_add_f32_e32 v37, v37, v35
	v_pk_add_f32 v[26:27], v[28:29], v[26:27] neg_lo:[0,1] neg_hi:[0,1]
	v_pk_add_f32 v[38:39], v[28:29], v[36:37]
	v_mov_b32_e32 v35, v28
	v_mov_b32_e32 v27, v39
	v_pk_add_f32 v[40:41], v[34:35], v[26:27] neg_lo:[0,1] neg_hi:[0,1]
	v_pk_add_f32 v[26:27], v[34:35], v[26:27]
	v_mov_b32_e32 v36, v37
	v_pk_add_f32 v[34:35], v[26:27], v[28:29] op_sel:[1,0] op_sel_hi:[0,1] neg_lo:[0,1] neg_hi:[0,1]
	v_pk_add_f32 v[42:43], v[38:39], v[34:35] op_sel_hi:[1,0] neg_lo:[0,1] neg_hi:[0,1]
	v_mov_b32_e32 v38, v39
	v_mov_b32_e32 v39, v27
	v_pk_mov_b32 v[34:35], v[28:29], v[34:35] op_sel:[1,0]
	v_mov_b32_e32 v37, v28
	v_pk_add_f32 v[34:35], v[38:39], v[34:35] neg_lo:[0,1] neg_hi:[0,1]
	v_mov_b32_e32 v42, v40
	v_pk_add_f32 v[28:29], v[36:37], v[34:35] neg_lo:[0,1] neg_hi:[0,1]
	v_mov_b32_e32 v41, v27
	v_pk_add_f32 v[34:35], v[42:43], v[28:29]
	s_mov_b32 s33, 0x33800000
	v_pk_add_f32 v[36:37], v[34:35], v[34:35] op_sel:[0,1] op_sel_hi:[1,0]
	s_nop 0
	v_pk_add_f32 v[26:27], v[26:27], v[36:37] op_sel:[1,0] op_sel_hi:[0,1]
	v_mov_b32_e32 v35, v26
	v_pk_add_f32 v[38:39], v[34:35], v[40:41] neg_lo:[0,1] neg_hi:[0,1]
	v_mov_b32_e32 v29, v36
	v_sub_f32_e32 v27, v34, v38
	v_pk_add_f32 v[28:29], v[28:29], v[38:39] neg_lo:[0,1] neg_hi:[0,1]
	v_sub_f32_e32 v27, v40, v27
	v_add_f32_e32 v27, v28, v27
	v_add_f32_e32 v27, v27, v29
	;; [unrolled: 1-line block ×3, first 2 shown]
	v_cndmask_b32_e64 v26, v30, v26, s[46:47]
	v_cmp_lt_f32_e64 s[46:47], |v19|, s33
	s_nop 1
	v_cndmask_b32_e64 v19, v26, v19, s[46:47]
	v_add_f32_e32 v35, v18, v19
.LBB105_44:
	s_or_b64 exec, exec, s[48:49]
	v_max_f32_e32 v18, v35, v35
	v_max_f32_e32 v26, v7, v7
	v_min_f32_e32 v19, v18, v26
	v_cmp_u_f32_e64 s[48:49], v35, v35
	v_max_f32_e32 v18, v18, v26
	v_cmp_u_f32_e64 s[46:47], v7, v7
	v_cndmask_b32_e64 v19, v19, v35, s[48:49]
	v_cndmask_b32_e64 v18, v18, v35, s[48:49]
	;; [unrolled: 1-line block ×4, first 2 shown]
	s_movk_i32 s33, 0x1f8
	v_cmp_neq_f32_e64 s[48:49], v19, v18
	v_cmp_class_f32_e64 s[50:51], v19, s33
	s_or_b64 s[48:49], s[48:49], s[50:51]
	s_and_saveexec_b64 s[50:51], s[48:49]
	s_cbranch_execz .LBB105_46
; %bb.45:
	v_sub_f32_e32 v19, v19, v18
	s_mov_b32 s48, 0x3fb8aa3b
	v_mul_f32_e32 v27, 0x3fb8aa3b, v19
	v_fma_f32 v28, v19, s48, -v27
	v_rndne_f32_e32 v29, v27
	v_fmamk_f32 v28, v19, 0x32a5705f, v28
	v_sub_f32_e32 v27, v27, v29
	v_add_f32_e32 v27, v27, v28
	v_exp_f32_e32 v27, v27
	v_cvt_i32_f32_e32 v28, v29
	s_mov_b32 s48, 0xc2ce8ed0
	v_cmp_ngt_f32_e64 s[48:49], s48, v19
	v_mov_b32_e32 v30, 0x7f800000
	v_ldexp_f32 v27, v27, v28
	v_cndmask_b32_e64 v27, 0, v27, s[48:49]
	s_mov_b32 s48, 0x42b17218
	v_cmp_nlt_f32_e64 s[48:49], s48, v19
	s_mov_b32 s52, 0x7f800000
	s_nop 0
	v_cndmask_b32_e64 v19, v30, v27, s[48:49]
	v_add_f32_e32 v27, 1.0, v19
	v_add_f32_e32 v28, -1.0, v27
	v_sub_f32_e32 v29, v28, v27
	v_add_f32_e32 v29, 1.0, v29
	v_sub_f32_e32 v28, v19, v28
	v_add_f32_e32 v34, v28, v29
	v_frexp_mant_f32_e32 v35, v27
	s_mov_b32 s48, 0x3f2aaaab
	v_cvt_f64_f32_e32 v[28:29], v27
	v_frexp_exp_i32_f64_e32 v28, v[28:29]
	v_cmp_gt_f32_e64 s[48:49], s48, v35
	s_nop 1
	v_subbrev_co_u32_e64 v40, s[48:49], 0, v28, s[48:49]
	v_sub_u32_e32 v28, 0, v40
	v_ldexp_f32 v27, v27, v28
	v_ldexp_f32 v28, v34, v28
	v_add_f32_e32 v34, -1.0, v27
	v_add_f32_e32 v29, 1.0, v34
	v_sub_f32_e32 v29, v27, v29
	v_add_f32_e32 v35, v28, v29
	v_add_f32_e32 v29, 1.0, v27
	v_add_f32_e32 v36, -1.0, v29
	v_sub_f32_e32 v27, v27, v36
	v_add_f32_e32 v27, v28, v27
	v_add_f32_e32 v41, v29, v27
	v_rcp_f32_e32 v42, v41
	v_sub_f32_e32 v28, v29, v41
	v_add_f32_e32 v29, v34, v35
	v_add_f32_e32 v27, v27, v28
	v_mul_f32_e32 v44, v29, v42
	v_sub_f32_e32 v28, v34, v29
	v_mul_f32_e32 v34, v41, v44
	v_fma_f32 v36, v44, v41, -v34
	v_fmac_f32_e32 v36, v44, v27
	v_add_f32_e32 v43, v35, v28
	v_add_f32_e32 v28, v34, v36
	v_sub_f32_e32 v35, v29, v28
	v_pk_add_f32 v[38:39], v[28:29], v[34:35] neg_lo:[0,1] neg_hi:[0,1]
	v_mov_b32_e32 v37, v28
	v_pk_add_f32 v[28:29], v[38:39], v[36:37] neg_lo:[0,1] neg_hi:[0,1]
	s_mov_b32 s48, 0x3f317218
	v_add_f32_e32 v29, v43, v29
	v_add_f32_e32 v28, v28, v29
	;; [unrolled: 1-line block ×3, first 2 shown]
	v_mul_f32_e32 v43, v42, v29
	v_mul_f32_e32 v34, v41, v43
	v_fma_f32 v36, v43, v41, -v34
	v_fmac_f32_e32 v36, v43, v27
	v_sub_f32_e32 v27, v35, v29
	v_add_f32_e32 v27, v28, v27
	v_add_f32_e32 v28, v34, v36
	v_sub_f32_e32 v35, v29, v28
	v_pk_add_f32 v[38:39], v[28:29], v[34:35] neg_lo:[0,1] neg_hi:[0,1]
	v_mov_b32_e32 v37, v28
	v_pk_add_f32 v[28:29], v[38:39], v[36:37] neg_lo:[0,1] neg_hi:[0,1]
	v_cvt_f32_i32_e32 v34, v40
	v_add_f32_e32 v27, v27, v29
	v_add_f32_e32 v27, v28, v27
	;; [unrolled: 1-line block ×4, first 2 shown]
	v_sub_f32_e32 v29, v28, v44
	v_mul_f32_e32 v27, v42, v27
	v_sub_f32_e32 v29, v43, v29
	v_add_f32_e32 v27, v29, v27
	v_add_f32_e32 v35, v28, v27
	v_mul_f32_e32 v36, v35, v35
	v_mov_b32_e32 v29, 0x3ecc95a3
	v_fmac_f32_e32 v29, 0x3e9b6dac, v36
	v_sub_f32_e32 v28, v35, v28
	v_fmaak_f32 v29, v36, v29, 0x3f2aaada
	v_sub_f32_e32 v27, v27, v28
	v_ldexp_f32 v37, v35, 1
	v_mul_f32_e32 v35, v35, v36
	v_mov_b32_e32 v28, 0x3f317218
	v_pk_mul_f32 v[28:29], v[34:35], v[28:29]
	v_ldexp_f32 v27, v27, 1
	v_fma_f32 v35, v34, s48, -v28
	v_fmamk_f32 v36, v34, 0xb102e308, v35
	v_pk_add_f32 v[34:35], v[28:29], v[36:37]
	v_mov_b32_e32 v38, v28
	v_sub_f32_e32 v37, v35, v37
	v_sub_f32_e32 v37, v29, v37
	v_add_f32_e32 v39, v27, v37
	v_pk_add_f32 v[28:29], v[34:35], v[28:29] neg_lo:[0,1] neg_hi:[0,1]
	v_pk_add_f32 v[40:41], v[34:35], v[38:39]
	v_mov_b32_e32 v37, v34
	v_mov_b32_e32 v29, v41
	v_pk_add_f32 v[42:43], v[36:37], v[28:29] neg_lo:[0,1] neg_hi:[0,1]
	v_pk_add_f32 v[28:29], v[36:37], v[28:29]
	v_mov_b32_e32 v38, v39
	v_pk_add_f32 v[36:37], v[28:29], v[34:35] op_sel:[1,0] op_sel_hi:[0,1] neg_lo:[0,1] neg_hi:[0,1]
	v_pk_add_f32 v[44:45], v[40:41], v[36:37] op_sel_hi:[1,0] neg_lo:[0,1] neg_hi:[0,1]
	v_mov_b32_e32 v40, v41
	v_mov_b32_e32 v41, v29
	v_pk_mov_b32 v[36:37], v[34:35], v[36:37] op_sel:[1,0]
	v_mov_b32_e32 v39, v34
	v_pk_add_f32 v[36:37], v[40:41], v[36:37] neg_lo:[0,1] neg_hi:[0,1]
	v_mov_b32_e32 v44, v42
	v_pk_add_f32 v[34:35], v[38:39], v[36:37] neg_lo:[0,1] neg_hi:[0,1]
	v_mov_b32_e32 v43, v29
	v_pk_add_f32 v[36:37], v[44:45], v[34:35]
	v_cmp_neq_f32_e64 s[48:49], s52, v19
	v_pk_add_f32 v[38:39], v[36:37], v[36:37] op_sel:[0,1] op_sel_hi:[1,0]
	s_nop 0
	v_pk_add_f32 v[28:29], v[28:29], v[38:39] op_sel:[1,0] op_sel_hi:[0,1]
	v_mov_b32_e32 v37, v28
	v_pk_add_f32 v[40:41], v[36:37], v[42:43] neg_lo:[0,1] neg_hi:[0,1]
	v_mov_b32_e32 v35, v38
	v_sub_f32_e32 v27, v36, v40
	v_pk_add_f32 v[34:35], v[34:35], v[40:41] neg_lo:[0,1] neg_hi:[0,1]
	v_sub_f32_e32 v27, v42, v27
	v_add_f32_e32 v27, v34, v27
	v_add_f32_e32 v27, v27, v35
	;; [unrolled: 1-line block ×3, first 2 shown]
	v_cndmask_b32_e64 v27, v30, v27, s[48:49]
	s_mov_b32 s48, 0x33800000
	v_cmp_lt_f32_e64 s[48:49], |v19|, s48
	s_nop 1
	v_cndmask_b32_e64 v19, v27, v19, s[48:49]
	v_add_f32_e32 v35, v18, v19
.LBB105_46:
	s_or_b64 exec, exec, s[50:51]
	v_max_f32_e32 v18, v35, v35
	v_max_f32_e32 v27, v8, v8
	v_min_f32_e32 v19, v18, v27
	v_cmp_u_f32_e64 s[50:51], v35, v35
	v_max_f32_e32 v18, v18, v27
	v_cmp_u_f32_e64 s[48:49], v8, v8
	v_cndmask_b32_e64 v19, v19, v35, s[50:51]
	v_cndmask_b32_e64 v18, v18, v35, s[50:51]
	;; [unrolled: 1-line block ×4, first 2 shown]
	v_cmp_neq_f32_e64 s[50:51], v19, v18
	v_cmp_class_f32_e64 s[52:53], v19, s33
	s_or_b64 s[50:51], s[50:51], s[52:53]
	s_and_saveexec_b64 s[52:53], s[50:51]
	s_cbranch_execz .LBB105_48
; %bb.47:
	v_sub_f32_e32 v19, v19, v18
	s_mov_b32 s33, 0x3fb8aa3b
	v_mul_f32_e32 v28, 0x3fb8aa3b, v19
	v_fma_f32 v29, v19, s33, -v28
	v_rndne_f32_e32 v30, v28
	v_fmamk_f32 v29, v19, 0x32a5705f, v29
	v_sub_f32_e32 v28, v28, v30
	v_add_f32_e32 v28, v28, v29
	v_exp_f32_e32 v28, v28
	v_cvt_i32_f32_e32 v29, v30
	s_mov_b32 s33, 0xc2ce8ed0
	v_cmp_ngt_f32_e64 s[50:51], s33, v19
	s_mov_b32 s33, 0x42b17218
	v_ldexp_f32 v28, v28, v29
	v_cndmask_b32_e64 v28, 0, v28, s[50:51]
	v_mov_b32_e32 v30, 0x7f800000
	v_cmp_nlt_f32_e64 s[50:51], s33, v19
	s_mov_b32 s33, 0x3f2aaaab
	s_mov_b32 s54, 0x7f800000
	v_cndmask_b32_e64 v19, v30, v28, s[50:51]
	v_add_f32_e32 v34, 1.0, v19
	v_add_f32_e32 v28, -1.0, v34
	v_sub_f32_e32 v29, v28, v34
	v_add_f32_e32 v29, 1.0, v29
	v_sub_f32_e32 v28, v19, v28
	v_add_f32_e32 v35, v28, v29
	v_frexp_mant_f32_e32 v36, v34
	v_cvt_f64_f32_e32 v[28:29], v34
	v_frexp_exp_i32_f64_e32 v28, v[28:29]
	v_cmp_gt_f32_e64 s[50:51], s33, v36
	s_mov_b32 s33, 0x3f317218
	s_nop 0
	v_subbrev_co_u32_e64 v40, s[50:51], 0, v28, s[50:51]
	v_sub_u32_e32 v28, 0, v40
	v_ldexp_f32 v29, v34, v28
	v_add_f32_e32 v34, -1.0, v29
	v_add_f32_e32 v36, 1.0, v29
	v_ldexp_f32 v28, v35, v28
	v_add_f32_e32 v35, 1.0, v34
	v_add_f32_e32 v37, -1.0, v36
	v_sub_f32_e32 v35, v29, v35
	v_sub_f32_e32 v29, v29, v37
	v_add_f32_e32 v35, v28, v35
	v_add_f32_e32 v28, v28, v29
	;; [unrolled: 1-line block ×3, first 2 shown]
	v_rcp_f32_e32 v43, v41
	v_sub_f32_e32 v29, v36, v41
	v_add_f32_e32 v42, v28, v29
	v_add_f32_e32 v29, v34, v35
	v_mul_f32_e32 v45, v29, v43
	v_sub_f32_e32 v28, v34, v29
	v_mul_f32_e32 v34, v41, v45
	v_fma_f32 v36, v45, v41, -v34
	v_fmac_f32_e32 v36, v45, v42
	v_add_f32_e32 v44, v35, v28
	v_add_f32_e32 v28, v34, v36
	v_sub_f32_e32 v35, v29, v28
	v_pk_add_f32 v[38:39], v[28:29], v[34:35] neg_lo:[0,1] neg_hi:[0,1]
	v_mov_b32_e32 v37, v28
	v_pk_add_f32 v[28:29], v[38:39], v[36:37] neg_lo:[0,1] neg_hi:[0,1]
	v_cmp_neq_f32_e64 s[50:51], s54, v19
	v_add_f32_e32 v29, v44, v29
	v_add_f32_e32 v28, v28, v29
	;; [unrolled: 1-line block ×3, first 2 shown]
	v_mul_f32_e32 v44, v43, v29
	v_mul_f32_e32 v34, v41, v44
	v_fma_f32 v36, v44, v41, -v34
	v_fmac_f32_e32 v36, v44, v42
	v_sub_f32_e32 v35, v35, v29
	v_add_f32_e32 v41, v28, v35
	v_add_f32_e32 v28, v34, v36
	v_sub_f32_e32 v35, v29, v28
	v_pk_add_f32 v[38:39], v[28:29], v[34:35] neg_lo:[0,1] neg_hi:[0,1]
	v_mov_b32_e32 v37, v28
	v_pk_add_f32 v[28:29], v[38:39], v[36:37] neg_lo:[0,1] neg_hi:[0,1]
	v_cvt_f32_i32_e32 v34, v40
	v_add_f32_e32 v29, v41, v29
	v_add_f32_e32 v28, v28, v29
	;; [unrolled: 1-line block ×4, first 2 shown]
	v_sub_f32_e32 v29, v35, v45
	v_mul_f32_e32 v28, v43, v28
	v_sub_f32_e32 v29, v44, v29
	v_add_f32_e32 v28, v29, v28
	v_add_f32_e32 v36, v35, v28
	v_mul_f32_e32 v38, v36, v36
	v_mov_b32_e32 v29, 0x3ecc95a3
	v_sub_f32_e32 v35, v36, v35
	v_fmac_f32_e32 v29, 0x3e9b6dac, v38
	v_sub_f32_e32 v28, v28, v35
	v_fmaak_f32 v29, v38, v29, 0x3f2aaada
	v_ldexp_f32 v39, v28, 1
	v_mul_f32_e32 v35, v36, v38
	v_mov_b32_e32 v28, 0x3f317218
	v_pk_mul_f32 v[28:29], v[34:35], v[28:29]
	v_ldexp_f32 v37, v36, 1
	v_fma_f32 v35, v34, s33, -v28
	v_fmamk_f32 v36, v34, 0xb102e308, v35
	v_pk_add_f32 v[34:35], v[28:29], v[36:37]
	v_mov_b32_e32 v38, v28
	v_sub_f32_e32 v37, v35, v37
	v_sub_f32_e32 v37, v29, v37
	v_add_f32_e32 v39, v39, v37
	v_pk_add_f32 v[28:29], v[34:35], v[28:29] neg_lo:[0,1] neg_hi:[0,1]
	v_pk_add_f32 v[40:41], v[34:35], v[38:39]
	v_mov_b32_e32 v37, v34
	v_mov_b32_e32 v29, v41
	v_pk_add_f32 v[42:43], v[36:37], v[28:29] neg_lo:[0,1] neg_hi:[0,1]
	v_pk_add_f32 v[28:29], v[36:37], v[28:29]
	v_mov_b32_e32 v38, v39
	v_pk_add_f32 v[36:37], v[28:29], v[34:35] op_sel:[1,0] op_sel_hi:[0,1] neg_lo:[0,1] neg_hi:[0,1]
	v_pk_add_f32 v[44:45], v[40:41], v[36:37] op_sel_hi:[1,0] neg_lo:[0,1] neg_hi:[0,1]
	v_mov_b32_e32 v40, v41
	v_mov_b32_e32 v41, v29
	v_pk_mov_b32 v[36:37], v[34:35], v[36:37] op_sel:[1,0]
	v_mov_b32_e32 v39, v34
	v_pk_add_f32 v[36:37], v[40:41], v[36:37] neg_lo:[0,1] neg_hi:[0,1]
	v_mov_b32_e32 v44, v42
	v_pk_add_f32 v[34:35], v[38:39], v[36:37] neg_lo:[0,1] neg_hi:[0,1]
	v_mov_b32_e32 v43, v29
	v_pk_add_f32 v[36:37], v[44:45], v[34:35]
	s_mov_b32 s33, 0x33800000
	v_pk_add_f32 v[38:39], v[36:37], v[36:37] op_sel:[0,1] op_sel_hi:[1,0]
	s_nop 0
	v_pk_add_f32 v[28:29], v[28:29], v[38:39] op_sel:[1,0] op_sel_hi:[0,1]
	v_mov_b32_e32 v37, v28
	v_pk_add_f32 v[40:41], v[36:37], v[42:43] neg_lo:[0,1] neg_hi:[0,1]
	v_mov_b32_e32 v35, v38
	v_sub_f32_e32 v29, v36, v40
	v_pk_add_f32 v[34:35], v[34:35], v[40:41] neg_lo:[0,1] neg_hi:[0,1]
	v_sub_f32_e32 v29, v42, v29
	v_add_f32_e32 v29, v34, v29
	v_add_f32_e32 v29, v29, v35
	;; [unrolled: 1-line block ×3, first 2 shown]
	v_cndmask_b32_e64 v28, v30, v28, s[50:51]
	v_cmp_lt_f32_e64 s[50:51], |v19|, s33
	s_nop 1
	v_cndmask_b32_e64 v19, v28, v19, s[50:51]
	v_add_f32_e32 v35, v18, v19
.LBB105_48:
	s_or_b64 exec, exec, s[52:53]
	v_max_f32_e32 v18, v35, v35
	v_max_f32_e32 v28, v9, v9
	v_min_f32_e32 v19, v18, v28
	v_cmp_u_f32_e64 s[52:53], v35, v35
	v_max_f32_e32 v18, v18, v28
	v_cmp_u_f32_e64 s[50:51], v9, v9
	v_cndmask_b32_e64 v19, v19, v35, s[52:53]
	v_cndmask_b32_e64 v18, v18, v35, s[52:53]
	;; [unrolled: 1-line block ×4, first 2 shown]
	s_movk_i32 s33, 0x1f8
	v_cmp_neq_f32_e64 s[52:53], v19, v18
	v_cmp_class_f32_e64 s[54:55], v19, s33
	s_or_b64 s[52:53], s[52:53], s[54:55]
	s_and_saveexec_b64 s[54:55], s[52:53]
	s_cbranch_execz .LBB105_50
; %bb.49:
	v_sub_f32_e32 v19, v19, v18
	s_mov_b32 s52, 0x3fb8aa3b
	v_mul_f32_e32 v29, 0x3fb8aa3b, v19
	v_fma_f32 v30, v19, s52, -v29
	v_rndne_f32_e32 v34, v29
	v_fmamk_f32 v30, v19, 0x32a5705f, v30
	v_sub_f32_e32 v29, v29, v34
	v_add_f32_e32 v29, v29, v30
	v_exp_f32_e32 v29, v29
	v_cvt_i32_f32_e32 v30, v34
	s_mov_b32 s52, 0xc2ce8ed0
	v_cmp_ngt_f32_e64 s[52:53], s52, v19
	s_mov_b32 s58, 0x7f800000
	v_ldexp_f32 v29, v29, v30
	v_cndmask_b32_e64 v29, 0, v29, s[52:53]
	s_mov_b32 s52, 0x42b17218
	v_mov_b32_e32 v30, 0x7f800000
	v_cmp_nlt_f32_e64 s[52:53], s52, v19
	s_nop 1
	v_cndmask_b32_e64 v19, v30, v29, s[52:53]
	v_add_f32_e32 v29, 1.0, v19
	v_add_f32_e32 v34, -1.0, v29
	v_sub_f32_e32 v35, v34, v29
	v_add_f32_e32 v35, 1.0, v35
	v_sub_f32_e32 v34, v19, v34
	v_add_f32_e32 v36, v34, v35
	v_frexp_mant_f32_e32 v37, v29
	s_mov_b32 s52, 0x3f2aaaab
	v_cvt_f64_f32_e32 v[34:35], v29
	v_frexp_exp_i32_f64_e32 v34, v[34:35]
	v_cmp_gt_f32_e64 s[52:53], s52, v37
	s_nop 1
	v_subbrev_co_u32_e64 v42, s[52:53], 0, v34, s[52:53]
	v_sub_u32_e32 v34, 0, v42
	v_ldexp_f32 v29, v29, v34
	v_ldexp_f32 v34, v36, v34
	v_add_f32_e32 v36, -1.0, v29
	v_add_f32_e32 v35, 1.0, v36
	v_sub_f32_e32 v35, v29, v35
	v_add_f32_e32 v37, v34, v35
	v_add_f32_e32 v35, 1.0, v29
	v_add_f32_e32 v38, -1.0, v35
	v_sub_f32_e32 v29, v29, v38
	v_add_f32_e32 v29, v34, v29
	v_add_f32_e32 v43, v35, v29
	v_rcp_f32_e32 v44, v43
	v_sub_f32_e32 v34, v35, v43
	v_add_f32_e32 v35, v36, v37
	v_add_f32_e32 v29, v29, v34
	v_mul_f32_e32 v46, v35, v44
	v_sub_f32_e32 v34, v36, v35
	v_mul_f32_e32 v36, v43, v46
	v_fma_f32 v38, v46, v43, -v36
	v_fmac_f32_e32 v38, v46, v29
	v_add_f32_e32 v45, v37, v34
	v_add_f32_e32 v34, v36, v38
	v_sub_f32_e32 v37, v35, v34
	v_pk_add_f32 v[40:41], v[34:35], v[36:37] neg_lo:[0,1] neg_hi:[0,1]
	v_mov_b32_e32 v39, v34
	v_pk_add_f32 v[34:35], v[40:41], v[38:39] neg_lo:[0,1] neg_hi:[0,1]
	s_mov_b32 s52, 0x3f317218
	v_add_f32_e32 v35, v45, v35
	v_add_f32_e32 v34, v34, v35
	;; [unrolled: 1-line block ×3, first 2 shown]
	v_mul_f32_e32 v45, v44, v35
	v_mul_f32_e32 v36, v43, v45
	v_fma_f32 v38, v45, v43, -v36
	v_fmac_f32_e32 v38, v45, v29
	v_sub_f32_e32 v29, v37, v35
	v_add_f32_e32 v29, v34, v29
	v_add_f32_e32 v34, v36, v38
	v_sub_f32_e32 v37, v35, v34
	v_pk_add_f32 v[40:41], v[34:35], v[36:37] neg_lo:[0,1] neg_hi:[0,1]
	v_mov_b32_e32 v39, v34
	v_pk_add_f32 v[34:35], v[40:41], v[38:39] neg_lo:[0,1] neg_hi:[0,1]
	v_cvt_f32_i32_e32 v36, v42
	v_add_f32_e32 v29, v29, v35
	v_add_f32_e32 v29, v34, v29
	;; [unrolled: 1-line block ×4, first 2 shown]
	v_sub_f32_e32 v35, v34, v46
	v_mul_f32_e32 v29, v44, v29
	v_sub_f32_e32 v35, v45, v35
	v_add_f32_e32 v29, v35, v29
	v_add_f32_e32 v37, v34, v29
	v_mul_f32_e32 v38, v37, v37
	v_mov_b32_e32 v35, 0x3ecc95a3
	v_fmac_f32_e32 v35, 0x3e9b6dac, v38
	v_sub_f32_e32 v34, v37, v34
	v_fmaak_f32 v35, v38, v35, 0x3f2aaada
	v_sub_f32_e32 v29, v29, v34
	v_ldexp_f32 v39, v37, 1
	v_mul_f32_e32 v37, v37, v38
	v_mov_b32_e32 v34, 0x3f317218
	v_pk_mul_f32 v[34:35], v[36:37], v[34:35]
	v_ldexp_f32 v29, v29, 1
	v_fma_f32 v37, v36, s52, -v34
	v_fmamk_f32 v38, v36, 0xb102e308, v37
	v_pk_add_f32 v[36:37], v[34:35], v[38:39]
	v_mov_b32_e32 v40, v34
	v_sub_f32_e32 v39, v37, v39
	v_sub_f32_e32 v39, v35, v39
	v_add_f32_e32 v41, v29, v39
	v_pk_add_f32 v[34:35], v[36:37], v[34:35] neg_lo:[0,1] neg_hi:[0,1]
	v_pk_add_f32 v[42:43], v[36:37], v[40:41]
	v_mov_b32_e32 v39, v36
	v_mov_b32_e32 v35, v43
	v_pk_add_f32 v[44:45], v[38:39], v[34:35] neg_lo:[0,1] neg_hi:[0,1]
	v_pk_add_f32 v[34:35], v[38:39], v[34:35]
	v_mov_b32_e32 v40, v41
	v_pk_add_f32 v[38:39], v[34:35], v[36:37] op_sel:[1,0] op_sel_hi:[0,1] neg_lo:[0,1] neg_hi:[0,1]
	v_pk_add_f32 v[46:47], v[42:43], v[38:39] op_sel_hi:[1,0] neg_lo:[0,1] neg_hi:[0,1]
	v_mov_b32_e32 v42, v43
	v_mov_b32_e32 v43, v35
	v_pk_mov_b32 v[38:39], v[36:37], v[38:39] op_sel:[1,0]
	v_mov_b32_e32 v41, v36
	v_pk_add_f32 v[38:39], v[42:43], v[38:39] neg_lo:[0,1] neg_hi:[0,1]
	v_mov_b32_e32 v46, v44
	v_pk_add_f32 v[36:37], v[40:41], v[38:39] neg_lo:[0,1] neg_hi:[0,1]
	v_mov_b32_e32 v45, v35
	v_pk_add_f32 v[38:39], v[46:47], v[36:37]
	v_cmp_neq_f32_e64 s[52:53], s58, v19
	v_pk_add_f32 v[40:41], v[38:39], v[38:39] op_sel:[0,1] op_sel_hi:[1,0]
	s_nop 0
	v_pk_add_f32 v[34:35], v[34:35], v[40:41] op_sel:[1,0] op_sel_hi:[0,1]
	v_mov_b32_e32 v39, v34
	v_pk_add_f32 v[42:43], v[38:39], v[44:45] neg_lo:[0,1] neg_hi:[0,1]
	v_mov_b32_e32 v37, v40
	v_sub_f32_e32 v29, v38, v42
	v_pk_add_f32 v[36:37], v[36:37], v[42:43] neg_lo:[0,1] neg_hi:[0,1]
	v_sub_f32_e32 v29, v44, v29
	v_add_f32_e32 v29, v36, v29
	v_add_f32_e32 v29, v29, v37
	v_add_f32_e32 v29, v34, v29
	v_cndmask_b32_e64 v29, v30, v29, s[52:53]
	s_mov_b32 s52, 0x33800000
	v_cmp_lt_f32_e64 s[52:53], |v19|, s52
	s_nop 1
	v_cndmask_b32_e64 v19, v29, v19, s[52:53]
	v_add_f32_e32 v35, v18, v19
.LBB105_50:
	s_or_b64 exec, exec, s[54:55]
	v_max_f32_e32 v18, v35, v35
	v_max_f32_e32 v29, v16, v16
	v_min_f32_e32 v19, v18, v29
	v_cmp_u_f32_e64 s[54:55], v35, v35
	v_max_f32_e32 v18, v18, v29
	v_cmp_u_f32_e64 s[52:53], v16, v16
	v_cndmask_b32_e64 v19, v19, v35, s[54:55]
	v_cndmask_b32_e64 v18, v18, v35, s[54:55]
	;; [unrolled: 1-line block ×4, first 2 shown]
	v_cmp_neq_f32_e64 s[54:55], v19, v18
	v_cmp_class_f32_e64 s[58:59], v19, s33
	s_or_b64 s[54:55], s[54:55], s[58:59]
	s_and_saveexec_b64 s[58:59], s[54:55]
	s_cbranch_execz .LBB105_52
; %bb.51:
	v_sub_f32_e32 v19, v19, v18
	s_mov_b32 s33, 0x3fb8aa3b
	v_mul_f32_e32 v30, 0x3fb8aa3b, v19
	v_fma_f32 v34, v19, s33, -v30
	v_rndne_f32_e32 v35, v30
	v_fmamk_f32 v34, v19, 0x32a5705f, v34
	v_sub_f32_e32 v30, v30, v35
	v_add_f32_e32 v30, v30, v34
	v_exp_f32_e32 v30, v30
	v_cvt_i32_f32_e32 v34, v35
	s_mov_b32 s33, 0xc2ce8ed0
	v_cmp_ngt_f32_e64 s[54:55], s33, v19
	s_mov_b32 s33, 0x42b17218
	v_ldexp_f32 v30, v30, v34
	v_cndmask_b32_e64 v30, 0, v30, s[54:55]
	v_mov_b32_e32 v48, 0x7f800000
	v_cmp_nlt_f32_e64 s[54:55], s33, v19
	s_mov_b32 s33, 0x3f2aaaab
	s_mov_b32 s60, 0x7f800000
	v_cndmask_b32_e64 v19, v48, v30, s[54:55]
	v_add_f32_e32 v30, 1.0, v19
	v_add_f32_e32 v34, -1.0, v30
	v_sub_f32_e32 v35, v34, v30
	v_add_f32_e32 v35, 1.0, v35
	v_sub_f32_e32 v34, v19, v34
	v_add_f32_e32 v36, v34, v35
	v_frexp_mant_f32_e32 v37, v30
	v_cvt_f64_f32_e32 v[34:35], v30
	v_frexp_exp_i32_f64_e32 v34, v[34:35]
	v_cmp_gt_f32_e64 s[54:55], s33, v37
	s_mov_b32 s33, 0x3f317218
	s_nop 0
	v_subbrev_co_u32_e64 v42, s[54:55], 0, v34, s[54:55]
	v_sub_u32_e32 v34, 0, v42
	v_ldexp_f32 v30, v30, v34
	v_ldexp_f32 v34, v36, v34
	v_add_f32_e32 v36, -1.0, v30
	v_add_f32_e32 v35, 1.0, v36
	v_sub_f32_e32 v35, v30, v35
	v_add_f32_e32 v37, v34, v35
	v_add_f32_e32 v35, 1.0, v30
	v_add_f32_e32 v38, -1.0, v35
	v_sub_f32_e32 v30, v30, v38
	v_add_f32_e32 v30, v34, v30
	v_add_f32_e32 v43, v35, v30
	v_rcp_f32_e32 v44, v43
	v_sub_f32_e32 v34, v35, v43
	v_add_f32_e32 v35, v36, v37
	v_add_f32_e32 v30, v30, v34
	v_mul_f32_e32 v46, v35, v44
	v_sub_f32_e32 v34, v36, v35
	v_mul_f32_e32 v36, v43, v46
	v_fma_f32 v38, v46, v43, -v36
	v_fmac_f32_e32 v38, v46, v30
	v_add_f32_e32 v45, v37, v34
	v_add_f32_e32 v34, v36, v38
	v_sub_f32_e32 v37, v35, v34
	v_pk_add_f32 v[40:41], v[34:35], v[36:37] neg_lo:[0,1] neg_hi:[0,1]
	v_mov_b32_e32 v39, v34
	v_pk_add_f32 v[34:35], v[40:41], v[38:39] neg_lo:[0,1] neg_hi:[0,1]
	v_cmp_neq_f32_e64 s[54:55], s60, v19
	v_add_f32_e32 v35, v45, v35
	v_add_f32_e32 v34, v34, v35
	;; [unrolled: 1-line block ×3, first 2 shown]
	v_mul_f32_e32 v45, v44, v35
	v_mul_f32_e32 v36, v43, v45
	v_fma_f32 v38, v45, v43, -v36
	v_fmac_f32_e32 v38, v45, v30
	v_sub_f32_e32 v30, v37, v35
	v_add_f32_e32 v30, v34, v30
	v_add_f32_e32 v34, v36, v38
	v_sub_f32_e32 v37, v35, v34
	v_pk_add_f32 v[40:41], v[34:35], v[36:37] neg_lo:[0,1] neg_hi:[0,1]
	v_mov_b32_e32 v39, v34
	v_pk_add_f32 v[34:35], v[40:41], v[38:39] neg_lo:[0,1] neg_hi:[0,1]
	v_cvt_f32_i32_e32 v36, v42
	v_add_f32_e32 v30, v30, v35
	v_add_f32_e32 v30, v34, v30
	;; [unrolled: 1-line block ×4, first 2 shown]
	v_sub_f32_e32 v35, v34, v46
	v_mul_f32_e32 v30, v44, v30
	v_sub_f32_e32 v35, v45, v35
	v_add_f32_e32 v30, v35, v30
	v_add_f32_e32 v37, v34, v30
	v_mul_f32_e32 v38, v37, v37
	v_mov_b32_e32 v35, 0x3ecc95a3
	v_fmac_f32_e32 v35, 0x3e9b6dac, v38
	v_sub_f32_e32 v34, v37, v34
	v_fmaak_f32 v35, v38, v35, 0x3f2aaada
	v_sub_f32_e32 v30, v30, v34
	v_ldexp_f32 v39, v37, 1
	v_mul_f32_e32 v37, v37, v38
	v_mov_b32_e32 v34, 0x3f317218
	v_pk_mul_f32 v[34:35], v[36:37], v[34:35]
	v_ldexp_f32 v30, v30, 1
	v_fma_f32 v37, v36, s33, -v34
	v_fmamk_f32 v38, v36, 0xb102e308, v37
	v_pk_add_f32 v[36:37], v[34:35], v[38:39]
	v_mov_b32_e32 v40, v34
	v_sub_f32_e32 v39, v37, v39
	v_sub_f32_e32 v39, v35, v39
	v_add_f32_e32 v41, v30, v39
	v_pk_add_f32 v[34:35], v[36:37], v[34:35] neg_lo:[0,1] neg_hi:[0,1]
	v_pk_add_f32 v[42:43], v[36:37], v[40:41]
	v_mov_b32_e32 v39, v36
	v_mov_b32_e32 v35, v43
	v_pk_add_f32 v[44:45], v[38:39], v[34:35] neg_lo:[0,1] neg_hi:[0,1]
	v_pk_add_f32 v[34:35], v[38:39], v[34:35]
	v_mov_b32_e32 v40, v41
	v_pk_add_f32 v[38:39], v[34:35], v[36:37] op_sel:[1,0] op_sel_hi:[0,1] neg_lo:[0,1] neg_hi:[0,1]
	v_pk_add_f32 v[46:47], v[42:43], v[38:39] op_sel_hi:[1,0] neg_lo:[0,1] neg_hi:[0,1]
	v_mov_b32_e32 v42, v43
	v_mov_b32_e32 v43, v35
	v_pk_mov_b32 v[38:39], v[36:37], v[38:39] op_sel:[1,0]
	v_mov_b32_e32 v41, v36
	v_pk_add_f32 v[38:39], v[42:43], v[38:39] neg_lo:[0,1] neg_hi:[0,1]
	v_mov_b32_e32 v46, v44
	v_pk_add_f32 v[36:37], v[40:41], v[38:39] neg_lo:[0,1] neg_hi:[0,1]
	v_mov_b32_e32 v45, v35
	v_pk_add_f32 v[38:39], v[46:47], v[36:37]
	s_mov_b32 s33, 0x33800000
	v_pk_add_f32 v[40:41], v[38:39], v[38:39] op_sel:[0,1] op_sel_hi:[1,0]
	s_nop 0
	v_pk_add_f32 v[34:35], v[34:35], v[40:41] op_sel:[1,0] op_sel_hi:[0,1]
	v_mov_b32_e32 v39, v34
	v_pk_add_f32 v[42:43], v[38:39], v[44:45] neg_lo:[0,1] neg_hi:[0,1]
	v_mov_b32_e32 v37, v40
	v_sub_f32_e32 v30, v38, v42
	v_pk_add_f32 v[36:37], v[36:37], v[42:43] neg_lo:[0,1] neg_hi:[0,1]
	v_sub_f32_e32 v30, v44, v30
	v_add_f32_e32 v30, v36, v30
	v_add_f32_e32 v30, v30, v37
	;; [unrolled: 1-line block ×3, first 2 shown]
	v_cndmask_b32_e64 v30, v48, v30, s[54:55]
	v_cmp_lt_f32_e64 s[54:55], |v19|, s33
	s_nop 1
	v_cndmask_b32_e64 v19, v30, v19, s[54:55]
	v_add_f32_e32 v35, v18, v19
.LBB105_52:
	s_or_b64 exec, exec, s[58:59]
	v_max_f32_e32 v18, v35, v35
	v_max_f32_e32 v30, v17, v17
	v_min_f32_e32 v19, v18, v30
	v_cmp_u_f32_e64 s[58:59], v35, v35
	v_max_f32_e32 v18, v18, v30
	v_cmp_u_f32_e64 s[54:55], v17, v17
	v_cndmask_b32_e64 v19, v19, v35, s[58:59]
	v_cndmask_b32_e64 v18, v18, v35, s[58:59]
	;; [unrolled: 1-line block ×4, first 2 shown]
	s_movk_i32 s33, 0x1f8
	v_cmp_neq_f32_e64 s[58:59], v19, v18
	v_cmp_class_f32_e64 s[60:61], v19, s33
	s_or_b64 s[58:59], s[58:59], s[60:61]
	s_and_saveexec_b64 s[60:61], s[58:59]
	s_cbranch_execz .LBB105_54
; %bb.53:
	v_sub_f32_e32 v19, v19, v18
	s_mov_b32 s33, 0x3fb8aa3b
	v_mul_f32_e32 v34, 0x3fb8aa3b, v19
	v_fma_f32 v35, v19, s33, -v34
	v_rndne_f32_e32 v36, v34
	v_fmamk_f32 v35, v19, 0x32a5705f, v35
	v_sub_f32_e32 v34, v34, v36
	v_add_f32_e32 v34, v34, v35
	v_exp_f32_e32 v34, v34
	v_cvt_i32_f32_e32 v35, v36
	s_mov_b32 s33, 0xc2ce8ed0
	v_cmp_ngt_f32_e64 s[58:59], s33, v19
	s_mov_b32 s33, 0x42b17218
	v_ldexp_f32 v34, v34, v35
	v_cndmask_b32_e64 v34, 0, v34, s[58:59]
	v_mov_b32_e32 v48, 0x7f800000
	v_cmp_nlt_f32_e64 s[58:59], s33, v19
	s_mov_b32 s33, 0x3f2aaaab
	s_mov_b32 s62, 0x7f800000
	v_cndmask_b32_e64 v19, v48, v34, s[58:59]
	v_add_f32_e32 v36, 1.0, v19
	v_add_f32_e32 v34, -1.0, v36
	v_sub_f32_e32 v35, v34, v36
	v_add_f32_e32 v35, 1.0, v35
	v_sub_f32_e32 v34, v19, v34
	v_add_f32_e32 v37, v34, v35
	v_frexp_mant_f32_e32 v38, v36
	v_cvt_f64_f32_e32 v[34:35], v36
	v_frexp_exp_i32_f64_e32 v34, v[34:35]
	v_cmp_gt_f32_e64 s[58:59], s33, v38
	s_mov_b32 s33, 0x3f317218
	s_nop 0
	v_subbrev_co_u32_e64 v42, s[58:59], 0, v34, s[58:59]
	v_sub_u32_e32 v34, 0, v42
	v_ldexp_f32 v35, v36, v34
	v_add_f32_e32 v36, -1.0, v35
	v_add_f32_e32 v38, 1.0, v35
	v_ldexp_f32 v34, v37, v34
	v_add_f32_e32 v37, 1.0, v36
	v_add_f32_e32 v39, -1.0, v38
	v_sub_f32_e32 v37, v35, v37
	v_sub_f32_e32 v35, v35, v39
	v_add_f32_e32 v37, v34, v37
	v_add_f32_e32 v34, v34, v35
	;; [unrolled: 1-line block ×3, first 2 shown]
	v_rcp_f32_e32 v45, v43
	v_sub_f32_e32 v35, v38, v43
	v_add_f32_e32 v44, v34, v35
	v_add_f32_e32 v35, v36, v37
	v_mul_f32_e32 v47, v35, v45
	v_sub_f32_e32 v34, v36, v35
	v_mul_f32_e32 v36, v43, v47
	v_fma_f32 v38, v47, v43, -v36
	v_fmac_f32_e32 v38, v47, v44
	v_add_f32_e32 v46, v37, v34
	v_add_f32_e32 v34, v36, v38
	v_sub_f32_e32 v37, v35, v34
	v_pk_add_f32 v[40:41], v[34:35], v[36:37] neg_lo:[0,1] neg_hi:[0,1]
	v_mov_b32_e32 v39, v34
	v_pk_add_f32 v[34:35], v[40:41], v[38:39] neg_lo:[0,1] neg_hi:[0,1]
	v_cmp_neq_f32_e64 s[58:59], s62, v19
	v_add_f32_e32 v35, v46, v35
	v_add_f32_e32 v34, v34, v35
	;; [unrolled: 1-line block ×3, first 2 shown]
	v_mul_f32_e32 v46, v45, v35
	v_mul_f32_e32 v36, v43, v46
	v_fma_f32 v38, v46, v43, -v36
	v_fmac_f32_e32 v38, v46, v44
	v_sub_f32_e32 v37, v37, v35
	v_add_f32_e32 v43, v34, v37
	v_add_f32_e32 v34, v36, v38
	v_sub_f32_e32 v37, v35, v34
	v_pk_add_f32 v[40:41], v[34:35], v[36:37] neg_lo:[0,1] neg_hi:[0,1]
	v_mov_b32_e32 v39, v34
	v_pk_add_f32 v[34:35], v[40:41], v[38:39] neg_lo:[0,1] neg_hi:[0,1]
	v_cvt_f32_i32_e32 v36, v42
	v_add_f32_e32 v35, v43, v35
	v_add_f32_e32 v34, v34, v35
	;; [unrolled: 1-line block ×4, first 2 shown]
	v_sub_f32_e32 v35, v37, v47
	v_mul_f32_e32 v34, v45, v34
	v_sub_f32_e32 v35, v46, v35
	v_add_f32_e32 v34, v35, v34
	v_add_f32_e32 v38, v37, v34
	v_mul_f32_e32 v40, v38, v38
	v_mov_b32_e32 v35, 0x3ecc95a3
	v_sub_f32_e32 v37, v38, v37
	v_fmac_f32_e32 v35, 0x3e9b6dac, v40
	v_sub_f32_e32 v34, v34, v37
	v_fmaak_f32 v35, v40, v35, 0x3f2aaada
	v_ldexp_f32 v41, v34, 1
	v_mul_f32_e32 v37, v38, v40
	v_mov_b32_e32 v34, 0x3f317218
	v_pk_mul_f32 v[34:35], v[36:37], v[34:35]
	v_ldexp_f32 v39, v38, 1
	v_fma_f32 v37, v36, s33, -v34
	v_fmamk_f32 v38, v36, 0xb102e308, v37
	v_pk_add_f32 v[36:37], v[34:35], v[38:39]
	v_mov_b32_e32 v40, v34
	v_sub_f32_e32 v39, v37, v39
	v_sub_f32_e32 v39, v35, v39
	v_add_f32_e32 v41, v41, v39
	v_pk_add_f32 v[34:35], v[36:37], v[34:35] neg_lo:[0,1] neg_hi:[0,1]
	v_pk_add_f32 v[42:43], v[36:37], v[40:41]
	v_mov_b32_e32 v39, v36
	v_mov_b32_e32 v35, v43
	v_pk_add_f32 v[44:45], v[38:39], v[34:35] neg_lo:[0,1] neg_hi:[0,1]
	v_pk_add_f32 v[34:35], v[38:39], v[34:35]
	v_mov_b32_e32 v40, v41
	v_pk_add_f32 v[38:39], v[34:35], v[36:37] op_sel:[1,0] op_sel_hi:[0,1] neg_lo:[0,1] neg_hi:[0,1]
	v_pk_add_f32 v[46:47], v[42:43], v[38:39] op_sel_hi:[1,0] neg_lo:[0,1] neg_hi:[0,1]
	v_mov_b32_e32 v42, v43
	v_mov_b32_e32 v43, v35
	v_pk_mov_b32 v[38:39], v[36:37], v[38:39] op_sel:[1,0]
	v_mov_b32_e32 v41, v36
	v_pk_add_f32 v[38:39], v[42:43], v[38:39] neg_lo:[0,1] neg_hi:[0,1]
	v_mov_b32_e32 v46, v44
	v_pk_add_f32 v[36:37], v[40:41], v[38:39] neg_lo:[0,1] neg_hi:[0,1]
	v_mov_b32_e32 v45, v35
	v_pk_add_f32 v[38:39], v[46:47], v[36:37]
	s_mov_b32 s33, 0x33800000
	v_pk_add_f32 v[40:41], v[38:39], v[38:39] op_sel:[0,1] op_sel_hi:[1,0]
	s_nop 0
	v_pk_add_f32 v[34:35], v[34:35], v[40:41] op_sel:[1,0] op_sel_hi:[0,1]
	v_mov_b32_e32 v39, v34
	v_pk_add_f32 v[42:43], v[38:39], v[44:45] neg_lo:[0,1] neg_hi:[0,1]
	v_mov_b32_e32 v37, v40
	v_sub_f32_e32 v35, v38, v42
	v_pk_add_f32 v[36:37], v[36:37], v[42:43] neg_lo:[0,1] neg_hi:[0,1]
	v_sub_f32_e32 v35, v44, v35
	v_add_f32_e32 v35, v36, v35
	v_add_f32_e32 v35, v35, v37
	;; [unrolled: 1-line block ×3, first 2 shown]
	v_cndmask_b32_e64 v34, v48, v34, s[58:59]
	v_cmp_lt_f32_e64 s[58:59], |v19|, s33
	s_nop 1
	v_cndmask_b32_e64 v19, v34, v19, s[58:59]
	v_add_f32_e32 v35, v18, v19
.LBB105_54:
	s_or_b64 exec, exec, s[60:61]
	v_lshrrev_b32_e32 v18, 3, v0
	v_and_b32_e32 v18, 28, v18
	v_lshl_add_u32 v18, v0, 2, v18
	v_cmp_gt_u32_e64 s[58:59], 64, v0
	ds_write_b32 v18, v35
	s_waitcnt lgkmcnt(0)
	s_barrier
	s_and_saveexec_b64 s[64:65], s[58:59]
	s_cbranch_execz .LBB105_94
; %bb.55:
	v_lshrrev_b32_e32 v18, 1, v0
	v_and_b32_e32 v18, 0x7c, v18
	v_lshlrev_b32_e32 v19, 4, v0
	v_add_u32_e32 v34, v18, v19
	ds_read2_b32 v[18:19], v34 offset1:1
	s_movk_i32 s33, 0x1f8
	s_waitcnt lgkmcnt(0)
	v_max_f32_e32 v38, v19, v19
	v_max_f32_e32 v36, v18, v18
	v_min_f32_e32 v37, v36, v38
	v_cmp_u_f32_e64 s[58:59], v18, v18
	v_max_f32_e32 v38, v36, v38
	v_cmp_u_f32_e64 s[60:61], v19, v19
	v_cndmask_b32_e64 v37, v37, v18, s[58:59]
	v_cndmask_b32_e64 v38, v38, v18, s[58:59]
	;; [unrolled: 1-line block ×4, first 2 shown]
	v_cmp_neq_f32_e64 s[60:61], v37, v19
	v_cmp_class_f32_e64 s[62:63], v37, s33
	s_or_b64 s[60:61], s[60:61], s[62:63]
	v_mov_b32_e32 v38, v18
	s_and_saveexec_b64 s[62:63], s[60:61]
	s_cbranch_execz .LBB105_57
; %bb.56:
	v_sub_f32_e32 v37, v37, v19
	s_mov_b32 s60, 0x3fb8aa3b
	v_mul_f32_e32 v38, 0x3fb8aa3b, v37
	v_fma_f32 v39, v37, s60, -v38
	v_rndne_f32_e32 v40, v38
	v_fmamk_f32 v39, v37, 0x32a5705f, v39
	v_sub_f32_e32 v38, v38, v40
	v_add_f32_e32 v38, v38, v39
	v_exp_f32_e32 v38, v38
	v_cvt_i32_f32_e32 v39, v40
	s_mov_b32 s60, 0xc2ce8ed0
	v_cmp_ngt_f32_e64 s[60:61], s60, v37
	v_mov_b32_e32 v52, 0x7f800000
	v_ldexp_f32 v38, v38, v39
	v_cndmask_b32_e64 v38, 0, v38, s[60:61]
	s_mov_b32 s60, 0x42b17218
	v_cmp_nlt_f32_e64 s[60:61], s60, v37
	s_mov_b32 s66, 0x7f800000
	s_nop 0
	v_cndmask_b32_e64 v37, v52, v38, s[60:61]
	v_add_f32_e32 v40, 1.0, v37
	v_add_f32_e32 v38, -1.0, v40
	v_sub_f32_e32 v39, v38, v40
	v_add_f32_e32 v39, 1.0, v39
	v_sub_f32_e32 v38, v37, v38
	v_add_f32_e32 v41, v38, v39
	v_frexp_mant_f32_e32 v42, v40
	s_mov_b32 s60, 0x3f2aaaab
	v_cvt_f64_f32_e32 v[38:39], v40
	v_frexp_exp_i32_f64_e32 v38, v[38:39]
	v_cmp_gt_f32_e64 s[60:61], s60, v42
	s_nop 1
	v_subbrev_co_u32_e64 v46, s[60:61], 0, v38, s[60:61]
	v_sub_u32_e32 v38, 0, v46
	v_ldexp_f32 v39, v40, v38
	v_add_f32_e32 v40, -1.0, v39
	v_add_f32_e32 v42, 1.0, v39
	v_ldexp_f32 v38, v41, v38
	v_add_f32_e32 v41, 1.0, v40
	v_add_f32_e32 v43, -1.0, v42
	v_sub_f32_e32 v41, v39, v41
	v_sub_f32_e32 v39, v39, v43
	v_add_f32_e32 v41, v38, v41
	v_add_f32_e32 v38, v38, v39
	;; [unrolled: 1-line block ×3, first 2 shown]
	v_rcp_f32_e32 v49, v47
	v_sub_f32_e32 v39, v42, v47
	v_add_f32_e32 v48, v38, v39
	v_add_f32_e32 v39, v40, v41
	v_mul_f32_e32 v51, v39, v49
	v_sub_f32_e32 v38, v40, v39
	v_mul_f32_e32 v40, v47, v51
	v_fma_f32 v42, v51, v47, -v40
	v_fmac_f32_e32 v42, v51, v48
	v_add_f32_e32 v50, v41, v38
	v_add_f32_e32 v38, v40, v42
	v_sub_f32_e32 v41, v39, v38
	v_pk_add_f32 v[44:45], v[38:39], v[40:41] neg_lo:[0,1] neg_hi:[0,1]
	v_mov_b32_e32 v43, v38
	v_pk_add_f32 v[38:39], v[44:45], v[42:43] neg_lo:[0,1] neg_hi:[0,1]
	s_mov_b32 s60, 0x3f317218
	v_add_f32_e32 v39, v50, v39
	v_add_f32_e32 v38, v38, v39
	;; [unrolled: 1-line block ×3, first 2 shown]
	v_mul_f32_e32 v50, v49, v39
	v_mul_f32_e32 v40, v47, v50
	v_fma_f32 v42, v50, v47, -v40
	v_fmac_f32_e32 v42, v50, v48
	v_sub_f32_e32 v41, v41, v39
	v_add_f32_e32 v47, v38, v41
	v_add_f32_e32 v38, v40, v42
	v_sub_f32_e32 v41, v39, v38
	v_pk_add_f32 v[44:45], v[38:39], v[40:41] neg_lo:[0,1] neg_hi:[0,1]
	v_mov_b32_e32 v43, v38
	v_pk_add_f32 v[38:39], v[44:45], v[42:43] neg_lo:[0,1] neg_hi:[0,1]
	v_cvt_f32_i32_e32 v40, v46
	v_add_f32_e32 v39, v47, v39
	v_add_f32_e32 v38, v38, v39
	;; [unrolled: 1-line block ×4, first 2 shown]
	v_sub_f32_e32 v39, v41, v51
	v_mul_f32_e32 v38, v49, v38
	v_sub_f32_e32 v39, v50, v39
	v_add_f32_e32 v38, v39, v38
	v_add_f32_e32 v42, v41, v38
	v_mul_f32_e32 v44, v42, v42
	v_mov_b32_e32 v39, 0x3ecc95a3
	v_sub_f32_e32 v41, v42, v41
	v_fmac_f32_e32 v39, 0x3e9b6dac, v44
	v_sub_f32_e32 v38, v38, v41
	v_fmaak_f32 v39, v44, v39, 0x3f2aaada
	v_ldexp_f32 v45, v38, 1
	v_mul_f32_e32 v41, v42, v44
	v_mov_b32_e32 v38, 0x3f317218
	v_pk_mul_f32 v[38:39], v[40:41], v[38:39]
	v_ldexp_f32 v43, v42, 1
	v_fma_f32 v41, v40, s60, -v38
	v_fmamk_f32 v42, v40, 0xb102e308, v41
	v_pk_add_f32 v[40:41], v[38:39], v[42:43]
	v_mov_b32_e32 v44, v38
	v_sub_f32_e32 v43, v41, v43
	v_sub_f32_e32 v43, v39, v43
	v_add_f32_e32 v45, v45, v43
	v_pk_add_f32 v[38:39], v[40:41], v[38:39] neg_lo:[0,1] neg_hi:[0,1]
	v_pk_add_f32 v[46:47], v[40:41], v[44:45]
	v_mov_b32_e32 v43, v40
	v_mov_b32_e32 v39, v47
	v_pk_add_f32 v[48:49], v[42:43], v[38:39] neg_lo:[0,1] neg_hi:[0,1]
	v_pk_add_f32 v[38:39], v[42:43], v[38:39]
	v_mov_b32_e32 v44, v45
	v_pk_add_f32 v[42:43], v[38:39], v[40:41] op_sel:[1,0] op_sel_hi:[0,1] neg_lo:[0,1] neg_hi:[0,1]
	v_pk_add_f32 v[50:51], v[46:47], v[42:43] op_sel_hi:[1,0] neg_lo:[0,1] neg_hi:[0,1]
	v_mov_b32_e32 v46, v47
	v_mov_b32_e32 v47, v39
	v_pk_mov_b32 v[42:43], v[40:41], v[42:43] op_sel:[1,0]
	v_mov_b32_e32 v45, v40
	v_pk_add_f32 v[42:43], v[46:47], v[42:43] neg_lo:[0,1] neg_hi:[0,1]
	v_mov_b32_e32 v50, v48
	v_pk_add_f32 v[40:41], v[44:45], v[42:43] neg_lo:[0,1] neg_hi:[0,1]
	v_mov_b32_e32 v49, v39
	v_pk_add_f32 v[42:43], v[50:51], v[40:41]
	v_cmp_neq_f32_e64 s[60:61], s66, v37
	v_pk_add_f32 v[44:45], v[42:43], v[42:43] op_sel:[0,1] op_sel_hi:[1,0]
	s_nop 0
	v_pk_add_f32 v[38:39], v[38:39], v[44:45] op_sel:[1,0] op_sel_hi:[0,1]
	v_mov_b32_e32 v43, v38
	v_pk_add_f32 v[46:47], v[42:43], v[48:49] neg_lo:[0,1] neg_hi:[0,1]
	v_mov_b32_e32 v41, v44
	v_sub_f32_e32 v39, v42, v46
	v_pk_add_f32 v[40:41], v[40:41], v[46:47] neg_lo:[0,1] neg_hi:[0,1]
	v_sub_f32_e32 v39, v48, v39
	v_add_f32_e32 v39, v40, v39
	v_add_f32_e32 v39, v39, v41
	;; [unrolled: 1-line block ×3, first 2 shown]
	v_cndmask_b32_e64 v38, v52, v38, s[60:61]
	s_mov_b32 s60, 0x33800000
	v_cmp_lt_f32_e64 s[60:61], |v37|, s60
	s_nop 1
	v_cndmask_b32_e64 v37, v38, v37, s[60:61]
	v_add_f32_e32 v38, v19, v37
.LBB105_57:
	s_or_b64 exec, exec, s[62:63]
	ds_read_b32 v19, v34 offset:8
	v_max_f32_e32 v37, v38, v38
	v_cmp_u_f32_e64 s[60:61], v38, v38
	s_waitcnt lgkmcnt(0)
	v_max_f32_e32 v39, v19, v19
	v_min_f32_e32 v40, v37, v39
	v_max_f32_e32 v39, v37, v39
	v_cndmask_b32_e64 v37, v40, v38, s[60:61]
	v_cmp_u_f32_e64 s[62:63], v19, v19
	v_cndmask_b32_e64 v39, v39, v38, s[60:61]
	s_nop 0
	v_cndmask_b32_e64 v37, v37, v19, s[62:63]
	v_cndmask_b32_e64 v19, v39, v19, s[62:63]
	v_cmp_neq_f32_e64 s[60:61], v37, v19
	v_cmp_class_f32_e64 s[62:63], v37, s33
	s_or_b64 s[60:61], s[60:61], s[62:63]
	s_and_saveexec_b64 s[62:63], s[60:61]
	s_cbranch_execz .LBB105_59
; %bb.58:
	v_sub_f32_e32 v37, v37, v19
	s_mov_b32 s33, 0x3fb8aa3b
	v_mul_f32_e32 v38, 0x3fb8aa3b, v37
	v_fma_f32 v39, v37, s33, -v38
	v_rndne_f32_e32 v40, v38
	v_fmamk_f32 v39, v37, 0x32a5705f, v39
	v_sub_f32_e32 v38, v38, v40
	v_add_f32_e32 v38, v38, v39
	v_exp_f32_e32 v38, v38
	v_cvt_i32_f32_e32 v39, v40
	s_mov_b32 s33, 0xc2ce8ed0
	v_cmp_ngt_f32_e64 s[60:61], s33, v37
	s_mov_b32 s33, 0x42b17218
	v_ldexp_f32 v38, v38, v39
	v_cndmask_b32_e64 v38, 0, v38, s[60:61]
	v_mov_b32_e32 v52, 0x7f800000
	v_cmp_nlt_f32_e64 s[60:61], s33, v37
	s_mov_b32 s33, 0x3f2aaaab
	s_mov_b32 s66, 0x7f800000
	v_cndmask_b32_e64 v37, v52, v38, s[60:61]
	v_add_f32_e32 v40, 1.0, v37
	v_add_f32_e32 v38, -1.0, v40
	v_sub_f32_e32 v39, v38, v40
	v_add_f32_e32 v39, 1.0, v39
	v_sub_f32_e32 v38, v37, v38
	v_add_f32_e32 v41, v38, v39
	v_frexp_mant_f32_e32 v42, v40
	v_cvt_f64_f32_e32 v[38:39], v40
	v_frexp_exp_i32_f64_e32 v38, v[38:39]
	v_cmp_gt_f32_e64 s[60:61], s33, v42
	s_mov_b32 s33, 0x3f317218
	s_nop 0
	v_subbrev_co_u32_e64 v46, s[60:61], 0, v38, s[60:61]
	v_sub_u32_e32 v38, 0, v46
	v_ldexp_f32 v39, v40, v38
	v_add_f32_e32 v40, -1.0, v39
	v_add_f32_e32 v42, 1.0, v39
	v_ldexp_f32 v38, v41, v38
	v_add_f32_e32 v41, 1.0, v40
	v_add_f32_e32 v43, -1.0, v42
	v_sub_f32_e32 v41, v39, v41
	v_sub_f32_e32 v39, v39, v43
	v_add_f32_e32 v41, v38, v41
	v_add_f32_e32 v38, v38, v39
	;; [unrolled: 1-line block ×3, first 2 shown]
	v_rcp_f32_e32 v49, v47
	v_sub_f32_e32 v39, v42, v47
	v_add_f32_e32 v48, v38, v39
	v_add_f32_e32 v39, v40, v41
	v_mul_f32_e32 v51, v39, v49
	v_sub_f32_e32 v38, v40, v39
	v_mul_f32_e32 v40, v47, v51
	v_fma_f32 v42, v51, v47, -v40
	v_fmac_f32_e32 v42, v51, v48
	v_add_f32_e32 v50, v41, v38
	v_add_f32_e32 v38, v40, v42
	v_sub_f32_e32 v41, v39, v38
	v_pk_add_f32 v[44:45], v[38:39], v[40:41] neg_lo:[0,1] neg_hi:[0,1]
	v_mov_b32_e32 v43, v38
	v_pk_add_f32 v[38:39], v[44:45], v[42:43] neg_lo:[0,1] neg_hi:[0,1]
	v_cmp_neq_f32_e64 s[60:61], s66, v37
	v_add_f32_e32 v39, v50, v39
	v_add_f32_e32 v38, v38, v39
	;; [unrolled: 1-line block ×3, first 2 shown]
	v_mul_f32_e32 v50, v49, v39
	v_mul_f32_e32 v40, v47, v50
	v_fma_f32 v42, v50, v47, -v40
	v_fmac_f32_e32 v42, v50, v48
	v_sub_f32_e32 v41, v41, v39
	v_add_f32_e32 v47, v38, v41
	v_add_f32_e32 v38, v40, v42
	v_sub_f32_e32 v41, v39, v38
	v_pk_add_f32 v[44:45], v[38:39], v[40:41] neg_lo:[0,1] neg_hi:[0,1]
	v_mov_b32_e32 v43, v38
	v_pk_add_f32 v[38:39], v[44:45], v[42:43] neg_lo:[0,1] neg_hi:[0,1]
	v_cvt_f32_i32_e32 v40, v46
	v_add_f32_e32 v39, v47, v39
	v_add_f32_e32 v38, v38, v39
	;; [unrolled: 1-line block ×4, first 2 shown]
	v_sub_f32_e32 v39, v41, v51
	v_mul_f32_e32 v38, v49, v38
	v_sub_f32_e32 v39, v50, v39
	v_add_f32_e32 v38, v39, v38
	v_add_f32_e32 v42, v41, v38
	v_mul_f32_e32 v44, v42, v42
	v_mov_b32_e32 v39, 0x3ecc95a3
	v_sub_f32_e32 v41, v42, v41
	v_fmac_f32_e32 v39, 0x3e9b6dac, v44
	v_sub_f32_e32 v38, v38, v41
	v_fmaak_f32 v39, v44, v39, 0x3f2aaada
	v_ldexp_f32 v45, v38, 1
	v_mul_f32_e32 v41, v42, v44
	v_mov_b32_e32 v38, 0x3f317218
	v_pk_mul_f32 v[38:39], v[40:41], v[38:39]
	v_ldexp_f32 v43, v42, 1
	v_fma_f32 v41, v40, s33, -v38
	v_fmamk_f32 v42, v40, 0xb102e308, v41
	v_pk_add_f32 v[40:41], v[38:39], v[42:43]
	v_mov_b32_e32 v44, v38
	v_sub_f32_e32 v43, v41, v43
	v_sub_f32_e32 v43, v39, v43
	v_add_f32_e32 v45, v45, v43
	v_pk_add_f32 v[38:39], v[40:41], v[38:39] neg_lo:[0,1] neg_hi:[0,1]
	v_pk_add_f32 v[46:47], v[40:41], v[44:45]
	v_mov_b32_e32 v43, v40
	v_mov_b32_e32 v39, v47
	v_pk_add_f32 v[48:49], v[42:43], v[38:39] neg_lo:[0,1] neg_hi:[0,1]
	v_pk_add_f32 v[38:39], v[42:43], v[38:39]
	v_mov_b32_e32 v44, v45
	v_pk_add_f32 v[42:43], v[38:39], v[40:41] op_sel:[1,0] op_sel_hi:[0,1] neg_lo:[0,1] neg_hi:[0,1]
	v_pk_add_f32 v[50:51], v[46:47], v[42:43] op_sel_hi:[1,0] neg_lo:[0,1] neg_hi:[0,1]
	v_mov_b32_e32 v46, v47
	v_mov_b32_e32 v47, v39
	v_pk_mov_b32 v[42:43], v[40:41], v[42:43] op_sel:[1,0]
	v_mov_b32_e32 v45, v40
	v_pk_add_f32 v[42:43], v[46:47], v[42:43] neg_lo:[0,1] neg_hi:[0,1]
	v_mov_b32_e32 v50, v48
	v_pk_add_f32 v[40:41], v[44:45], v[42:43] neg_lo:[0,1] neg_hi:[0,1]
	v_mov_b32_e32 v49, v39
	v_pk_add_f32 v[42:43], v[50:51], v[40:41]
	s_mov_b32 s33, 0x33800000
	v_pk_add_f32 v[44:45], v[42:43], v[42:43] op_sel:[0,1] op_sel_hi:[1,0]
	s_nop 0
	v_pk_add_f32 v[38:39], v[38:39], v[44:45] op_sel:[1,0] op_sel_hi:[0,1]
	v_mov_b32_e32 v43, v38
	v_pk_add_f32 v[46:47], v[42:43], v[48:49] neg_lo:[0,1] neg_hi:[0,1]
	v_mov_b32_e32 v41, v44
	v_sub_f32_e32 v39, v42, v46
	v_pk_add_f32 v[40:41], v[40:41], v[46:47] neg_lo:[0,1] neg_hi:[0,1]
	v_sub_f32_e32 v39, v48, v39
	v_add_f32_e32 v39, v40, v39
	v_add_f32_e32 v39, v39, v41
	;; [unrolled: 1-line block ×3, first 2 shown]
	v_cndmask_b32_e64 v38, v52, v38, s[60:61]
	v_cmp_lt_f32_e64 s[60:61], |v37|, s33
	s_nop 1
	v_cndmask_b32_e64 v37, v38, v37, s[60:61]
	v_add_f32_e32 v38, v19, v37
.LBB105_59:
	s_or_b64 exec, exec, s[62:63]
	ds_read_b32 v19, v34 offset:12
	v_max_f32_e32 v37, v38, v38
	v_cmp_u_f32_e64 s[60:61], v38, v38
	s_movk_i32 s33, 0x1f8
	s_waitcnt lgkmcnt(0)
	v_max_f32_e32 v39, v19, v19
	v_min_f32_e32 v40, v37, v39
	v_max_f32_e32 v39, v37, v39
	v_cndmask_b32_e64 v37, v40, v38, s[60:61]
	v_cmp_u_f32_e64 s[62:63], v19, v19
	v_cndmask_b32_e64 v39, v39, v38, s[60:61]
	s_nop 0
	v_cndmask_b32_e64 v37, v37, v19, s[62:63]
	v_cndmask_b32_e64 v19, v39, v19, s[62:63]
	v_cmp_neq_f32_e64 s[60:61], v37, v19
	v_cmp_class_f32_e64 s[62:63], v37, s33
	s_or_b64 s[60:61], s[60:61], s[62:63]
	s_and_saveexec_b64 s[62:63], s[60:61]
	s_cbranch_execz .LBB105_61
; %bb.60:
	v_sub_f32_e32 v37, v37, v19
	s_mov_b32 s33, 0x3fb8aa3b
	v_mul_f32_e32 v38, 0x3fb8aa3b, v37
	v_fma_f32 v39, v37, s33, -v38
	v_rndne_f32_e32 v40, v38
	v_fmamk_f32 v39, v37, 0x32a5705f, v39
	v_sub_f32_e32 v38, v38, v40
	v_add_f32_e32 v38, v38, v39
	v_exp_f32_e32 v38, v38
	v_cvt_i32_f32_e32 v39, v40
	s_mov_b32 s33, 0xc2ce8ed0
	v_cmp_ngt_f32_e64 s[60:61], s33, v37
	s_mov_b32 s33, 0x42b17218
	v_ldexp_f32 v38, v38, v39
	v_cndmask_b32_e64 v38, 0, v38, s[60:61]
	v_mov_b32_e32 v52, 0x7f800000
	v_cmp_nlt_f32_e64 s[60:61], s33, v37
	s_mov_b32 s33, 0x3f2aaaab
	s_mov_b32 s66, 0x7f800000
	v_cndmask_b32_e64 v37, v52, v38, s[60:61]
	v_add_f32_e32 v40, 1.0, v37
	v_add_f32_e32 v38, -1.0, v40
	v_sub_f32_e32 v39, v38, v40
	v_add_f32_e32 v39, 1.0, v39
	v_sub_f32_e32 v38, v37, v38
	v_add_f32_e32 v41, v38, v39
	v_frexp_mant_f32_e32 v42, v40
	v_cvt_f64_f32_e32 v[38:39], v40
	v_frexp_exp_i32_f64_e32 v38, v[38:39]
	v_cmp_gt_f32_e64 s[60:61], s33, v42
	s_mov_b32 s33, 0x3f317218
	s_nop 0
	v_subbrev_co_u32_e64 v46, s[60:61], 0, v38, s[60:61]
	v_sub_u32_e32 v38, 0, v46
	v_ldexp_f32 v39, v40, v38
	v_add_f32_e32 v40, -1.0, v39
	v_add_f32_e32 v42, 1.0, v39
	v_ldexp_f32 v38, v41, v38
	v_add_f32_e32 v41, 1.0, v40
	v_add_f32_e32 v43, -1.0, v42
	v_sub_f32_e32 v41, v39, v41
	v_sub_f32_e32 v39, v39, v43
	v_add_f32_e32 v41, v38, v41
	v_add_f32_e32 v38, v38, v39
	;; [unrolled: 1-line block ×3, first 2 shown]
	v_rcp_f32_e32 v49, v47
	v_sub_f32_e32 v39, v42, v47
	v_add_f32_e32 v48, v38, v39
	v_add_f32_e32 v39, v40, v41
	v_mul_f32_e32 v51, v39, v49
	v_sub_f32_e32 v38, v40, v39
	v_mul_f32_e32 v40, v47, v51
	v_fma_f32 v42, v51, v47, -v40
	v_fmac_f32_e32 v42, v51, v48
	v_add_f32_e32 v50, v41, v38
	v_add_f32_e32 v38, v40, v42
	v_sub_f32_e32 v41, v39, v38
	v_pk_add_f32 v[44:45], v[38:39], v[40:41] neg_lo:[0,1] neg_hi:[0,1]
	v_mov_b32_e32 v43, v38
	v_pk_add_f32 v[38:39], v[44:45], v[42:43] neg_lo:[0,1] neg_hi:[0,1]
	v_cmp_neq_f32_e64 s[60:61], s66, v37
	v_add_f32_e32 v39, v50, v39
	v_add_f32_e32 v38, v38, v39
	v_add_f32_e32 v39, v41, v38
	v_mul_f32_e32 v50, v49, v39
	v_mul_f32_e32 v40, v47, v50
	v_fma_f32 v42, v50, v47, -v40
	v_fmac_f32_e32 v42, v50, v48
	v_sub_f32_e32 v41, v41, v39
	v_add_f32_e32 v47, v38, v41
	v_add_f32_e32 v38, v40, v42
	v_sub_f32_e32 v41, v39, v38
	v_pk_add_f32 v[44:45], v[38:39], v[40:41] neg_lo:[0,1] neg_hi:[0,1]
	v_mov_b32_e32 v43, v38
	v_pk_add_f32 v[38:39], v[44:45], v[42:43] neg_lo:[0,1] neg_hi:[0,1]
	v_cvt_f32_i32_e32 v40, v46
	v_add_f32_e32 v39, v47, v39
	v_add_f32_e32 v38, v38, v39
	;; [unrolled: 1-line block ×4, first 2 shown]
	v_sub_f32_e32 v39, v41, v51
	v_mul_f32_e32 v38, v49, v38
	v_sub_f32_e32 v39, v50, v39
	v_add_f32_e32 v38, v39, v38
	v_add_f32_e32 v42, v41, v38
	v_mul_f32_e32 v44, v42, v42
	v_mov_b32_e32 v39, 0x3ecc95a3
	v_sub_f32_e32 v41, v42, v41
	v_fmac_f32_e32 v39, 0x3e9b6dac, v44
	v_sub_f32_e32 v38, v38, v41
	v_fmaak_f32 v39, v44, v39, 0x3f2aaada
	v_ldexp_f32 v45, v38, 1
	v_mul_f32_e32 v41, v42, v44
	v_mov_b32_e32 v38, 0x3f317218
	v_pk_mul_f32 v[38:39], v[40:41], v[38:39]
	v_ldexp_f32 v43, v42, 1
	v_fma_f32 v41, v40, s33, -v38
	v_fmamk_f32 v42, v40, 0xb102e308, v41
	v_pk_add_f32 v[40:41], v[38:39], v[42:43]
	v_mov_b32_e32 v44, v38
	v_sub_f32_e32 v43, v41, v43
	v_sub_f32_e32 v43, v39, v43
	v_add_f32_e32 v45, v45, v43
	v_pk_add_f32 v[38:39], v[40:41], v[38:39] neg_lo:[0,1] neg_hi:[0,1]
	v_pk_add_f32 v[46:47], v[40:41], v[44:45]
	v_mov_b32_e32 v43, v40
	v_mov_b32_e32 v39, v47
	v_pk_add_f32 v[48:49], v[42:43], v[38:39] neg_lo:[0,1] neg_hi:[0,1]
	v_pk_add_f32 v[38:39], v[42:43], v[38:39]
	v_mov_b32_e32 v44, v45
	v_pk_add_f32 v[42:43], v[38:39], v[40:41] op_sel:[1,0] op_sel_hi:[0,1] neg_lo:[0,1] neg_hi:[0,1]
	v_pk_add_f32 v[50:51], v[46:47], v[42:43] op_sel_hi:[1,0] neg_lo:[0,1] neg_hi:[0,1]
	v_mov_b32_e32 v46, v47
	v_mov_b32_e32 v47, v39
	v_pk_mov_b32 v[42:43], v[40:41], v[42:43] op_sel:[1,0]
	v_mov_b32_e32 v45, v40
	v_pk_add_f32 v[42:43], v[46:47], v[42:43] neg_lo:[0,1] neg_hi:[0,1]
	v_mov_b32_e32 v50, v48
	v_pk_add_f32 v[40:41], v[44:45], v[42:43] neg_lo:[0,1] neg_hi:[0,1]
	v_mov_b32_e32 v49, v39
	v_pk_add_f32 v[42:43], v[50:51], v[40:41]
	s_mov_b32 s33, 0x33800000
	v_pk_add_f32 v[44:45], v[42:43], v[42:43] op_sel:[0,1] op_sel_hi:[1,0]
	s_nop 0
	v_pk_add_f32 v[38:39], v[38:39], v[44:45] op_sel:[1,0] op_sel_hi:[0,1]
	v_mov_b32_e32 v43, v38
	v_pk_add_f32 v[46:47], v[42:43], v[48:49] neg_lo:[0,1] neg_hi:[0,1]
	v_mov_b32_e32 v41, v44
	v_sub_f32_e32 v39, v42, v46
	v_pk_add_f32 v[40:41], v[40:41], v[46:47] neg_lo:[0,1] neg_hi:[0,1]
	v_sub_f32_e32 v39, v48, v39
	v_add_f32_e32 v39, v40, v39
	v_add_f32_e32 v39, v39, v41
	;; [unrolled: 1-line block ×3, first 2 shown]
	v_cndmask_b32_e64 v38, v52, v38, s[60:61]
	v_cmp_lt_f32_e64 s[60:61], |v37|, s33
	s_nop 1
	v_cndmask_b32_e64 v37, v38, v37, s[60:61]
	v_add_f32_e32 v38, v19, v37
.LBB105_61:
	s_or_b64 exec, exec, s[62:63]
	v_mbcnt_lo_u32_b32 v19, -1, 0
	v_mbcnt_hi_u32_b32 v19, -1, v19
	v_and_b32_e32 v37, 15, v19
	v_mov_b32_dpp v39, v38 row_shr:1 row_mask:0xf bank_mask:0xf
	v_cmp_ne_u32_e64 s[60:61], 0, v37
	s_and_saveexec_b64 s[62:63], s[60:61]
	s_xor_b64 s[66:67], exec, s[62:63]
	s_cbranch_execz .LBB105_65
; %bb.62:
	v_max_f32_e32 v41, v38, v38
	v_max_f32_e32 v42, v39, v39
	v_min_f32_e32 v40, v42, v41
	v_cmp_u_f32_e64 s[60:61], v39, v39
	v_max_f32_e32 v41, v42, v41
	v_cmp_u_f32_e64 s[62:63], v38, v38
	v_cndmask_b32_e64 v40, v40, v39, s[60:61]
	v_cndmask_b32_e64 v41, v41, v39, s[60:61]
	;; [unrolled: 1-line block ×4, first 2 shown]
	s_movk_i32 s33, 0x1f8
	v_cmp_neq_f32_e64 s[60:61], v40, v38
	v_cmp_class_f32_e64 s[62:63], v40, s33
	s_or_b64 s[60:61], s[60:61], s[62:63]
	s_and_saveexec_b64 s[62:63], s[60:61]
	s_cbranch_execz .LBB105_64
; %bb.63:
	v_sub_f32_e32 v39, v40, v38
	s_mov_b32 s33, 0x3fb8aa3b
	v_mul_f32_e32 v40, 0x3fb8aa3b, v39
	v_fma_f32 v41, v39, s33, -v40
	v_rndne_f32_e32 v42, v40
	v_fmamk_f32 v41, v39, 0x32a5705f, v41
	v_sub_f32_e32 v40, v40, v42
	v_add_f32_e32 v40, v40, v41
	v_exp_f32_e32 v40, v40
	v_cvt_i32_f32_e32 v41, v42
	s_mov_b32 s33, 0xc2ce8ed0
	v_cmp_ngt_f32_e64 s[60:61], s33, v39
	s_mov_b32 s33, 0x42b17218
	v_ldexp_f32 v40, v40, v41
	v_cndmask_b32_e64 v40, 0, v40, s[60:61]
	v_mov_b32_e32 v54, 0x7f800000
	v_cmp_nlt_f32_e64 s[60:61], s33, v39
	s_mov_b32 s33, 0x3f2aaaab
	s_mov_b32 s68, 0x7f800000
	v_cndmask_b32_e64 v39, v54, v40, s[60:61]
	v_add_f32_e32 v42, 1.0, v39
	v_add_f32_e32 v40, -1.0, v42
	v_sub_f32_e32 v41, v40, v42
	v_add_f32_e32 v41, 1.0, v41
	v_sub_f32_e32 v40, v39, v40
	v_add_f32_e32 v43, v40, v41
	v_frexp_mant_f32_e32 v44, v42
	v_cvt_f64_f32_e32 v[40:41], v42
	v_frexp_exp_i32_f64_e32 v40, v[40:41]
	v_cmp_gt_f32_e64 s[60:61], s33, v44
	s_mov_b32 s33, 0x3f317218
	s_nop 0
	v_subbrev_co_u32_e64 v48, s[60:61], 0, v40, s[60:61]
	v_sub_u32_e32 v40, 0, v48
	v_ldexp_f32 v41, v42, v40
	v_add_f32_e32 v42, -1.0, v41
	v_add_f32_e32 v44, 1.0, v41
	v_ldexp_f32 v40, v43, v40
	v_add_f32_e32 v43, 1.0, v42
	v_add_f32_e32 v45, -1.0, v44
	v_sub_f32_e32 v43, v41, v43
	v_sub_f32_e32 v41, v41, v45
	v_add_f32_e32 v43, v40, v43
	v_add_f32_e32 v40, v40, v41
	;; [unrolled: 1-line block ×3, first 2 shown]
	v_rcp_f32_e32 v51, v49
	v_sub_f32_e32 v41, v44, v49
	v_add_f32_e32 v50, v40, v41
	v_add_f32_e32 v41, v42, v43
	v_mul_f32_e32 v53, v41, v51
	v_sub_f32_e32 v40, v42, v41
	v_mul_f32_e32 v42, v49, v53
	v_fma_f32 v44, v53, v49, -v42
	v_fmac_f32_e32 v44, v53, v50
	v_add_f32_e32 v52, v43, v40
	v_add_f32_e32 v40, v42, v44
	v_sub_f32_e32 v43, v41, v40
	v_pk_add_f32 v[46:47], v[40:41], v[42:43] neg_lo:[0,1] neg_hi:[0,1]
	v_mov_b32_e32 v45, v40
	v_pk_add_f32 v[40:41], v[46:47], v[44:45] neg_lo:[0,1] neg_hi:[0,1]
	v_cmp_neq_f32_e64 s[60:61], s68, v39
	v_add_f32_e32 v41, v52, v41
	v_add_f32_e32 v40, v40, v41
	v_add_f32_e32 v41, v43, v40
	v_mul_f32_e32 v52, v51, v41
	v_mul_f32_e32 v42, v49, v52
	v_fma_f32 v44, v52, v49, -v42
	v_fmac_f32_e32 v44, v52, v50
	v_sub_f32_e32 v43, v43, v41
	v_add_f32_e32 v49, v40, v43
	v_add_f32_e32 v40, v42, v44
	v_sub_f32_e32 v43, v41, v40
	v_pk_add_f32 v[46:47], v[40:41], v[42:43] neg_lo:[0,1] neg_hi:[0,1]
	v_mov_b32_e32 v45, v40
	v_pk_add_f32 v[40:41], v[46:47], v[44:45] neg_lo:[0,1] neg_hi:[0,1]
	v_cvt_f32_i32_e32 v42, v48
	v_add_f32_e32 v41, v49, v41
	v_add_f32_e32 v40, v40, v41
	;; [unrolled: 1-line block ×4, first 2 shown]
	v_sub_f32_e32 v41, v43, v53
	v_mul_f32_e32 v40, v51, v40
	v_sub_f32_e32 v41, v52, v41
	v_add_f32_e32 v40, v41, v40
	v_add_f32_e32 v44, v43, v40
	v_mul_f32_e32 v46, v44, v44
	v_mov_b32_e32 v41, 0x3ecc95a3
	v_sub_f32_e32 v43, v44, v43
	v_fmac_f32_e32 v41, 0x3e9b6dac, v46
	v_sub_f32_e32 v40, v40, v43
	v_fmaak_f32 v41, v46, v41, 0x3f2aaada
	v_ldexp_f32 v47, v40, 1
	v_mul_f32_e32 v43, v44, v46
	v_mov_b32_e32 v40, 0x3f317218
	v_pk_mul_f32 v[40:41], v[42:43], v[40:41]
	v_ldexp_f32 v45, v44, 1
	v_fma_f32 v43, v42, s33, -v40
	v_fmamk_f32 v44, v42, 0xb102e308, v43
	v_pk_add_f32 v[42:43], v[40:41], v[44:45]
	v_mov_b32_e32 v46, v40
	v_sub_f32_e32 v45, v43, v45
	v_sub_f32_e32 v45, v41, v45
	v_add_f32_e32 v47, v47, v45
	v_pk_add_f32 v[40:41], v[42:43], v[40:41] neg_lo:[0,1] neg_hi:[0,1]
	v_pk_add_f32 v[48:49], v[42:43], v[46:47]
	v_mov_b32_e32 v45, v42
	v_mov_b32_e32 v41, v49
	v_pk_add_f32 v[50:51], v[44:45], v[40:41] neg_lo:[0,1] neg_hi:[0,1]
	v_pk_add_f32 v[40:41], v[44:45], v[40:41]
	v_mov_b32_e32 v46, v47
	v_pk_add_f32 v[44:45], v[40:41], v[42:43] op_sel:[1,0] op_sel_hi:[0,1] neg_lo:[0,1] neg_hi:[0,1]
	v_pk_add_f32 v[52:53], v[48:49], v[44:45] op_sel_hi:[1,0] neg_lo:[0,1] neg_hi:[0,1]
	v_mov_b32_e32 v48, v49
	v_mov_b32_e32 v49, v41
	v_pk_mov_b32 v[44:45], v[42:43], v[44:45] op_sel:[1,0]
	v_mov_b32_e32 v47, v42
	v_pk_add_f32 v[44:45], v[48:49], v[44:45] neg_lo:[0,1] neg_hi:[0,1]
	v_mov_b32_e32 v52, v50
	v_pk_add_f32 v[42:43], v[46:47], v[44:45] neg_lo:[0,1] neg_hi:[0,1]
	v_mov_b32_e32 v51, v41
	v_pk_add_f32 v[44:45], v[52:53], v[42:43]
	s_mov_b32 s33, 0x33800000
	v_pk_add_f32 v[46:47], v[44:45], v[44:45] op_sel:[0,1] op_sel_hi:[1,0]
	s_nop 0
	v_pk_add_f32 v[40:41], v[40:41], v[46:47] op_sel:[1,0] op_sel_hi:[0,1]
	v_mov_b32_e32 v45, v40
	v_pk_add_f32 v[48:49], v[44:45], v[50:51] neg_lo:[0,1] neg_hi:[0,1]
	v_mov_b32_e32 v43, v46
	v_sub_f32_e32 v41, v44, v48
	v_pk_add_f32 v[42:43], v[42:43], v[48:49] neg_lo:[0,1] neg_hi:[0,1]
	v_sub_f32_e32 v41, v50, v41
	v_add_f32_e32 v41, v42, v41
	v_add_f32_e32 v41, v41, v43
	;; [unrolled: 1-line block ×3, first 2 shown]
	v_cndmask_b32_e64 v40, v54, v40, s[60:61]
	v_cmp_lt_f32_e64 s[60:61], |v39|, s33
	s_nop 1
	v_cndmask_b32_e64 v39, v40, v39, s[60:61]
	v_add_f32_e32 v39, v38, v39
.LBB105_64:
	s_or_b64 exec, exec, s[62:63]
	v_mov_b32_e32 v38, v39
.LBB105_65:
	s_or_b64 exec, exec, s[66:67]
	s_nop 0
	v_mov_b32_dpp v39, v38 row_shr:2 row_mask:0xf bank_mask:0xf
	v_cmp_lt_u32_e64 s[60:61], 1, v37
	s_and_saveexec_b64 s[66:67], s[60:61]
	s_cbranch_execz .LBB105_69
; %bb.66:
	v_max_f32_e32 v41, v38, v38
	v_max_f32_e32 v42, v39, v39
	v_min_f32_e32 v40, v42, v41
	v_cmp_u_f32_e64 s[60:61], v39, v39
	v_max_f32_e32 v41, v42, v41
	v_cmp_u_f32_e64 s[62:63], v38, v38
	v_cndmask_b32_e64 v40, v40, v39, s[60:61]
	v_cndmask_b32_e64 v41, v41, v39, s[60:61]
	v_cndmask_b32_e64 v40, v40, v38, s[62:63]
	v_cndmask_b32_e64 v38, v41, v38, s[62:63]
	s_movk_i32 s33, 0x1f8
	v_cmp_neq_f32_e64 s[60:61], v40, v38
	v_cmp_class_f32_e64 s[62:63], v40, s33
	s_or_b64 s[60:61], s[60:61], s[62:63]
	s_and_saveexec_b64 s[62:63], s[60:61]
	s_cbranch_execz .LBB105_68
; %bb.67:
	v_sub_f32_e32 v39, v40, v38
	s_mov_b32 s33, 0x3fb8aa3b
	v_mul_f32_e32 v40, 0x3fb8aa3b, v39
	v_fma_f32 v41, v39, s33, -v40
	v_rndne_f32_e32 v42, v40
	v_fmamk_f32 v41, v39, 0x32a5705f, v41
	v_sub_f32_e32 v40, v40, v42
	v_add_f32_e32 v40, v40, v41
	v_exp_f32_e32 v40, v40
	v_cvt_i32_f32_e32 v41, v42
	s_mov_b32 s33, 0xc2ce8ed0
	v_cmp_ngt_f32_e64 s[60:61], s33, v39
	s_mov_b32 s33, 0x42b17218
	v_ldexp_f32 v40, v40, v41
	v_cndmask_b32_e64 v40, 0, v40, s[60:61]
	v_mov_b32_e32 v54, 0x7f800000
	v_cmp_nlt_f32_e64 s[60:61], s33, v39
	s_mov_b32 s33, 0x3f2aaaab
	s_mov_b32 s68, 0x7f800000
	v_cndmask_b32_e64 v39, v54, v40, s[60:61]
	v_add_f32_e32 v42, 1.0, v39
	v_add_f32_e32 v40, -1.0, v42
	v_sub_f32_e32 v41, v40, v42
	v_add_f32_e32 v41, 1.0, v41
	v_sub_f32_e32 v40, v39, v40
	v_add_f32_e32 v43, v40, v41
	v_frexp_mant_f32_e32 v44, v42
	v_cvt_f64_f32_e32 v[40:41], v42
	v_frexp_exp_i32_f64_e32 v40, v[40:41]
	v_cmp_gt_f32_e64 s[60:61], s33, v44
	s_mov_b32 s33, 0x3f317218
	s_nop 0
	v_subbrev_co_u32_e64 v48, s[60:61], 0, v40, s[60:61]
	v_sub_u32_e32 v40, 0, v48
	v_ldexp_f32 v41, v42, v40
	v_add_f32_e32 v42, -1.0, v41
	v_add_f32_e32 v44, 1.0, v41
	v_ldexp_f32 v40, v43, v40
	v_add_f32_e32 v43, 1.0, v42
	v_add_f32_e32 v45, -1.0, v44
	v_sub_f32_e32 v43, v41, v43
	v_sub_f32_e32 v41, v41, v45
	v_add_f32_e32 v43, v40, v43
	v_add_f32_e32 v40, v40, v41
	;; [unrolled: 1-line block ×3, first 2 shown]
	v_rcp_f32_e32 v51, v49
	v_sub_f32_e32 v41, v44, v49
	v_add_f32_e32 v50, v40, v41
	v_add_f32_e32 v41, v42, v43
	v_mul_f32_e32 v53, v41, v51
	v_sub_f32_e32 v40, v42, v41
	v_mul_f32_e32 v42, v49, v53
	v_fma_f32 v44, v53, v49, -v42
	v_fmac_f32_e32 v44, v53, v50
	v_add_f32_e32 v52, v43, v40
	v_add_f32_e32 v40, v42, v44
	v_sub_f32_e32 v43, v41, v40
	v_pk_add_f32 v[46:47], v[40:41], v[42:43] neg_lo:[0,1] neg_hi:[0,1]
	v_mov_b32_e32 v45, v40
	v_pk_add_f32 v[40:41], v[46:47], v[44:45] neg_lo:[0,1] neg_hi:[0,1]
	v_cmp_neq_f32_e64 s[60:61], s68, v39
	v_add_f32_e32 v41, v52, v41
	v_add_f32_e32 v40, v40, v41
	v_add_f32_e32 v41, v43, v40
	v_mul_f32_e32 v52, v51, v41
	v_mul_f32_e32 v42, v49, v52
	v_fma_f32 v44, v52, v49, -v42
	v_fmac_f32_e32 v44, v52, v50
	v_sub_f32_e32 v43, v43, v41
	v_add_f32_e32 v49, v40, v43
	v_add_f32_e32 v40, v42, v44
	v_sub_f32_e32 v43, v41, v40
	v_pk_add_f32 v[46:47], v[40:41], v[42:43] neg_lo:[0,1] neg_hi:[0,1]
	v_mov_b32_e32 v45, v40
	v_pk_add_f32 v[40:41], v[46:47], v[44:45] neg_lo:[0,1] neg_hi:[0,1]
	v_cvt_f32_i32_e32 v42, v48
	v_add_f32_e32 v41, v49, v41
	v_add_f32_e32 v40, v40, v41
	;; [unrolled: 1-line block ×4, first 2 shown]
	v_sub_f32_e32 v41, v43, v53
	v_mul_f32_e32 v40, v51, v40
	v_sub_f32_e32 v41, v52, v41
	v_add_f32_e32 v40, v41, v40
	v_add_f32_e32 v44, v43, v40
	v_mul_f32_e32 v46, v44, v44
	v_mov_b32_e32 v41, 0x3ecc95a3
	v_sub_f32_e32 v43, v44, v43
	v_fmac_f32_e32 v41, 0x3e9b6dac, v46
	v_sub_f32_e32 v40, v40, v43
	v_fmaak_f32 v41, v46, v41, 0x3f2aaada
	v_ldexp_f32 v47, v40, 1
	v_mul_f32_e32 v43, v44, v46
	v_mov_b32_e32 v40, 0x3f317218
	v_pk_mul_f32 v[40:41], v[42:43], v[40:41]
	v_ldexp_f32 v45, v44, 1
	v_fma_f32 v43, v42, s33, -v40
	v_fmamk_f32 v44, v42, 0xb102e308, v43
	v_pk_add_f32 v[42:43], v[40:41], v[44:45]
	v_mov_b32_e32 v46, v40
	v_sub_f32_e32 v45, v43, v45
	v_sub_f32_e32 v45, v41, v45
	v_add_f32_e32 v47, v47, v45
	v_pk_add_f32 v[40:41], v[42:43], v[40:41] neg_lo:[0,1] neg_hi:[0,1]
	v_pk_add_f32 v[48:49], v[42:43], v[46:47]
	v_mov_b32_e32 v45, v42
	v_mov_b32_e32 v41, v49
	v_pk_add_f32 v[50:51], v[44:45], v[40:41] neg_lo:[0,1] neg_hi:[0,1]
	v_pk_add_f32 v[40:41], v[44:45], v[40:41]
	v_mov_b32_e32 v46, v47
	v_pk_add_f32 v[44:45], v[40:41], v[42:43] op_sel:[1,0] op_sel_hi:[0,1] neg_lo:[0,1] neg_hi:[0,1]
	v_pk_add_f32 v[52:53], v[48:49], v[44:45] op_sel_hi:[1,0] neg_lo:[0,1] neg_hi:[0,1]
	v_mov_b32_e32 v48, v49
	v_mov_b32_e32 v49, v41
	v_pk_mov_b32 v[44:45], v[42:43], v[44:45] op_sel:[1,0]
	v_mov_b32_e32 v47, v42
	v_pk_add_f32 v[44:45], v[48:49], v[44:45] neg_lo:[0,1] neg_hi:[0,1]
	v_mov_b32_e32 v52, v50
	v_pk_add_f32 v[42:43], v[46:47], v[44:45] neg_lo:[0,1] neg_hi:[0,1]
	v_mov_b32_e32 v51, v41
	v_pk_add_f32 v[44:45], v[52:53], v[42:43]
	s_mov_b32 s33, 0x33800000
	v_pk_add_f32 v[46:47], v[44:45], v[44:45] op_sel:[0,1] op_sel_hi:[1,0]
	s_nop 0
	v_pk_add_f32 v[40:41], v[40:41], v[46:47] op_sel:[1,0] op_sel_hi:[0,1]
	v_mov_b32_e32 v45, v40
	v_pk_add_f32 v[48:49], v[44:45], v[50:51] neg_lo:[0,1] neg_hi:[0,1]
	v_mov_b32_e32 v43, v46
	v_sub_f32_e32 v41, v44, v48
	v_pk_add_f32 v[42:43], v[42:43], v[48:49] neg_lo:[0,1] neg_hi:[0,1]
	v_sub_f32_e32 v41, v50, v41
	v_add_f32_e32 v41, v42, v41
	v_add_f32_e32 v41, v41, v43
	;; [unrolled: 1-line block ×3, first 2 shown]
	v_cndmask_b32_e64 v40, v54, v40, s[60:61]
	v_cmp_lt_f32_e64 s[60:61], |v39|, s33
	s_nop 1
	v_cndmask_b32_e64 v39, v40, v39, s[60:61]
	v_add_f32_e32 v39, v38, v39
.LBB105_68:
	s_or_b64 exec, exec, s[62:63]
	v_mov_b32_e32 v38, v39
.LBB105_69:
	s_or_b64 exec, exec, s[66:67]
	s_nop 0
	v_mov_b32_dpp v39, v38 row_shr:4 row_mask:0xf bank_mask:0xf
	v_cmp_lt_u32_e64 s[60:61], 3, v37
	s_and_saveexec_b64 s[66:67], s[60:61]
	s_cbranch_execz .LBB105_73
; %bb.70:
	v_max_f32_e32 v41, v38, v38
	v_max_f32_e32 v42, v39, v39
	v_min_f32_e32 v40, v42, v41
	v_cmp_u_f32_e64 s[60:61], v39, v39
	v_max_f32_e32 v41, v42, v41
	v_cmp_u_f32_e64 s[62:63], v38, v38
	v_cndmask_b32_e64 v40, v40, v39, s[60:61]
	v_cndmask_b32_e64 v41, v41, v39, s[60:61]
	;; [unrolled: 1-line block ×4, first 2 shown]
	s_movk_i32 s33, 0x1f8
	v_cmp_neq_f32_e64 s[60:61], v40, v38
	v_cmp_class_f32_e64 s[62:63], v40, s33
	s_or_b64 s[60:61], s[60:61], s[62:63]
	s_and_saveexec_b64 s[62:63], s[60:61]
	s_cbranch_execz .LBB105_72
; %bb.71:
	v_sub_f32_e32 v39, v40, v38
	s_mov_b32 s33, 0x3fb8aa3b
	v_mul_f32_e32 v40, 0x3fb8aa3b, v39
	v_fma_f32 v41, v39, s33, -v40
	v_rndne_f32_e32 v42, v40
	v_fmamk_f32 v41, v39, 0x32a5705f, v41
	v_sub_f32_e32 v40, v40, v42
	v_add_f32_e32 v40, v40, v41
	v_exp_f32_e32 v40, v40
	v_cvt_i32_f32_e32 v41, v42
	s_mov_b32 s33, 0xc2ce8ed0
	v_cmp_ngt_f32_e64 s[60:61], s33, v39
	s_mov_b32 s33, 0x42b17218
	v_ldexp_f32 v40, v40, v41
	v_cndmask_b32_e64 v40, 0, v40, s[60:61]
	v_mov_b32_e32 v54, 0x7f800000
	v_cmp_nlt_f32_e64 s[60:61], s33, v39
	s_mov_b32 s33, 0x3f2aaaab
	s_mov_b32 s68, 0x7f800000
	v_cndmask_b32_e64 v39, v54, v40, s[60:61]
	v_add_f32_e32 v42, 1.0, v39
	v_add_f32_e32 v40, -1.0, v42
	v_sub_f32_e32 v41, v40, v42
	v_add_f32_e32 v41, 1.0, v41
	v_sub_f32_e32 v40, v39, v40
	v_add_f32_e32 v43, v40, v41
	v_frexp_mant_f32_e32 v44, v42
	v_cvt_f64_f32_e32 v[40:41], v42
	v_frexp_exp_i32_f64_e32 v40, v[40:41]
	v_cmp_gt_f32_e64 s[60:61], s33, v44
	s_mov_b32 s33, 0x3f317218
	s_nop 0
	v_subbrev_co_u32_e64 v48, s[60:61], 0, v40, s[60:61]
	v_sub_u32_e32 v40, 0, v48
	v_ldexp_f32 v41, v42, v40
	v_add_f32_e32 v42, -1.0, v41
	v_add_f32_e32 v44, 1.0, v41
	v_ldexp_f32 v40, v43, v40
	v_add_f32_e32 v43, 1.0, v42
	v_add_f32_e32 v45, -1.0, v44
	v_sub_f32_e32 v43, v41, v43
	v_sub_f32_e32 v41, v41, v45
	v_add_f32_e32 v43, v40, v43
	v_add_f32_e32 v40, v40, v41
	;; [unrolled: 1-line block ×3, first 2 shown]
	v_rcp_f32_e32 v51, v49
	v_sub_f32_e32 v41, v44, v49
	v_add_f32_e32 v50, v40, v41
	v_add_f32_e32 v41, v42, v43
	v_mul_f32_e32 v53, v41, v51
	v_sub_f32_e32 v40, v42, v41
	v_mul_f32_e32 v42, v49, v53
	v_fma_f32 v44, v53, v49, -v42
	v_fmac_f32_e32 v44, v53, v50
	v_add_f32_e32 v52, v43, v40
	v_add_f32_e32 v40, v42, v44
	v_sub_f32_e32 v43, v41, v40
	v_pk_add_f32 v[46:47], v[40:41], v[42:43] neg_lo:[0,1] neg_hi:[0,1]
	v_mov_b32_e32 v45, v40
	v_pk_add_f32 v[40:41], v[46:47], v[44:45] neg_lo:[0,1] neg_hi:[0,1]
	v_cmp_neq_f32_e64 s[60:61], s68, v39
	v_add_f32_e32 v41, v52, v41
	v_add_f32_e32 v40, v40, v41
	v_add_f32_e32 v41, v43, v40
	v_mul_f32_e32 v52, v51, v41
	v_mul_f32_e32 v42, v49, v52
	v_fma_f32 v44, v52, v49, -v42
	v_fmac_f32_e32 v44, v52, v50
	v_sub_f32_e32 v43, v43, v41
	v_add_f32_e32 v49, v40, v43
	v_add_f32_e32 v40, v42, v44
	v_sub_f32_e32 v43, v41, v40
	v_pk_add_f32 v[46:47], v[40:41], v[42:43] neg_lo:[0,1] neg_hi:[0,1]
	v_mov_b32_e32 v45, v40
	v_pk_add_f32 v[40:41], v[46:47], v[44:45] neg_lo:[0,1] neg_hi:[0,1]
	v_cvt_f32_i32_e32 v42, v48
	v_add_f32_e32 v41, v49, v41
	v_add_f32_e32 v40, v40, v41
	;; [unrolled: 1-line block ×4, first 2 shown]
	v_sub_f32_e32 v41, v43, v53
	v_mul_f32_e32 v40, v51, v40
	v_sub_f32_e32 v41, v52, v41
	v_add_f32_e32 v40, v41, v40
	v_add_f32_e32 v44, v43, v40
	v_mul_f32_e32 v46, v44, v44
	v_mov_b32_e32 v41, 0x3ecc95a3
	v_sub_f32_e32 v43, v44, v43
	v_fmac_f32_e32 v41, 0x3e9b6dac, v46
	v_sub_f32_e32 v40, v40, v43
	v_fmaak_f32 v41, v46, v41, 0x3f2aaada
	v_ldexp_f32 v47, v40, 1
	v_mul_f32_e32 v43, v44, v46
	v_mov_b32_e32 v40, 0x3f317218
	v_pk_mul_f32 v[40:41], v[42:43], v[40:41]
	v_ldexp_f32 v45, v44, 1
	v_fma_f32 v43, v42, s33, -v40
	v_fmamk_f32 v44, v42, 0xb102e308, v43
	v_pk_add_f32 v[42:43], v[40:41], v[44:45]
	v_mov_b32_e32 v46, v40
	v_sub_f32_e32 v45, v43, v45
	v_sub_f32_e32 v45, v41, v45
	v_add_f32_e32 v47, v47, v45
	v_pk_add_f32 v[40:41], v[42:43], v[40:41] neg_lo:[0,1] neg_hi:[0,1]
	v_pk_add_f32 v[48:49], v[42:43], v[46:47]
	v_mov_b32_e32 v45, v42
	v_mov_b32_e32 v41, v49
	v_pk_add_f32 v[50:51], v[44:45], v[40:41] neg_lo:[0,1] neg_hi:[0,1]
	v_pk_add_f32 v[40:41], v[44:45], v[40:41]
	v_mov_b32_e32 v46, v47
	v_pk_add_f32 v[44:45], v[40:41], v[42:43] op_sel:[1,0] op_sel_hi:[0,1] neg_lo:[0,1] neg_hi:[0,1]
	v_pk_add_f32 v[52:53], v[48:49], v[44:45] op_sel_hi:[1,0] neg_lo:[0,1] neg_hi:[0,1]
	v_mov_b32_e32 v48, v49
	v_mov_b32_e32 v49, v41
	v_pk_mov_b32 v[44:45], v[42:43], v[44:45] op_sel:[1,0]
	v_mov_b32_e32 v47, v42
	v_pk_add_f32 v[44:45], v[48:49], v[44:45] neg_lo:[0,1] neg_hi:[0,1]
	v_mov_b32_e32 v52, v50
	v_pk_add_f32 v[42:43], v[46:47], v[44:45] neg_lo:[0,1] neg_hi:[0,1]
	v_mov_b32_e32 v51, v41
	v_pk_add_f32 v[44:45], v[52:53], v[42:43]
	s_mov_b32 s33, 0x33800000
	v_pk_add_f32 v[46:47], v[44:45], v[44:45] op_sel:[0,1] op_sel_hi:[1,0]
	s_nop 0
	v_pk_add_f32 v[40:41], v[40:41], v[46:47] op_sel:[1,0] op_sel_hi:[0,1]
	v_mov_b32_e32 v45, v40
	v_pk_add_f32 v[48:49], v[44:45], v[50:51] neg_lo:[0,1] neg_hi:[0,1]
	v_mov_b32_e32 v43, v46
	v_sub_f32_e32 v41, v44, v48
	v_pk_add_f32 v[42:43], v[42:43], v[48:49] neg_lo:[0,1] neg_hi:[0,1]
	v_sub_f32_e32 v41, v50, v41
	v_add_f32_e32 v41, v42, v41
	v_add_f32_e32 v41, v41, v43
	;; [unrolled: 1-line block ×3, first 2 shown]
	v_cndmask_b32_e64 v40, v54, v40, s[60:61]
	v_cmp_lt_f32_e64 s[60:61], |v39|, s33
	s_nop 1
	v_cndmask_b32_e64 v39, v40, v39, s[60:61]
	v_add_f32_e32 v39, v38, v39
.LBB105_72:
	s_or_b64 exec, exec, s[62:63]
	v_mov_b32_e32 v38, v39
.LBB105_73:
	s_or_b64 exec, exec, s[66:67]
	s_nop 0
	v_mov_b32_dpp v39, v38 row_shr:8 row_mask:0xf bank_mask:0xf
	v_cmp_lt_u32_e64 s[60:61], 7, v37
	s_and_saveexec_b64 s[66:67], s[60:61]
	s_cbranch_execz .LBB105_77
; %bb.74:
	v_max_f32_e32 v37, v38, v38
	v_max_f32_e32 v41, v39, v39
	v_min_f32_e32 v40, v41, v37
	v_cmp_u_f32_e64 s[60:61], v39, v39
	v_max_f32_e32 v37, v41, v37
	v_cmp_u_f32_e64 s[62:63], v38, v38
	v_cndmask_b32_e64 v40, v40, v39, s[60:61]
	v_cndmask_b32_e64 v37, v37, v39, s[60:61]
	;; [unrolled: 1-line block ×4, first 2 shown]
	s_movk_i32 s33, 0x1f8
	v_cmp_neq_f32_e64 s[60:61], v40, v37
	v_cmp_class_f32_e64 s[62:63], v40, s33
	s_or_b64 s[60:61], s[60:61], s[62:63]
	s_and_saveexec_b64 s[62:63], s[60:61]
	s_cbranch_execz .LBB105_76
; %bb.75:
	v_sub_f32_e32 v38, v40, v37
	s_mov_b32 s33, 0x3fb8aa3b
	v_mul_f32_e32 v39, 0x3fb8aa3b, v38
	v_fma_f32 v40, v38, s33, -v39
	v_rndne_f32_e32 v41, v39
	v_fmamk_f32 v40, v38, 0x32a5705f, v40
	v_sub_f32_e32 v39, v39, v41
	v_add_f32_e32 v39, v39, v40
	v_exp_f32_e32 v39, v39
	v_cvt_i32_f32_e32 v40, v41
	s_mov_b32 s33, 0xc2ce8ed0
	v_cmp_ngt_f32_e64 s[60:61], s33, v38
	s_mov_b32 s33, 0x42b17218
	v_ldexp_f32 v39, v39, v40
	v_cndmask_b32_e64 v39, 0, v39, s[60:61]
	v_mov_b32_e32 v52, 0x7f800000
	v_cmp_nlt_f32_e64 s[60:61], s33, v38
	s_mov_b32 s33, 0x3f2aaaab
	s_mov_b32 s68, 0x7f800000
	v_cndmask_b32_e64 v53, v52, v39, s[60:61]
	v_add_f32_e32 v40, 1.0, v53
	v_add_f32_e32 v38, -1.0, v40
	v_sub_f32_e32 v39, v38, v40
	v_add_f32_e32 v39, 1.0, v39
	v_sub_f32_e32 v38, v53, v38
	v_add_f32_e32 v41, v38, v39
	v_frexp_mant_f32_e32 v42, v40
	v_cvt_f64_f32_e32 v[38:39], v40
	v_frexp_exp_i32_f64_e32 v38, v[38:39]
	v_cmp_gt_f32_e64 s[60:61], s33, v42
	s_mov_b32 s33, 0x3f317218
	s_nop 0
	v_subbrev_co_u32_e64 v46, s[60:61], 0, v38, s[60:61]
	v_sub_u32_e32 v38, 0, v46
	v_ldexp_f32 v39, v40, v38
	v_add_f32_e32 v40, -1.0, v39
	v_add_f32_e32 v42, 1.0, v39
	v_ldexp_f32 v38, v41, v38
	v_add_f32_e32 v41, 1.0, v40
	v_add_f32_e32 v43, -1.0, v42
	v_sub_f32_e32 v41, v39, v41
	v_sub_f32_e32 v39, v39, v43
	v_add_f32_e32 v41, v38, v41
	v_add_f32_e32 v38, v38, v39
	;; [unrolled: 1-line block ×3, first 2 shown]
	v_rcp_f32_e32 v49, v47
	v_sub_f32_e32 v39, v42, v47
	v_add_f32_e32 v48, v38, v39
	v_add_f32_e32 v39, v40, v41
	v_mul_f32_e32 v51, v39, v49
	v_sub_f32_e32 v38, v40, v39
	v_mul_f32_e32 v40, v47, v51
	v_fma_f32 v42, v51, v47, -v40
	v_fmac_f32_e32 v42, v51, v48
	v_add_f32_e32 v50, v41, v38
	v_add_f32_e32 v38, v40, v42
	v_sub_f32_e32 v41, v39, v38
	v_pk_add_f32 v[44:45], v[38:39], v[40:41] neg_lo:[0,1] neg_hi:[0,1]
	v_mov_b32_e32 v43, v38
	v_pk_add_f32 v[38:39], v[44:45], v[42:43] neg_lo:[0,1] neg_hi:[0,1]
	v_cmp_neq_f32_e64 s[60:61], s68, v53
	v_add_f32_e32 v39, v50, v39
	v_add_f32_e32 v38, v38, v39
	;; [unrolled: 1-line block ×3, first 2 shown]
	v_mul_f32_e32 v50, v49, v39
	v_mul_f32_e32 v40, v47, v50
	v_fma_f32 v42, v50, v47, -v40
	v_fmac_f32_e32 v42, v50, v48
	v_sub_f32_e32 v41, v41, v39
	v_add_f32_e32 v47, v38, v41
	v_add_f32_e32 v38, v40, v42
	v_sub_f32_e32 v41, v39, v38
	v_pk_add_f32 v[44:45], v[38:39], v[40:41] neg_lo:[0,1] neg_hi:[0,1]
	v_mov_b32_e32 v43, v38
	v_pk_add_f32 v[38:39], v[44:45], v[42:43] neg_lo:[0,1] neg_hi:[0,1]
	v_cvt_f32_i32_e32 v40, v46
	v_add_f32_e32 v39, v47, v39
	v_add_f32_e32 v38, v38, v39
	;; [unrolled: 1-line block ×4, first 2 shown]
	v_sub_f32_e32 v39, v41, v51
	v_mul_f32_e32 v38, v49, v38
	v_sub_f32_e32 v39, v50, v39
	v_add_f32_e32 v38, v39, v38
	v_add_f32_e32 v42, v41, v38
	v_mul_f32_e32 v44, v42, v42
	v_mov_b32_e32 v39, 0x3ecc95a3
	v_sub_f32_e32 v41, v42, v41
	v_fmac_f32_e32 v39, 0x3e9b6dac, v44
	v_sub_f32_e32 v38, v38, v41
	v_fmaak_f32 v39, v44, v39, 0x3f2aaada
	v_ldexp_f32 v45, v38, 1
	v_mul_f32_e32 v41, v42, v44
	v_mov_b32_e32 v38, 0x3f317218
	v_pk_mul_f32 v[38:39], v[40:41], v[38:39]
	v_ldexp_f32 v43, v42, 1
	v_fma_f32 v41, v40, s33, -v38
	v_fmamk_f32 v42, v40, 0xb102e308, v41
	v_pk_add_f32 v[40:41], v[38:39], v[42:43]
	v_mov_b32_e32 v44, v38
	v_sub_f32_e32 v43, v41, v43
	v_sub_f32_e32 v43, v39, v43
	v_add_f32_e32 v45, v45, v43
	v_pk_add_f32 v[38:39], v[40:41], v[38:39] neg_lo:[0,1] neg_hi:[0,1]
	v_pk_add_f32 v[46:47], v[40:41], v[44:45]
	v_mov_b32_e32 v43, v40
	v_mov_b32_e32 v39, v47
	v_pk_add_f32 v[48:49], v[42:43], v[38:39] neg_lo:[0,1] neg_hi:[0,1]
	v_pk_add_f32 v[38:39], v[42:43], v[38:39]
	v_mov_b32_e32 v44, v45
	v_pk_add_f32 v[42:43], v[38:39], v[40:41] op_sel:[1,0] op_sel_hi:[0,1] neg_lo:[0,1] neg_hi:[0,1]
	v_pk_add_f32 v[50:51], v[46:47], v[42:43] op_sel_hi:[1,0] neg_lo:[0,1] neg_hi:[0,1]
	v_mov_b32_e32 v46, v47
	v_mov_b32_e32 v47, v39
	v_pk_mov_b32 v[42:43], v[40:41], v[42:43] op_sel:[1,0]
	v_mov_b32_e32 v45, v40
	v_pk_add_f32 v[42:43], v[46:47], v[42:43] neg_lo:[0,1] neg_hi:[0,1]
	v_mov_b32_e32 v50, v48
	v_pk_add_f32 v[40:41], v[44:45], v[42:43] neg_lo:[0,1] neg_hi:[0,1]
	v_mov_b32_e32 v49, v39
	v_pk_add_f32 v[42:43], v[50:51], v[40:41]
	s_mov_b32 s33, 0x33800000
	v_pk_add_f32 v[44:45], v[42:43], v[42:43] op_sel:[0,1] op_sel_hi:[1,0]
	s_nop 0
	v_pk_add_f32 v[38:39], v[38:39], v[44:45] op_sel:[1,0] op_sel_hi:[0,1]
	v_mov_b32_e32 v43, v38
	v_pk_add_f32 v[46:47], v[42:43], v[48:49] neg_lo:[0,1] neg_hi:[0,1]
	v_mov_b32_e32 v41, v44
	v_sub_f32_e32 v39, v42, v46
	v_pk_add_f32 v[40:41], v[40:41], v[46:47] neg_lo:[0,1] neg_hi:[0,1]
	v_sub_f32_e32 v39, v48, v39
	v_add_f32_e32 v39, v40, v39
	v_add_f32_e32 v39, v39, v41
	;; [unrolled: 1-line block ×3, first 2 shown]
	v_cndmask_b32_e64 v38, v52, v38, s[60:61]
	v_cmp_lt_f32_e64 s[60:61], |v53|, s33
	s_nop 1
	v_cndmask_b32_e64 v38, v38, v53, s[60:61]
	v_add_f32_e32 v39, v37, v38
.LBB105_76:
	s_or_b64 exec, exec, s[62:63]
	v_mov_b32_e32 v38, v39
.LBB105_77:
	s_or_b64 exec, exec, s[66:67]
	v_and_b32_e32 v37, 16, v19
	v_mov_b32_dpp v39, v38 row_bcast:15 row_mask:0xf bank_mask:0xf
	v_cmp_ne_u32_e64 s[60:61], 0, v37
	s_and_saveexec_b64 s[66:67], s[60:61]
	s_cbranch_execz .LBB105_81
; %bb.78:
	v_max_f32_e32 v37, v38, v38
	v_max_f32_e32 v41, v39, v39
	v_min_f32_e32 v40, v41, v37
	v_cmp_u_f32_e64 s[60:61], v39, v39
	v_max_f32_e32 v37, v41, v37
	v_cmp_u_f32_e64 s[62:63], v38, v38
	v_cndmask_b32_e64 v40, v40, v39, s[60:61]
	v_cndmask_b32_e64 v37, v37, v39, s[60:61]
	;; [unrolled: 1-line block ×4, first 2 shown]
	s_movk_i32 s33, 0x1f8
	v_cmp_neq_f32_e64 s[60:61], v40, v37
	v_cmp_class_f32_e64 s[62:63], v40, s33
	s_or_b64 s[60:61], s[60:61], s[62:63]
	s_and_saveexec_b64 s[62:63], s[60:61]
	s_cbranch_execz .LBB105_80
; %bb.79:
	v_sub_f32_e32 v38, v40, v37
	s_mov_b32 s33, 0x3fb8aa3b
	v_mul_f32_e32 v39, 0x3fb8aa3b, v38
	v_fma_f32 v40, v38, s33, -v39
	v_rndne_f32_e32 v41, v39
	v_fmamk_f32 v40, v38, 0x32a5705f, v40
	v_sub_f32_e32 v39, v39, v41
	v_add_f32_e32 v39, v39, v40
	v_exp_f32_e32 v39, v39
	v_cvt_i32_f32_e32 v40, v41
	s_mov_b32 s33, 0xc2ce8ed0
	v_cmp_ngt_f32_e64 s[60:61], s33, v38
	s_mov_b32 s33, 0x42b17218
	v_ldexp_f32 v39, v39, v40
	v_cndmask_b32_e64 v39, 0, v39, s[60:61]
	v_mov_b32_e32 v52, 0x7f800000
	v_cmp_nlt_f32_e64 s[60:61], s33, v38
	s_mov_b32 s33, 0x3f2aaaab
	s_mov_b32 s68, 0x7f800000
	v_cndmask_b32_e64 v53, v52, v39, s[60:61]
	v_add_f32_e32 v40, 1.0, v53
	v_add_f32_e32 v38, -1.0, v40
	v_sub_f32_e32 v39, v38, v40
	v_add_f32_e32 v39, 1.0, v39
	v_sub_f32_e32 v38, v53, v38
	v_add_f32_e32 v41, v38, v39
	v_frexp_mant_f32_e32 v42, v40
	v_cvt_f64_f32_e32 v[38:39], v40
	v_frexp_exp_i32_f64_e32 v38, v[38:39]
	v_cmp_gt_f32_e64 s[60:61], s33, v42
	s_mov_b32 s33, 0x3f317218
	s_nop 0
	v_subbrev_co_u32_e64 v46, s[60:61], 0, v38, s[60:61]
	v_sub_u32_e32 v38, 0, v46
	v_ldexp_f32 v39, v40, v38
	v_add_f32_e32 v40, -1.0, v39
	v_add_f32_e32 v42, 1.0, v39
	v_ldexp_f32 v38, v41, v38
	v_add_f32_e32 v41, 1.0, v40
	v_add_f32_e32 v43, -1.0, v42
	v_sub_f32_e32 v41, v39, v41
	v_sub_f32_e32 v39, v39, v43
	v_add_f32_e32 v41, v38, v41
	v_add_f32_e32 v38, v38, v39
	;; [unrolled: 1-line block ×3, first 2 shown]
	v_rcp_f32_e32 v49, v47
	v_sub_f32_e32 v39, v42, v47
	v_add_f32_e32 v48, v38, v39
	v_add_f32_e32 v39, v40, v41
	v_mul_f32_e32 v51, v39, v49
	v_sub_f32_e32 v38, v40, v39
	v_mul_f32_e32 v40, v47, v51
	v_fma_f32 v42, v51, v47, -v40
	v_fmac_f32_e32 v42, v51, v48
	v_add_f32_e32 v50, v41, v38
	v_add_f32_e32 v38, v40, v42
	v_sub_f32_e32 v41, v39, v38
	v_pk_add_f32 v[44:45], v[38:39], v[40:41] neg_lo:[0,1] neg_hi:[0,1]
	v_mov_b32_e32 v43, v38
	v_pk_add_f32 v[38:39], v[44:45], v[42:43] neg_lo:[0,1] neg_hi:[0,1]
	v_cmp_neq_f32_e64 s[60:61], s68, v53
	v_add_f32_e32 v39, v50, v39
	v_add_f32_e32 v38, v38, v39
	;; [unrolled: 1-line block ×3, first 2 shown]
	v_mul_f32_e32 v50, v49, v39
	v_mul_f32_e32 v40, v47, v50
	v_fma_f32 v42, v50, v47, -v40
	v_fmac_f32_e32 v42, v50, v48
	v_sub_f32_e32 v41, v41, v39
	v_add_f32_e32 v47, v38, v41
	v_add_f32_e32 v38, v40, v42
	v_sub_f32_e32 v41, v39, v38
	v_pk_add_f32 v[44:45], v[38:39], v[40:41] neg_lo:[0,1] neg_hi:[0,1]
	v_mov_b32_e32 v43, v38
	v_pk_add_f32 v[38:39], v[44:45], v[42:43] neg_lo:[0,1] neg_hi:[0,1]
	v_cvt_f32_i32_e32 v40, v46
	v_add_f32_e32 v39, v47, v39
	v_add_f32_e32 v38, v38, v39
	;; [unrolled: 1-line block ×4, first 2 shown]
	v_sub_f32_e32 v39, v41, v51
	v_mul_f32_e32 v38, v49, v38
	v_sub_f32_e32 v39, v50, v39
	v_add_f32_e32 v38, v39, v38
	v_add_f32_e32 v42, v41, v38
	v_mul_f32_e32 v44, v42, v42
	v_mov_b32_e32 v39, 0x3ecc95a3
	v_sub_f32_e32 v41, v42, v41
	v_fmac_f32_e32 v39, 0x3e9b6dac, v44
	v_sub_f32_e32 v38, v38, v41
	v_fmaak_f32 v39, v44, v39, 0x3f2aaada
	v_ldexp_f32 v45, v38, 1
	v_mul_f32_e32 v41, v42, v44
	v_mov_b32_e32 v38, 0x3f317218
	v_pk_mul_f32 v[38:39], v[40:41], v[38:39]
	v_ldexp_f32 v43, v42, 1
	v_fma_f32 v41, v40, s33, -v38
	v_fmamk_f32 v42, v40, 0xb102e308, v41
	v_pk_add_f32 v[40:41], v[38:39], v[42:43]
	v_mov_b32_e32 v44, v38
	v_sub_f32_e32 v43, v41, v43
	v_sub_f32_e32 v43, v39, v43
	v_add_f32_e32 v45, v45, v43
	v_pk_add_f32 v[38:39], v[40:41], v[38:39] neg_lo:[0,1] neg_hi:[0,1]
	v_pk_add_f32 v[46:47], v[40:41], v[44:45]
	v_mov_b32_e32 v43, v40
	v_mov_b32_e32 v39, v47
	v_pk_add_f32 v[48:49], v[42:43], v[38:39] neg_lo:[0,1] neg_hi:[0,1]
	v_pk_add_f32 v[38:39], v[42:43], v[38:39]
	v_mov_b32_e32 v44, v45
	v_pk_add_f32 v[42:43], v[38:39], v[40:41] op_sel:[1,0] op_sel_hi:[0,1] neg_lo:[0,1] neg_hi:[0,1]
	v_pk_add_f32 v[50:51], v[46:47], v[42:43] op_sel_hi:[1,0] neg_lo:[0,1] neg_hi:[0,1]
	v_mov_b32_e32 v46, v47
	v_mov_b32_e32 v47, v39
	v_pk_mov_b32 v[42:43], v[40:41], v[42:43] op_sel:[1,0]
	v_mov_b32_e32 v45, v40
	v_pk_add_f32 v[42:43], v[46:47], v[42:43] neg_lo:[0,1] neg_hi:[0,1]
	v_mov_b32_e32 v50, v48
	v_pk_add_f32 v[40:41], v[44:45], v[42:43] neg_lo:[0,1] neg_hi:[0,1]
	v_mov_b32_e32 v49, v39
	v_pk_add_f32 v[42:43], v[50:51], v[40:41]
	s_mov_b32 s33, 0x33800000
	v_pk_add_f32 v[44:45], v[42:43], v[42:43] op_sel:[0,1] op_sel_hi:[1,0]
	s_nop 0
	v_pk_add_f32 v[38:39], v[38:39], v[44:45] op_sel:[1,0] op_sel_hi:[0,1]
	v_mov_b32_e32 v43, v38
	v_pk_add_f32 v[46:47], v[42:43], v[48:49] neg_lo:[0,1] neg_hi:[0,1]
	v_mov_b32_e32 v41, v44
	v_sub_f32_e32 v39, v42, v46
	v_pk_add_f32 v[40:41], v[40:41], v[46:47] neg_lo:[0,1] neg_hi:[0,1]
	v_sub_f32_e32 v39, v48, v39
	v_add_f32_e32 v39, v40, v39
	v_add_f32_e32 v39, v39, v41
	;; [unrolled: 1-line block ×3, first 2 shown]
	v_cndmask_b32_e64 v38, v52, v38, s[60:61]
	v_cmp_lt_f32_e64 s[60:61], |v53|, s33
	s_nop 1
	v_cndmask_b32_e64 v38, v38, v53, s[60:61]
	v_add_f32_e32 v39, v37, v38
.LBB105_80:
	s_or_b64 exec, exec, s[62:63]
	v_mov_b32_e32 v38, v39
.LBB105_81:
	s_or_b64 exec, exec, s[66:67]
	s_nop 0
	v_mov_b32_dpp v39, v38 row_bcast:31 row_mask:0xf bank_mask:0xf
	v_cmp_lt_u32_e64 s[60:61], 31, v19
	s_and_saveexec_b64 s[66:67], s[60:61]
	s_cbranch_execz .LBB105_85
; %bb.82:
	v_max_f32_e32 v37, v38, v38
	v_max_f32_e32 v41, v39, v39
	v_min_f32_e32 v40, v41, v37
	v_cmp_u_f32_e64 s[60:61], v39, v39
	v_max_f32_e32 v37, v41, v37
	v_cmp_u_f32_e64 s[62:63], v38, v38
	v_cndmask_b32_e64 v40, v40, v39, s[60:61]
	v_cndmask_b32_e64 v37, v37, v39, s[60:61]
	;; [unrolled: 1-line block ×4, first 2 shown]
	s_movk_i32 s33, 0x1f8
	v_cmp_neq_f32_e64 s[60:61], v40, v37
	v_cmp_class_f32_e64 s[62:63], v40, s33
	s_or_b64 s[60:61], s[60:61], s[62:63]
	s_and_saveexec_b64 s[62:63], s[60:61]
	s_cbranch_execz .LBB105_84
; %bb.83:
	v_sub_f32_e32 v38, v40, v37
	s_mov_b32 s33, 0x3fb8aa3b
	v_mul_f32_e32 v39, 0x3fb8aa3b, v38
	v_fma_f32 v40, v38, s33, -v39
	v_rndne_f32_e32 v41, v39
	v_fmamk_f32 v40, v38, 0x32a5705f, v40
	v_sub_f32_e32 v39, v39, v41
	v_add_f32_e32 v39, v39, v40
	v_exp_f32_e32 v39, v39
	v_cvt_i32_f32_e32 v40, v41
	s_mov_b32 s33, 0xc2ce8ed0
	v_cmp_ngt_f32_e64 s[60:61], s33, v38
	s_mov_b32 s33, 0x42b17218
	v_ldexp_f32 v39, v39, v40
	v_cndmask_b32_e64 v39, 0, v39, s[60:61]
	v_mov_b32_e32 v52, 0x7f800000
	v_cmp_nlt_f32_e64 s[60:61], s33, v38
	s_mov_b32 s33, 0x3f2aaaab
	s_mov_b32 s68, 0x7f800000
	v_cndmask_b32_e64 v53, v52, v39, s[60:61]
	v_add_f32_e32 v40, 1.0, v53
	v_add_f32_e32 v38, -1.0, v40
	v_sub_f32_e32 v39, v38, v40
	v_add_f32_e32 v39, 1.0, v39
	v_sub_f32_e32 v38, v53, v38
	v_add_f32_e32 v41, v38, v39
	v_frexp_mant_f32_e32 v42, v40
	v_cvt_f64_f32_e32 v[38:39], v40
	v_frexp_exp_i32_f64_e32 v38, v[38:39]
	v_cmp_gt_f32_e64 s[60:61], s33, v42
	s_mov_b32 s33, 0x3f317218
	s_nop 0
	v_subbrev_co_u32_e64 v46, s[60:61], 0, v38, s[60:61]
	v_sub_u32_e32 v38, 0, v46
	v_ldexp_f32 v39, v40, v38
	v_add_f32_e32 v40, -1.0, v39
	v_add_f32_e32 v42, 1.0, v39
	v_ldexp_f32 v38, v41, v38
	v_add_f32_e32 v41, 1.0, v40
	v_add_f32_e32 v43, -1.0, v42
	v_sub_f32_e32 v41, v39, v41
	v_sub_f32_e32 v39, v39, v43
	v_add_f32_e32 v41, v38, v41
	v_add_f32_e32 v38, v38, v39
	;; [unrolled: 1-line block ×3, first 2 shown]
	v_rcp_f32_e32 v49, v47
	v_sub_f32_e32 v39, v42, v47
	v_add_f32_e32 v48, v38, v39
	v_add_f32_e32 v39, v40, v41
	v_mul_f32_e32 v51, v39, v49
	v_sub_f32_e32 v38, v40, v39
	v_mul_f32_e32 v40, v47, v51
	v_fma_f32 v42, v51, v47, -v40
	v_fmac_f32_e32 v42, v51, v48
	v_add_f32_e32 v50, v41, v38
	v_add_f32_e32 v38, v40, v42
	v_sub_f32_e32 v41, v39, v38
	v_pk_add_f32 v[44:45], v[38:39], v[40:41] neg_lo:[0,1] neg_hi:[0,1]
	v_mov_b32_e32 v43, v38
	v_pk_add_f32 v[38:39], v[44:45], v[42:43] neg_lo:[0,1] neg_hi:[0,1]
	v_cmp_neq_f32_e64 s[60:61], s68, v53
	v_add_f32_e32 v39, v50, v39
	v_add_f32_e32 v38, v38, v39
	;; [unrolled: 1-line block ×3, first 2 shown]
	v_mul_f32_e32 v50, v49, v39
	v_mul_f32_e32 v40, v47, v50
	v_fma_f32 v42, v50, v47, -v40
	v_fmac_f32_e32 v42, v50, v48
	v_sub_f32_e32 v41, v41, v39
	v_add_f32_e32 v47, v38, v41
	v_add_f32_e32 v38, v40, v42
	v_sub_f32_e32 v41, v39, v38
	v_pk_add_f32 v[44:45], v[38:39], v[40:41] neg_lo:[0,1] neg_hi:[0,1]
	v_mov_b32_e32 v43, v38
	v_pk_add_f32 v[38:39], v[44:45], v[42:43] neg_lo:[0,1] neg_hi:[0,1]
	v_cvt_f32_i32_e32 v40, v46
	v_add_f32_e32 v39, v47, v39
	v_add_f32_e32 v38, v38, v39
	;; [unrolled: 1-line block ×4, first 2 shown]
	v_sub_f32_e32 v39, v41, v51
	v_mul_f32_e32 v38, v49, v38
	v_sub_f32_e32 v39, v50, v39
	v_add_f32_e32 v38, v39, v38
	v_add_f32_e32 v42, v41, v38
	v_mul_f32_e32 v44, v42, v42
	v_mov_b32_e32 v39, 0x3ecc95a3
	v_sub_f32_e32 v41, v42, v41
	v_fmac_f32_e32 v39, 0x3e9b6dac, v44
	v_sub_f32_e32 v38, v38, v41
	v_fmaak_f32 v39, v44, v39, 0x3f2aaada
	v_ldexp_f32 v45, v38, 1
	v_mul_f32_e32 v41, v42, v44
	v_mov_b32_e32 v38, 0x3f317218
	v_pk_mul_f32 v[38:39], v[40:41], v[38:39]
	v_ldexp_f32 v43, v42, 1
	v_fma_f32 v41, v40, s33, -v38
	v_fmamk_f32 v42, v40, 0xb102e308, v41
	v_pk_add_f32 v[40:41], v[38:39], v[42:43]
	v_mov_b32_e32 v44, v38
	v_sub_f32_e32 v43, v41, v43
	v_sub_f32_e32 v43, v39, v43
	v_add_f32_e32 v45, v45, v43
	v_pk_add_f32 v[38:39], v[40:41], v[38:39] neg_lo:[0,1] neg_hi:[0,1]
	v_pk_add_f32 v[46:47], v[40:41], v[44:45]
	v_mov_b32_e32 v43, v40
	v_mov_b32_e32 v39, v47
	v_pk_add_f32 v[48:49], v[42:43], v[38:39] neg_lo:[0,1] neg_hi:[0,1]
	v_pk_add_f32 v[38:39], v[42:43], v[38:39]
	v_mov_b32_e32 v44, v45
	v_pk_add_f32 v[42:43], v[38:39], v[40:41] op_sel:[1,0] op_sel_hi:[0,1] neg_lo:[0,1] neg_hi:[0,1]
	v_pk_add_f32 v[50:51], v[46:47], v[42:43] op_sel_hi:[1,0] neg_lo:[0,1] neg_hi:[0,1]
	v_mov_b32_e32 v46, v47
	v_mov_b32_e32 v47, v39
	v_pk_mov_b32 v[42:43], v[40:41], v[42:43] op_sel:[1,0]
	v_mov_b32_e32 v45, v40
	v_pk_add_f32 v[42:43], v[46:47], v[42:43] neg_lo:[0,1] neg_hi:[0,1]
	v_mov_b32_e32 v50, v48
	v_pk_add_f32 v[40:41], v[44:45], v[42:43] neg_lo:[0,1] neg_hi:[0,1]
	v_mov_b32_e32 v49, v39
	v_pk_add_f32 v[42:43], v[50:51], v[40:41]
	s_mov_b32 s33, 0x33800000
	v_pk_add_f32 v[44:45], v[42:43], v[42:43] op_sel:[0,1] op_sel_hi:[1,0]
	s_nop 0
	v_pk_add_f32 v[38:39], v[38:39], v[44:45] op_sel:[1,0] op_sel_hi:[0,1]
	v_mov_b32_e32 v43, v38
	v_pk_add_f32 v[46:47], v[42:43], v[48:49] neg_lo:[0,1] neg_hi:[0,1]
	v_mov_b32_e32 v41, v44
	v_sub_f32_e32 v39, v42, v46
	v_pk_add_f32 v[40:41], v[40:41], v[46:47] neg_lo:[0,1] neg_hi:[0,1]
	v_sub_f32_e32 v39, v48, v39
	v_add_f32_e32 v39, v40, v39
	v_add_f32_e32 v39, v39, v41
	;; [unrolled: 1-line block ×3, first 2 shown]
	v_cndmask_b32_e64 v38, v52, v38, s[60:61]
	v_cmp_lt_f32_e64 s[60:61], |v53|, s33
	s_nop 1
	v_cndmask_b32_e64 v38, v38, v53, s[60:61]
	v_add_f32_e32 v39, v37, v38
.LBB105_84:
	s_or_b64 exec, exec, s[62:63]
	v_mov_b32_e32 v38, v39
.LBB105_85:
	s_or_b64 exec, exec, s[66:67]
	v_add_u32_e32 v37, -1, v19
	v_and_b32_e32 v39, 64, v19
	v_cmp_lt_i32_e64 s[60:61], v37, v39
	s_movk_i32 s33, 0x1f8
	s_nop 0
	v_cndmask_b32_e64 v19, v37, v19, s[60:61]
	v_lshlrev_b32_e32 v19, 2, v19
	ds_bpermute_b32 v19, v19, v38
	s_waitcnt lgkmcnt(0)
	v_max_f32_e32 v37, v19, v19
	v_min_f32_e32 v38, v37, v36
	v_max_f32_e32 v37, v37, v36
	v_cmp_u_f32_e64 s[60:61], v19, v19
	s_nop 1
	v_cndmask_b32_e64 v36, v38, v19, s[60:61]
	v_cndmask_b32_e64 v37, v37, v19, s[60:61]
	;; [unrolled: 1-line block ×4, first 2 shown]
	v_cmp_neq_f32_e64 s[58:59], v36, v18
	v_cmp_class_f32_e64 s[60:61], v36, s33
	s_or_b64 s[58:59], s[58:59], s[60:61]
	s_and_saveexec_b64 s[60:61], s[58:59]
	s_cbranch_execz .LBB105_87
; %bb.86:
	v_sub_f32_e32 v19, v36, v18
	s_mov_b32 s58, 0x3fb8aa3b
	v_mul_f32_e32 v36, 0x3fb8aa3b, v19
	v_fma_f32 v37, v19, s58, -v36
	v_rndne_f32_e32 v38, v36
	v_fmamk_f32 v37, v19, 0x32a5705f, v37
	v_sub_f32_e32 v36, v36, v38
	v_add_f32_e32 v36, v36, v37
	v_exp_f32_e32 v36, v36
	v_cvt_i32_f32_e32 v37, v38
	s_mov_b32 s58, 0xc2ce8ed0
	v_cmp_ngt_f32_e64 s[58:59], s58, v19
	v_mov_b32_e32 v50, 0x7f800000
	v_ldexp_f32 v36, v36, v37
	v_cndmask_b32_e64 v36, 0, v36, s[58:59]
	s_mov_b32 s58, 0x42b17218
	v_cmp_nlt_f32_e64 s[58:59], s58, v19
	s_mov_b32 s62, 0x7f800000
	s_nop 0
	v_cndmask_b32_e64 v19, v50, v36, s[58:59]
	v_add_f32_e32 v38, 1.0, v19
	v_add_f32_e32 v36, -1.0, v38
	v_sub_f32_e32 v37, v36, v38
	v_add_f32_e32 v37, 1.0, v37
	v_sub_f32_e32 v36, v19, v36
	v_add_f32_e32 v39, v36, v37
	v_frexp_mant_f32_e32 v40, v38
	s_mov_b32 s58, 0x3f2aaaab
	v_cvt_f64_f32_e32 v[36:37], v38
	v_frexp_exp_i32_f64_e32 v36, v[36:37]
	v_cmp_gt_f32_e64 s[58:59], s58, v40
	s_nop 1
	v_subbrev_co_u32_e64 v44, s[58:59], 0, v36, s[58:59]
	v_sub_u32_e32 v36, 0, v44
	v_ldexp_f32 v37, v38, v36
	v_add_f32_e32 v38, -1.0, v37
	v_add_f32_e32 v40, 1.0, v37
	v_ldexp_f32 v36, v39, v36
	v_add_f32_e32 v39, 1.0, v38
	v_add_f32_e32 v41, -1.0, v40
	v_sub_f32_e32 v39, v37, v39
	v_sub_f32_e32 v37, v37, v41
	v_add_f32_e32 v39, v36, v39
	v_add_f32_e32 v36, v36, v37
	;; [unrolled: 1-line block ×3, first 2 shown]
	v_rcp_f32_e32 v47, v45
	v_sub_f32_e32 v37, v40, v45
	v_add_f32_e32 v46, v36, v37
	v_add_f32_e32 v37, v38, v39
	v_mul_f32_e32 v49, v37, v47
	v_sub_f32_e32 v36, v38, v37
	v_mul_f32_e32 v38, v45, v49
	v_fma_f32 v40, v49, v45, -v38
	v_fmac_f32_e32 v40, v49, v46
	v_add_f32_e32 v48, v39, v36
	v_add_f32_e32 v36, v38, v40
	v_sub_f32_e32 v39, v37, v36
	v_pk_add_f32 v[42:43], v[36:37], v[38:39] neg_lo:[0,1] neg_hi:[0,1]
	v_mov_b32_e32 v41, v36
	v_pk_add_f32 v[36:37], v[42:43], v[40:41] neg_lo:[0,1] neg_hi:[0,1]
	s_mov_b32 s58, 0x3f317218
	v_add_f32_e32 v37, v48, v37
	v_add_f32_e32 v36, v36, v37
	;; [unrolled: 1-line block ×3, first 2 shown]
	v_mul_f32_e32 v48, v47, v37
	v_mul_f32_e32 v38, v45, v48
	v_fma_f32 v40, v48, v45, -v38
	v_fmac_f32_e32 v40, v48, v46
	v_sub_f32_e32 v39, v39, v37
	v_add_f32_e32 v45, v36, v39
	v_add_f32_e32 v36, v38, v40
	v_sub_f32_e32 v39, v37, v36
	v_pk_add_f32 v[42:43], v[36:37], v[38:39] neg_lo:[0,1] neg_hi:[0,1]
	v_mov_b32_e32 v41, v36
	v_pk_add_f32 v[36:37], v[42:43], v[40:41] neg_lo:[0,1] neg_hi:[0,1]
	v_cvt_f32_i32_e32 v38, v44
	v_add_f32_e32 v37, v45, v37
	v_add_f32_e32 v36, v36, v37
	;; [unrolled: 1-line block ×4, first 2 shown]
	v_sub_f32_e32 v37, v39, v49
	v_mul_f32_e32 v36, v47, v36
	v_sub_f32_e32 v37, v48, v37
	v_add_f32_e32 v36, v37, v36
	v_add_f32_e32 v40, v39, v36
	v_mul_f32_e32 v42, v40, v40
	v_mov_b32_e32 v37, 0x3ecc95a3
	v_sub_f32_e32 v39, v40, v39
	v_fmac_f32_e32 v37, 0x3e9b6dac, v42
	v_sub_f32_e32 v36, v36, v39
	v_fmaak_f32 v37, v42, v37, 0x3f2aaada
	v_ldexp_f32 v43, v36, 1
	v_mul_f32_e32 v39, v40, v42
	v_mov_b32_e32 v36, 0x3f317218
	v_pk_mul_f32 v[36:37], v[38:39], v[36:37]
	v_ldexp_f32 v41, v40, 1
	v_fma_f32 v39, v38, s58, -v36
	v_fmamk_f32 v40, v38, 0xb102e308, v39
	v_pk_add_f32 v[38:39], v[36:37], v[40:41]
	v_mov_b32_e32 v42, v36
	v_sub_f32_e32 v41, v39, v41
	v_sub_f32_e32 v41, v37, v41
	v_add_f32_e32 v43, v43, v41
	v_pk_add_f32 v[36:37], v[38:39], v[36:37] neg_lo:[0,1] neg_hi:[0,1]
	v_pk_add_f32 v[44:45], v[38:39], v[42:43]
	v_mov_b32_e32 v41, v38
	v_mov_b32_e32 v37, v45
	v_pk_add_f32 v[46:47], v[40:41], v[36:37] neg_lo:[0,1] neg_hi:[0,1]
	v_pk_add_f32 v[36:37], v[40:41], v[36:37]
	v_mov_b32_e32 v42, v43
	v_pk_add_f32 v[40:41], v[36:37], v[38:39] op_sel:[1,0] op_sel_hi:[0,1] neg_lo:[0,1] neg_hi:[0,1]
	v_pk_add_f32 v[48:49], v[44:45], v[40:41] op_sel_hi:[1,0] neg_lo:[0,1] neg_hi:[0,1]
	v_mov_b32_e32 v44, v45
	v_mov_b32_e32 v45, v37
	v_pk_mov_b32 v[40:41], v[38:39], v[40:41] op_sel:[1,0]
	v_mov_b32_e32 v43, v38
	v_pk_add_f32 v[40:41], v[44:45], v[40:41] neg_lo:[0,1] neg_hi:[0,1]
	v_mov_b32_e32 v48, v46
	v_pk_add_f32 v[38:39], v[42:43], v[40:41] neg_lo:[0,1] neg_hi:[0,1]
	v_mov_b32_e32 v47, v37
	v_pk_add_f32 v[40:41], v[48:49], v[38:39]
	v_cmp_neq_f32_e64 s[58:59], s62, v19
	v_pk_add_f32 v[42:43], v[40:41], v[40:41] op_sel:[0,1] op_sel_hi:[1,0]
	s_nop 0
	v_pk_add_f32 v[36:37], v[36:37], v[42:43] op_sel:[1,0] op_sel_hi:[0,1]
	v_mov_b32_e32 v41, v36
	v_pk_add_f32 v[44:45], v[40:41], v[46:47] neg_lo:[0,1] neg_hi:[0,1]
	v_mov_b32_e32 v39, v42
	v_sub_f32_e32 v37, v40, v44
	v_pk_add_f32 v[38:39], v[38:39], v[44:45] neg_lo:[0,1] neg_hi:[0,1]
	v_sub_f32_e32 v37, v46, v37
	v_add_f32_e32 v37, v38, v37
	v_add_f32_e32 v37, v37, v39
	;; [unrolled: 1-line block ×3, first 2 shown]
	v_cndmask_b32_e64 v36, v50, v36, s[58:59]
	s_mov_b32 s58, 0x33800000
	v_cmp_lt_f32_e64 s[58:59], |v19|, s58
	s_nop 1
	v_cndmask_b32_e64 v19, v36, v19, s[58:59]
	v_add_f32_e32 v19, v18, v19
.LBB105_87:
	s_or_b64 exec, exec, s[60:61]
	v_cmp_eq_u32_e64 s[58:59], 0, v0
	; wave barrier
	s_nop 1
	v_cndmask_b32_e64 v19, v19, v35, s[58:59]
	ds_write_b32 v34, v19
	; wave barrier
	ds_read_b32 v18, v34 offset:4
	v_max_f32_e32 v36, v19, v19
	v_cmp_u_f32_e64 s[58:59], v19, v19
	s_waitcnt lgkmcnt(0)
	v_max_f32_e32 v37, v18, v18
	v_min_f32_e32 v35, v36, v37
	v_max_f32_e32 v36, v36, v37
	v_cndmask_b32_e64 v35, v35, v19, s[58:59]
	v_cmp_u_f32_e64 s[60:61], v18, v18
	v_cndmask_b32_e64 v36, v36, v19, s[58:59]
	s_nop 0
	v_cndmask_b32_e64 v35, v35, v18, s[60:61]
	v_cndmask_b32_e64 v18, v36, v18, s[60:61]
	v_cmp_neq_f32_e64 s[58:59], v35, v18
	v_cmp_class_f32_e64 s[60:61], v35, s33
	s_or_b64 s[58:59], s[58:59], s[60:61]
	s_and_saveexec_b64 s[60:61], s[58:59]
	s_cbranch_execz .LBB105_89
; %bb.88:
	v_sub_f32_e32 v19, v35, v18
	s_mov_b32 s33, 0x3fb8aa3b
	v_mul_f32_e32 v35, 0x3fb8aa3b, v19
	v_fma_f32 v36, v19, s33, -v35
	v_rndne_f32_e32 v37, v35
	v_fmamk_f32 v36, v19, 0x32a5705f, v36
	v_sub_f32_e32 v35, v35, v37
	v_add_f32_e32 v35, v35, v36
	v_exp_f32_e32 v35, v35
	v_cvt_i32_f32_e32 v36, v37
	s_mov_b32 s33, 0xc2ce8ed0
	v_cmp_ngt_f32_e64 s[58:59], s33, v19
	s_mov_b32 s33, 0x42b17218
	v_ldexp_f32 v35, v35, v36
	v_cndmask_b32_e64 v35, 0, v35, s[58:59]
	v_mov_b32_e32 v50, 0x7f800000
	v_cmp_nlt_f32_e64 s[58:59], s33, v19
	s_mov_b32 s33, 0x3f2aaaab
	s_mov_b32 s62, 0x7f800000
	v_cndmask_b32_e64 v19, v50, v35, s[58:59]
	v_add_f32_e32 v35, 1.0, v19
	v_add_f32_e32 v36, -1.0, v35
	v_sub_f32_e32 v37, v36, v35
	v_add_f32_e32 v37, 1.0, v37
	v_sub_f32_e32 v36, v19, v36
	v_add_f32_e32 v38, v36, v37
	v_frexp_mant_f32_e32 v39, v35
	v_cvt_f64_f32_e32 v[36:37], v35
	v_frexp_exp_i32_f64_e32 v36, v[36:37]
	v_cmp_gt_f32_e64 s[58:59], s33, v39
	s_mov_b32 s33, 0x3f317218
	s_nop 0
	v_subbrev_co_u32_e64 v44, s[58:59], 0, v36, s[58:59]
	v_sub_u32_e32 v36, 0, v44
	v_ldexp_f32 v35, v35, v36
	v_ldexp_f32 v36, v38, v36
	v_add_f32_e32 v38, -1.0, v35
	v_add_f32_e32 v37, 1.0, v38
	v_sub_f32_e32 v37, v35, v37
	v_add_f32_e32 v39, v36, v37
	v_add_f32_e32 v37, 1.0, v35
	v_add_f32_e32 v40, -1.0, v37
	v_sub_f32_e32 v35, v35, v40
	v_add_f32_e32 v35, v36, v35
	v_add_f32_e32 v45, v37, v35
	v_rcp_f32_e32 v46, v45
	v_sub_f32_e32 v36, v37, v45
	v_add_f32_e32 v37, v38, v39
	v_add_f32_e32 v35, v35, v36
	v_mul_f32_e32 v48, v37, v46
	v_sub_f32_e32 v36, v38, v37
	v_mul_f32_e32 v38, v45, v48
	v_fma_f32 v40, v48, v45, -v38
	v_fmac_f32_e32 v40, v48, v35
	v_add_f32_e32 v47, v39, v36
	v_add_f32_e32 v36, v38, v40
	v_sub_f32_e32 v39, v37, v36
	v_pk_add_f32 v[42:43], v[36:37], v[38:39] neg_lo:[0,1] neg_hi:[0,1]
	v_mov_b32_e32 v41, v36
	v_pk_add_f32 v[36:37], v[42:43], v[40:41] neg_lo:[0,1] neg_hi:[0,1]
	v_cmp_neq_f32_e64 s[58:59], s62, v19
	v_add_f32_e32 v37, v47, v37
	v_add_f32_e32 v36, v36, v37
	;; [unrolled: 1-line block ×3, first 2 shown]
	v_mul_f32_e32 v47, v46, v37
	v_mul_f32_e32 v38, v45, v47
	v_fma_f32 v40, v47, v45, -v38
	v_fmac_f32_e32 v40, v47, v35
	v_sub_f32_e32 v35, v39, v37
	v_add_f32_e32 v35, v36, v35
	v_add_f32_e32 v36, v38, v40
	v_sub_f32_e32 v39, v37, v36
	v_pk_add_f32 v[42:43], v[36:37], v[38:39] neg_lo:[0,1] neg_hi:[0,1]
	v_mov_b32_e32 v41, v36
	v_pk_add_f32 v[36:37], v[42:43], v[40:41] neg_lo:[0,1] neg_hi:[0,1]
	v_cvt_f32_i32_e32 v38, v44
	v_add_f32_e32 v35, v35, v37
	v_add_f32_e32 v35, v36, v35
	;; [unrolled: 1-line block ×4, first 2 shown]
	v_sub_f32_e32 v37, v36, v48
	v_mul_f32_e32 v35, v46, v35
	v_sub_f32_e32 v37, v47, v37
	v_add_f32_e32 v35, v37, v35
	v_add_f32_e32 v39, v36, v35
	v_mul_f32_e32 v40, v39, v39
	v_mov_b32_e32 v37, 0x3ecc95a3
	v_fmac_f32_e32 v37, 0x3e9b6dac, v40
	v_sub_f32_e32 v36, v39, v36
	v_fmaak_f32 v37, v40, v37, 0x3f2aaada
	v_sub_f32_e32 v35, v35, v36
	v_ldexp_f32 v41, v39, 1
	v_mul_f32_e32 v39, v39, v40
	v_mov_b32_e32 v36, 0x3f317218
	v_pk_mul_f32 v[36:37], v[38:39], v[36:37]
	v_ldexp_f32 v35, v35, 1
	v_fma_f32 v39, v38, s33, -v36
	v_fmamk_f32 v40, v38, 0xb102e308, v39
	v_pk_add_f32 v[38:39], v[36:37], v[40:41]
	v_mov_b32_e32 v42, v36
	v_sub_f32_e32 v41, v39, v41
	v_sub_f32_e32 v41, v37, v41
	v_add_f32_e32 v43, v35, v41
	v_pk_add_f32 v[36:37], v[38:39], v[36:37] neg_lo:[0,1] neg_hi:[0,1]
	v_pk_add_f32 v[44:45], v[38:39], v[42:43]
	v_mov_b32_e32 v41, v38
	v_mov_b32_e32 v37, v45
	v_pk_add_f32 v[46:47], v[40:41], v[36:37] neg_lo:[0,1] neg_hi:[0,1]
	v_pk_add_f32 v[36:37], v[40:41], v[36:37]
	v_mov_b32_e32 v42, v43
	v_pk_add_f32 v[40:41], v[36:37], v[38:39] op_sel:[1,0] op_sel_hi:[0,1] neg_lo:[0,1] neg_hi:[0,1]
	v_pk_add_f32 v[48:49], v[44:45], v[40:41] op_sel_hi:[1,0] neg_lo:[0,1] neg_hi:[0,1]
	v_mov_b32_e32 v44, v45
	v_mov_b32_e32 v45, v37
	v_pk_mov_b32 v[40:41], v[38:39], v[40:41] op_sel:[1,0]
	v_mov_b32_e32 v43, v38
	v_pk_add_f32 v[40:41], v[44:45], v[40:41] neg_lo:[0,1] neg_hi:[0,1]
	v_mov_b32_e32 v48, v46
	v_pk_add_f32 v[38:39], v[42:43], v[40:41] neg_lo:[0,1] neg_hi:[0,1]
	v_mov_b32_e32 v47, v37
	v_pk_add_f32 v[40:41], v[48:49], v[38:39]
	s_mov_b32 s33, 0x33800000
	v_pk_add_f32 v[42:43], v[40:41], v[40:41] op_sel:[0,1] op_sel_hi:[1,0]
	s_nop 0
	v_pk_add_f32 v[36:37], v[36:37], v[42:43] op_sel:[1,0] op_sel_hi:[0,1]
	v_mov_b32_e32 v41, v36
	v_pk_add_f32 v[44:45], v[40:41], v[46:47] neg_lo:[0,1] neg_hi:[0,1]
	v_mov_b32_e32 v39, v42
	v_sub_f32_e32 v35, v40, v44
	v_pk_add_f32 v[38:39], v[38:39], v[44:45] neg_lo:[0,1] neg_hi:[0,1]
	v_sub_f32_e32 v35, v46, v35
	v_add_f32_e32 v35, v38, v35
	v_add_f32_e32 v35, v35, v39
	;; [unrolled: 1-line block ×3, first 2 shown]
	v_cndmask_b32_e64 v35, v50, v35, s[58:59]
	v_cmp_lt_f32_e64 s[58:59], |v19|, s33
	s_nop 1
	v_cndmask_b32_e64 v19, v35, v19, s[58:59]
	v_add_f32_e32 v19, v18, v19
.LBB105_89:
	s_or_b64 exec, exec, s[60:61]
	ds_read_b32 v18, v34 offset:8
	v_max_f32_e32 v36, v19, v19
	v_cmp_u_f32_e64 s[58:59], v19, v19
	s_movk_i32 s33, 0x1f8
	ds_write_b32 v34, v19 offset:4
	s_waitcnt lgkmcnt(1)
	v_max_f32_e32 v37, v18, v18
	v_min_f32_e32 v35, v36, v37
	v_max_f32_e32 v36, v36, v37
	v_cndmask_b32_e64 v35, v35, v19, s[58:59]
	v_cmp_u_f32_e64 s[60:61], v18, v18
	v_cndmask_b32_e64 v36, v36, v19, s[58:59]
	s_nop 0
	v_cndmask_b32_e64 v35, v35, v18, s[60:61]
	v_cndmask_b32_e64 v18, v36, v18, s[60:61]
	v_cmp_neq_f32_e64 s[58:59], v35, v18
	v_cmp_class_f32_e64 s[60:61], v35, s33
	s_or_b64 s[58:59], s[58:59], s[60:61]
	s_and_saveexec_b64 s[60:61], s[58:59]
	s_cbranch_execz .LBB105_91
; %bb.90:
	v_sub_f32_e32 v19, v35, v18
	s_mov_b32 s58, 0x3fb8aa3b
	v_mul_f32_e32 v35, 0x3fb8aa3b, v19
	v_fma_f32 v36, v19, s58, -v35
	v_rndne_f32_e32 v37, v35
	v_fmamk_f32 v36, v19, 0x32a5705f, v36
	v_sub_f32_e32 v35, v35, v37
	v_add_f32_e32 v35, v35, v36
	v_exp_f32_e32 v35, v35
	v_cvt_i32_f32_e32 v36, v37
	s_mov_b32 s58, 0xc2ce8ed0
	v_cmp_ngt_f32_e64 s[58:59], s58, v19
	v_mov_b32_e32 v50, 0x7f800000
	v_ldexp_f32 v35, v35, v36
	v_cndmask_b32_e64 v35, 0, v35, s[58:59]
	s_mov_b32 s58, 0x42b17218
	v_cmp_nlt_f32_e64 s[58:59], s58, v19
	s_mov_b32 s62, 0x7f800000
	s_nop 0
	v_cndmask_b32_e64 v19, v50, v35, s[58:59]
	v_add_f32_e32 v35, 1.0, v19
	v_add_f32_e32 v36, -1.0, v35
	v_sub_f32_e32 v37, v36, v35
	v_add_f32_e32 v37, 1.0, v37
	v_sub_f32_e32 v36, v19, v36
	v_add_f32_e32 v38, v36, v37
	v_frexp_mant_f32_e32 v39, v35
	s_mov_b32 s58, 0x3f2aaaab
	v_cvt_f64_f32_e32 v[36:37], v35
	v_frexp_exp_i32_f64_e32 v36, v[36:37]
	v_cmp_gt_f32_e64 s[58:59], s58, v39
	s_nop 1
	v_subbrev_co_u32_e64 v44, s[58:59], 0, v36, s[58:59]
	v_sub_u32_e32 v36, 0, v44
	v_ldexp_f32 v35, v35, v36
	v_ldexp_f32 v36, v38, v36
	v_add_f32_e32 v38, -1.0, v35
	v_add_f32_e32 v37, 1.0, v38
	v_sub_f32_e32 v37, v35, v37
	v_add_f32_e32 v39, v36, v37
	v_add_f32_e32 v37, 1.0, v35
	v_add_f32_e32 v40, -1.0, v37
	v_sub_f32_e32 v35, v35, v40
	v_add_f32_e32 v35, v36, v35
	v_add_f32_e32 v45, v37, v35
	v_rcp_f32_e32 v46, v45
	v_sub_f32_e32 v36, v37, v45
	v_add_f32_e32 v37, v38, v39
	v_add_f32_e32 v35, v35, v36
	v_mul_f32_e32 v48, v37, v46
	v_sub_f32_e32 v36, v38, v37
	v_mul_f32_e32 v38, v45, v48
	v_fma_f32 v40, v48, v45, -v38
	v_fmac_f32_e32 v40, v48, v35
	v_add_f32_e32 v47, v39, v36
	v_add_f32_e32 v36, v38, v40
	v_sub_f32_e32 v39, v37, v36
	v_pk_add_f32 v[42:43], v[36:37], v[38:39] neg_lo:[0,1] neg_hi:[0,1]
	v_mov_b32_e32 v41, v36
	v_pk_add_f32 v[36:37], v[42:43], v[40:41] neg_lo:[0,1] neg_hi:[0,1]
	s_mov_b32 s58, 0x3f317218
	v_add_f32_e32 v37, v47, v37
	v_add_f32_e32 v36, v36, v37
	;; [unrolled: 1-line block ×3, first 2 shown]
	v_mul_f32_e32 v47, v46, v37
	v_mul_f32_e32 v38, v45, v47
	v_fma_f32 v40, v47, v45, -v38
	v_fmac_f32_e32 v40, v47, v35
	v_sub_f32_e32 v35, v39, v37
	v_add_f32_e32 v35, v36, v35
	v_add_f32_e32 v36, v38, v40
	v_sub_f32_e32 v39, v37, v36
	v_pk_add_f32 v[42:43], v[36:37], v[38:39] neg_lo:[0,1] neg_hi:[0,1]
	v_mov_b32_e32 v41, v36
	v_pk_add_f32 v[36:37], v[42:43], v[40:41] neg_lo:[0,1] neg_hi:[0,1]
	v_cvt_f32_i32_e32 v38, v44
	v_add_f32_e32 v35, v35, v37
	v_add_f32_e32 v35, v36, v35
	;; [unrolled: 1-line block ×4, first 2 shown]
	v_sub_f32_e32 v37, v36, v48
	v_mul_f32_e32 v35, v46, v35
	v_sub_f32_e32 v37, v47, v37
	v_add_f32_e32 v35, v37, v35
	v_add_f32_e32 v39, v36, v35
	v_mul_f32_e32 v40, v39, v39
	v_mov_b32_e32 v37, 0x3ecc95a3
	v_fmac_f32_e32 v37, 0x3e9b6dac, v40
	v_sub_f32_e32 v36, v39, v36
	v_fmaak_f32 v37, v40, v37, 0x3f2aaada
	v_sub_f32_e32 v35, v35, v36
	v_ldexp_f32 v41, v39, 1
	v_mul_f32_e32 v39, v39, v40
	v_mov_b32_e32 v36, 0x3f317218
	v_pk_mul_f32 v[36:37], v[38:39], v[36:37]
	v_ldexp_f32 v35, v35, 1
	v_fma_f32 v39, v38, s58, -v36
	v_fmamk_f32 v40, v38, 0xb102e308, v39
	v_pk_add_f32 v[38:39], v[36:37], v[40:41]
	v_mov_b32_e32 v42, v36
	v_sub_f32_e32 v41, v39, v41
	v_sub_f32_e32 v41, v37, v41
	v_add_f32_e32 v43, v35, v41
	v_pk_add_f32 v[36:37], v[38:39], v[36:37] neg_lo:[0,1] neg_hi:[0,1]
	v_pk_add_f32 v[44:45], v[38:39], v[42:43]
	v_mov_b32_e32 v41, v38
	v_mov_b32_e32 v37, v45
	v_pk_add_f32 v[46:47], v[40:41], v[36:37] neg_lo:[0,1] neg_hi:[0,1]
	v_pk_add_f32 v[36:37], v[40:41], v[36:37]
	v_mov_b32_e32 v42, v43
	v_pk_add_f32 v[40:41], v[36:37], v[38:39] op_sel:[1,0] op_sel_hi:[0,1] neg_lo:[0,1] neg_hi:[0,1]
	v_pk_add_f32 v[48:49], v[44:45], v[40:41] op_sel_hi:[1,0] neg_lo:[0,1] neg_hi:[0,1]
	v_mov_b32_e32 v44, v45
	v_mov_b32_e32 v45, v37
	v_pk_mov_b32 v[40:41], v[38:39], v[40:41] op_sel:[1,0]
	v_mov_b32_e32 v43, v38
	v_pk_add_f32 v[40:41], v[44:45], v[40:41] neg_lo:[0,1] neg_hi:[0,1]
	v_mov_b32_e32 v48, v46
	v_pk_add_f32 v[38:39], v[42:43], v[40:41] neg_lo:[0,1] neg_hi:[0,1]
	v_mov_b32_e32 v47, v37
	v_pk_add_f32 v[40:41], v[48:49], v[38:39]
	v_cmp_neq_f32_e64 s[58:59], s62, v19
	v_pk_add_f32 v[42:43], v[40:41], v[40:41] op_sel:[0,1] op_sel_hi:[1,0]
	s_nop 0
	v_pk_add_f32 v[36:37], v[36:37], v[42:43] op_sel:[1,0] op_sel_hi:[0,1]
	v_mov_b32_e32 v41, v36
	v_pk_add_f32 v[44:45], v[40:41], v[46:47] neg_lo:[0,1] neg_hi:[0,1]
	v_mov_b32_e32 v39, v42
	v_sub_f32_e32 v35, v40, v44
	v_pk_add_f32 v[38:39], v[38:39], v[44:45] neg_lo:[0,1] neg_hi:[0,1]
	v_sub_f32_e32 v35, v46, v35
	v_add_f32_e32 v35, v38, v35
	v_add_f32_e32 v35, v35, v39
	;; [unrolled: 1-line block ×3, first 2 shown]
	v_cndmask_b32_e64 v35, v50, v35, s[58:59]
	s_mov_b32 s58, 0x33800000
	v_cmp_lt_f32_e64 s[58:59], |v19|, s58
	s_nop 1
	v_cndmask_b32_e64 v19, v35, v19, s[58:59]
	v_add_f32_e32 v19, v18, v19
.LBB105_91:
	s_or_b64 exec, exec, s[60:61]
	ds_read_b32 v18, v34 offset:12
	v_max_f32_e32 v36, v19, v19
	v_cmp_u_f32_e64 s[58:59], v19, v19
	ds_write_b32 v34, v19 offset:8
	s_waitcnt lgkmcnt(1)
	v_max_f32_e32 v37, v18, v18
	v_min_f32_e32 v35, v36, v37
	v_max_f32_e32 v36, v36, v37
	v_cndmask_b32_e64 v35, v35, v19, s[58:59]
	v_cmp_u_f32_e64 s[60:61], v18, v18
	v_cndmask_b32_e64 v36, v36, v19, s[58:59]
	s_nop 0
	v_cndmask_b32_e64 v35, v35, v18, s[60:61]
	v_cndmask_b32_e64 v18, v36, v18, s[60:61]
	v_cmp_neq_f32_e64 s[58:59], v35, v18
	v_cmp_class_f32_e64 s[60:61], v35, s33
	s_or_b64 s[58:59], s[58:59], s[60:61]
	s_and_saveexec_b64 s[60:61], s[58:59]
	s_cbranch_execz .LBB105_93
; %bb.92:
	v_sub_f32_e32 v19, v35, v18
	s_mov_b32 s33, 0x3fb8aa3b
	v_mul_f32_e32 v35, 0x3fb8aa3b, v19
	v_fma_f32 v36, v19, s33, -v35
	v_rndne_f32_e32 v37, v35
	v_fmamk_f32 v36, v19, 0x32a5705f, v36
	v_sub_f32_e32 v35, v35, v37
	v_add_f32_e32 v35, v35, v36
	v_exp_f32_e32 v35, v35
	v_cvt_i32_f32_e32 v36, v37
	s_mov_b32 s33, 0xc2ce8ed0
	v_cmp_ngt_f32_e64 s[58:59], s33, v19
	s_mov_b32 s33, 0x42b17218
	v_ldexp_f32 v35, v35, v36
	v_cndmask_b32_e64 v35, 0, v35, s[58:59]
	v_mov_b32_e32 v50, 0x7f800000
	v_cmp_nlt_f32_e64 s[58:59], s33, v19
	s_mov_b32 s33, 0x3f2aaaab
	s_mov_b32 s62, 0x7f800000
	v_cndmask_b32_e64 v19, v50, v35, s[58:59]
	v_add_f32_e32 v35, 1.0, v19
	v_add_f32_e32 v36, -1.0, v35
	v_sub_f32_e32 v37, v36, v35
	v_add_f32_e32 v37, 1.0, v37
	v_sub_f32_e32 v36, v19, v36
	v_add_f32_e32 v38, v36, v37
	v_frexp_mant_f32_e32 v39, v35
	v_cvt_f64_f32_e32 v[36:37], v35
	v_frexp_exp_i32_f64_e32 v36, v[36:37]
	v_cmp_gt_f32_e64 s[58:59], s33, v39
	s_mov_b32 s33, 0x3f317218
	s_nop 0
	v_subbrev_co_u32_e64 v44, s[58:59], 0, v36, s[58:59]
	v_sub_u32_e32 v36, 0, v44
	v_ldexp_f32 v35, v35, v36
	v_ldexp_f32 v36, v38, v36
	v_add_f32_e32 v38, -1.0, v35
	v_add_f32_e32 v37, 1.0, v38
	v_sub_f32_e32 v37, v35, v37
	v_add_f32_e32 v39, v36, v37
	v_add_f32_e32 v37, 1.0, v35
	v_add_f32_e32 v40, -1.0, v37
	v_sub_f32_e32 v35, v35, v40
	v_add_f32_e32 v35, v36, v35
	v_add_f32_e32 v45, v37, v35
	v_rcp_f32_e32 v46, v45
	v_sub_f32_e32 v36, v37, v45
	v_add_f32_e32 v37, v38, v39
	v_add_f32_e32 v35, v35, v36
	v_mul_f32_e32 v48, v37, v46
	v_sub_f32_e32 v36, v38, v37
	v_mul_f32_e32 v38, v45, v48
	v_fma_f32 v40, v48, v45, -v38
	v_fmac_f32_e32 v40, v48, v35
	v_add_f32_e32 v47, v39, v36
	v_add_f32_e32 v36, v38, v40
	v_sub_f32_e32 v39, v37, v36
	v_pk_add_f32 v[42:43], v[36:37], v[38:39] neg_lo:[0,1] neg_hi:[0,1]
	v_mov_b32_e32 v41, v36
	v_pk_add_f32 v[36:37], v[42:43], v[40:41] neg_lo:[0,1] neg_hi:[0,1]
	v_cmp_neq_f32_e64 s[58:59], s62, v19
	v_add_f32_e32 v37, v47, v37
	v_add_f32_e32 v36, v36, v37
	;; [unrolled: 1-line block ×3, first 2 shown]
	v_mul_f32_e32 v47, v46, v37
	v_mul_f32_e32 v38, v45, v47
	v_fma_f32 v40, v47, v45, -v38
	v_fmac_f32_e32 v40, v47, v35
	v_sub_f32_e32 v35, v39, v37
	v_add_f32_e32 v35, v36, v35
	v_add_f32_e32 v36, v38, v40
	v_sub_f32_e32 v39, v37, v36
	v_pk_add_f32 v[42:43], v[36:37], v[38:39] neg_lo:[0,1] neg_hi:[0,1]
	v_mov_b32_e32 v41, v36
	v_pk_add_f32 v[36:37], v[42:43], v[40:41] neg_lo:[0,1] neg_hi:[0,1]
	v_cvt_f32_i32_e32 v38, v44
	v_add_f32_e32 v35, v35, v37
	v_add_f32_e32 v35, v36, v35
	;; [unrolled: 1-line block ×4, first 2 shown]
	v_sub_f32_e32 v37, v36, v48
	v_mul_f32_e32 v35, v46, v35
	v_sub_f32_e32 v37, v47, v37
	v_add_f32_e32 v35, v37, v35
	v_add_f32_e32 v39, v36, v35
	v_mul_f32_e32 v40, v39, v39
	v_mov_b32_e32 v37, 0x3ecc95a3
	v_fmac_f32_e32 v37, 0x3e9b6dac, v40
	v_sub_f32_e32 v36, v39, v36
	v_fmaak_f32 v37, v40, v37, 0x3f2aaada
	v_sub_f32_e32 v35, v35, v36
	v_ldexp_f32 v41, v39, 1
	v_mul_f32_e32 v39, v39, v40
	v_mov_b32_e32 v36, 0x3f317218
	v_pk_mul_f32 v[36:37], v[38:39], v[36:37]
	v_ldexp_f32 v35, v35, 1
	v_fma_f32 v39, v38, s33, -v36
	v_fmamk_f32 v40, v38, 0xb102e308, v39
	v_pk_add_f32 v[38:39], v[36:37], v[40:41]
	v_mov_b32_e32 v42, v36
	v_sub_f32_e32 v41, v39, v41
	v_sub_f32_e32 v41, v37, v41
	v_add_f32_e32 v43, v35, v41
	v_pk_add_f32 v[36:37], v[38:39], v[36:37] neg_lo:[0,1] neg_hi:[0,1]
	v_pk_add_f32 v[44:45], v[38:39], v[42:43]
	v_mov_b32_e32 v41, v38
	v_mov_b32_e32 v37, v45
	v_pk_add_f32 v[46:47], v[40:41], v[36:37] neg_lo:[0,1] neg_hi:[0,1]
	v_pk_add_f32 v[36:37], v[40:41], v[36:37]
	v_mov_b32_e32 v42, v43
	v_pk_add_f32 v[40:41], v[36:37], v[38:39] op_sel:[1,0] op_sel_hi:[0,1] neg_lo:[0,1] neg_hi:[0,1]
	v_pk_add_f32 v[48:49], v[44:45], v[40:41] op_sel_hi:[1,0] neg_lo:[0,1] neg_hi:[0,1]
	v_mov_b32_e32 v44, v45
	v_mov_b32_e32 v45, v37
	v_pk_mov_b32 v[40:41], v[38:39], v[40:41] op_sel:[1,0]
	v_mov_b32_e32 v43, v38
	v_pk_add_f32 v[40:41], v[44:45], v[40:41] neg_lo:[0,1] neg_hi:[0,1]
	v_mov_b32_e32 v48, v46
	v_pk_add_f32 v[38:39], v[42:43], v[40:41] neg_lo:[0,1] neg_hi:[0,1]
	v_mov_b32_e32 v47, v37
	v_pk_add_f32 v[40:41], v[48:49], v[38:39]
	s_mov_b32 s33, 0x33800000
	v_pk_add_f32 v[42:43], v[40:41], v[40:41] op_sel:[0,1] op_sel_hi:[1,0]
	s_nop 0
	v_pk_add_f32 v[36:37], v[36:37], v[42:43] op_sel:[1,0] op_sel_hi:[0,1]
	v_mov_b32_e32 v41, v36
	v_pk_add_f32 v[44:45], v[40:41], v[46:47] neg_lo:[0,1] neg_hi:[0,1]
	v_mov_b32_e32 v39, v42
	v_sub_f32_e32 v35, v40, v44
	v_pk_add_f32 v[38:39], v[38:39], v[44:45] neg_lo:[0,1] neg_hi:[0,1]
	v_sub_f32_e32 v35, v46, v35
	v_add_f32_e32 v35, v38, v35
	v_add_f32_e32 v35, v35, v39
	;; [unrolled: 1-line block ×3, first 2 shown]
	v_cndmask_b32_e64 v35, v50, v35, s[58:59]
	v_cmp_lt_f32_e64 s[58:59], |v19|, s33
	s_nop 1
	v_cndmask_b32_e64 v19, v35, v19, s[58:59]
	v_add_f32_e32 v19, v18, v19
.LBB105_93:
	s_or_b64 exec, exec, s[60:61]
	ds_write_b32 v34, v19 offset:12
.LBB105_94:
	s_or_b64 exec, exec, s[64:65]
	s_load_dwordx2 s[58:59], s[0:1], 0x18
	v_mul_u32_u24_e32 v18, 52, v0
	v_cmp_ne_u32_e64 s[0:1], 0, v0
	s_waitcnt lgkmcnt(0)
	s_barrier
	s_and_saveexec_b64 s[60:61], s[0:1]
	s_cbranch_execz .LBB105_98
; %bb.95:
	v_add_u32_e32 v0, -1, v0
	v_lshrrev_b32_e32 v19, 3, v0
	v_and_b32_e32 v19, 0x1ffffffc, v19
	v_lshl_add_u32 v0, v0, 2, v19
	ds_read_b32 v19, v0
	s_movk_i32 s33, 0x1f8
	s_waitcnt lgkmcnt(0)
	v_max_f32_e32 v0, v19, v19
	v_min_f32_e32 v31, v0, v32
	v_max_f32_e32 v0, v0, v32
	v_cmp_u_f32_e64 s[0:1], v19, v19
	s_nop 1
	v_cndmask_b32_e64 v31, v31, v19, s[0:1]
	v_cndmask_b32_e64 v0, v0, v19, s[0:1]
	;; [unrolled: 1-line block ×4, first 2 shown]
	v_cmp_neq_f32_e64 s[0:1], v31, v0
	v_cmp_class_f32_e64 s[56:57], v31, s33
	s_or_b64 s[0:1], s[0:1], s[56:57]
	s_and_saveexec_b64 s[56:57], s[0:1]
	s_cbranch_execz .LBB105_97
; %bb.96:
	v_sub_f32_e32 v2, v31, v0
	s_mov_b32 s0, 0x3fb8aa3b
	v_mul_f32_e32 v19, 0x3fb8aa3b, v2
	v_fma_f32 v31, v2, s0, -v19
	v_rndne_f32_e32 v32, v19
	v_fmamk_f32 v31, v2, 0x32a5705f, v31
	v_sub_f32_e32 v19, v19, v32
	v_add_f32_e32 v19, v19, v31
	v_exp_f32_e32 v19, v19
	v_cvt_i32_f32_e32 v31, v32
	s_mov_b32 s0, 0xc2ce8ed0
	v_cmp_ngt_f32_e64 s[0:1], s0, v2
	s_mov_b32 s33, 0x7f800000
	v_ldexp_f32 v19, v19, v31
	v_cndmask_b32_e64 v19, 0, v19, s[0:1]
	s_mov_b32 s0, 0x42b17218
	v_mov_b32_e32 v31, 0x7f800000
	v_cmp_nlt_f32_e64 s[0:1], s0, v2
	s_nop 1
	v_cndmask_b32_e64 v2, v31, v19, s[0:1]
	v_add_f32_e32 v19, 1.0, v2
	v_add_f32_e32 v32, -1.0, v19
	v_sub_f32_e32 v33, v32, v19
	v_add_f32_e32 v33, 1.0, v33
	v_sub_f32_e32 v32, v2, v32
	v_add_f32_e32 v34, v32, v33
	v_frexp_mant_f32_e32 v35, v19
	s_mov_b32 s0, 0x3f2aaaab
	v_cvt_f64_f32_e32 v[32:33], v19
	v_frexp_exp_i32_f64_e32 v32, v[32:33]
	v_cmp_gt_f32_e64 s[0:1], s0, v35
	s_nop 1
	v_subbrev_co_u32_e64 v40, s[0:1], 0, v32, s[0:1]
	v_sub_u32_e32 v32, 0, v40
	v_ldexp_f32 v19, v19, v32
	v_ldexp_f32 v32, v34, v32
	v_add_f32_e32 v34, -1.0, v19
	v_add_f32_e32 v33, 1.0, v34
	v_sub_f32_e32 v33, v19, v33
	v_add_f32_e32 v35, v32, v33
	v_add_f32_e32 v33, 1.0, v19
	v_add_f32_e32 v36, -1.0, v33
	v_sub_f32_e32 v19, v19, v36
	v_add_f32_e32 v19, v32, v19
	v_add_f32_e32 v41, v33, v19
	v_rcp_f32_e32 v42, v41
	v_sub_f32_e32 v32, v33, v41
	v_add_f32_e32 v33, v34, v35
	v_add_f32_e32 v19, v19, v32
	v_mul_f32_e32 v44, v33, v42
	v_sub_f32_e32 v32, v34, v33
	v_mul_f32_e32 v34, v41, v44
	v_fma_f32 v36, v44, v41, -v34
	v_fmac_f32_e32 v36, v44, v19
	v_add_f32_e32 v43, v35, v32
	v_add_f32_e32 v32, v34, v36
	v_sub_f32_e32 v35, v33, v32
	v_pk_add_f32 v[38:39], v[32:33], v[34:35] neg_lo:[0,1] neg_hi:[0,1]
	v_mov_b32_e32 v37, v32
	v_pk_add_f32 v[32:33], v[38:39], v[36:37] neg_lo:[0,1] neg_hi:[0,1]
	s_mov_b32 s0, 0x3f317218
	v_add_f32_e32 v33, v43, v33
	v_add_f32_e32 v32, v32, v33
	;; [unrolled: 1-line block ×3, first 2 shown]
	v_mul_f32_e32 v43, v42, v33
	v_mul_f32_e32 v34, v41, v43
	v_fma_f32 v36, v43, v41, -v34
	v_fmac_f32_e32 v36, v43, v19
	v_sub_f32_e32 v19, v35, v33
	v_add_f32_e32 v19, v32, v19
	v_add_f32_e32 v32, v34, v36
	v_sub_f32_e32 v35, v33, v32
	v_pk_add_f32 v[38:39], v[32:33], v[34:35] neg_lo:[0,1] neg_hi:[0,1]
	v_mov_b32_e32 v37, v32
	v_pk_add_f32 v[32:33], v[38:39], v[36:37] neg_lo:[0,1] neg_hi:[0,1]
	v_cvt_f32_i32_e32 v34, v40
	v_add_f32_e32 v19, v19, v33
	v_add_f32_e32 v19, v32, v19
	;; [unrolled: 1-line block ×4, first 2 shown]
	v_sub_f32_e32 v33, v32, v44
	v_mul_f32_e32 v19, v42, v19
	v_sub_f32_e32 v33, v43, v33
	v_add_f32_e32 v19, v33, v19
	v_add_f32_e32 v35, v32, v19
	v_mul_f32_e32 v36, v35, v35
	v_mov_b32_e32 v33, 0x3ecc95a3
	v_fmac_f32_e32 v33, 0x3e9b6dac, v36
	v_sub_f32_e32 v32, v35, v32
	v_fmaak_f32 v33, v36, v33, 0x3f2aaada
	v_sub_f32_e32 v19, v19, v32
	v_ldexp_f32 v37, v35, 1
	v_mul_f32_e32 v35, v35, v36
	v_mov_b32_e32 v32, 0x3f317218
	v_pk_mul_f32 v[32:33], v[34:35], v[32:33]
	v_ldexp_f32 v19, v19, 1
	v_fma_f32 v35, v34, s0, -v32
	v_fmamk_f32 v36, v34, 0xb102e308, v35
	v_pk_add_f32 v[34:35], v[32:33], v[36:37]
	v_mov_b32_e32 v38, v32
	v_sub_f32_e32 v37, v35, v37
	v_sub_f32_e32 v37, v33, v37
	v_add_f32_e32 v39, v19, v37
	v_pk_add_f32 v[32:33], v[34:35], v[32:33] neg_lo:[0,1] neg_hi:[0,1]
	v_pk_add_f32 v[40:41], v[34:35], v[38:39]
	v_mov_b32_e32 v37, v34
	v_mov_b32_e32 v33, v41
	v_pk_add_f32 v[42:43], v[36:37], v[32:33] neg_lo:[0,1] neg_hi:[0,1]
	v_pk_add_f32 v[32:33], v[36:37], v[32:33]
	v_mov_b32_e32 v38, v39
	v_pk_add_f32 v[36:37], v[32:33], v[34:35] op_sel:[1,0] op_sel_hi:[0,1] neg_lo:[0,1] neg_hi:[0,1]
	v_pk_add_f32 v[44:45], v[40:41], v[36:37] op_sel_hi:[1,0] neg_lo:[0,1] neg_hi:[0,1]
	v_mov_b32_e32 v40, v41
	v_mov_b32_e32 v41, v33
	v_pk_mov_b32 v[36:37], v[34:35], v[36:37] op_sel:[1,0]
	v_mov_b32_e32 v39, v34
	v_pk_add_f32 v[36:37], v[40:41], v[36:37] neg_lo:[0,1] neg_hi:[0,1]
	v_mov_b32_e32 v44, v42
	v_pk_add_f32 v[34:35], v[38:39], v[36:37] neg_lo:[0,1] neg_hi:[0,1]
	v_mov_b32_e32 v43, v33
	v_pk_add_f32 v[36:37], v[44:45], v[34:35]
	v_cmp_neq_f32_e64 s[0:1], s33, v2
	v_pk_add_f32 v[38:39], v[36:37], v[36:37] op_sel:[0,1] op_sel_hi:[1,0]
	s_nop 0
	v_pk_add_f32 v[32:33], v[32:33], v[38:39] op_sel:[1,0] op_sel_hi:[0,1]
	v_mov_b32_e32 v37, v32
	v_pk_add_f32 v[40:41], v[36:37], v[42:43] neg_lo:[0,1] neg_hi:[0,1]
	v_mov_b32_e32 v35, v38
	v_sub_f32_e32 v19, v36, v40
	v_pk_add_f32 v[34:35], v[34:35], v[40:41] neg_lo:[0,1] neg_hi:[0,1]
	v_sub_f32_e32 v19, v42, v19
	v_add_f32_e32 v19, v34, v19
	v_add_f32_e32 v19, v19, v35
	;; [unrolled: 1-line block ×3, first 2 shown]
	v_cndmask_b32_e64 v19, v31, v19, s[0:1]
	s_mov_b32 s0, 0x33800000
	v_cmp_lt_f32_e64 s[0:1], |v2|, s0
	s_nop 1
	v_cndmask_b32_e64 v2, v19, v2, s[0:1]
	v_add_f32_e32 v19, v0, v2
.LBB105_97:
	s_or_b64 exec, exec, s[56:57]
	v_max_f32_e32 v0, v19, v19
	v_min_f32_e32 v31, v0, v24
	v_max_f32_e32 v33, v0, v24
	v_mov_b32_e32 v2, v19
	;;#ASMSTART
	;;#ASMEND
.LBB105_98:
	s_or_b64 exec, exec, s[60:61]
	v_cmp_u_f32_e64 s[0:1], v2, v2
	s_movk_i32 s33, 0x1f8
	s_nop 0
	v_cndmask_b32_e64 v0, v31, v2, s[0:1]
	v_cndmask_b32_e64 v19, v0, v3, s[28:29]
	;; [unrolled: 1-line block ×4, first 2 shown]
	v_cmp_neq_f32_e64 s[0:1], v19, v0
	v_cmp_class_f32_e64 s[28:29], v19, s33
	s_or_b64 s[0:1], s[0:1], s[28:29]
	v_mov_b32_e32 v3, v2
	s_and_saveexec_b64 s[28:29], s[0:1]
	s_cbranch_execz .LBB105_100
; %bb.99:
	v_sub_f32_e32 v3, v19, v0
	s_mov_b32 s0, 0x3fb8aa3b
	v_mul_f32_e32 v19, 0x3fb8aa3b, v3
	v_fma_f32 v24, v3, s0, -v19
	v_rndne_f32_e32 v31, v19
	v_fmamk_f32 v24, v3, 0x32a5705f, v24
	v_sub_f32_e32 v19, v19, v31
	v_add_f32_e32 v19, v19, v24
	v_exp_f32_e32 v19, v19
	v_cvt_i32_f32_e32 v24, v31
	s_mov_b32 s0, 0xc2ce8ed0
	v_cmp_ngt_f32_e64 s[0:1], s0, v3
	s_mov_b32 s56, 0x7f800000
	v_ldexp_f32 v19, v19, v24
	v_cndmask_b32_e64 v19, 0, v19, s[0:1]
	s_mov_b32 s0, 0x42b17218
	v_mov_b32_e32 v24, 0x7f800000
	v_cmp_nlt_f32_e64 s[0:1], s0, v3
	s_nop 1
	v_cndmask_b32_e64 v3, v24, v19, s[0:1]
	v_add_f32_e32 v19, 1.0, v3
	v_add_f32_e32 v31, -1.0, v19
	v_sub_f32_e32 v32, v31, v19
	v_add_f32_e32 v32, 1.0, v32
	v_sub_f32_e32 v31, v3, v31
	v_add_f32_e32 v31, v31, v32
	v_frexp_mant_f32_e32 v34, v19
	s_mov_b32 s0, 0x3f2aaaab
	v_cvt_f64_f32_e32 v[32:33], v19
	v_frexp_exp_i32_f64_e32 v32, v[32:33]
	v_cmp_gt_f32_e64 s[0:1], s0, v34
	s_nop 1
	v_subbrev_co_u32_e64 v40, s[0:1], 0, v32, s[0:1]
	v_sub_u32_e32 v32, 0, v40
	v_ldexp_f32 v19, v19, v32
	v_ldexp_f32 v31, v31, v32
	v_add_f32_e32 v32, -1.0, v19
	v_add_f32_e32 v33, 1.0, v32
	v_sub_f32_e32 v33, v19, v33
	v_add_f32_e32 v34, v31, v33
	v_add_f32_e32 v33, 1.0, v19
	v_add_f32_e32 v35, -1.0, v33
	v_sub_f32_e32 v19, v19, v35
	v_add_f32_e32 v19, v31, v19
	v_add_f32_e32 v31, v33, v19
	v_rcp_f32_e32 v41, v31
	v_sub_f32_e32 v33, v33, v31
	v_add_f32_e32 v19, v19, v33
	v_add_f32_e32 v33, v32, v34
	v_sub_f32_e32 v32, v32, v33
	v_mul_f32_e32 v43, v33, v41
	v_add_f32_e32 v42, v34, v32
	v_mul_f32_e32 v34, v31, v43
	v_fma_f32 v36, v43, v31, -v34
	v_fmac_f32_e32 v36, v43, v19
	v_add_f32_e32 v32, v34, v36
	v_sub_f32_e32 v35, v33, v32
	v_pk_add_f32 v[38:39], v[32:33], v[34:35] neg_lo:[0,1] neg_hi:[0,1]
	v_mov_b32_e32 v37, v32
	v_pk_add_f32 v[32:33], v[38:39], v[36:37] neg_lo:[0,1] neg_hi:[0,1]
	s_mov_b32 s0, 0x3f317218
	v_add_f32_e32 v33, v42, v33
	v_add_f32_e32 v32, v32, v33
	;; [unrolled: 1-line block ×3, first 2 shown]
	v_mul_f32_e32 v42, v41, v33
	v_mul_f32_e32 v34, v31, v42
	v_fma_f32 v36, v42, v31, -v34
	v_fmac_f32_e32 v36, v42, v19
	v_sub_f32_e32 v19, v35, v33
	v_add_f32_e32 v19, v32, v19
	v_add_f32_e32 v32, v34, v36
	v_sub_f32_e32 v35, v33, v32
	v_pk_add_f32 v[38:39], v[32:33], v[34:35] neg_lo:[0,1] neg_hi:[0,1]
	v_mov_b32_e32 v37, v32
	v_pk_add_f32 v[32:33], v[38:39], v[36:37] neg_lo:[0,1] neg_hi:[0,1]
	v_add_f32_e32 v31, v43, v42
	v_add_f32_e32 v19, v19, v33
	;; [unrolled: 1-line block ×4, first 2 shown]
	v_sub_f32_e32 v32, v31, v43
	v_mul_f32_e32 v19, v41, v19
	v_sub_f32_e32 v32, v42, v32
	v_add_f32_e32 v19, v32, v19
	v_add_f32_e32 v32, v31, v19
	v_cvt_f32_i32_e32 v34, v40
	v_mul_f32_e32 v35, v32, v32
	v_mov_b32_e32 v33, 0x3ecc95a3
	v_fmac_f32_e32 v33, 0x3e9b6dac, v35
	v_fmaak_f32 v33, v35, v33, 0x3f2aaada
	v_sub_f32_e32 v31, v32, v31
	v_ldexp_f32 v37, v32, 1
	v_mul_f32_e32 v35, v32, v35
	v_mov_b32_e32 v32, 0x3f317218
	v_pk_mul_f32 v[32:33], v[34:35], v[32:33]
	v_sub_f32_e32 v19, v19, v31
	v_fma_f32 v31, v34, s0, -v32
	v_fmamk_f32 v36, v34, 0xb102e308, v31
	v_pk_add_f32 v[34:35], v[32:33], v[36:37]
	v_ldexp_f32 v19, v19, 1
	v_sub_f32_e32 v31, v35, v37
	v_sub_f32_e32 v31, v33, v31
	v_add_f32_e32 v39, v19, v31
	v_mov_b32_e32 v38, v32
	v_pk_add_f32 v[32:33], v[34:35], v[32:33] neg_lo:[0,1] neg_hi:[0,1]
	v_pk_add_f32 v[40:41], v[34:35], v[38:39]
	v_mov_b32_e32 v37, v34
	v_mov_b32_e32 v33, v41
	v_pk_add_f32 v[42:43], v[36:37], v[32:33] neg_lo:[0,1] neg_hi:[0,1]
	v_pk_add_f32 v[32:33], v[36:37], v[32:33]
	v_mov_b32_e32 v38, v39
	v_pk_add_f32 v[36:37], v[32:33], v[34:35] op_sel:[1,0] op_sel_hi:[0,1] neg_lo:[0,1] neg_hi:[0,1]
	v_pk_add_f32 v[44:45], v[40:41], v[36:37] op_sel_hi:[1,0] neg_lo:[0,1] neg_hi:[0,1]
	v_mov_b32_e32 v40, v41
	v_mov_b32_e32 v41, v33
	v_pk_mov_b32 v[36:37], v[34:35], v[36:37] op_sel:[1,0]
	v_mov_b32_e32 v39, v34
	v_pk_add_f32 v[36:37], v[40:41], v[36:37] neg_lo:[0,1] neg_hi:[0,1]
	v_mov_b32_e32 v44, v42
	v_pk_add_f32 v[34:35], v[38:39], v[36:37] neg_lo:[0,1] neg_hi:[0,1]
	v_mov_b32_e32 v43, v33
	v_pk_add_f32 v[36:37], v[44:45], v[34:35]
	v_cmp_neq_f32_e64 s[0:1], s56, v3
	v_pk_add_f32 v[38:39], v[36:37], v[36:37] op_sel:[0,1] op_sel_hi:[1,0]
	s_nop 0
	v_pk_add_f32 v[32:33], v[32:33], v[38:39] op_sel:[1,0] op_sel_hi:[0,1]
	v_mov_b32_e32 v37, v32
	v_pk_add_f32 v[40:41], v[36:37], v[42:43] neg_lo:[0,1] neg_hi:[0,1]
	v_mov_b32_e32 v35, v38
	v_sub_f32_e32 v19, v36, v40
	v_pk_add_f32 v[34:35], v[34:35], v[40:41] neg_lo:[0,1] neg_hi:[0,1]
	v_sub_f32_e32 v19, v42, v19
	v_add_f32_e32 v19, v34, v19
	v_add_f32_e32 v19, v19, v35
	v_add_f32_e32 v19, v32, v19
	v_cndmask_b32_e64 v19, v24, v19, s[0:1]
	s_mov_b32 s0, 0x33800000
	v_cmp_lt_f32_e64 s[0:1], |v3|, s0
	s_nop 1
	v_cndmask_b32_e64 v3, v19, v3, s[0:1]
	v_add_f32_e32 v3, v0, v3
.LBB105_100:
	s_or_b64 exec, exec, s[28:29]
	v_max_f32_e32 v0, v3, v3
	v_min_f32_e32 v19, v0, v1
	v_cmp_u_f32_e64 s[0:1], v3, v3
	v_max_f32_e32 v0, v0, v1
	s_nop 0
	v_cndmask_b32_e64 v19, v19, v3, s[0:1]
	v_cndmask_b32_e64 v0, v0, v3, s[0:1]
	v_cndmask_b32_e64 v19, v19, v4, s[30:31]
	v_cndmask_b32_e64 v1, v0, v4, s[30:31]
	v_cmp_neq_f32_e64 s[0:1], v19, v1
	v_cmp_class_f32_e64 s[28:29], v19, s33
	s_or_b64 s[0:1], s[0:1], s[28:29]
	v_mov_b32_e32 v0, v3
	s_and_saveexec_b64 s[28:29], s[0:1]
	s_cbranch_execz .LBB105_102
; %bb.101:
	v_sub_f32_e32 v0, v19, v1
	s_mov_b32 s0, 0x3fb8aa3b
	v_mul_f32_e32 v4, 0x3fb8aa3b, v0
	v_fma_f32 v19, v0, s0, -v4
	v_rndne_f32_e32 v24, v4
	v_fmamk_f32 v19, v0, 0x32a5705f, v19
	v_sub_f32_e32 v4, v4, v24
	v_add_f32_e32 v4, v4, v19
	v_exp_f32_e32 v4, v4
	v_cvt_i32_f32_e32 v19, v24
	s_mov_b32 s0, 0xc2ce8ed0
	v_cmp_ngt_f32_e64 s[0:1], s0, v0
	s_mov_b32 s30, 0x7f800000
	v_ldexp_f32 v4, v4, v19
	v_cndmask_b32_e64 v4, 0, v4, s[0:1]
	s_mov_b32 s0, 0x42b17218
	v_mov_b32_e32 v19, 0x7f800000
	v_cmp_nlt_f32_e64 s[0:1], s0, v0
	s_nop 1
	v_cndmask_b32_e64 v0, v19, v4, s[0:1]
	v_add_f32_e32 v4, 1.0, v0
	v_add_f32_e32 v24, -1.0, v4
	v_sub_f32_e32 v31, v24, v4
	v_add_f32_e32 v31, 1.0, v31
	v_sub_f32_e32 v24, v0, v24
	v_add_f32_e32 v24, v24, v31
	v_frexp_mant_f32_e32 v31, v4
	s_mov_b32 s0, 0x3f2aaaab
	v_cvt_f64_f32_e32 v[32:33], v4
	v_frexp_exp_i32_f64_e32 v32, v[32:33]
	v_cmp_gt_f32_e64 s[0:1], s0, v31
	s_nop 1
	v_subbrev_co_u32_e64 v31, s[0:1], 0, v32, s[0:1]
	v_sub_u32_e32 v32, 0, v31
	v_ldexp_f32 v4, v4, v32
	v_ldexp_f32 v24, v24, v32
	v_add_f32_e32 v32, -1.0, v4
	v_add_f32_e32 v33, 1.0, v32
	v_sub_f32_e32 v33, v4, v33
	v_add_f32_e32 v34, v24, v33
	v_add_f32_e32 v33, 1.0, v4
	v_add_f32_e32 v35, -1.0, v33
	v_sub_f32_e32 v4, v4, v35
	v_add_f32_e32 v4, v24, v4
	v_add_f32_e32 v24, v33, v4
	v_rcp_f32_e32 v40, v24
	v_sub_f32_e32 v33, v33, v24
	v_add_f32_e32 v4, v4, v33
	v_add_f32_e32 v33, v32, v34
	v_sub_f32_e32 v32, v32, v33
	v_mul_f32_e32 v42, v33, v40
	v_add_f32_e32 v41, v34, v32
	v_mul_f32_e32 v34, v24, v42
	v_fma_f32 v36, v42, v24, -v34
	v_fmac_f32_e32 v36, v42, v4
	v_add_f32_e32 v32, v34, v36
	v_sub_f32_e32 v35, v33, v32
	v_pk_add_f32 v[38:39], v[32:33], v[34:35] neg_lo:[0,1] neg_hi:[0,1]
	v_mov_b32_e32 v37, v32
	v_pk_add_f32 v[32:33], v[38:39], v[36:37] neg_lo:[0,1] neg_hi:[0,1]
	s_mov_b32 s0, 0x3f317218
	v_add_f32_e32 v33, v41, v33
	v_add_f32_e32 v32, v32, v33
	;; [unrolled: 1-line block ×3, first 2 shown]
	v_mul_f32_e32 v41, v40, v33
	v_mul_f32_e32 v34, v24, v41
	v_fma_f32 v36, v41, v24, -v34
	v_fmac_f32_e32 v36, v41, v4
	v_sub_f32_e32 v4, v35, v33
	v_add_f32_e32 v4, v32, v4
	v_add_f32_e32 v32, v34, v36
	v_sub_f32_e32 v35, v33, v32
	v_pk_add_f32 v[38:39], v[32:33], v[34:35] neg_lo:[0,1] neg_hi:[0,1]
	v_mov_b32_e32 v37, v32
	v_pk_add_f32 v[32:33], v[38:39], v[36:37] neg_lo:[0,1] neg_hi:[0,1]
	v_add_f32_e32 v24, v42, v41
	v_add_f32_e32 v4, v4, v33
	;; [unrolled: 1-line block ×4, first 2 shown]
	v_sub_f32_e32 v32, v24, v42
	v_mul_f32_e32 v4, v40, v4
	v_sub_f32_e32 v32, v41, v32
	v_add_f32_e32 v4, v32, v4
	v_add_f32_e32 v32, v24, v4
	v_cvt_f32_i32_e32 v34, v31
	v_mul_f32_e32 v35, v32, v32
	v_mov_b32_e32 v33, 0x3ecc95a3
	v_fmac_f32_e32 v33, 0x3e9b6dac, v35
	v_fmaak_f32 v33, v35, v33, 0x3f2aaada
	v_sub_f32_e32 v24, v32, v24
	v_ldexp_f32 v37, v32, 1
	v_mul_f32_e32 v35, v32, v35
	v_mov_b32_e32 v32, 0x3f317218
	v_pk_mul_f32 v[32:33], v[34:35], v[32:33]
	v_sub_f32_e32 v4, v4, v24
	v_fma_f32 v24, v34, s0, -v32
	v_fmamk_f32 v36, v34, 0xb102e308, v24
	v_pk_add_f32 v[34:35], v[32:33], v[36:37]
	v_ldexp_f32 v4, v4, 1
	v_sub_f32_e32 v24, v35, v37
	v_sub_f32_e32 v24, v33, v24
	v_add_f32_e32 v39, v4, v24
	v_mov_b32_e32 v38, v32
	v_pk_add_f32 v[32:33], v[34:35], v[32:33] neg_lo:[0,1] neg_hi:[0,1]
	v_pk_add_f32 v[40:41], v[34:35], v[38:39]
	v_mov_b32_e32 v37, v34
	v_mov_b32_e32 v33, v41
	v_pk_add_f32 v[42:43], v[36:37], v[32:33] neg_lo:[0,1] neg_hi:[0,1]
	v_pk_add_f32 v[32:33], v[36:37], v[32:33]
	v_mov_b32_e32 v38, v39
	v_pk_add_f32 v[36:37], v[32:33], v[34:35] op_sel:[1,0] op_sel_hi:[0,1] neg_lo:[0,1] neg_hi:[0,1]
	v_pk_add_f32 v[44:45], v[40:41], v[36:37] op_sel_hi:[1,0] neg_lo:[0,1] neg_hi:[0,1]
	v_mov_b32_e32 v40, v41
	v_mov_b32_e32 v41, v33
	v_pk_mov_b32 v[36:37], v[34:35], v[36:37] op_sel:[1,0]
	v_mov_b32_e32 v39, v34
	v_pk_add_f32 v[36:37], v[40:41], v[36:37] neg_lo:[0,1] neg_hi:[0,1]
	v_mov_b32_e32 v44, v42
	v_pk_add_f32 v[34:35], v[38:39], v[36:37] neg_lo:[0,1] neg_hi:[0,1]
	v_mov_b32_e32 v43, v33
	v_pk_add_f32 v[36:37], v[44:45], v[34:35]
	v_cmp_neq_f32_e64 s[0:1], s30, v0
	v_pk_add_f32 v[38:39], v[36:37], v[36:37] op_sel:[0,1] op_sel_hi:[1,0]
	s_nop 0
	v_pk_add_f32 v[32:33], v[32:33], v[38:39] op_sel:[1,0] op_sel_hi:[0,1]
	v_mov_b32_e32 v37, v32
	v_pk_add_f32 v[40:41], v[36:37], v[42:43] neg_lo:[0,1] neg_hi:[0,1]
	v_mov_b32_e32 v35, v38
	v_sub_f32_e32 v4, v36, v40
	v_pk_add_f32 v[34:35], v[34:35], v[40:41] neg_lo:[0,1] neg_hi:[0,1]
	v_sub_f32_e32 v4, v42, v4
	v_add_f32_e32 v4, v34, v4
	v_add_f32_e32 v4, v4, v35
	;; [unrolled: 1-line block ×3, first 2 shown]
	v_cndmask_b32_e64 v4, v19, v4, s[0:1]
	s_mov_b32 s0, 0x33800000
	v_cmp_lt_f32_e64 s[0:1], |v0|, s0
	s_nop 1
	v_cndmask_b32_e64 v0, v4, v0, s[0:1]
	v_add_f32_e32 v0, v1, v0
.LBB105_102:
	s_or_b64 exec, exec, s[28:29]
	v_max_f32_e32 v1, v0, v0
	v_min_f32_e32 v4, v1, v15
	v_cmp_u_f32_e64 s[0:1], v0, v0
	v_max_f32_e32 v1, v1, v15
	s_movk_i32 s30, 0x1f8
	v_cndmask_b32_e64 v4, v4, v0, s[0:1]
	v_cndmask_b32_e64 v1, v1, v0, s[0:1]
	;; [unrolled: 1-line block ×4, first 2 shown]
	v_cmp_neq_f32_e64 s[0:1], v19, v4
	v_cmp_class_f32_e64 s[28:29], v19, s30
	s_or_b64 s[0:1], s[0:1], s[28:29]
	v_mov_b32_e32 v1, v0
	s_and_saveexec_b64 s[28:29], s[0:1]
	s_cbranch_execz .LBB105_104
; %bb.103:
	v_sub_f32_e32 v1, v19, v4
	s_mov_b32 s0, 0x3fb8aa3b
	v_mul_f32_e32 v5, 0x3fb8aa3b, v1
	v_fma_f32 v15, v1, s0, -v5
	v_rndne_f32_e32 v19, v5
	v_fmamk_f32 v15, v1, 0x32a5705f, v15
	v_sub_f32_e32 v5, v5, v19
	v_add_f32_e32 v5, v5, v15
	v_exp_f32_e32 v5, v5
	v_cvt_i32_f32_e32 v15, v19
	s_mov_b32 s0, 0xc2ce8ed0
	v_cmp_ngt_f32_e64 s[0:1], s0, v1
	s_mov_b32 s31, 0x7f800000
	v_ldexp_f32 v5, v5, v15
	v_cndmask_b32_e64 v5, 0, v5, s[0:1]
	s_mov_b32 s0, 0x42b17218
	v_mov_b32_e32 v15, 0x7f800000
	v_cmp_nlt_f32_e64 s[0:1], s0, v1
	s_nop 1
	v_cndmask_b32_e64 v1, v15, v5, s[0:1]
	v_add_f32_e32 v5, 1.0, v1
	v_add_f32_e32 v19, -1.0, v5
	v_sub_f32_e32 v24, v19, v5
	v_add_f32_e32 v24, 1.0, v24
	v_sub_f32_e32 v19, v1, v19
	v_add_f32_e32 v19, v19, v24
	v_frexp_mant_f32_e32 v24, v5
	s_mov_b32 s0, 0x3f2aaaab
	v_cvt_f64_f32_e32 v[32:33], v5
	v_frexp_exp_i32_f64_e32 v31, v[32:33]
	v_cmp_gt_f32_e64 s[0:1], s0, v24
	s_nop 1
	v_subbrev_co_u32_e64 v24, s[0:1], 0, v31, s[0:1]
	v_sub_u32_e32 v31, 0, v24
	v_ldexp_f32 v5, v5, v31
	v_ldexp_f32 v19, v19, v31
	v_add_f32_e32 v31, -1.0, v5
	v_add_f32_e32 v33, 1.0, v5
	v_add_f32_e32 v32, 1.0, v31
	v_add_f32_e32 v34, -1.0, v33
	v_sub_f32_e32 v32, v5, v32
	v_sub_f32_e32 v5, v5, v34
	v_add_f32_e32 v5, v19, v5
	v_add_f32_e32 v32, v19, v32
	;; [unrolled: 1-line block ×3, first 2 shown]
	v_rcp_f32_e32 v40, v19
	v_sub_f32_e32 v33, v33, v19
	v_add_f32_e32 v5, v5, v33
	v_add_f32_e32 v33, v31, v32
	v_mul_f32_e32 v41, v33, v40
	v_mul_f32_e32 v34, v19, v41
	v_fma_f32 v36, v41, v19, -v34
	v_sub_f32_e32 v31, v31, v33
	v_fmac_f32_e32 v36, v41, v5
	v_add_f32_e32 v31, v32, v31
	v_add_f32_e32 v32, v34, v36
	v_sub_f32_e32 v35, v33, v32
	v_pk_add_f32 v[38:39], v[32:33], v[34:35] neg_lo:[0,1] neg_hi:[0,1]
	v_mov_b32_e32 v37, v32
	v_pk_add_f32 v[32:33], v[38:39], v[36:37] neg_lo:[0,1] neg_hi:[0,1]
	s_mov_b32 s0, 0x3f317218
	v_add_f32_e32 v31, v31, v33
	v_add_f32_e32 v31, v32, v31
	;; [unrolled: 1-line block ×3, first 2 shown]
	v_mul_f32_e32 v42, v40, v33
	v_mul_f32_e32 v34, v19, v42
	v_fma_f32 v36, v42, v19, -v34
	v_fmac_f32_e32 v36, v42, v5
	v_add_f32_e32 v32, v34, v36
	v_sub_f32_e32 v5, v35, v33
	v_sub_f32_e32 v35, v33, v32
	v_pk_add_f32 v[38:39], v[32:33], v[34:35] neg_lo:[0,1] neg_hi:[0,1]
	v_mov_b32_e32 v37, v32
	v_add_f32_e32 v5, v31, v5
	v_pk_add_f32 v[32:33], v[38:39], v[36:37] neg_lo:[0,1] neg_hi:[0,1]
	v_add_f32_e32 v19, v41, v42
	v_add_f32_e32 v5, v5, v33
	;; [unrolled: 1-line block ×4, first 2 shown]
	v_sub_f32_e32 v31, v19, v41
	v_mul_f32_e32 v5, v40, v5
	v_sub_f32_e32 v31, v42, v31
	v_add_f32_e32 v5, v31, v5
	v_add_f32_e32 v31, v19, v5
	v_cvt_f32_i32_e32 v34, v24
	v_mul_f32_e32 v32, v31, v31
	v_mov_b32_e32 v33, 0x3ecc95a3
	v_fmac_f32_e32 v33, 0x3e9b6dac, v32
	v_fmaak_f32 v33, v32, v33, 0x3f2aaada
	v_mul_f32_e32 v35, v31, v32
	v_mov_b32_e32 v32, 0x3f317218
	v_sub_f32_e32 v19, v31, v19
	v_pk_mul_f32 v[32:33], v[34:35], v[32:33]
	v_sub_f32_e32 v5, v5, v19
	v_fma_f32 v19, v34, s0, -v32
	v_ldexp_f32 v37, v31, 1
	v_fmamk_f32 v36, v34, 0xb102e308, v19
	v_pk_add_f32 v[34:35], v[32:33], v[36:37]
	v_ldexp_f32 v5, v5, 1
	v_sub_f32_e32 v19, v35, v37
	v_sub_f32_e32 v19, v33, v19
	v_add_f32_e32 v39, v5, v19
	v_mov_b32_e32 v38, v32
	v_pk_add_f32 v[32:33], v[34:35], v[32:33] neg_lo:[0,1] neg_hi:[0,1]
	v_pk_add_f32 v[40:41], v[34:35], v[38:39]
	v_mov_b32_e32 v37, v34
	v_mov_b32_e32 v33, v41
	v_pk_add_f32 v[42:43], v[36:37], v[32:33] neg_lo:[0,1] neg_hi:[0,1]
	v_pk_add_f32 v[32:33], v[36:37], v[32:33]
	v_mov_b32_e32 v38, v39
	v_pk_add_f32 v[36:37], v[32:33], v[34:35] op_sel:[1,0] op_sel_hi:[0,1] neg_lo:[0,1] neg_hi:[0,1]
	v_pk_add_f32 v[44:45], v[40:41], v[36:37] op_sel_hi:[1,0] neg_lo:[0,1] neg_hi:[0,1]
	v_mov_b32_e32 v40, v41
	v_mov_b32_e32 v41, v33
	v_pk_mov_b32 v[36:37], v[34:35], v[36:37] op_sel:[1,0]
	v_mov_b32_e32 v39, v34
	v_pk_add_f32 v[36:37], v[40:41], v[36:37] neg_lo:[0,1] neg_hi:[0,1]
	v_mov_b32_e32 v44, v42
	v_pk_add_f32 v[34:35], v[38:39], v[36:37] neg_lo:[0,1] neg_hi:[0,1]
	v_mov_b32_e32 v43, v33
	v_pk_add_f32 v[36:37], v[44:45], v[34:35]
	v_cmp_neq_f32_e64 s[0:1], s31, v1
	v_pk_add_f32 v[38:39], v[36:37], v[36:37] op_sel:[0,1] op_sel_hi:[1,0]
	s_nop 0
	v_pk_add_f32 v[32:33], v[32:33], v[38:39] op_sel:[1,0] op_sel_hi:[0,1]
	v_mov_b32_e32 v37, v32
	v_pk_add_f32 v[40:41], v[36:37], v[42:43] neg_lo:[0,1] neg_hi:[0,1]
	v_mov_b32_e32 v35, v38
	v_sub_f32_e32 v5, v36, v40
	v_pk_add_f32 v[34:35], v[34:35], v[40:41] neg_lo:[0,1] neg_hi:[0,1]
	v_sub_f32_e32 v5, v42, v5
	v_add_f32_e32 v5, v34, v5
	v_add_f32_e32 v5, v5, v35
	;; [unrolled: 1-line block ×3, first 2 shown]
	v_cndmask_b32_e64 v5, v15, v5, s[0:1]
	s_mov_b32 s0, 0x33800000
	v_cmp_lt_f32_e64 s[0:1], |v1|, s0
	s_nop 1
	v_cndmask_b32_e64 v1, v5, v1, s[0:1]
	v_add_f32_e32 v1, v4, v1
.LBB105_104:
	s_or_b64 exec, exec, s[28:29]
	v_max_f32_e32 v4, v1, v1
	v_min_f32_e32 v5, v4, v20
	v_cmp_u_f32_e64 s[0:1], v1, v1
	v_max_f32_e32 v4, v4, v20
	s_nop 0
	v_cndmask_b32_e64 v5, v5, v1, s[0:1]
	v_cndmask_b32_e64 v4, v4, v1, s[0:1]
	;; [unrolled: 1-line block ×4, first 2 shown]
	v_cmp_neq_f32_e64 s[0:1], v15, v5
	v_cmp_class_f32_e64 s[28:29], v15, s30
	s_or_b64 s[0:1], s[0:1], s[28:29]
	v_mov_b32_e32 v4, v1
	s_and_saveexec_b64 s[28:29], s[0:1]
	s_cbranch_execz .LBB105_106
; %bb.105:
	v_sub_f32_e32 v4, v15, v5
	s_mov_b32 s0, 0x3fb8aa3b
	v_mul_f32_e32 v10, 0x3fb8aa3b, v4
	v_fma_f32 v15, v4, s0, -v10
	v_rndne_f32_e32 v19, v10
	v_fmamk_f32 v15, v4, 0x32a5705f, v15
	v_sub_f32_e32 v10, v10, v19
	v_add_f32_e32 v10, v10, v15
	v_exp_f32_e32 v10, v10
	v_cvt_i32_f32_e32 v15, v19
	s_mov_b32 s0, 0xc2ce8ed0
	v_cmp_ngt_f32_e64 s[0:1], s0, v4
	s_mov_b32 s30, 0x7f800000
	v_ldexp_f32 v10, v10, v15
	v_cndmask_b32_e64 v10, 0, v10, s[0:1]
	s_mov_b32 s0, 0x42b17218
	v_mov_b32_e32 v15, 0x7f800000
	v_cmp_nlt_f32_e64 s[0:1], s0, v4
	s_nop 1
	v_cndmask_b32_e64 v4, v15, v10, s[0:1]
	v_add_f32_e32 v10, 1.0, v4
	v_add_f32_e32 v19, -1.0, v10
	v_sub_f32_e32 v20, v19, v10
	v_add_f32_e32 v20, 1.0, v20
	v_sub_f32_e32 v19, v4, v19
	v_add_f32_e32 v19, v19, v20
	v_frexp_mant_f32_e32 v20, v10
	s_mov_b32 s0, 0x3f2aaaab
	v_cvt_f64_f32_e32 v[32:33], v10
	v_frexp_exp_i32_f64_e32 v24, v[32:33]
	v_cmp_gt_f32_e64 s[0:1], s0, v20
	s_nop 1
	v_subbrev_co_u32_e64 v20, s[0:1], 0, v24, s[0:1]
	v_sub_u32_e32 v24, 0, v20
	v_ldexp_f32 v10, v10, v24
	v_ldexp_f32 v19, v19, v24
	v_add_f32_e32 v24, -1.0, v10
	v_add_f32_e32 v32, 1.0, v10
	v_add_f32_e32 v31, 1.0, v24
	v_add_f32_e32 v33, -1.0, v32
	v_sub_f32_e32 v31, v10, v31
	v_sub_f32_e32 v10, v10, v33
	v_add_f32_e32 v10, v19, v10
	v_add_f32_e32 v31, v19, v31
	;; [unrolled: 1-line block ×3, first 2 shown]
	v_rcp_f32_e32 v40, v19
	v_add_f32_e32 v33, v24, v31
	v_sub_f32_e32 v24, v24, v33
	v_add_f32_e32 v24, v31, v24
	v_mul_f32_e32 v31, v33, v40
	v_sub_f32_e32 v32, v32, v19
	v_mul_f32_e32 v34, v19, v31
	v_add_f32_e32 v10, v10, v32
	v_fma_f32 v36, v31, v19, -v34
	v_fmac_f32_e32 v36, v31, v10
	v_add_f32_e32 v32, v34, v36
	v_sub_f32_e32 v35, v33, v32
	v_pk_add_f32 v[38:39], v[32:33], v[34:35] neg_lo:[0,1] neg_hi:[0,1]
	v_mov_b32_e32 v37, v32
	v_pk_add_f32 v[32:33], v[38:39], v[36:37] neg_lo:[0,1] neg_hi:[0,1]
	s_mov_b32 s0, 0x3f317218
	v_add_f32_e32 v24, v24, v33
	v_add_f32_e32 v24, v32, v24
	;; [unrolled: 1-line block ×3, first 2 shown]
	v_mul_f32_e32 v41, v40, v33
	v_mul_f32_e32 v34, v19, v41
	v_fma_f32 v36, v41, v19, -v34
	v_fmac_f32_e32 v36, v41, v10
	v_add_f32_e32 v32, v34, v36
	v_sub_f32_e32 v10, v35, v33
	v_sub_f32_e32 v35, v33, v32
	v_pk_add_f32 v[38:39], v[32:33], v[34:35] neg_lo:[0,1] neg_hi:[0,1]
	v_mov_b32_e32 v37, v32
	v_add_f32_e32 v10, v24, v10
	v_pk_add_f32 v[32:33], v[38:39], v[36:37] neg_lo:[0,1] neg_hi:[0,1]
	v_add_f32_e32 v19, v31, v41
	v_add_f32_e32 v10, v10, v33
	;; [unrolled: 1-line block ×4, first 2 shown]
	v_sub_f32_e32 v24, v19, v31
	v_mul_f32_e32 v10, v40, v10
	v_sub_f32_e32 v24, v41, v24
	v_add_f32_e32 v10, v24, v10
	v_add_f32_e32 v24, v19, v10
	v_cvt_f32_i32_e32 v34, v20
	v_mul_f32_e32 v31, v24, v24
	v_mov_b32_e32 v32, 0x3ecc95a3
	v_fmac_f32_e32 v32, 0x3e9b6dac, v31
	v_fmaak_f32 v33, v31, v32, 0x3f2aaada
	v_mul_f32_e32 v35, v24, v31
	v_mov_b32_e32 v32, 0x3f317218
	v_sub_f32_e32 v19, v24, v19
	v_pk_mul_f32 v[32:33], v[34:35], v[32:33]
	v_sub_f32_e32 v10, v10, v19
	v_fma_f32 v19, v34, s0, -v32
	v_ldexp_f32 v37, v24, 1
	v_fmamk_f32 v36, v34, 0xb102e308, v19
	v_pk_add_f32 v[34:35], v[32:33], v[36:37]
	v_ldexp_f32 v10, v10, 1
	v_sub_f32_e32 v19, v35, v37
	v_sub_f32_e32 v19, v33, v19
	v_add_f32_e32 v39, v10, v19
	v_mov_b32_e32 v38, v32
	v_pk_add_f32 v[32:33], v[34:35], v[32:33] neg_lo:[0,1] neg_hi:[0,1]
	v_pk_add_f32 v[40:41], v[34:35], v[38:39]
	v_mov_b32_e32 v37, v34
	v_mov_b32_e32 v33, v41
	v_pk_add_f32 v[42:43], v[36:37], v[32:33] neg_lo:[0,1] neg_hi:[0,1]
	v_pk_add_f32 v[32:33], v[36:37], v[32:33]
	v_mov_b32_e32 v38, v39
	v_pk_add_f32 v[36:37], v[32:33], v[34:35] op_sel:[1,0] op_sel_hi:[0,1] neg_lo:[0,1] neg_hi:[0,1]
	v_pk_add_f32 v[44:45], v[40:41], v[36:37] op_sel_hi:[1,0] neg_lo:[0,1] neg_hi:[0,1]
	v_mov_b32_e32 v40, v41
	v_mov_b32_e32 v41, v33
	v_pk_mov_b32 v[36:37], v[34:35], v[36:37] op_sel:[1,0]
	v_mov_b32_e32 v39, v34
	v_pk_add_f32 v[36:37], v[40:41], v[36:37] neg_lo:[0,1] neg_hi:[0,1]
	v_mov_b32_e32 v44, v42
	v_pk_add_f32 v[34:35], v[38:39], v[36:37] neg_lo:[0,1] neg_hi:[0,1]
	v_mov_b32_e32 v43, v33
	v_pk_add_f32 v[36:37], v[44:45], v[34:35]
	v_cmp_neq_f32_e64 s[0:1], s30, v4
	v_pk_add_f32 v[38:39], v[36:37], v[36:37] op_sel:[0,1] op_sel_hi:[1,0]
	s_nop 0
	v_pk_add_f32 v[32:33], v[32:33], v[38:39] op_sel:[1,0] op_sel_hi:[0,1]
	v_mov_b32_e32 v37, v32
	v_pk_add_f32 v[40:41], v[36:37], v[42:43] neg_lo:[0,1] neg_hi:[0,1]
	v_mov_b32_e32 v35, v38
	v_sub_f32_e32 v10, v36, v40
	v_pk_add_f32 v[34:35], v[34:35], v[40:41] neg_lo:[0,1] neg_hi:[0,1]
	v_sub_f32_e32 v10, v42, v10
	v_add_f32_e32 v10, v34, v10
	v_add_f32_e32 v10, v10, v35
	;; [unrolled: 1-line block ×3, first 2 shown]
	v_cndmask_b32_e64 v10, v15, v10, s[0:1]
	s_mov_b32 s0, 0x33800000
	v_cmp_lt_f32_e64 s[0:1], |v4|, s0
	s_nop 1
	v_cndmask_b32_e64 v4, v10, v4, s[0:1]
	v_add_f32_e32 v4, v5, v4
.LBB105_106:
	s_or_b64 exec, exec, s[28:29]
	v_max_f32_e32 v5, v4, v4
	v_min_f32_e32 v10, v5, v21
	v_cmp_u_f32_e64 s[0:1], v4, v4
	v_max_f32_e32 v5, v5, v21
	s_movk_i32 s30, 0x1f8
	v_cndmask_b32_e64 v10, v10, v4, s[0:1]
	v_cndmask_b32_e64 v5, v5, v4, s[0:1]
	v_cndmask_b32_e64 v15, v10, v11, s[38:39]
	v_cndmask_b32_e64 v10, v5, v11, s[38:39]
	v_cmp_neq_f32_e64 s[0:1], v15, v10
	v_cmp_class_f32_e64 s[28:29], v15, s30
	s_or_b64 s[0:1], s[0:1], s[28:29]
	v_mov_b32_e32 v5, v4
	s_and_saveexec_b64 s[28:29], s[0:1]
	s_cbranch_execz .LBB105_108
; %bb.107:
	v_sub_f32_e32 v5, v15, v10
	s_mov_b32 s0, 0x3fb8aa3b
	v_mul_f32_e32 v11, 0x3fb8aa3b, v5
	v_fma_f32 v15, v5, s0, -v11
	v_rndne_f32_e32 v19, v11
	v_fmamk_f32 v15, v5, 0x32a5705f, v15
	v_sub_f32_e32 v11, v11, v19
	v_add_f32_e32 v11, v11, v15
	v_exp_f32_e32 v11, v11
	v_cvt_i32_f32_e32 v15, v19
	s_mov_b32 s0, 0xc2ce8ed0
	v_cmp_ngt_f32_e64 s[0:1], s0, v5
	s_mov_b32 s31, 0x7f800000
	v_ldexp_f32 v11, v11, v15
	v_cndmask_b32_e64 v11, 0, v11, s[0:1]
	s_mov_b32 s0, 0x42b17218
	v_mov_b32_e32 v15, 0x7f800000
	v_cmp_nlt_f32_e64 s[0:1], s0, v5
	s_nop 1
	v_cndmask_b32_e64 v5, v15, v11, s[0:1]
	v_add_f32_e32 v11, 1.0, v5
	v_add_f32_e32 v19, -1.0, v11
	v_sub_f32_e32 v20, v19, v11
	v_add_f32_e32 v20, 1.0, v20
	v_sub_f32_e32 v19, v5, v19
	v_add_f32_e32 v19, v19, v20
	v_frexp_mant_f32_e32 v24, v11
	s_mov_b32 s0, 0x3f2aaaab
	v_cvt_f64_f32_e32 v[20:21], v11
	v_frexp_exp_i32_f64_e32 v20, v[20:21]
	v_cmp_gt_f32_e64 s[0:1], s0, v24
	s_nop 1
	v_subbrev_co_u32_e64 v24, s[0:1], 0, v20, s[0:1]
	v_sub_u32_e32 v20, 0, v24
	v_ldexp_f32 v11, v11, v20
	v_ldexp_f32 v19, v19, v20
	v_add_f32_e32 v20, -1.0, v11
	v_add_f32_e32 v21, 1.0, v20
	v_sub_f32_e32 v21, v11, v21
	v_add_f32_e32 v31, v19, v21
	v_add_f32_e32 v21, 1.0, v11
	v_add_f32_e32 v32, -1.0, v21
	v_sub_f32_e32 v11, v11, v32
	v_add_f32_e32 v11, v19, v11
	v_add_f32_e32 v19, v21, v11
	v_rcp_f32_e32 v38, v19
	v_sub_f32_e32 v21, v21, v19
	v_add_f32_e32 v11, v11, v21
	v_add_f32_e32 v21, v20, v31
	v_mul_f32_e32 v39, v21, v38
	v_mul_f32_e32 v32, v19, v39
	v_fma_f32 v34, v39, v19, -v32
	v_sub_f32_e32 v20, v20, v21
	v_fmac_f32_e32 v34, v39, v11
	v_add_f32_e32 v31, v31, v20
	v_add_f32_e32 v20, v32, v34
	v_sub_f32_e32 v33, v21, v20
	v_pk_add_f32 v[36:37], v[20:21], v[32:33] neg_lo:[0,1] neg_hi:[0,1]
	v_mov_b32_e32 v35, v20
	v_pk_add_f32 v[20:21], v[36:37], v[34:35] neg_lo:[0,1] neg_hi:[0,1]
	s_mov_b32 s0, 0x3f317218
	v_add_f32_e32 v21, v31, v21
	v_add_f32_e32 v20, v20, v21
	;; [unrolled: 1-line block ×3, first 2 shown]
	v_mul_f32_e32 v31, v38, v21
	v_mul_f32_e32 v32, v19, v31
	v_fma_f32 v34, v31, v19, -v32
	v_fmac_f32_e32 v34, v31, v11
	v_sub_f32_e32 v11, v33, v21
	v_add_f32_e32 v11, v20, v11
	v_add_f32_e32 v20, v32, v34
	v_sub_f32_e32 v33, v21, v20
	v_pk_add_f32 v[36:37], v[20:21], v[32:33] neg_lo:[0,1] neg_hi:[0,1]
	v_mov_b32_e32 v35, v20
	v_pk_add_f32 v[20:21], v[36:37], v[34:35] neg_lo:[0,1] neg_hi:[0,1]
	v_add_f32_e32 v19, v39, v31
	v_add_f32_e32 v11, v11, v21
	v_add_f32_e32 v11, v20, v11
	v_add_f32_e32 v11, v33, v11
	v_sub_f32_e32 v20, v19, v39
	v_mul_f32_e32 v11, v38, v11
	v_sub_f32_e32 v20, v31, v20
	v_add_f32_e32 v11, v20, v11
	v_add_f32_e32 v20, v19, v11
	v_cvt_f32_i32_e32 v32, v24
	v_mul_f32_e32 v31, v20, v20
	v_mov_b32_e32 v21, 0x3ecc95a3
	v_fmac_f32_e32 v21, 0x3e9b6dac, v31
	v_fmaak_f32 v21, v31, v21, 0x3f2aaada
	v_sub_f32_e32 v19, v20, v19
	v_ldexp_f32 v35, v20, 1
	v_mul_f32_e32 v33, v20, v31
	v_mov_b32_e32 v20, 0x3f317218
	v_pk_mul_f32 v[20:21], v[32:33], v[20:21]
	v_sub_f32_e32 v11, v11, v19
	v_fma_f32 v19, v32, s0, -v20
	v_fmamk_f32 v34, v32, 0xb102e308, v19
	v_pk_add_f32 v[32:33], v[20:21], v[34:35]
	v_ldexp_f32 v11, v11, 1
	v_sub_f32_e32 v19, v33, v35
	v_sub_f32_e32 v19, v21, v19
	v_add_f32_e32 v37, v11, v19
	v_mov_b32_e32 v36, v20
	v_pk_add_f32 v[20:21], v[32:33], v[20:21] neg_lo:[0,1] neg_hi:[0,1]
	v_pk_add_f32 v[38:39], v[32:33], v[36:37]
	v_mov_b32_e32 v35, v32
	v_mov_b32_e32 v21, v39
	v_pk_add_f32 v[40:41], v[34:35], v[20:21] neg_lo:[0,1] neg_hi:[0,1]
	v_pk_add_f32 v[20:21], v[34:35], v[20:21]
	v_mov_b32_e32 v36, v37
	v_pk_add_f32 v[34:35], v[20:21], v[32:33] op_sel:[1,0] op_sel_hi:[0,1] neg_lo:[0,1] neg_hi:[0,1]
	v_pk_add_f32 v[42:43], v[38:39], v[34:35] op_sel_hi:[1,0] neg_lo:[0,1] neg_hi:[0,1]
	v_mov_b32_e32 v38, v39
	v_mov_b32_e32 v39, v21
	v_pk_mov_b32 v[34:35], v[32:33], v[34:35] op_sel:[1,0]
	v_mov_b32_e32 v37, v32
	v_pk_add_f32 v[34:35], v[38:39], v[34:35] neg_lo:[0,1] neg_hi:[0,1]
	v_mov_b32_e32 v42, v40
	v_pk_add_f32 v[32:33], v[36:37], v[34:35] neg_lo:[0,1] neg_hi:[0,1]
	v_mov_b32_e32 v41, v21
	v_pk_add_f32 v[34:35], v[42:43], v[32:33]
	v_cmp_neq_f32_e64 s[0:1], s31, v5
	v_pk_add_f32 v[36:37], v[34:35], v[34:35] op_sel:[0,1] op_sel_hi:[1,0]
	s_nop 0
	v_pk_add_f32 v[20:21], v[20:21], v[36:37] op_sel:[1,0] op_sel_hi:[0,1]
	v_mov_b32_e32 v35, v20
	v_pk_add_f32 v[38:39], v[34:35], v[40:41] neg_lo:[0,1] neg_hi:[0,1]
	v_mov_b32_e32 v33, v36
	v_sub_f32_e32 v11, v34, v38
	v_pk_add_f32 v[32:33], v[32:33], v[38:39] neg_lo:[0,1] neg_hi:[0,1]
	v_sub_f32_e32 v11, v40, v11
	v_add_f32_e32 v11, v32, v11
	v_add_f32_e32 v11, v11, v33
	;; [unrolled: 1-line block ×3, first 2 shown]
	v_cndmask_b32_e64 v11, v15, v11, s[0:1]
	s_mov_b32 s0, 0x33800000
	v_cmp_lt_f32_e64 s[0:1], |v5|, s0
	s_nop 1
	v_cndmask_b32_e64 v5, v11, v5, s[0:1]
	v_add_f32_e32 v5, v10, v5
.LBB105_108:
	s_or_b64 exec, exec, s[28:29]
	v_max_f32_e32 v10, v5, v5
	v_min_f32_e32 v11, v10, v22
	v_cmp_u_f32_e64 s[0:1], v5, v5
	v_max_f32_e32 v10, v10, v22
	s_nop 0
	v_cndmask_b32_e64 v11, v11, v5, s[0:1]
	v_cndmask_b32_e64 v10, v10, v5, s[0:1]
	v_cndmask_b32_e64 v15, v11, v12, s[40:41]
	v_cndmask_b32_e64 v11, v10, v12, s[40:41]
	v_cmp_neq_f32_e64 s[0:1], v15, v11
	v_cmp_class_f32_e64 s[28:29], v15, s30
	s_or_b64 s[0:1], s[0:1], s[28:29]
	v_mov_b32_e32 v10, v5
	s_and_saveexec_b64 s[28:29], s[0:1]
	s_cbranch_execz .LBB105_110
; %bb.109:
	v_sub_f32_e32 v10, v15, v11
	s_mov_b32 s0, 0x3fb8aa3b
	v_mul_f32_e32 v12, 0x3fb8aa3b, v10
	v_fma_f32 v15, v10, s0, -v12
	v_rndne_f32_e32 v19, v12
	v_fmamk_f32 v15, v10, 0x32a5705f, v15
	v_sub_f32_e32 v12, v12, v19
	v_add_f32_e32 v12, v12, v15
	v_exp_f32_e32 v12, v12
	v_cvt_i32_f32_e32 v15, v19
	s_mov_b32 s0, 0xc2ce8ed0
	v_cmp_ngt_f32_e64 s[0:1], s0, v10
	s_mov_b32 s30, 0x7f800000
	v_ldexp_f32 v12, v12, v15
	v_cndmask_b32_e64 v12, 0, v12, s[0:1]
	s_mov_b32 s0, 0x42b17218
	v_mov_b32_e32 v15, 0x7f800000
	v_cmp_nlt_f32_e64 s[0:1], s0, v10
	s_nop 1
	v_cndmask_b32_e64 v10, v15, v12, s[0:1]
	v_add_f32_e32 v12, 1.0, v10
	v_add_f32_e32 v19, -1.0, v12
	v_sub_f32_e32 v20, v19, v12
	v_add_f32_e32 v20, 1.0, v20
	v_sub_f32_e32 v19, v10, v19
	v_add_f32_e32 v19, v19, v20
	v_frexp_mant_f32_e32 v22, v12
	s_mov_b32 s0, 0x3f2aaaab
	v_cvt_f64_f32_e32 v[20:21], v12
	v_frexp_exp_i32_f64_e32 v20, v[20:21]
	v_cmp_gt_f32_e64 s[0:1], s0, v22
	s_nop 1
	v_subbrev_co_u32_e64 v22, s[0:1], 0, v20, s[0:1]
	v_sub_u32_e32 v20, 0, v22
	v_ldexp_f32 v12, v12, v20
	v_ldexp_f32 v19, v19, v20
	v_add_f32_e32 v20, -1.0, v12
	v_add_f32_e32 v21, 1.0, v20
	v_sub_f32_e32 v21, v12, v21
	v_add_f32_e32 v24, v19, v21
	v_add_f32_e32 v21, 1.0, v12
	v_add_f32_e32 v31, -1.0, v21
	v_sub_f32_e32 v12, v12, v31
	v_add_f32_e32 v12, v19, v12
	v_add_f32_e32 v19, v21, v12
	v_rcp_f32_e32 v31, v19
	v_sub_f32_e32 v21, v21, v19
	v_add_f32_e32 v12, v12, v21
	v_add_f32_e32 v21, v20, v24
	v_mul_f32_e32 v38, v21, v31
	v_mul_f32_e32 v32, v19, v38
	v_fma_f32 v34, v38, v19, -v32
	v_sub_f32_e32 v20, v20, v21
	v_fmac_f32_e32 v34, v38, v12
	v_add_f32_e32 v24, v24, v20
	v_add_f32_e32 v20, v32, v34
	v_sub_f32_e32 v33, v21, v20
	v_pk_add_f32 v[36:37], v[20:21], v[32:33] neg_lo:[0,1] neg_hi:[0,1]
	v_mov_b32_e32 v35, v20
	v_pk_add_f32 v[20:21], v[36:37], v[34:35] neg_lo:[0,1] neg_hi:[0,1]
	s_mov_b32 s0, 0x3f317218
	v_add_f32_e32 v21, v24, v21
	v_add_f32_e32 v20, v20, v21
	;; [unrolled: 1-line block ×3, first 2 shown]
	v_mul_f32_e32 v24, v31, v21
	v_mul_f32_e32 v32, v19, v24
	v_fma_f32 v34, v24, v19, -v32
	v_fmac_f32_e32 v34, v24, v12
	v_sub_f32_e32 v12, v33, v21
	v_add_f32_e32 v12, v20, v12
	v_add_f32_e32 v20, v32, v34
	v_sub_f32_e32 v33, v21, v20
	v_pk_add_f32 v[36:37], v[20:21], v[32:33] neg_lo:[0,1] neg_hi:[0,1]
	v_mov_b32_e32 v35, v20
	v_pk_add_f32 v[20:21], v[36:37], v[34:35] neg_lo:[0,1] neg_hi:[0,1]
	v_add_f32_e32 v19, v38, v24
	v_add_f32_e32 v12, v12, v21
	;; [unrolled: 1-line block ×4, first 2 shown]
	v_sub_f32_e32 v20, v19, v38
	v_mul_f32_e32 v12, v31, v12
	v_sub_f32_e32 v20, v24, v20
	v_add_f32_e32 v12, v20, v12
	v_add_f32_e32 v20, v19, v12
	v_cvt_f32_i32_e32 v32, v22
	v_mul_f32_e32 v24, v20, v20
	v_mov_b32_e32 v21, 0x3ecc95a3
	v_fmac_f32_e32 v21, 0x3e9b6dac, v24
	v_fmaak_f32 v21, v24, v21, 0x3f2aaada
	v_sub_f32_e32 v19, v20, v19
	v_ldexp_f32 v35, v20, 1
	v_mul_f32_e32 v33, v20, v24
	v_mov_b32_e32 v20, 0x3f317218
	v_pk_mul_f32 v[20:21], v[32:33], v[20:21]
	v_sub_f32_e32 v12, v12, v19
	v_fma_f32 v19, v32, s0, -v20
	v_fmamk_f32 v34, v32, 0xb102e308, v19
	v_pk_add_f32 v[32:33], v[20:21], v[34:35]
	v_ldexp_f32 v12, v12, 1
	v_sub_f32_e32 v19, v33, v35
	v_sub_f32_e32 v19, v21, v19
	v_add_f32_e32 v37, v12, v19
	v_mov_b32_e32 v36, v20
	v_pk_add_f32 v[20:21], v[32:33], v[20:21] neg_lo:[0,1] neg_hi:[0,1]
	v_pk_add_f32 v[38:39], v[32:33], v[36:37]
	v_mov_b32_e32 v35, v32
	v_mov_b32_e32 v21, v39
	v_pk_add_f32 v[40:41], v[34:35], v[20:21] neg_lo:[0,1] neg_hi:[0,1]
	v_pk_add_f32 v[20:21], v[34:35], v[20:21]
	v_mov_b32_e32 v36, v37
	v_pk_add_f32 v[34:35], v[20:21], v[32:33] op_sel:[1,0] op_sel_hi:[0,1] neg_lo:[0,1] neg_hi:[0,1]
	v_pk_add_f32 v[42:43], v[38:39], v[34:35] op_sel_hi:[1,0] neg_lo:[0,1] neg_hi:[0,1]
	v_mov_b32_e32 v38, v39
	v_mov_b32_e32 v39, v21
	v_pk_mov_b32 v[34:35], v[32:33], v[34:35] op_sel:[1,0]
	v_mov_b32_e32 v37, v32
	v_pk_add_f32 v[34:35], v[38:39], v[34:35] neg_lo:[0,1] neg_hi:[0,1]
	v_mov_b32_e32 v42, v40
	v_pk_add_f32 v[32:33], v[36:37], v[34:35] neg_lo:[0,1] neg_hi:[0,1]
	v_mov_b32_e32 v41, v21
	v_pk_add_f32 v[34:35], v[42:43], v[32:33]
	v_cmp_neq_f32_e64 s[0:1], s30, v10
	v_pk_add_f32 v[36:37], v[34:35], v[34:35] op_sel:[0,1] op_sel_hi:[1,0]
	s_nop 0
	v_pk_add_f32 v[20:21], v[20:21], v[36:37] op_sel:[1,0] op_sel_hi:[0,1]
	v_mov_b32_e32 v35, v20
	v_pk_add_f32 v[38:39], v[34:35], v[40:41] neg_lo:[0,1] neg_hi:[0,1]
	v_mov_b32_e32 v33, v36
	v_sub_f32_e32 v12, v34, v38
	v_pk_add_f32 v[32:33], v[32:33], v[38:39] neg_lo:[0,1] neg_hi:[0,1]
	v_sub_f32_e32 v12, v40, v12
	v_add_f32_e32 v12, v32, v12
	v_add_f32_e32 v12, v12, v33
	v_add_f32_e32 v12, v20, v12
	v_cndmask_b32_e64 v12, v15, v12, s[0:1]
	s_mov_b32 s0, 0x33800000
	v_cmp_lt_f32_e64 s[0:1], |v10|, s0
	s_nop 1
	v_cndmask_b32_e64 v10, v12, v10, s[0:1]
	v_add_f32_e32 v10, v11, v10
.LBB105_110:
	s_or_b64 exec, exec, s[28:29]
	v_max_f32_e32 v11, v10, v10
	v_min_f32_e32 v12, v11, v23
	v_cmp_u_f32_e64 s[0:1], v10, v10
	v_max_f32_e32 v11, v11, v23
	s_movk_i32 s30, 0x1f8
	v_cndmask_b32_e64 v12, v12, v10, s[0:1]
	v_cndmask_b32_e64 v11, v11, v10, s[0:1]
	;; [unrolled: 1-line block ×4, first 2 shown]
	v_cmp_neq_f32_e64 s[0:1], v15, v12
	v_cmp_class_f32_e64 s[28:29], v15, s30
	s_or_b64 s[0:1], s[0:1], s[28:29]
	v_mov_b32_e32 v11, v10
	s_and_saveexec_b64 s[28:29], s[0:1]
	s_cbranch_execz .LBB105_112
; %bb.111:
	v_sub_f32_e32 v11, v15, v12
	s_mov_b32 s0, 0x3fb8aa3b
	v_mul_f32_e32 v13, 0x3fb8aa3b, v11
	v_fma_f32 v15, v11, s0, -v13
	v_rndne_f32_e32 v19, v13
	v_fmamk_f32 v15, v11, 0x32a5705f, v15
	v_sub_f32_e32 v13, v13, v19
	v_add_f32_e32 v13, v13, v15
	v_exp_f32_e32 v13, v13
	v_cvt_i32_f32_e32 v15, v19
	s_mov_b32 s0, 0xc2ce8ed0
	v_cmp_ngt_f32_e64 s[0:1], s0, v11
	s_mov_b32 s31, 0x7f800000
	v_ldexp_f32 v13, v13, v15
	v_cndmask_b32_e64 v13, 0, v13, s[0:1]
	s_mov_b32 s0, 0x42b17218
	v_mov_b32_e32 v15, 0x7f800000
	v_cmp_nlt_f32_e64 s[0:1], s0, v11
	s_nop 1
	v_cndmask_b32_e64 v11, v15, v13, s[0:1]
	v_add_f32_e32 v13, 1.0, v11
	v_add_f32_e32 v19, -1.0, v13
	v_sub_f32_e32 v20, v19, v13
	v_add_f32_e32 v20, 1.0, v20
	v_sub_f32_e32 v19, v11, v19
	v_add_f32_e32 v19, v19, v20
	v_frexp_mant_f32_e32 v22, v13
	s_mov_b32 s0, 0x3f2aaaab
	v_cvt_f64_f32_e32 v[20:21], v13
	v_frexp_exp_i32_f64_e32 v20, v[20:21]
	v_cmp_gt_f32_e64 s[0:1], s0, v22
	s_nop 1
	v_subbrev_co_u32_e64 v24, s[0:1], 0, v20, s[0:1]
	v_sub_u32_e32 v20, 0, v24
	v_ldexp_f32 v13, v13, v20
	v_ldexp_f32 v19, v19, v20
	v_add_f32_e32 v20, -1.0, v13
	v_add_f32_e32 v21, 1.0, v20
	v_sub_f32_e32 v21, v13, v21
	v_add_f32_e32 v22, v19, v21
	v_add_f32_e32 v21, 1.0, v13
	v_add_f32_e32 v23, -1.0, v21
	v_sub_f32_e32 v13, v13, v23
	v_add_f32_e32 v13, v19, v13
	v_add_f32_e32 v19, v21, v13
	v_rcp_f32_e32 v31, v19
	v_sub_f32_e32 v21, v21, v19
	v_add_f32_e32 v13, v13, v21
	v_add_f32_e32 v21, v20, v22
	v_sub_f32_e32 v20, v20, v21
	v_mul_f32_e32 v37, v21, v31
	v_add_f32_e32 v36, v22, v20
	v_mul_f32_e32 v22, v19, v37
	v_fma_f32 v32, v37, v19, -v22
	v_fmac_f32_e32 v32, v37, v13
	v_add_f32_e32 v20, v22, v32
	v_sub_f32_e32 v23, v21, v20
	v_pk_add_f32 v[34:35], v[20:21], v[22:23] neg_lo:[0,1] neg_hi:[0,1]
	v_mov_b32_e32 v33, v20
	v_pk_add_f32 v[20:21], v[34:35], v[32:33] neg_lo:[0,1] neg_hi:[0,1]
	s_mov_b32 s0, 0x3f317218
	v_add_f32_e32 v21, v36, v21
	v_add_f32_e32 v20, v20, v21
	;; [unrolled: 1-line block ×3, first 2 shown]
	v_mul_f32_e32 v36, v31, v21
	v_mul_f32_e32 v22, v19, v36
	v_fma_f32 v32, v36, v19, -v22
	v_fmac_f32_e32 v32, v36, v13
	v_sub_f32_e32 v13, v23, v21
	v_add_f32_e32 v13, v20, v13
	v_add_f32_e32 v20, v22, v32
	v_sub_f32_e32 v23, v21, v20
	v_pk_add_f32 v[34:35], v[20:21], v[22:23] neg_lo:[0,1] neg_hi:[0,1]
	v_mov_b32_e32 v33, v20
	v_pk_add_f32 v[20:21], v[34:35], v[32:33] neg_lo:[0,1] neg_hi:[0,1]
	v_add_f32_e32 v19, v37, v36
	v_add_f32_e32 v13, v13, v21
	;; [unrolled: 1-line block ×4, first 2 shown]
	v_sub_f32_e32 v20, v19, v37
	v_mul_f32_e32 v13, v31, v13
	v_sub_f32_e32 v20, v36, v20
	v_add_f32_e32 v13, v20, v13
	v_add_f32_e32 v20, v19, v13
	v_cvt_f32_i32_e32 v22, v24
	v_mul_f32_e32 v23, v20, v20
	v_mov_b32_e32 v21, 0x3ecc95a3
	v_fmac_f32_e32 v21, 0x3e9b6dac, v23
	v_fmaak_f32 v21, v23, v21, 0x3f2aaada
	v_sub_f32_e32 v19, v20, v19
	v_ldexp_f32 v33, v20, 1
	v_mul_f32_e32 v23, v20, v23
	v_mov_b32_e32 v20, 0x3f317218
	v_pk_mul_f32 v[20:21], v[22:23], v[20:21]
	v_sub_f32_e32 v13, v13, v19
	v_fma_f32 v19, v22, s0, -v20
	v_fmamk_f32 v32, v22, 0xb102e308, v19
	v_pk_add_f32 v[22:23], v[20:21], v[32:33]
	v_ldexp_f32 v13, v13, 1
	v_sub_f32_e32 v19, v23, v33
	v_sub_f32_e32 v19, v21, v19
	v_add_f32_e32 v35, v13, v19
	v_mov_b32_e32 v34, v20
	v_pk_add_f32 v[20:21], v[22:23], v[20:21] neg_lo:[0,1] neg_hi:[0,1]
	v_pk_add_f32 v[36:37], v[22:23], v[34:35]
	v_mov_b32_e32 v33, v22
	v_mov_b32_e32 v21, v37
	v_pk_add_f32 v[38:39], v[32:33], v[20:21] neg_lo:[0,1] neg_hi:[0,1]
	v_pk_add_f32 v[20:21], v[32:33], v[20:21]
	v_mov_b32_e32 v34, v35
	v_pk_add_f32 v[32:33], v[20:21], v[22:23] op_sel:[1,0] op_sel_hi:[0,1] neg_lo:[0,1] neg_hi:[0,1]
	v_pk_add_f32 v[40:41], v[36:37], v[32:33] op_sel_hi:[1,0] neg_lo:[0,1] neg_hi:[0,1]
	v_mov_b32_e32 v36, v37
	v_mov_b32_e32 v37, v21
	v_pk_mov_b32 v[32:33], v[22:23], v[32:33] op_sel:[1,0]
	v_mov_b32_e32 v35, v22
	v_pk_add_f32 v[32:33], v[36:37], v[32:33] neg_lo:[0,1] neg_hi:[0,1]
	v_mov_b32_e32 v40, v38
	v_pk_add_f32 v[22:23], v[34:35], v[32:33] neg_lo:[0,1] neg_hi:[0,1]
	v_mov_b32_e32 v39, v21
	v_pk_add_f32 v[32:33], v[40:41], v[22:23]
	v_cmp_neq_f32_e64 s[0:1], s31, v11
	v_pk_add_f32 v[34:35], v[32:33], v[32:33] op_sel:[0,1] op_sel_hi:[1,0]
	s_nop 0
	v_pk_add_f32 v[20:21], v[20:21], v[34:35] op_sel:[1,0] op_sel_hi:[0,1]
	v_mov_b32_e32 v33, v20
	v_pk_add_f32 v[36:37], v[32:33], v[38:39] neg_lo:[0,1] neg_hi:[0,1]
	v_mov_b32_e32 v23, v34
	v_sub_f32_e32 v13, v32, v36
	v_pk_add_f32 v[22:23], v[22:23], v[36:37] neg_lo:[0,1] neg_hi:[0,1]
	v_sub_f32_e32 v13, v38, v13
	v_add_f32_e32 v13, v22, v13
	v_add_f32_e32 v13, v13, v23
	;; [unrolled: 1-line block ×3, first 2 shown]
	v_cndmask_b32_e64 v13, v15, v13, s[0:1]
	s_mov_b32 s0, 0x33800000
	v_cmp_lt_f32_e64 s[0:1], |v11|, s0
	s_nop 1
	v_cndmask_b32_e64 v11, v13, v11, s[0:1]
	v_add_f32_e32 v11, v12, v11
.LBB105_112:
	s_or_b64 exec, exec, s[28:29]
	v_max_f32_e32 v12, v11, v11
	v_min_f32_e32 v13, v12, v25
	v_cmp_u_f32_e64 s[0:1], v11, v11
	v_max_f32_e32 v12, v12, v25
	s_nop 0
	v_cndmask_b32_e64 v13, v13, v11, s[0:1]
	v_cndmask_b32_e64 v12, v12, v11, s[0:1]
	;; [unrolled: 1-line block ×4, first 2 shown]
	v_cmp_neq_f32_e64 s[0:1], v13, v12
	v_cmp_class_f32_e64 s[28:29], v13, s30
	s_or_b64 s[0:1], s[0:1], s[28:29]
	v_mov_b32_e32 v6, v11
	s_and_saveexec_b64 s[28:29], s[0:1]
	s_cbranch_execz .LBB105_114
; %bb.113:
	v_sub_f32_e32 v6, v13, v12
	s_mov_b32 s0, 0x3fb8aa3b
	v_mul_f32_e32 v13, 0x3fb8aa3b, v6
	v_fma_f32 v15, v6, s0, -v13
	v_rndne_f32_e32 v19, v13
	v_fmamk_f32 v15, v6, 0x32a5705f, v15
	v_sub_f32_e32 v13, v13, v19
	v_add_f32_e32 v13, v13, v15
	v_exp_f32_e32 v13, v13
	v_cvt_i32_f32_e32 v15, v19
	s_mov_b32 s0, 0xc2ce8ed0
	v_cmp_ngt_f32_e64 s[0:1], s0, v6
	s_mov_b32 s30, 0x7f800000
	v_ldexp_f32 v13, v13, v15
	v_cndmask_b32_e64 v13, 0, v13, s[0:1]
	s_mov_b32 s0, 0x42b17218
	v_mov_b32_e32 v15, 0x7f800000
	v_cmp_nlt_f32_e64 s[0:1], s0, v6
	s_nop 1
	v_cndmask_b32_e64 v6, v15, v13, s[0:1]
	v_add_f32_e32 v13, 1.0, v6
	v_add_f32_e32 v19, -1.0, v13
	v_sub_f32_e32 v20, v19, v13
	v_add_f32_e32 v20, 1.0, v20
	v_sub_f32_e32 v19, v6, v19
	v_add_f32_e32 v19, v19, v20
	v_frexp_mant_f32_e32 v22, v13
	s_mov_b32 s0, 0x3f2aaaab
	v_cvt_f64_f32_e32 v[20:21], v13
	v_frexp_exp_i32_f64_e32 v20, v[20:21]
	v_cmp_gt_f32_e64 s[0:1], s0, v22
	s_nop 1
	v_subbrev_co_u32_e64 v31, s[0:1], 0, v20, s[0:1]
	v_sub_u32_e32 v20, 0, v31
	v_ldexp_f32 v13, v13, v20
	v_ldexp_f32 v19, v19, v20
	v_add_f32_e32 v20, -1.0, v13
	v_add_f32_e32 v21, 1.0, v20
	v_sub_f32_e32 v21, v13, v21
	v_add_f32_e32 v22, v19, v21
	v_add_f32_e32 v21, 1.0, v13
	v_add_f32_e32 v23, -1.0, v21
	v_sub_f32_e32 v13, v13, v23
	v_add_f32_e32 v13, v19, v13
	v_add_f32_e32 v19, v21, v13
	v_rcp_f32_e32 v34, v19
	v_sub_f32_e32 v21, v21, v19
	v_add_f32_e32 v13, v13, v21
	v_add_f32_e32 v21, v20, v22
	v_sub_f32_e32 v20, v20, v21
	v_mul_f32_e32 v36, v21, v34
	v_add_f32_e32 v35, v22, v20
	v_mul_f32_e32 v22, v19, v36
	v_fma_f32 v24, v36, v19, -v22
	v_fmac_f32_e32 v24, v36, v13
	v_add_f32_e32 v20, v22, v24
	v_sub_f32_e32 v23, v21, v20
	v_pk_add_f32 v[32:33], v[20:21], v[22:23] neg_lo:[0,1] neg_hi:[0,1]
	v_mov_b32_e32 v25, v20
	v_pk_add_f32 v[20:21], v[32:33], v[24:25] neg_lo:[0,1] neg_hi:[0,1]
	s_mov_b32 s0, 0x3f317218
	v_add_f32_e32 v21, v35, v21
	v_add_f32_e32 v20, v20, v21
	;; [unrolled: 1-line block ×3, first 2 shown]
	v_mul_f32_e32 v35, v34, v21
	v_mul_f32_e32 v22, v19, v35
	v_fma_f32 v24, v35, v19, -v22
	v_fmac_f32_e32 v24, v35, v13
	v_sub_f32_e32 v13, v23, v21
	v_add_f32_e32 v13, v20, v13
	v_add_f32_e32 v20, v22, v24
	v_sub_f32_e32 v23, v21, v20
	v_pk_add_f32 v[32:33], v[20:21], v[22:23] neg_lo:[0,1] neg_hi:[0,1]
	v_mov_b32_e32 v25, v20
	v_pk_add_f32 v[20:21], v[32:33], v[24:25] neg_lo:[0,1] neg_hi:[0,1]
	v_add_f32_e32 v19, v36, v35
	v_add_f32_e32 v13, v13, v21
	;; [unrolled: 1-line block ×4, first 2 shown]
	v_sub_f32_e32 v20, v19, v36
	v_mul_f32_e32 v13, v34, v13
	v_sub_f32_e32 v20, v35, v20
	v_add_f32_e32 v13, v20, v13
	v_add_f32_e32 v20, v19, v13
	v_cvt_f32_i32_e32 v22, v31
	v_mul_f32_e32 v23, v20, v20
	v_mov_b32_e32 v21, 0x3ecc95a3
	v_fmac_f32_e32 v21, 0x3e9b6dac, v23
	v_fmaak_f32 v21, v23, v21, 0x3f2aaada
	v_sub_f32_e32 v19, v20, v19
	v_ldexp_f32 v25, v20, 1
	v_mul_f32_e32 v23, v20, v23
	v_mov_b32_e32 v20, 0x3f317218
	v_pk_mul_f32 v[20:21], v[22:23], v[20:21]
	v_sub_f32_e32 v13, v13, v19
	v_fma_f32 v19, v22, s0, -v20
	v_fmamk_f32 v24, v22, 0xb102e308, v19
	v_pk_add_f32 v[22:23], v[20:21], v[24:25]
	v_ldexp_f32 v13, v13, 1
	v_sub_f32_e32 v19, v23, v25
	v_sub_f32_e32 v19, v21, v19
	v_add_f32_e32 v33, v13, v19
	v_mov_b32_e32 v32, v20
	v_pk_add_f32 v[20:21], v[22:23], v[20:21] neg_lo:[0,1] neg_hi:[0,1]
	v_pk_add_f32 v[34:35], v[22:23], v[32:33]
	v_mov_b32_e32 v25, v22
	v_mov_b32_e32 v21, v35
	v_pk_add_f32 v[36:37], v[24:25], v[20:21] neg_lo:[0,1] neg_hi:[0,1]
	v_pk_add_f32 v[20:21], v[24:25], v[20:21]
	v_mov_b32_e32 v32, v33
	v_pk_add_f32 v[24:25], v[20:21], v[22:23] op_sel:[1,0] op_sel_hi:[0,1] neg_lo:[0,1] neg_hi:[0,1]
	v_pk_add_f32 v[38:39], v[34:35], v[24:25] op_sel_hi:[1,0] neg_lo:[0,1] neg_hi:[0,1]
	v_mov_b32_e32 v34, v35
	v_mov_b32_e32 v35, v21
	v_pk_mov_b32 v[24:25], v[22:23], v[24:25] op_sel:[1,0]
	v_mov_b32_e32 v33, v22
	v_pk_add_f32 v[24:25], v[34:35], v[24:25] neg_lo:[0,1] neg_hi:[0,1]
	v_mov_b32_e32 v38, v36
	v_pk_add_f32 v[22:23], v[32:33], v[24:25] neg_lo:[0,1] neg_hi:[0,1]
	v_mov_b32_e32 v37, v21
	v_pk_add_f32 v[24:25], v[38:39], v[22:23]
	v_cmp_neq_f32_e64 s[0:1], s30, v6
	v_pk_add_f32 v[32:33], v[24:25], v[24:25] op_sel:[0,1] op_sel_hi:[1,0]
	s_nop 0
	v_pk_add_f32 v[20:21], v[20:21], v[32:33] op_sel:[1,0] op_sel_hi:[0,1]
	v_mov_b32_e32 v25, v20
	v_pk_add_f32 v[34:35], v[24:25], v[36:37] neg_lo:[0,1] neg_hi:[0,1]
	v_mov_b32_e32 v23, v32
	v_sub_f32_e32 v13, v24, v34
	v_pk_add_f32 v[22:23], v[22:23], v[34:35] neg_lo:[0,1] neg_hi:[0,1]
	v_sub_f32_e32 v13, v36, v13
	v_add_f32_e32 v13, v22, v13
	v_add_f32_e32 v13, v13, v23
	;; [unrolled: 1-line block ×3, first 2 shown]
	v_cndmask_b32_e64 v13, v15, v13, s[0:1]
	s_mov_b32 s0, 0x33800000
	v_cmp_lt_f32_e64 s[0:1], |v6|, s0
	s_nop 1
	v_cndmask_b32_e64 v6, v13, v6, s[0:1]
	v_add_f32_e32 v6, v12, v6
.LBB105_114:
	s_or_b64 exec, exec, s[28:29]
	v_max_f32_e32 v12, v6, v6
	v_min_f32_e32 v13, v12, v26
	v_cmp_u_f32_e64 s[0:1], v6, v6
	v_max_f32_e32 v12, v12, v26
	s_movk_i32 s30, 0x1f8
	v_cndmask_b32_e64 v13, v13, v6, s[0:1]
	v_cndmask_b32_e64 v12, v12, v6, s[0:1]
	;; [unrolled: 1-line block ×4, first 2 shown]
	v_cmp_neq_f32_e64 s[0:1], v13, v12
	v_cmp_class_f32_e64 s[28:29], v13, s30
	s_or_b64 s[0:1], s[0:1], s[28:29]
	v_mov_b32_e32 v7, v6
	s_and_saveexec_b64 s[28:29], s[0:1]
	s_cbranch_execz .LBB105_116
; %bb.115:
	v_sub_f32_e32 v7, v13, v12
	s_mov_b32 s0, 0x3fb8aa3b
	v_mul_f32_e32 v13, 0x3fb8aa3b, v7
	v_fma_f32 v15, v7, s0, -v13
	v_rndne_f32_e32 v19, v13
	v_fmamk_f32 v15, v7, 0x32a5705f, v15
	v_sub_f32_e32 v13, v13, v19
	v_add_f32_e32 v13, v13, v15
	v_exp_f32_e32 v13, v13
	v_cvt_i32_f32_e32 v15, v19
	s_mov_b32 s0, 0xc2ce8ed0
	v_cmp_ngt_f32_e64 s[0:1], s0, v7
	s_mov_b32 s31, 0x7f800000
	v_ldexp_f32 v13, v13, v15
	v_cndmask_b32_e64 v13, 0, v13, s[0:1]
	s_mov_b32 s0, 0x42b17218
	v_mov_b32_e32 v15, 0x7f800000
	v_cmp_nlt_f32_e64 s[0:1], s0, v7
	s_nop 1
	v_cndmask_b32_e64 v7, v15, v13, s[0:1]
	v_add_f32_e32 v13, 1.0, v7
	v_add_f32_e32 v19, -1.0, v13
	v_sub_f32_e32 v20, v19, v13
	v_add_f32_e32 v20, 1.0, v20
	v_sub_f32_e32 v19, v7, v19
	v_add_f32_e32 v19, v19, v20
	v_frexp_mant_f32_e32 v22, v13
	s_mov_b32 s0, 0x3f2aaaab
	v_cvt_f64_f32_e32 v[20:21], v13
	v_frexp_exp_i32_f64_e32 v20, v[20:21]
	v_cmp_gt_f32_e64 s[0:1], s0, v22
	s_nop 1
	v_subbrev_co_u32_e64 v26, s[0:1], 0, v20, s[0:1]
	v_sub_u32_e32 v20, 0, v26
	v_ldexp_f32 v13, v13, v20
	v_ldexp_f32 v19, v19, v20
	v_add_f32_e32 v20, -1.0, v13
	v_add_f32_e32 v21, 1.0, v20
	v_sub_f32_e32 v21, v13, v21
	v_add_f32_e32 v22, v19, v21
	v_add_f32_e32 v21, 1.0, v13
	v_add_f32_e32 v23, -1.0, v21
	v_sub_f32_e32 v13, v13, v23
	v_add_f32_e32 v13, v19, v13
	v_add_f32_e32 v19, v21, v13
	v_rcp_f32_e32 v31, v19
	v_sub_f32_e32 v21, v21, v19
	v_add_f32_e32 v13, v13, v21
	v_add_f32_e32 v21, v20, v22
	v_sub_f32_e32 v20, v20, v21
	v_mul_f32_e32 v35, v21, v31
	v_add_f32_e32 v34, v22, v20
	v_mul_f32_e32 v22, v19, v35
	v_fma_f32 v24, v35, v19, -v22
	v_fmac_f32_e32 v24, v35, v13
	v_add_f32_e32 v20, v22, v24
	v_sub_f32_e32 v23, v21, v20
	v_pk_add_f32 v[32:33], v[20:21], v[22:23] neg_lo:[0,1] neg_hi:[0,1]
	v_mov_b32_e32 v25, v20
	v_pk_add_f32 v[20:21], v[32:33], v[24:25] neg_lo:[0,1] neg_hi:[0,1]
	s_mov_b32 s0, 0x3f317218
	v_add_f32_e32 v21, v34, v21
	v_add_f32_e32 v20, v20, v21
	;; [unrolled: 1-line block ×3, first 2 shown]
	v_mul_f32_e32 v34, v31, v21
	v_mul_f32_e32 v22, v19, v34
	v_fma_f32 v24, v34, v19, -v22
	v_fmac_f32_e32 v24, v34, v13
	v_sub_f32_e32 v13, v23, v21
	v_add_f32_e32 v13, v20, v13
	v_add_f32_e32 v20, v22, v24
	v_sub_f32_e32 v23, v21, v20
	v_pk_add_f32 v[32:33], v[20:21], v[22:23] neg_lo:[0,1] neg_hi:[0,1]
	v_mov_b32_e32 v25, v20
	v_pk_add_f32 v[20:21], v[32:33], v[24:25] neg_lo:[0,1] neg_hi:[0,1]
	v_add_f32_e32 v19, v35, v34
	v_add_f32_e32 v13, v13, v21
	;; [unrolled: 1-line block ×4, first 2 shown]
	v_sub_f32_e32 v20, v19, v35
	v_mul_f32_e32 v13, v31, v13
	v_sub_f32_e32 v20, v34, v20
	v_add_f32_e32 v13, v20, v13
	v_add_f32_e32 v20, v19, v13
	v_cvt_f32_i32_e32 v22, v26
	v_mul_f32_e32 v23, v20, v20
	v_mov_b32_e32 v21, 0x3ecc95a3
	v_fmac_f32_e32 v21, 0x3e9b6dac, v23
	v_fmaak_f32 v21, v23, v21, 0x3f2aaada
	v_sub_f32_e32 v19, v20, v19
	v_ldexp_f32 v25, v20, 1
	v_mul_f32_e32 v23, v20, v23
	v_mov_b32_e32 v20, 0x3f317218
	v_pk_mul_f32 v[20:21], v[22:23], v[20:21]
	v_sub_f32_e32 v13, v13, v19
	v_fma_f32 v19, v22, s0, -v20
	v_fmamk_f32 v24, v22, 0xb102e308, v19
	v_pk_add_f32 v[22:23], v[20:21], v[24:25]
	v_ldexp_f32 v13, v13, 1
	v_sub_f32_e32 v19, v23, v25
	v_sub_f32_e32 v19, v21, v19
	v_add_f32_e32 v33, v13, v19
	v_mov_b32_e32 v32, v20
	v_pk_add_f32 v[20:21], v[22:23], v[20:21] neg_lo:[0,1] neg_hi:[0,1]
	v_pk_add_f32 v[34:35], v[22:23], v[32:33]
	v_mov_b32_e32 v25, v22
	v_mov_b32_e32 v21, v35
	v_pk_add_f32 v[36:37], v[24:25], v[20:21] neg_lo:[0,1] neg_hi:[0,1]
	v_pk_add_f32 v[20:21], v[24:25], v[20:21]
	v_mov_b32_e32 v32, v33
	v_pk_add_f32 v[24:25], v[20:21], v[22:23] op_sel:[1,0] op_sel_hi:[0,1] neg_lo:[0,1] neg_hi:[0,1]
	v_pk_add_f32 v[38:39], v[34:35], v[24:25] op_sel_hi:[1,0] neg_lo:[0,1] neg_hi:[0,1]
	v_mov_b32_e32 v34, v35
	v_mov_b32_e32 v35, v21
	v_pk_mov_b32 v[24:25], v[22:23], v[24:25] op_sel:[1,0]
	v_mov_b32_e32 v33, v22
	v_pk_add_f32 v[24:25], v[34:35], v[24:25] neg_lo:[0,1] neg_hi:[0,1]
	v_mov_b32_e32 v38, v36
	v_pk_add_f32 v[22:23], v[32:33], v[24:25] neg_lo:[0,1] neg_hi:[0,1]
	v_mov_b32_e32 v37, v21
	v_pk_add_f32 v[24:25], v[38:39], v[22:23]
	v_cmp_neq_f32_e64 s[0:1], s31, v7
	v_pk_add_f32 v[32:33], v[24:25], v[24:25] op_sel:[0,1] op_sel_hi:[1,0]
	s_nop 0
	v_pk_add_f32 v[20:21], v[20:21], v[32:33] op_sel:[1,0] op_sel_hi:[0,1]
	v_mov_b32_e32 v25, v20
	v_pk_add_f32 v[34:35], v[24:25], v[36:37] neg_lo:[0,1] neg_hi:[0,1]
	v_mov_b32_e32 v23, v32
	v_sub_f32_e32 v13, v24, v34
	v_pk_add_f32 v[22:23], v[22:23], v[34:35] neg_lo:[0,1] neg_hi:[0,1]
	v_sub_f32_e32 v13, v36, v13
	v_add_f32_e32 v13, v22, v13
	v_add_f32_e32 v13, v13, v23
	;; [unrolled: 1-line block ×3, first 2 shown]
	v_cndmask_b32_e64 v13, v15, v13, s[0:1]
	s_mov_b32 s0, 0x33800000
	v_cmp_lt_f32_e64 s[0:1], |v7|, s0
	s_nop 1
	v_cndmask_b32_e64 v7, v13, v7, s[0:1]
	v_add_f32_e32 v7, v12, v7
.LBB105_116:
	s_or_b64 exec, exec, s[28:29]
	v_max_f32_e32 v12, v7, v7
	v_min_f32_e32 v13, v12, v27
	v_cmp_u_f32_e64 s[0:1], v7, v7
	v_max_f32_e32 v12, v12, v27
	s_nop 0
	v_cndmask_b32_e64 v13, v13, v7, s[0:1]
	v_cndmask_b32_e64 v12, v12, v7, s[0:1]
	v_cndmask_b32_e64 v13, v13, v8, s[48:49]
	v_cndmask_b32_e64 v12, v12, v8, s[48:49]
	v_cmp_neq_f32_e64 s[0:1], v13, v12
	v_cmp_class_f32_e64 s[28:29], v13, s30
	s_or_b64 s[0:1], s[0:1], s[28:29]
	v_mov_b32_e32 v8, v7
	s_and_saveexec_b64 s[28:29], s[0:1]
	s_cbranch_execz .LBB105_118
; %bb.117:
	v_sub_f32_e32 v8, v13, v12
	s_mov_b32 s0, 0x3fb8aa3b
	v_mul_f32_e32 v13, 0x3fb8aa3b, v8
	v_fma_f32 v15, v8, s0, -v13
	v_rndne_f32_e32 v19, v13
	v_fmamk_f32 v15, v8, 0x32a5705f, v15
	v_sub_f32_e32 v13, v13, v19
	v_add_f32_e32 v13, v13, v15
	v_exp_f32_e32 v13, v13
	v_cvt_i32_f32_e32 v15, v19
	s_mov_b32 s0, 0xc2ce8ed0
	v_cmp_ngt_f32_e64 s[0:1], s0, v8
	s_mov_b32 s30, 0x7f800000
	v_ldexp_f32 v13, v13, v15
	v_cndmask_b32_e64 v13, 0, v13, s[0:1]
	s_mov_b32 s0, 0x42b17218
	v_mov_b32_e32 v15, 0x7f800000
	v_cmp_nlt_f32_e64 s[0:1], s0, v8
	s_nop 1
	v_cndmask_b32_e64 v8, v15, v13, s[0:1]
	v_add_f32_e32 v13, 1.0, v8
	v_add_f32_e32 v19, -1.0, v13
	v_sub_f32_e32 v20, v19, v13
	v_add_f32_e32 v20, 1.0, v20
	v_sub_f32_e32 v19, v8, v19
	v_add_f32_e32 v19, v19, v20
	v_frexp_mant_f32_e32 v22, v13
	s_mov_b32 s0, 0x3f2aaaab
	v_cvt_f64_f32_e32 v[20:21], v13
	v_frexp_exp_i32_f64_e32 v20, v[20:21]
	v_cmp_gt_f32_e64 s[0:1], s0, v22
	s_nop 1
	v_subbrev_co_u32_e64 v31, s[0:1], 0, v20, s[0:1]
	v_sub_u32_e32 v20, 0, v31
	v_ldexp_f32 v13, v13, v20
	v_ldexp_f32 v19, v19, v20
	v_add_f32_e32 v20, -1.0, v13
	v_add_f32_e32 v21, 1.0, v20
	v_sub_f32_e32 v21, v13, v21
	v_add_f32_e32 v22, v19, v21
	v_add_f32_e32 v21, 1.0, v13
	v_add_f32_e32 v23, -1.0, v21
	v_sub_f32_e32 v13, v13, v23
	v_add_f32_e32 v13, v19, v13
	v_add_f32_e32 v19, v21, v13
	v_rcp_f32_e32 v32, v19
	v_sub_f32_e32 v21, v21, v19
	v_add_f32_e32 v13, v13, v21
	v_add_f32_e32 v21, v20, v22
	v_sub_f32_e32 v20, v20, v21
	v_mul_f32_e32 v34, v21, v32
	v_add_f32_e32 v33, v22, v20
	v_mul_f32_e32 v22, v19, v34
	v_fma_f32 v24, v34, v19, -v22
	v_fmac_f32_e32 v24, v34, v13
	v_add_f32_e32 v20, v22, v24
	v_sub_f32_e32 v23, v21, v20
	v_pk_add_f32 v[26:27], v[20:21], v[22:23] neg_lo:[0,1] neg_hi:[0,1]
	v_mov_b32_e32 v25, v20
	v_pk_add_f32 v[20:21], v[26:27], v[24:25] neg_lo:[0,1] neg_hi:[0,1]
	s_mov_b32 s0, 0x3f317218
	v_add_f32_e32 v21, v33, v21
	v_add_f32_e32 v20, v20, v21
	;; [unrolled: 1-line block ×3, first 2 shown]
	v_mul_f32_e32 v33, v32, v21
	v_mul_f32_e32 v22, v19, v33
	v_fma_f32 v24, v33, v19, -v22
	v_fmac_f32_e32 v24, v33, v13
	v_sub_f32_e32 v13, v23, v21
	v_add_f32_e32 v13, v20, v13
	v_add_f32_e32 v20, v22, v24
	v_sub_f32_e32 v23, v21, v20
	v_pk_add_f32 v[26:27], v[20:21], v[22:23] neg_lo:[0,1] neg_hi:[0,1]
	v_mov_b32_e32 v25, v20
	v_pk_add_f32 v[20:21], v[26:27], v[24:25] neg_lo:[0,1] neg_hi:[0,1]
	v_add_f32_e32 v19, v34, v33
	v_add_f32_e32 v13, v13, v21
	;; [unrolled: 1-line block ×4, first 2 shown]
	v_sub_f32_e32 v20, v19, v34
	v_mul_f32_e32 v13, v32, v13
	v_sub_f32_e32 v20, v33, v20
	v_add_f32_e32 v13, v20, v13
	v_add_f32_e32 v20, v19, v13
	v_cvt_f32_i32_e32 v22, v31
	v_mul_f32_e32 v23, v20, v20
	v_mov_b32_e32 v21, 0x3ecc95a3
	v_fmac_f32_e32 v21, 0x3e9b6dac, v23
	v_fmaak_f32 v21, v23, v21, 0x3f2aaada
	v_sub_f32_e32 v19, v20, v19
	v_ldexp_f32 v25, v20, 1
	v_mul_f32_e32 v23, v20, v23
	v_mov_b32_e32 v20, 0x3f317218
	v_pk_mul_f32 v[20:21], v[22:23], v[20:21]
	v_sub_f32_e32 v13, v13, v19
	v_fma_f32 v19, v22, s0, -v20
	v_fmamk_f32 v24, v22, 0xb102e308, v19
	v_pk_add_f32 v[22:23], v[20:21], v[24:25]
	v_ldexp_f32 v13, v13, 1
	v_sub_f32_e32 v19, v23, v25
	v_sub_f32_e32 v19, v21, v19
	v_add_f32_e32 v27, v13, v19
	v_mov_b32_e32 v26, v20
	v_pk_add_f32 v[20:21], v[22:23], v[20:21] neg_lo:[0,1] neg_hi:[0,1]
	v_pk_add_f32 v[32:33], v[22:23], v[26:27]
	v_mov_b32_e32 v25, v22
	v_mov_b32_e32 v21, v33
	v_pk_add_f32 v[34:35], v[24:25], v[20:21] neg_lo:[0,1] neg_hi:[0,1]
	v_pk_add_f32 v[20:21], v[24:25], v[20:21]
	v_mov_b32_e32 v26, v27
	v_pk_add_f32 v[24:25], v[20:21], v[22:23] op_sel:[1,0] op_sel_hi:[0,1] neg_lo:[0,1] neg_hi:[0,1]
	v_pk_add_f32 v[36:37], v[32:33], v[24:25] op_sel_hi:[1,0] neg_lo:[0,1] neg_hi:[0,1]
	v_mov_b32_e32 v32, v33
	v_mov_b32_e32 v33, v21
	v_pk_mov_b32 v[24:25], v[22:23], v[24:25] op_sel:[1,0]
	v_mov_b32_e32 v27, v22
	v_pk_add_f32 v[24:25], v[32:33], v[24:25] neg_lo:[0,1] neg_hi:[0,1]
	v_mov_b32_e32 v36, v34
	v_pk_add_f32 v[22:23], v[26:27], v[24:25] neg_lo:[0,1] neg_hi:[0,1]
	v_mov_b32_e32 v35, v21
	v_pk_add_f32 v[24:25], v[36:37], v[22:23]
	v_cmp_neq_f32_e64 s[0:1], s30, v8
	v_pk_add_f32 v[26:27], v[24:25], v[24:25] op_sel:[0,1] op_sel_hi:[1,0]
	s_nop 0
	v_pk_add_f32 v[20:21], v[20:21], v[26:27] op_sel:[1,0] op_sel_hi:[0,1]
	v_mov_b32_e32 v25, v20
	v_pk_add_f32 v[32:33], v[24:25], v[34:35] neg_lo:[0,1] neg_hi:[0,1]
	v_mov_b32_e32 v23, v26
	v_sub_f32_e32 v13, v24, v32
	v_pk_add_f32 v[22:23], v[22:23], v[32:33] neg_lo:[0,1] neg_hi:[0,1]
	v_sub_f32_e32 v13, v34, v13
	v_add_f32_e32 v13, v22, v13
	v_add_f32_e32 v13, v13, v23
	;; [unrolled: 1-line block ×3, first 2 shown]
	v_cndmask_b32_e64 v13, v15, v13, s[0:1]
	s_mov_b32 s0, 0x33800000
	v_cmp_lt_f32_e64 s[0:1], |v8|, s0
	s_nop 1
	v_cndmask_b32_e64 v8, v13, v8, s[0:1]
	v_add_f32_e32 v8, v12, v8
.LBB105_118:
	s_or_b64 exec, exec, s[28:29]
	v_max_f32_e32 v12, v8, v8
	v_min_f32_e32 v13, v12, v28
	v_cmp_u_f32_e64 s[0:1], v8, v8
	v_max_f32_e32 v12, v12, v28
	s_movk_i32 s30, 0x1f8
	v_cndmask_b32_e64 v13, v13, v8, s[0:1]
	v_cndmask_b32_e64 v12, v12, v8, s[0:1]
	;; [unrolled: 1-line block ×4, first 2 shown]
	v_cmp_neq_f32_e64 s[0:1], v13, v12
	v_cmp_class_f32_e64 s[28:29], v13, s30
	s_or_b64 s[0:1], s[0:1], s[28:29]
	v_mov_b32_e32 v9, v8
	s_and_saveexec_b64 s[28:29], s[0:1]
	s_cbranch_execz .LBB105_120
; %bb.119:
	v_sub_f32_e32 v9, v13, v12
	s_mov_b32 s0, 0x3fb8aa3b
	v_mul_f32_e32 v13, 0x3fb8aa3b, v9
	v_fma_f32 v15, v9, s0, -v13
	v_rndne_f32_e32 v19, v13
	v_fmamk_f32 v15, v9, 0x32a5705f, v15
	v_sub_f32_e32 v13, v13, v19
	v_add_f32_e32 v13, v13, v15
	v_exp_f32_e32 v13, v13
	v_cvt_i32_f32_e32 v15, v19
	s_mov_b32 s0, 0xc2ce8ed0
	v_cmp_ngt_f32_e64 s[0:1], s0, v9
	s_mov_b32 s31, 0x7f800000
	v_ldexp_f32 v13, v13, v15
	v_cndmask_b32_e64 v13, 0, v13, s[0:1]
	s_mov_b32 s0, 0x42b17218
	v_mov_b32_e32 v15, 0x7f800000
	v_cmp_nlt_f32_e64 s[0:1], s0, v9
	s_nop 1
	v_cndmask_b32_e64 v9, v15, v13, s[0:1]
	v_add_f32_e32 v13, 1.0, v9
	v_add_f32_e32 v19, -1.0, v13
	v_sub_f32_e32 v20, v19, v13
	v_add_f32_e32 v20, 1.0, v20
	v_sub_f32_e32 v19, v9, v19
	v_add_f32_e32 v19, v19, v20
	v_frexp_mant_f32_e32 v22, v13
	s_mov_b32 s0, 0x3f2aaaab
	v_cvt_f64_f32_e32 v[20:21], v13
	v_frexp_exp_i32_f64_e32 v20, v[20:21]
	v_cmp_gt_f32_e64 s[0:1], s0, v22
	s_nop 1
	v_subbrev_co_u32_e64 v28, s[0:1], 0, v20, s[0:1]
	v_sub_u32_e32 v20, 0, v28
	v_ldexp_f32 v13, v13, v20
	v_ldexp_f32 v19, v19, v20
	v_add_f32_e32 v20, -1.0, v13
	v_add_f32_e32 v21, 1.0, v20
	v_sub_f32_e32 v21, v13, v21
	v_add_f32_e32 v22, v19, v21
	v_add_f32_e32 v21, 1.0, v13
	v_add_f32_e32 v23, -1.0, v21
	v_sub_f32_e32 v13, v13, v23
	v_add_f32_e32 v13, v19, v13
	v_add_f32_e32 v19, v21, v13
	v_rcp_f32_e32 v31, v19
	v_sub_f32_e32 v21, v21, v19
	v_add_f32_e32 v13, v13, v21
	v_add_f32_e32 v21, v20, v22
	v_sub_f32_e32 v20, v20, v21
	v_mul_f32_e32 v33, v21, v31
	v_add_f32_e32 v32, v22, v20
	v_mul_f32_e32 v22, v19, v33
	v_fma_f32 v24, v33, v19, -v22
	v_fmac_f32_e32 v24, v33, v13
	v_add_f32_e32 v20, v22, v24
	v_sub_f32_e32 v23, v21, v20
	v_pk_add_f32 v[26:27], v[20:21], v[22:23] neg_lo:[0,1] neg_hi:[0,1]
	v_mov_b32_e32 v25, v20
	v_pk_add_f32 v[20:21], v[26:27], v[24:25] neg_lo:[0,1] neg_hi:[0,1]
	s_mov_b32 s0, 0x3f317218
	v_add_f32_e32 v21, v32, v21
	v_add_f32_e32 v20, v20, v21
	;; [unrolled: 1-line block ×3, first 2 shown]
	v_mul_f32_e32 v32, v31, v21
	v_mul_f32_e32 v22, v19, v32
	v_fma_f32 v24, v32, v19, -v22
	v_fmac_f32_e32 v24, v32, v13
	v_sub_f32_e32 v13, v23, v21
	v_add_f32_e32 v13, v20, v13
	v_add_f32_e32 v20, v22, v24
	v_sub_f32_e32 v23, v21, v20
	v_pk_add_f32 v[26:27], v[20:21], v[22:23] neg_lo:[0,1] neg_hi:[0,1]
	v_mov_b32_e32 v25, v20
	v_pk_add_f32 v[20:21], v[26:27], v[24:25] neg_lo:[0,1] neg_hi:[0,1]
	v_add_f32_e32 v19, v33, v32
	v_add_f32_e32 v13, v13, v21
	;; [unrolled: 1-line block ×4, first 2 shown]
	v_sub_f32_e32 v20, v19, v33
	v_mul_f32_e32 v13, v31, v13
	v_sub_f32_e32 v20, v32, v20
	v_add_f32_e32 v13, v20, v13
	v_add_f32_e32 v20, v19, v13
	v_cvt_f32_i32_e32 v22, v28
	v_mul_f32_e32 v23, v20, v20
	v_mov_b32_e32 v21, 0x3ecc95a3
	v_fmac_f32_e32 v21, 0x3e9b6dac, v23
	v_fmaak_f32 v21, v23, v21, 0x3f2aaada
	v_sub_f32_e32 v19, v20, v19
	v_ldexp_f32 v25, v20, 1
	v_mul_f32_e32 v23, v20, v23
	v_mov_b32_e32 v20, 0x3f317218
	v_pk_mul_f32 v[20:21], v[22:23], v[20:21]
	v_sub_f32_e32 v13, v13, v19
	v_fma_f32 v19, v22, s0, -v20
	v_fmamk_f32 v24, v22, 0xb102e308, v19
	v_pk_add_f32 v[22:23], v[20:21], v[24:25]
	v_ldexp_f32 v13, v13, 1
	v_sub_f32_e32 v19, v23, v25
	v_sub_f32_e32 v19, v21, v19
	v_add_f32_e32 v27, v13, v19
	v_mov_b32_e32 v26, v20
	v_pk_add_f32 v[20:21], v[22:23], v[20:21] neg_lo:[0,1] neg_hi:[0,1]
	v_pk_add_f32 v[32:33], v[22:23], v[26:27]
	v_mov_b32_e32 v25, v22
	v_mov_b32_e32 v21, v33
	v_pk_add_f32 v[34:35], v[24:25], v[20:21] neg_lo:[0,1] neg_hi:[0,1]
	v_pk_add_f32 v[20:21], v[24:25], v[20:21]
	v_mov_b32_e32 v26, v27
	v_pk_add_f32 v[24:25], v[20:21], v[22:23] op_sel:[1,0] op_sel_hi:[0,1] neg_lo:[0,1] neg_hi:[0,1]
	v_pk_add_f32 v[36:37], v[32:33], v[24:25] op_sel_hi:[1,0] neg_lo:[0,1] neg_hi:[0,1]
	v_mov_b32_e32 v32, v33
	v_mov_b32_e32 v33, v21
	v_pk_mov_b32 v[24:25], v[22:23], v[24:25] op_sel:[1,0]
	v_mov_b32_e32 v27, v22
	v_pk_add_f32 v[24:25], v[32:33], v[24:25] neg_lo:[0,1] neg_hi:[0,1]
	v_mov_b32_e32 v36, v34
	v_pk_add_f32 v[22:23], v[26:27], v[24:25] neg_lo:[0,1] neg_hi:[0,1]
	v_mov_b32_e32 v35, v21
	v_pk_add_f32 v[24:25], v[36:37], v[22:23]
	v_cmp_neq_f32_e64 s[0:1], s31, v9
	v_pk_add_f32 v[26:27], v[24:25], v[24:25] op_sel:[0,1] op_sel_hi:[1,0]
	s_nop 0
	v_pk_add_f32 v[20:21], v[20:21], v[26:27] op_sel:[1,0] op_sel_hi:[0,1]
	v_mov_b32_e32 v25, v20
	v_pk_add_f32 v[32:33], v[24:25], v[34:35] neg_lo:[0,1] neg_hi:[0,1]
	v_mov_b32_e32 v23, v26
	v_sub_f32_e32 v13, v24, v32
	v_pk_add_f32 v[22:23], v[22:23], v[32:33] neg_lo:[0,1] neg_hi:[0,1]
	v_sub_f32_e32 v13, v34, v13
	v_add_f32_e32 v13, v22, v13
	v_add_f32_e32 v13, v13, v23
	v_add_f32_e32 v13, v20, v13
	v_cndmask_b32_e64 v13, v15, v13, s[0:1]
	s_mov_b32 s0, 0x33800000
	v_cmp_lt_f32_e64 s[0:1], |v9|, s0
	s_nop 1
	v_cndmask_b32_e64 v9, v13, v9, s[0:1]
	v_add_f32_e32 v9, v12, v9
.LBB105_120:
	s_or_b64 exec, exec, s[28:29]
	v_max_f32_e32 v12, v9, v9
	v_min_f32_e32 v13, v12, v29
	v_cmp_u_f32_e64 s[0:1], v9, v9
	v_max_f32_e32 v12, v12, v29
	s_nop 0
	v_cndmask_b32_e64 v13, v13, v9, s[0:1]
	v_cndmask_b32_e64 v12, v12, v9, s[0:1]
	;; [unrolled: 1-line block ×4, first 2 shown]
	v_cmp_neq_f32_e64 s[0:1], v15, v13
	v_cmp_class_f32_e64 s[28:29], v15, s30
	s_or_b64 s[0:1], s[0:1], s[28:29]
	v_mov_b32_e32 v12, v9
	s_and_saveexec_b64 s[28:29], s[0:1]
	s_cbranch_execz .LBB105_122
; %bb.121:
	v_sub_f32_e32 v12, v15, v13
	s_mov_b32 s0, 0x3fb8aa3b
	v_mul_f32_e32 v15, 0x3fb8aa3b, v12
	v_fma_f32 v16, v12, s0, -v15
	v_rndne_f32_e32 v19, v15
	v_fmamk_f32 v16, v12, 0x32a5705f, v16
	v_sub_f32_e32 v15, v15, v19
	v_add_f32_e32 v15, v15, v16
	v_exp_f32_e32 v15, v15
	v_cvt_i32_f32_e32 v16, v19
	s_mov_b32 s0, 0xc2ce8ed0
	v_cmp_ngt_f32_e64 s[0:1], s0, v12
	s_mov_b32 s30, 0x7f800000
	v_ldexp_f32 v15, v15, v16
	v_cndmask_b32_e64 v15, 0, v15, s[0:1]
	s_mov_b32 s0, 0x42b17218
	v_mov_b32_e32 v16, 0x7f800000
	v_cmp_nlt_f32_e64 s[0:1], s0, v12
	s_nop 1
	v_cndmask_b32_e64 v12, v16, v15, s[0:1]
	v_add_f32_e32 v15, 1.0, v12
	v_add_f32_e32 v19, -1.0, v15
	v_sub_f32_e32 v20, v19, v15
	v_add_f32_e32 v20, 1.0, v20
	v_sub_f32_e32 v19, v12, v19
	v_add_f32_e32 v19, v19, v20
	v_frexp_mant_f32_e32 v22, v15
	s_mov_b32 s0, 0x3f2aaaab
	v_cvt_f64_f32_e32 v[20:21], v15
	v_frexp_exp_i32_f64_e32 v20, v[20:21]
	v_cmp_gt_f32_e64 s[0:1], s0, v22
	s_nop 1
	v_subbrev_co_u32_e64 v28, s[0:1], 0, v20, s[0:1]
	v_sub_u32_e32 v20, 0, v28
	v_ldexp_f32 v15, v15, v20
	v_ldexp_f32 v19, v19, v20
	v_add_f32_e32 v20, -1.0, v15
	v_add_f32_e32 v21, 1.0, v20
	v_sub_f32_e32 v21, v15, v21
	v_add_f32_e32 v22, v19, v21
	v_add_f32_e32 v21, 1.0, v15
	v_add_f32_e32 v23, -1.0, v21
	v_sub_f32_e32 v15, v15, v23
	v_add_f32_e32 v15, v19, v15
	v_add_f32_e32 v19, v21, v15
	v_rcp_f32_e32 v29, v19
	v_sub_f32_e32 v21, v21, v19
	v_add_f32_e32 v15, v15, v21
	v_add_f32_e32 v21, v20, v22
	v_sub_f32_e32 v20, v20, v21
	v_mul_f32_e32 v32, v21, v29
	v_add_f32_e32 v31, v22, v20
	v_mul_f32_e32 v22, v19, v32
	v_fma_f32 v24, v32, v19, -v22
	v_fmac_f32_e32 v24, v32, v15
	v_add_f32_e32 v20, v22, v24
	v_sub_f32_e32 v23, v21, v20
	v_pk_add_f32 v[26:27], v[20:21], v[22:23] neg_lo:[0,1] neg_hi:[0,1]
	v_mov_b32_e32 v25, v20
	v_pk_add_f32 v[20:21], v[26:27], v[24:25] neg_lo:[0,1] neg_hi:[0,1]
	s_mov_b32 s0, 0x3f317218
	v_add_f32_e32 v21, v31, v21
	v_add_f32_e32 v20, v20, v21
	;; [unrolled: 1-line block ×3, first 2 shown]
	v_mul_f32_e32 v31, v29, v21
	v_mul_f32_e32 v22, v19, v31
	v_fma_f32 v24, v31, v19, -v22
	v_fmac_f32_e32 v24, v31, v15
	v_sub_f32_e32 v15, v23, v21
	v_add_f32_e32 v15, v20, v15
	v_add_f32_e32 v20, v22, v24
	v_sub_f32_e32 v23, v21, v20
	v_pk_add_f32 v[26:27], v[20:21], v[22:23] neg_lo:[0,1] neg_hi:[0,1]
	v_mov_b32_e32 v25, v20
	v_pk_add_f32 v[20:21], v[26:27], v[24:25] neg_lo:[0,1] neg_hi:[0,1]
	v_add_f32_e32 v19, v32, v31
	v_add_f32_e32 v15, v15, v21
	;; [unrolled: 1-line block ×4, first 2 shown]
	v_sub_f32_e32 v20, v19, v32
	v_mul_f32_e32 v15, v29, v15
	v_sub_f32_e32 v20, v31, v20
	v_add_f32_e32 v15, v20, v15
	v_add_f32_e32 v20, v19, v15
	v_cvt_f32_i32_e32 v22, v28
	v_mul_f32_e32 v23, v20, v20
	v_mov_b32_e32 v21, 0x3ecc95a3
	v_fmac_f32_e32 v21, 0x3e9b6dac, v23
	v_fmaak_f32 v21, v23, v21, 0x3f2aaada
	v_sub_f32_e32 v19, v20, v19
	v_ldexp_f32 v25, v20, 1
	v_mul_f32_e32 v23, v20, v23
	v_mov_b32_e32 v20, 0x3f317218
	v_pk_mul_f32 v[20:21], v[22:23], v[20:21]
	v_sub_f32_e32 v15, v15, v19
	v_fma_f32 v19, v22, s0, -v20
	v_fmamk_f32 v24, v22, 0xb102e308, v19
	v_pk_add_f32 v[22:23], v[20:21], v[24:25]
	v_ldexp_f32 v15, v15, 1
	v_sub_f32_e32 v19, v23, v25
	v_sub_f32_e32 v19, v21, v19
	v_add_f32_e32 v27, v15, v19
	v_mov_b32_e32 v26, v20
	v_pk_add_f32 v[20:21], v[22:23], v[20:21] neg_lo:[0,1] neg_hi:[0,1]
	v_pk_add_f32 v[28:29], v[22:23], v[26:27]
	v_mov_b32_e32 v25, v22
	v_mov_b32_e32 v21, v29
	v_pk_add_f32 v[32:33], v[24:25], v[20:21] neg_lo:[0,1] neg_hi:[0,1]
	v_pk_add_f32 v[20:21], v[24:25], v[20:21]
	v_mov_b32_e32 v26, v27
	v_pk_add_f32 v[24:25], v[20:21], v[22:23] op_sel:[1,0] op_sel_hi:[0,1] neg_lo:[0,1] neg_hi:[0,1]
	v_pk_add_f32 v[34:35], v[28:29], v[24:25] op_sel_hi:[1,0] neg_lo:[0,1] neg_hi:[0,1]
	v_mov_b32_e32 v28, v29
	v_mov_b32_e32 v29, v21
	v_pk_mov_b32 v[24:25], v[22:23], v[24:25] op_sel:[1,0]
	v_mov_b32_e32 v27, v22
	v_pk_add_f32 v[24:25], v[28:29], v[24:25] neg_lo:[0,1] neg_hi:[0,1]
	v_mov_b32_e32 v34, v32
	v_pk_add_f32 v[22:23], v[26:27], v[24:25] neg_lo:[0,1] neg_hi:[0,1]
	v_mov_b32_e32 v33, v21
	v_pk_add_f32 v[24:25], v[34:35], v[22:23]
	v_cmp_neq_f32_e64 s[0:1], s30, v12
	v_pk_add_f32 v[26:27], v[24:25], v[24:25] op_sel:[0,1] op_sel_hi:[1,0]
	s_nop 0
	v_pk_add_f32 v[20:21], v[20:21], v[26:27] op_sel:[1,0] op_sel_hi:[0,1]
	v_mov_b32_e32 v25, v20
	v_pk_add_f32 v[28:29], v[24:25], v[32:33] neg_lo:[0,1] neg_hi:[0,1]
	v_mov_b32_e32 v23, v26
	v_sub_f32_e32 v15, v24, v28
	v_pk_add_f32 v[22:23], v[22:23], v[28:29] neg_lo:[0,1] neg_hi:[0,1]
	v_sub_f32_e32 v15, v32, v15
	v_add_f32_e32 v15, v22, v15
	v_add_f32_e32 v15, v15, v23
	;; [unrolled: 1-line block ×3, first 2 shown]
	v_cndmask_b32_e64 v15, v16, v15, s[0:1]
	s_mov_b32 s0, 0x33800000
	v_cmp_lt_f32_e64 s[0:1], |v12|, s0
	s_nop 1
	v_cndmask_b32_e64 v12, v15, v12, s[0:1]
	v_add_f32_e32 v12, v13, v12
.LBB105_122:
	s_or_b64 exec, exec, s[28:29]
	v_max_f32_e32 v13, v12, v12
	v_min_f32_e32 v15, v13, v30
	v_cmp_u_f32_e64 s[0:1], v12, v12
	v_max_f32_e32 v13, v13, v30
	s_movk_i32 s28, 0x1f8
	v_cndmask_b32_e64 v15, v15, v12, s[0:1]
	v_cndmask_b32_e64 v13, v13, v12, s[0:1]
	;; [unrolled: 1-line block ×4, first 2 shown]
	v_cmp_neq_f32_e64 s[0:1], v16, v15
	v_cmp_class_f32_e64 s[28:29], v16, s28
	s_or_b64 s[0:1], s[0:1], s[28:29]
	v_mov_b32_e32 v13, v12
	s_and_saveexec_b64 s[28:29], s[0:1]
	s_cbranch_execz .LBB105_124
; %bb.123:
	v_sub_f32_e32 v13, v16, v15
	s_mov_b32 s0, 0x3fb8aa3b
	v_mul_f32_e32 v16, 0x3fb8aa3b, v13
	v_fma_f32 v17, v13, s0, -v16
	v_rndne_f32_e32 v19, v16
	v_fmamk_f32 v17, v13, 0x32a5705f, v17
	v_sub_f32_e32 v16, v16, v19
	v_add_f32_e32 v16, v16, v17
	v_exp_f32_e32 v16, v16
	v_cvt_i32_f32_e32 v17, v19
	s_mov_b32 s0, 0xc2ce8ed0
	v_cmp_ngt_f32_e64 s[0:1], s0, v13
	v_mov_b32_e32 v19, 0x7f800000
	v_ldexp_f32 v16, v16, v17
	v_cndmask_b32_e64 v16, 0, v16, s[0:1]
	s_mov_b32 s0, 0x42b17218
	v_cmp_nlt_f32_e64 s[0:1], s0, v13
	s_mov_b32 s30, 0x7f800000
	s_nop 0
	v_cndmask_b32_e64 v13, v19, v16, s[0:1]
	v_add_f32_e32 v20, 1.0, v13
	v_add_f32_e32 v16, -1.0, v20
	v_sub_f32_e32 v17, v16, v20
	v_add_f32_e32 v17, 1.0, v17
	v_sub_f32_e32 v16, v13, v16
	v_add_f32_e32 v21, v16, v17
	v_frexp_mant_f32_e32 v22, v20
	s_mov_b32 s0, 0x3f2aaaab
	v_cvt_f64_f32_e32 v[16:17], v20
	v_frexp_exp_i32_f64_e32 v16, v[16:17]
	v_cmp_gt_f32_e64 s[0:1], s0, v22
	s_nop 1
	v_subbrev_co_u32_e64 v26, s[0:1], 0, v16, s[0:1]
	v_sub_u32_e32 v16, 0, v26
	v_ldexp_f32 v17, v20, v16
	v_add_f32_e32 v20, -1.0, v17
	v_add_f32_e32 v22, 1.0, v17
	v_ldexp_f32 v16, v21, v16
	v_add_f32_e32 v21, 1.0, v20
	v_add_f32_e32 v23, -1.0, v22
	v_sub_f32_e32 v21, v17, v21
	v_sub_f32_e32 v17, v17, v23
	v_add_f32_e32 v21, v16, v21
	v_add_f32_e32 v16, v16, v17
	;; [unrolled: 1-line block ×3, first 2 shown]
	v_rcp_f32_e32 v29, v27
	v_sub_f32_e32 v17, v22, v27
	v_add_f32_e32 v28, v16, v17
	v_add_f32_e32 v17, v20, v21
	v_mul_f32_e32 v31, v17, v29
	v_sub_f32_e32 v16, v20, v17
	v_mul_f32_e32 v20, v27, v31
	v_fma_f32 v22, v31, v27, -v20
	v_fmac_f32_e32 v22, v31, v28
	v_add_f32_e32 v30, v21, v16
	v_add_f32_e32 v16, v20, v22
	v_sub_f32_e32 v21, v17, v16
	v_pk_add_f32 v[24:25], v[16:17], v[20:21] neg_lo:[0,1] neg_hi:[0,1]
	v_mov_b32_e32 v23, v16
	v_pk_add_f32 v[16:17], v[24:25], v[22:23] neg_lo:[0,1] neg_hi:[0,1]
	s_mov_b32 s0, 0x3f317218
	v_add_f32_e32 v17, v30, v17
	v_add_f32_e32 v16, v16, v17
	;; [unrolled: 1-line block ×3, first 2 shown]
	v_mul_f32_e32 v30, v29, v17
	v_mul_f32_e32 v20, v27, v30
	v_fma_f32 v22, v30, v27, -v20
	v_fmac_f32_e32 v22, v30, v28
	v_sub_f32_e32 v21, v21, v17
	v_add_f32_e32 v27, v16, v21
	v_add_f32_e32 v16, v20, v22
	v_sub_f32_e32 v21, v17, v16
	v_pk_add_f32 v[24:25], v[16:17], v[20:21] neg_lo:[0,1] neg_hi:[0,1]
	v_mov_b32_e32 v23, v16
	v_pk_add_f32 v[16:17], v[24:25], v[22:23] neg_lo:[0,1] neg_hi:[0,1]
	v_cvt_f32_i32_e32 v20, v26
	v_add_f32_e32 v17, v27, v17
	v_add_f32_e32 v16, v16, v17
	;; [unrolled: 1-line block ×4, first 2 shown]
	v_sub_f32_e32 v17, v21, v31
	v_mul_f32_e32 v16, v29, v16
	v_sub_f32_e32 v17, v30, v17
	v_add_f32_e32 v16, v17, v16
	v_add_f32_e32 v22, v21, v16
	v_mul_f32_e32 v24, v22, v22
	v_mov_b32_e32 v17, 0x3ecc95a3
	v_sub_f32_e32 v21, v22, v21
	v_fmac_f32_e32 v17, 0x3e9b6dac, v24
	v_sub_f32_e32 v16, v16, v21
	v_fmaak_f32 v17, v24, v17, 0x3f2aaada
	v_ldexp_f32 v25, v16, 1
	v_mul_f32_e32 v21, v22, v24
	v_mov_b32_e32 v16, 0x3f317218
	v_pk_mul_f32 v[16:17], v[20:21], v[16:17]
	v_ldexp_f32 v23, v22, 1
	v_fma_f32 v21, v20, s0, -v16
	v_fmamk_f32 v22, v20, 0xb102e308, v21
	v_pk_add_f32 v[20:21], v[16:17], v[22:23]
	v_mov_b32_e32 v24, v16
	v_sub_f32_e32 v23, v21, v23
	v_sub_f32_e32 v23, v17, v23
	v_add_f32_e32 v25, v25, v23
	v_pk_add_f32 v[16:17], v[20:21], v[16:17] neg_lo:[0,1] neg_hi:[0,1]
	v_pk_add_f32 v[26:27], v[20:21], v[24:25]
	v_mov_b32_e32 v23, v20
	v_mov_b32_e32 v17, v27
	v_pk_add_f32 v[28:29], v[22:23], v[16:17] neg_lo:[0,1] neg_hi:[0,1]
	v_pk_add_f32 v[16:17], v[22:23], v[16:17]
	v_mov_b32_e32 v24, v25
	v_pk_add_f32 v[22:23], v[16:17], v[20:21] op_sel:[1,0] op_sel_hi:[0,1] neg_lo:[0,1] neg_hi:[0,1]
	v_pk_add_f32 v[30:31], v[26:27], v[22:23] op_sel_hi:[1,0] neg_lo:[0,1] neg_hi:[0,1]
	v_mov_b32_e32 v26, v27
	v_mov_b32_e32 v27, v17
	v_pk_mov_b32 v[22:23], v[20:21], v[22:23] op_sel:[1,0]
	v_mov_b32_e32 v25, v20
	v_pk_add_f32 v[22:23], v[26:27], v[22:23] neg_lo:[0,1] neg_hi:[0,1]
	v_mov_b32_e32 v30, v28
	v_pk_add_f32 v[20:21], v[24:25], v[22:23] neg_lo:[0,1] neg_hi:[0,1]
	v_mov_b32_e32 v29, v17
	v_pk_add_f32 v[22:23], v[30:31], v[20:21]
	v_cmp_neq_f32_e64 s[0:1], s30, v13
	v_pk_add_f32 v[24:25], v[22:23], v[22:23] op_sel:[0,1] op_sel_hi:[1,0]
	s_nop 0
	v_pk_add_f32 v[16:17], v[16:17], v[24:25] op_sel:[1,0] op_sel_hi:[0,1]
	v_mov_b32_e32 v23, v16
	v_pk_add_f32 v[26:27], v[22:23], v[28:29] neg_lo:[0,1] neg_hi:[0,1]
	v_mov_b32_e32 v21, v24
	v_sub_f32_e32 v17, v22, v26
	v_pk_add_f32 v[20:21], v[20:21], v[26:27] neg_lo:[0,1] neg_hi:[0,1]
	v_sub_f32_e32 v17, v28, v17
	v_add_f32_e32 v17, v20, v17
	v_add_f32_e32 v17, v17, v21
	;; [unrolled: 1-line block ×3, first 2 shown]
	v_cndmask_b32_e64 v16, v19, v16, s[0:1]
	s_mov_b32 s0, 0x33800000
	v_cmp_lt_f32_e64 s[0:1], |v13|, s0
	s_nop 1
	v_cndmask_b32_e64 v13, v16, v13, s[0:1]
	v_add_f32_e32 v13, v15, v13
.LBB105_124:
	s_or_b64 exec, exec, s[28:29]
	v_add_u32_e32 v15, v14, v18
	s_barrier
	ds_write2_b64 v15, v[2:3], v[0:1] offset1:1
	ds_write2_b64 v15, v[4:5], v[10:11] offset0:2 offset1:3
	ds_write2_b64 v15, v[6:7], v[8:9] offset0:4 offset1:5
	ds_write_b64 v15, v[12:13] offset:48
	s_waitcnt lgkmcnt(0)
	s_barrier
	ds_read2st64_b32 v[12:13], v14 offset0:4 offset1:8
	ds_read2st64_b32 v[10:11], v14 offset0:12 offset1:16
	;; [unrolled: 1-line block ×6, first 2 shown]
	ds_read_b32 v16, v14 offset:13312
	v_mov_b32_e32 v15, 0
	v_lshl_add_u64 v[0:1], s[58:59], 0, v[14:15]
	s_and_saveexec_b64 s[0:1], vcc
	s_cbranch_execnz .LBB105_139
; %bb.125:
	s_or_b64 exec, exec, s[0:1]
	s_and_saveexec_b64 s[0:1], s[26:27]
	s_cbranch_execnz .LBB105_140
.LBB105_126:
	s_or_b64 exec, exec, s[0:1]
	s_and_saveexec_b64 s[0:1], s[2:3]
	s_cbranch_execnz .LBB105_141
.LBB105_127:
	s_or_b64 exec, exec, s[0:1]
	s_and_saveexec_b64 s[0:1], s[4:5]
	s_cbranch_execnz .LBB105_142
.LBB105_128:
	s_or_b64 exec, exec, s[0:1]
	s_and_saveexec_b64 s[0:1], s[6:7]
	s_cbranch_execnz .LBB105_143
.LBB105_129:
	s_or_b64 exec, exec, s[0:1]
	s_and_saveexec_b64 s[0:1], s[8:9]
	s_cbranch_execnz .LBB105_144
.LBB105_130:
	s_or_b64 exec, exec, s[0:1]
	s_and_saveexec_b64 s[0:1], s[10:11]
	s_cbranch_execnz .LBB105_145
.LBB105_131:
	s_or_b64 exec, exec, s[0:1]
	s_and_saveexec_b64 s[0:1], s[12:13]
	s_cbranch_execnz .LBB105_146
.LBB105_132:
	s_or_b64 exec, exec, s[0:1]
	s_and_saveexec_b64 s[0:1], s[14:15]
	s_cbranch_execnz .LBB105_147
.LBB105_133:
	s_or_b64 exec, exec, s[0:1]
	s_and_saveexec_b64 s[0:1], s[16:17]
	s_cbranch_execnz .LBB105_148
.LBB105_134:
	s_or_b64 exec, exec, s[0:1]
	s_and_saveexec_b64 s[0:1], s[18:19]
	s_cbranch_execnz .LBB105_149
.LBB105_135:
	s_or_b64 exec, exec, s[0:1]
	s_and_saveexec_b64 s[0:1], s[20:21]
	s_cbranch_execnz .LBB105_150
.LBB105_136:
	s_or_b64 exec, exec, s[0:1]
	s_and_saveexec_b64 s[0:1], s[22:23]
	s_cbranch_execnz .LBB105_151
.LBB105_137:
	s_or_b64 exec, exec, s[0:1]
	s_and_saveexec_b64 s[0:1], s[24:25]
	s_cbranch_execnz .LBB105_152
.LBB105_138:
	s_endpgm
.LBB105_139:
	ds_read_b32 v14, v14
	s_waitcnt lgkmcnt(0)
	global_store_dword v[0:1], v14, off
	s_or_b64 exec, exec, s[0:1]
	s_and_saveexec_b64 s[0:1], s[26:27]
	s_cbranch_execz .LBB105_126
.LBB105_140:
	s_waitcnt lgkmcnt(6)
	global_store_dword v[0:1], v12, off offset:1024
	s_or_b64 exec, exec, s[0:1]
	s_and_saveexec_b64 s[0:1], s[2:3]
	s_cbranch_execz .LBB105_127
.LBB105_141:
	s_waitcnt lgkmcnt(6)
	global_store_dword v[0:1], v13, off offset:2048
	s_or_b64 exec, exec, s[0:1]
	s_and_saveexec_b64 s[0:1], s[4:5]
	s_cbranch_execz .LBB105_128
.LBB105_142:
	s_waitcnt lgkmcnt(5)
	global_store_dword v[0:1], v10, off offset:3072
	s_or_b64 exec, exec, s[0:1]
	s_and_saveexec_b64 s[0:1], s[6:7]
	s_cbranch_execz .LBB105_129
.LBB105_143:
	s_waitcnt lgkmcnt(6)
	v_add_co_u32_e32 v12, vcc, 0x1000, v0
	s_nop 1
	v_addc_co_u32_e32 v13, vcc, 0, v1, vcc
	s_waitcnt lgkmcnt(5)
	global_store_dword v[12:13], v11, off
	s_or_b64 exec, exec, s[0:1]
	s_and_saveexec_b64 s[0:1], s[8:9]
	s_cbranch_execz .LBB105_130
.LBB105_144:
	s_waitcnt lgkmcnt(5)
	v_add_co_u32_e32 v10, vcc, 0x1000, v0
	s_nop 1
	v_addc_co_u32_e32 v11, vcc, 0, v1, vcc
	s_waitcnt lgkmcnt(4)
	global_store_dword v[10:11], v8, off offset:1024
	s_or_b64 exec, exec, s[0:1]
	s_and_saveexec_b64 s[0:1], s[10:11]
	s_cbranch_execz .LBB105_131
.LBB105_145:
	s_waitcnt lgkmcnt(5)
	v_add_co_u32_e32 v10, vcc, 0x1000, v0
	s_nop 1
	v_addc_co_u32_e32 v11, vcc, 0, v1, vcc
	s_waitcnt lgkmcnt(4)
	global_store_dword v[10:11], v9, off offset:2048
	s_or_b64 exec, exec, s[0:1]
	s_and_saveexec_b64 s[0:1], s[12:13]
	s_cbranch_execz .LBB105_132
.LBB105_146:
	s_waitcnt lgkmcnt(4)
	v_add_co_u32_e32 v8, vcc, 0x1000, v0
	s_nop 1
	v_addc_co_u32_e32 v9, vcc, 0, v1, vcc
	s_waitcnt lgkmcnt(3)
	global_store_dword v[8:9], v6, off offset:3072
	s_or_b64 exec, exec, s[0:1]
	s_and_saveexec_b64 s[0:1], s[14:15]
	s_cbranch_execz .LBB105_133
.LBB105_147:
	s_waitcnt lgkmcnt(4)
	v_add_co_u32_e32 v8, vcc, 0x2000, v0
	s_nop 1
	v_addc_co_u32_e32 v9, vcc, 0, v1, vcc
	s_waitcnt lgkmcnt(3)
	global_store_dword v[8:9], v7, off
	s_or_b64 exec, exec, s[0:1]
	s_and_saveexec_b64 s[0:1], s[16:17]
	s_cbranch_execz .LBB105_134
.LBB105_148:
	s_waitcnt lgkmcnt(3)
	v_add_co_u32_e32 v6, vcc, 0x2000, v0
	s_nop 1
	v_addc_co_u32_e32 v7, vcc, 0, v1, vcc
	s_waitcnt lgkmcnt(2)
	global_store_dword v[6:7], v4, off offset:1024
	s_or_b64 exec, exec, s[0:1]
	s_and_saveexec_b64 s[0:1], s[18:19]
	s_cbranch_execz .LBB105_135
.LBB105_149:
	s_waitcnt lgkmcnt(3)
	v_add_co_u32_e32 v6, vcc, 0x2000, v0
	s_nop 1
	v_addc_co_u32_e32 v7, vcc, 0, v1, vcc
	s_waitcnt lgkmcnt(2)
	global_store_dword v[6:7], v5, off offset:2048
	s_or_b64 exec, exec, s[0:1]
	s_and_saveexec_b64 s[0:1], s[20:21]
	s_cbranch_execz .LBB105_136
.LBB105_150:
	s_waitcnt lgkmcnt(2)
	v_add_co_u32_e32 v4, vcc, 0x2000, v0
	s_nop 1
	v_addc_co_u32_e32 v5, vcc, 0, v1, vcc
	s_waitcnt lgkmcnt(1)
	global_store_dword v[4:5], v2, off offset:3072
	s_or_b64 exec, exec, s[0:1]
	s_and_saveexec_b64 s[0:1], s[22:23]
	s_cbranch_execz .LBB105_137
.LBB105_151:
	s_waitcnt lgkmcnt(2)
	v_add_co_u32_e32 v4, vcc, 0x3000, v0
	s_nop 1
	v_addc_co_u32_e32 v5, vcc, 0, v1, vcc
	s_waitcnt lgkmcnt(1)
	global_store_dword v[4:5], v3, off
	s_or_b64 exec, exec, s[0:1]
	s_and_saveexec_b64 s[0:1], s[24:25]
	s_cbranch_execz .LBB105_138
.LBB105_152:
	v_add_co_u32_e32 v0, vcc, 0x3000, v0
	s_nop 1
	v_addc_co_u32_e32 v1, vcc, 0, v1, vcc
	s_waitcnt lgkmcnt(0)
	global_store_dword v[0:1], v16, off offset:1024
	s_endpgm
	.section	.rodata,"a",@progbits
	.p2align	6, 0x0
	.amdhsa_kernel _ZN7rocprim17ROCPRIM_400000_NS6detail17trampoline_kernelINS0_14default_configENS1_20scan_config_selectorIfEEZZNS1_9scan_implILNS1_25lookback_scan_determinismE0ELb0ELb0ES3_PKfPffZZZN2at6native31launch_logcumsumexp_cuda_kernelERKNSB_10TensorBaseESF_lENKUlvE_clEvENKUlvE0_clEvEUlffE_fEEDaPvRmT3_T4_T5_mT6_P12ihipStream_tbENKUlT_T0_E_clISt17integral_constantIbLb0EESW_EEDaSR_SS_EUlSR_E0_NS1_11comp_targetILNS1_3genE0ELNS1_11target_archE4294967295ELNS1_3gpuE0ELNS1_3repE0EEENS1_30default_config_static_selectorELNS0_4arch9wavefront6targetE1EEEvT1_
		.amdhsa_group_segment_fixed_size 14336
		.amdhsa_private_segment_fixed_size 0
		.amdhsa_kernarg_size 32
		.amdhsa_user_sgpr_count 2
		.amdhsa_user_sgpr_dispatch_ptr 0
		.amdhsa_user_sgpr_queue_ptr 0
		.amdhsa_user_sgpr_kernarg_segment_ptr 1
		.amdhsa_user_sgpr_dispatch_id 0
		.amdhsa_user_sgpr_kernarg_preload_length 0
		.amdhsa_user_sgpr_kernarg_preload_offset 0
		.amdhsa_user_sgpr_private_segment_size 0
		.amdhsa_uses_dynamic_stack 0
		.amdhsa_enable_private_segment 0
		.amdhsa_system_sgpr_workgroup_id_x 1
		.amdhsa_system_sgpr_workgroup_id_y 0
		.amdhsa_system_sgpr_workgroup_id_z 0
		.amdhsa_system_sgpr_workgroup_info 0
		.amdhsa_system_vgpr_workitem_id 0
		.amdhsa_next_free_vgpr 55
		.amdhsa_next_free_sgpr 69
		.amdhsa_accum_offset 56
		.amdhsa_reserve_vcc 1
		.amdhsa_float_round_mode_32 0
		.amdhsa_float_round_mode_16_64 0
		.amdhsa_float_denorm_mode_32 3
		.amdhsa_float_denorm_mode_16_64 3
		.amdhsa_dx10_clamp 1
		.amdhsa_ieee_mode 1
		.amdhsa_fp16_overflow 0
		.amdhsa_tg_split 0
		.amdhsa_exception_fp_ieee_invalid_op 0
		.amdhsa_exception_fp_denorm_src 0
		.amdhsa_exception_fp_ieee_div_zero 0
		.amdhsa_exception_fp_ieee_overflow 0
		.amdhsa_exception_fp_ieee_underflow 0
		.amdhsa_exception_fp_ieee_inexact 0
		.amdhsa_exception_int_div_zero 0
	.end_amdhsa_kernel
	.section	.text._ZN7rocprim17ROCPRIM_400000_NS6detail17trampoline_kernelINS0_14default_configENS1_20scan_config_selectorIfEEZZNS1_9scan_implILNS1_25lookback_scan_determinismE0ELb0ELb0ES3_PKfPffZZZN2at6native31launch_logcumsumexp_cuda_kernelERKNSB_10TensorBaseESF_lENKUlvE_clEvENKUlvE0_clEvEUlffE_fEEDaPvRmT3_T4_T5_mT6_P12ihipStream_tbENKUlT_T0_E_clISt17integral_constantIbLb0EESW_EEDaSR_SS_EUlSR_E0_NS1_11comp_targetILNS1_3genE0ELNS1_11target_archE4294967295ELNS1_3gpuE0ELNS1_3repE0EEENS1_30default_config_static_selectorELNS0_4arch9wavefront6targetE1EEEvT1_,"axG",@progbits,_ZN7rocprim17ROCPRIM_400000_NS6detail17trampoline_kernelINS0_14default_configENS1_20scan_config_selectorIfEEZZNS1_9scan_implILNS1_25lookback_scan_determinismE0ELb0ELb0ES3_PKfPffZZZN2at6native31launch_logcumsumexp_cuda_kernelERKNSB_10TensorBaseESF_lENKUlvE_clEvENKUlvE0_clEvEUlffE_fEEDaPvRmT3_T4_T5_mT6_P12ihipStream_tbENKUlT_T0_E_clISt17integral_constantIbLb0EESW_EEDaSR_SS_EUlSR_E0_NS1_11comp_targetILNS1_3genE0ELNS1_11target_archE4294967295ELNS1_3gpuE0ELNS1_3repE0EEENS1_30default_config_static_selectorELNS0_4arch9wavefront6targetE1EEEvT1_,comdat
.Lfunc_end105:
	.size	_ZN7rocprim17ROCPRIM_400000_NS6detail17trampoline_kernelINS0_14default_configENS1_20scan_config_selectorIfEEZZNS1_9scan_implILNS1_25lookback_scan_determinismE0ELb0ELb0ES3_PKfPffZZZN2at6native31launch_logcumsumexp_cuda_kernelERKNSB_10TensorBaseESF_lENKUlvE_clEvENKUlvE0_clEvEUlffE_fEEDaPvRmT3_T4_T5_mT6_P12ihipStream_tbENKUlT_T0_E_clISt17integral_constantIbLb0EESW_EEDaSR_SS_EUlSR_E0_NS1_11comp_targetILNS1_3genE0ELNS1_11target_archE4294967295ELNS1_3gpuE0ELNS1_3repE0EEENS1_30default_config_static_selectorELNS0_4arch9wavefront6targetE1EEEvT1_, .Lfunc_end105-_ZN7rocprim17ROCPRIM_400000_NS6detail17trampoline_kernelINS0_14default_configENS1_20scan_config_selectorIfEEZZNS1_9scan_implILNS1_25lookback_scan_determinismE0ELb0ELb0ES3_PKfPffZZZN2at6native31launch_logcumsumexp_cuda_kernelERKNSB_10TensorBaseESF_lENKUlvE_clEvENKUlvE0_clEvEUlffE_fEEDaPvRmT3_T4_T5_mT6_P12ihipStream_tbENKUlT_T0_E_clISt17integral_constantIbLb0EESW_EEDaSR_SS_EUlSR_E0_NS1_11comp_targetILNS1_3genE0ELNS1_11target_archE4294967295ELNS1_3gpuE0ELNS1_3repE0EEENS1_30default_config_static_selectorELNS0_4arch9wavefront6targetE1EEEvT1_
                                        ; -- End function
	.set _ZN7rocprim17ROCPRIM_400000_NS6detail17trampoline_kernelINS0_14default_configENS1_20scan_config_selectorIfEEZZNS1_9scan_implILNS1_25lookback_scan_determinismE0ELb0ELb0ES3_PKfPffZZZN2at6native31launch_logcumsumexp_cuda_kernelERKNSB_10TensorBaseESF_lENKUlvE_clEvENKUlvE0_clEvEUlffE_fEEDaPvRmT3_T4_T5_mT6_P12ihipStream_tbENKUlT_T0_E_clISt17integral_constantIbLb0EESW_EEDaSR_SS_EUlSR_E0_NS1_11comp_targetILNS1_3genE0ELNS1_11target_archE4294967295ELNS1_3gpuE0ELNS1_3repE0EEENS1_30default_config_static_selectorELNS0_4arch9wavefront6targetE1EEEvT1_.num_vgpr, 55
	.set _ZN7rocprim17ROCPRIM_400000_NS6detail17trampoline_kernelINS0_14default_configENS1_20scan_config_selectorIfEEZZNS1_9scan_implILNS1_25lookback_scan_determinismE0ELb0ELb0ES3_PKfPffZZZN2at6native31launch_logcumsumexp_cuda_kernelERKNSB_10TensorBaseESF_lENKUlvE_clEvENKUlvE0_clEvEUlffE_fEEDaPvRmT3_T4_T5_mT6_P12ihipStream_tbENKUlT_T0_E_clISt17integral_constantIbLb0EESW_EEDaSR_SS_EUlSR_E0_NS1_11comp_targetILNS1_3genE0ELNS1_11target_archE4294967295ELNS1_3gpuE0ELNS1_3repE0EEENS1_30default_config_static_selectorELNS0_4arch9wavefront6targetE1EEEvT1_.num_agpr, 0
	.set _ZN7rocprim17ROCPRIM_400000_NS6detail17trampoline_kernelINS0_14default_configENS1_20scan_config_selectorIfEEZZNS1_9scan_implILNS1_25lookback_scan_determinismE0ELb0ELb0ES3_PKfPffZZZN2at6native31launch_logcumsumexp_cuda_kernelERKNSB_10TensorBaseESF_lENKUlvE_clEvENKUlvE0_clEvEUlffE_fEEDaPvRmT3_T4_T5_mT6_P12ihipStream_tbENKUlT_T0_E_clISt17integral_constantIbLb0EESW_EEDaSR_SS_EUlSR_E0_NS1_11comp_targetILNS1_3genE0ELNS1_11target_archE4294967295ELNS1_3gpuE0ELNS1_3repE0EEENS1_30default_config_static_selectorELNS0_4arch9wavefront6targetE1EEEvT1_.numbered_sgpr, 69
	.set _ZN7rocprim17ROCPRIM_400000_NS6detail17trampoline_kernelINS0_14default_configENS1_20scan_config_selectorIfEEZZNS1_9scan_implILNS1_25lookback_scan_determinismE0ELb0ELb0ES3_PKfPffZZZN2at6native31launch_logcumsumexp_cuda_kernelERKNSB_10TensorBaseESF_lENKUlvE_clEvENKUlvE0_clEvEUlffE_fEEDaPvRmT3_T4_T5_mT6_P12ihipStream_tbENKUlT_T0_E_clISt17integral_constantIbLb0EESW_EEDaSR_SS_EUlSR_E0_NS1_11comp_targetILNS1_3genE0ELNS1_11target_archE4294967295ELNS1_3gpuE0ELNS1_3repE0EEENS1_30default_config_static_selectorELNS0_4arch9wavefront6targetE1EEEvT1_.num_named_barrier, 0
	.set _ZN7rocprim17ROCPRIM_400000_NS6detail17trampoline_kernelINS0_14default_configENS1_20scan_config_selectorIfEEZZNS1_9scan_implILNS1_25lookback_scan_determinismE0ELb0ELb0ES3_PKfPffZZZN2at6native31launch_logcumsumexp_cuda_kernelERKNSB_10TensorBaseESF_lENKUlvE_clEvENKUlvE0_clEvEUlffE_fEEDaPvRmT3_T4_T5_mT6_P12ihipStream_tbENKUlT_T0_E_clISt17integral_constantIbLb0EESW_EEDaSR_SS_EUlSR_E0_NS1_11comp_targetILNS1_3genE0ELNS1_11target_archE4294967295ELNS1_3gpuE0ELNS1_3repE0EEENS1_30default_config_static_selectorELNS0_4arch9wavefront6targetE1EEEvT1_.private_seg_size, 0
	.set _ZN7rocprim17ROCPRIM_400000_NS6detail17trampoline_kernelINS0_14default_configENS1_20scan_config_selectorIfEEZZNS1_9scan_implILNS1_25lookback_scan_determinismE0ELb0ELb0ES3_PKfPffZZZN2at6native31launch_logcumsumexp_cuda_kernelERKNSB_10TensorBaseESF_lENKUlvE_clEvENKUlvE0_clEvEUlffE_fEEDaPvRmT3_T4_T5_mT6_P12ihipStream_tbENKUlT_T0_E_clISt17integral_constantIbLb0EESW_EEDaSR_SS_EUlSR_E0_NS1_11comp_targetILNS1_3genE0ELNS1_11target_archE4294967295ELNS1_3gpuE0ELNS1_3repE0EEENS1_30default_config_static_selectorELNS0_4arch9wavefront6targetE1EEEvT1_.uses_vcc, 1
	.set _ZN7rocprim17ROCPRIM_400000_NS6detail17trampoline_kernelINS0_14default_configENS1_20scan_config_selectorIfEEZZNS1_9scan_implILNS1_25lookback_scan_determinismE0ELb0ELb0ES3_PKfPffZZZN2at6native31launch_logcumsumexp_cuda_kernelERKNSB_10TensorBaseESF_lENKUlvE_clEvENKUlvE0_clEvEUlffE_fEEDaPvRmT3_T4_T5_mT6_P12ihipStream_tbENKUlT_T0_E_clISt17integral_constantIbLb0EESW_EEDaSR_SS_EUlSR_E0_NS1_11comp_targetILNS1_3genE0ELNS1_11target_archE4294967295ELNS1_3gpuE0ELNS1_3repE0EEENS1_30default_config_static_selectorELNS0_4arch9wavefront6targetE1EEEvT1_.uses_flat_scratch, 0
	.set _ZN7rocprim17ROCPRIM_400000_NS6detail17trampoline_kernelINS0_14default_configENS1_20scan_config_selectorIfEEZZNS1_9scan_implILNS1_25lookback_scan_determinismE0ELb0ELb0ES3_PKfPffZZZN2at6native31launch_logcumsumexp_cuda_kernelERKNSB_10TensorBaseESF_lENKUlvE_clEvENKUlvE0_clEvEUlffE_fEEDaPvRmT3_T4_T5_mT6_P12ihipStream_tbENKUlT_T0_E_clISt17integral_constantIbLb0EESW_EEDaSR_SS_EUlSR_E0_NS1_11comp_targetILNS1_3genE0ELNS1_11target_archE4294967295ELNS1_3gpuE0ELNS1_3repE0EEENS1_30default_config_static_selectorELNS0_4arch9wavefront6targetE1EEEvT1_.has_dyn_sized_stack, 0
	.set _ZN7rocprim17ROCPRIM_400000_NS6detail17trampoline_kernelINS0_14default_configENS1_20scan_config_selectorIfEEZZNS1_9scan_implILNS1_25lookback_scan_determinismE0ELb0ELb0ES3_PKfPffZZZN2at6native31launch_logcumsumexp_cuda_kernelERKNSB_10TensorBaseESF_lENKUlvE_clEvENKUlvE0_clEvEUlffE_fEEDaPvRmT3_T4_T5_mT6_P12ihipStream_tbENKUlT_T0_E_clISt17integral_constantIbLb0EESW_EEDaSR_SS_EUlSR_E0_NS1_11comp_targetILNS1_3genE0ELNS1_11target_archE4294967295ELNS1_3gpuE0ELNS1_3repE0EEENS1_30default_config_static_selectorELNS0_4arch9wavefront6targetE1EEEvT1_.has_recursion, 0
	.set _ZN7rocprim17ROCPRIM_400000_NS6detail17trampoline_kernelINS0_14default_configENS1_20scan_config_selectorIfEEZZNS1_9scan_implILNS1_25lookback_scan_determinismE0ELb0ELb0ES3_PKfPffZZZN2at6native31launch_logcumsumexp_cuda_kernelERKNSB_10TensorBaseESF_lENKUlvE_clEvENKUlvE0_clEvEUlffE_fEEDaPvRmT3_T4_T5_mT6_P12ihipStream_tbENKUlT_T0_E_clISt17integral_constantIbLb0EESW_EEDaSR_SS_EUlSR_E0_NS1_11comp_targetILNS1_3genE0ELNS1_11target_archE4294967295ELNS1_3gpuE0ELNS1_3repE0EEENS1_30default_config_static_selectorELNS0_4arch9wavefront6targetE1EEEvT1_.has_indirect_call, 0
	.section	.AMDGPU.csdata,"",@progbits
; Kernel info:
; codeLenInByte = 36956
; TotalNumSgprs: 75
; NumVgprs: 55
; NumAgprs: 0
; TotalNumVgprs: 55
; ScratchSize: 0
; MemoryBound: 0
; FloatMode: 240
; IeeeMode: 1
; LDSByteSize: 14336 bytes/workgroup (compile time only)
; SGPRBlocks: 9
; VGPRBlocks: 6
; NumSGPRsForWavesPerEU: 75
; NumVGPRsForWavesPerEU: 55
; AccumOffset: 56
; Occupancy: 8
; WaveLimiterHint : 0
; COMPUTE_PGM_RSRC2:SCRATCH_EN: 0
; COMPUTE_PGM_RSRC2:USER_SGPR: 2
; COMPUTE_PGM_RSRC2:TRAP_HANDLER: 0
; COMPUTE_PGM_RSRC2:TGID_X_EN: 1
; COMPUTE_PGM_RSRC2:TGID_Y_EN: 0
; COMPUTE_PGM_RSRC2:TGID_Z_EN: 0
; COMPUTE_PGM_RSRC2:TIDIG_COMP_CNT: 0
; COMPUTE_PGM_RSRC3_GFX90A:ACCUM_OFFSET: 13
; COMPUTE_PGM_RSRC3_GFX90A:TG_SPLIT: 0
	.section	.text._ZN7rocprim17ROCPRIM_400000_NS6detail17trampoline_kernelINS0_14default_configENS1_20scan_config_selectorIfEEZZNS1_9scan_implILNS1_25lookback_scan_determinismE0ELb0ELb0ES3_PKfPffZZZN2at6native31launch_logcumsumexp_cuda_kernelERKNSB_10TensorBaseESF_lENKUlvE_clEvENKUlvE0_clEvEUlffE_fEEDaPvRmT3_T4_T5_mT6_P12ihipStream_tbENKUlT_T0_E_clISt17integral_constantIbLb0EESW_EEDaSR_SS_EUlSR_E0_NS1_11comp_targetILNS1_3genE5ELNS1_11target_archE942ELNS1_3gpuE9ELNS1_3repE0EEENS1_30default_config_static_selectorELNS0_4arch9wavefront6targetE1EEEvT1_,"axG",@progbits,_ZN7rocprim17ROCPRIM_400000_NS6detail17trampoline_kernelINS0_14default_configENS1_20scan_config_selectorIfEEZZNS1_9scan_implILNS1_25lookback_scan_determinismE0ELb0ELb0ES3_PKfPffZZZN2at6native31launch_logcumsumexp_cuda_kernelERKNSB_10TensorBaseESF_lENKUlvE_clEvENKUlvE0_clEvEUlffE_fEEDaPvRmT3_T4_T5_mT6_P12ihipStream_tbENKUlT_T0_E_clISt17integral_constantIbLb0EESW_EEDaSR_SS_EUlSR_E0_NS1_11comp_targetILNS1_3genE5ELNS1_11target_archE942ELNS1_3gpuE9ELNS1_3repE0EEENS1_30default_config_static_selectorELNS0_4arch9wavefront6targetE1EEEvT1_,comdat
	.globl	_ZN7rocprim17ROCPRIM_400000_NS6detail17trampoline_kernelINS0_14default_configENS1_20scan_config_selectorIfEEZZNS1_9scan_implILNS1_25lookback_scan_determinismE0ELb0ELb0ES3_PKfPffZZZN2at6native31launch_logcumsumexp_cuda_kernelERKNSB_10TensorBaseESF_lENKUlvE_clEvENKUlvE0_clEvEUlffE_fEEDaPvRmT3_T4_T5_mT6_P12ihipStream_tbENKUlT_T0_E_clISt17integral_constantIbLb0EESW_EEDaSR_SS_EUlSR_E0_NS1_11comp_targetILNS1_3genE5ELNS1_11target_archE942ELNS1_3gpuE9ELNS1_3repE0EEENS1_30default_config_static_selectorELNS0_4arch9wavefront6targetE1EEEvT1_ ; -- Begin function _ZN7rocprim17ROCPRIM_400000_NS6detail17trampoline_kernelINS0_14default_configENS1_20scan_config_selectorIfEEZZNS1_9scan_implILNS1_25lookback_scan_determinismE0ELb0ELb0ES3_PKfPffZZZN2at6native31launch_logcumsumexp_cuda_kernelERKNSB_10TensorBaseESF_lENKUlvE_clEvENKUlvE0_clEvEUlffE_fEEDaPvRmT3_T4_T5_mT6_P12ihipStream_tbENKUlT_T0_E_clISt17integral_constantIbLb0EESW_EEDaSR_SS_EUlSR_E0_NS1_11comp_targetILNS1_3genE5ELNS1_11target_archE942ELNS1_3gpuE9ELNS1_3repE0EEENS1_30default_config_static_selectorELNS0_4arch9wavefront6targetE1EEEvT1_
	.p2align	8
	.type	_ZN7rocprim17ROCPRIM_400000_NS6detail17trampoline_kernelINS0_14default_configENS1_20scan_config_selectorIfEEZZNS1_9scan_implILNS1_25lookback_scan_determinismE0ELb0ELb0ES3_PKfPffZZZN2at6native31launch_logcumsumexp_cuda_kernelERKNSB_10TensorBaseESF_lENKUlvE_clEvENKUlvE0_clEvEUlffE_fEEDaPvRmT3_T4_T5_mT6_P12ihipStream_tbENKUlT_T0_E_clISt17integral_constantIbLb0EESW_EEDaSR_SS_EUlSR_E0_NS1_11comp_targetILNS1_3genE5ELNS1_11target_archE942ELNS1_3gpuE9ELNS1_3repE0EEENS1_30default_config_static_selectorELNS0_4arch9wavefront6targetE1EEEvT1_,@function
_ZN7rocprim17ROCPRIM_400000_NS6detail17trampoline_kernelINS0_14default_configENS1_20scan_config_selectorIfEEZZNS1_9scan_implILNS1_25lookback_scan_determinismE0ELb0ELb0ES3_PKfPffZZZN2at6native31launch_logcumsumexp_cuda_kernelERKNSB_10TensorBaseESF_lENKUlvE_clEvENKUlvE0_clEvEUlffE_fEEDaPvRmT3_T4_T5_mT6_P12ihipStream_tbENKUlT_T0_E_clISt17integral_constantIbLb0EESW_EEDaSR_SS_EUlSR_E0_NS1_11comp_targetILNS1_3genE5ELNS1_11target_archE942ELNS1_3gpuE9ELNS1_3repE0EEENS1_30default_config_static_selectorELNS0_4arch9wavefront6targetE1EEEvT1_: ; @_ZN7rocprim17ROCPRIM_400000_NS6detail17trampoline_kernelINS0_14default_configENS1_20scan_config_selectorIfEEZZNS1_9scan_implILNS1_25lookback_scan_determinismE0ELb0ELb0ES3_PKfPffZZZN2at6native31launch_logcumsumexp_cuda_kernelERKNSB_10TensorBaseESF_lENKUlvE_clEvENKUlvE0_clEvEUlffE_fEEDaPvRmT3_T4_T5_mT6_P12ihipStream_tbENKUlT_T0_E_clISt17integral_constantIbLb0EESW_EEDaSR_SS_EUlSR_E0_NS1_11comp_targetILNS1_3genE5ELNS1_11target_archE942ELNS1_3gpuE9ELNS1_3repE0EEENS1_30default_config_static_selectorELNS0_4arch9wavefront6targetE1EEEvT1_
; %bb.0:
	.section	.rodata,"a",@progbits
	.p2align	6, 0x0
	.amdhsa_kernel _ZN7rocprim17ROCPRIM_400000_NS6detail17trampoline_kernelINS0_14default_configENS1_20scan_config_selectorIfEEZZNS1_9scan_implILNS1_25lookback_scan_determinismE0ELb0ELb0ES3_PKfPffZZZN2at6native31launch_logcumsumexp_cuda_kernelERKNSB_10TensorBaseESF_lENKUlvE_clEvENKUlvE0_clEvEUlffE_fEEDaPvRmT3_T4_T5_mT6_P12ihipStream_tbENKUlT_T0_E_clISt17integral_constantIbLb0EESW_EEDaSR_SS_EUlSR_E0_NS1_11comp_targetILNS1_3genE5ELNS1_11target_archE942ELNS1_3gpuE9ELNS1_3repE0EEENS1_30default_config_static_selectorELNS0_4arch9wavefront6targetE1EEEvT1_
		.amdhsa_group_segment_fixed_size 0
		.amdhsa_private_segment_fixed_size 0
		.amdhsa_kernarg_size 32
		.amdhsa_user_sgpr_count 2
		.amdhsa_user_sgpr_dispatch_ptr 0
		.amdhsa_user_sgpr_queue_ptr 0
		.amdhsa_user_sgpr_kernarg_segment_ptr 1
		.amdhsa_user_sgpr_dispatch_id 0
		.amdhsa_user_sgpr_kernarg_preload_length 0
		.amdhsa_user_sgpr_kernarg_preload_offset 0
		.amdhsa_user_sgpr_private_segment_size 0
		.amdhsa_uses_dynamic_stack 0
		.amdhsa_enable_private_segment 0
		.amdhsa_system_sgpr_workgroup_id_x 1
		.amdhsa_system_sgpr_workgroup_id_y 0
		.amdhsa_system_sgpr_workgroup_id_z 0
		.amdhsa_system_sgpr_workgroup_info 0
		.amdhsa_system_vgpr_workitem_id 0
		.amdhsa_next_free_vgpr 1
		.amdhsa_next_free_sgpr 0
		.amdhsa_accum_offset 4
		.amdhsa_reserve_vcc 0
		.amdhsa_float_round_mode_32 0
		.amdhsa_float_round_mode_16_64 0
		.amdhsa_float_denorm_mode_32 3
		.amdhsa_float_denorm_mode_16_64 3
		.amdhsa_dx10_clamp 1
		.amdhsa_ieee_mode 1
		.amdhsa_fp16_overflow 0
		.amdhsa_tg_split 0
		.amdhsa_exception_fp_ieee_invalid_op 0
		.amdhsa_exception_fp_denorm_src 0
		.amdhsa_exception_fp_ieee_div_zero 0
		.amdhsa_exception_fp_ieee_overflow 0
		.amdhsa_exception_fp_ieee_underflow 0
		.amdhsa_exception_fp_ieee_inexact 0
		.amdhsa_exception_int_div_zero 0
	.end_amdhsa_kernel
	.section	.text._ZN7rocprim17ROCPRIM_400000_NS6detail17trampoline_kernelINS0_14default_configENS1_20scan_config_selectorIfEEZZNS1_9scan_implILNS1_25lookback_scan_determinismE0ELb0ELb0ES3_PKfPffZZZN2at6native31launch_logcumsumexp_cuda_kernelERKNSB_10TensorBaseESF_lENKUlvE_clEvENKUlvE0_clEvEUlffE_fEEDaPvRmT3_T4_T5_mT6_P12ihipStream_tbENKUlT_T0_E_clISt17integral_constantIbLb0EESW_EEDaSR_SS_EUlSR_E0_NS1_11comp_targetILNS1_3genE5ELNS1_11target_archE942ELNS1_3gpuE9ELNS1_3repE0EEENS1_30default_config_static_selectorELNS0_4arch9wavefront6targetE1EEEvT1_,"axG",@progbits,_ZN7rocprim17ROCPRIM_400000_NS6detail17trampoline_kernelINS0_14default_configENS1_20scan_config_selectorIfEEZZNS1_9scan_implILNS1_25lookback_scan_determinismE0ELb0ELb0ES3_PKfPffZZZN2at6native31launch_logcumsumexp_cuda_kernelERKNSB_10TensorBaseESF_lENKUlvE_clEvENKUlvE0_clEvEUlffE_fEEDaPvRmT3_T4_T5_mT6_P12ihipStream_tbENKUlT_T0_E_clISt17integral_constantIbLb0EESW_EEDaSR_SS_EUlSR_E0_NS1_11comp_targetILNS1_3genE5ELNS1_11target_archE942ELNS1_3gpuE9ELNS1_3repE0EEENS1_30default_config_static_selectorELNS0_4arch9wavefront6targetE1EEEvT1_,comdat
.Lfunc_end106:
	.size	_ZN7rocprim17ROCPRIM_400000_NS6detail17trampoline_kernelINS0_14default_configENS1_20scan_config_selectorIfEEZZNS1_9scan_implILNS1_25lookback_scan_determinismE0ELb0ELb0ES3_PKfPffZZZN2at6native31launch_logcumsumexp_cuda_kernelERKNSB_10TensorBaseESF_lENKUlvE_clEvENKUlvE0_clEvEUlffE_fEEDaPvRmT3_T4_T5_mT6_P12ihipStream_tbENKUlT_T0_E_clISt17integral_constantIbLb0EESW_EEDaSR_SS_EUlSR_E0_NS1_11comp_targetILNS1_3genE5ELNS1_11target_archE942ELNS1_3gpuE9ELNS1_3repE0EEENS1_30default_config_static_selectorELNS0_4arch9wavefront6targetE1EEEvT1_, .Lfunc_end106-_ZN7rocprim17ROCPRIM_400000_NS6detail17trampoline_kernelINS0_14default_configENS1_20scan_config_selectorIfEEZZNS1_9scan_implILNS1_25lookback_scan_determinismE0ELb0ELb0ES3_PKfPffZZZN2at6native31launch_logcumsumexp_cuda_kernelERKNSB_10TensorBaseESF_lENKUlvE_clEvENKUlvE0_clEvEUlffE_fEEDaPvRmT3_T4_T5_mT6_P12ihipStream_tbENKUlT_T0_E_clISt17integral_constantIbLb0EESW_EEDaSR_SS_EUlSR_E0_NS1_11comp_targetILNS1_3genE5ELNS1_11target_archE942ELNS1_3gpuE9ELNS1_3repE0EEENS1_30default_config_static_selectorELNS0_4arch9wavefront6targetE1EEEvT1_
                                        ; -- End function
	.set _ZN7rocprim17ROCPRIM_400000_NS6detail17trampoline_kernelINS0_14default_configENS1_20scan_config_selectorIfEEZZNS1_9scan_implILNS1_25lookback_scan_determinismE0ELb0ELb0ES3_PKfPffZZZN2at6native31launch_logcumsumexp_cuda_kernelERKNSB_10TensorBaseESF_lENKUlvE_clEvENKUlvE0_clEvEUlffE_fEEDaPvRmT3_T4_T5_mT6_P12ihipStream_tbENKUlT_T0_E_clISt17integral_constantIbLb0EESW_EEDaSR_SS_EUlSR_E0_NS1_11comp_targetILNS1_3genE5ELNS1_11target_archE942ELNS1_3gpuE9ELNS1_3repE0EEENS1_30default_config_static_selectorELNS0_4arch9wavefront6targetE1EEEvT1_.num_vgpr, 0
	.set _ZN7rocprim17ROCPRIM_400000_NS6detail17trampoline_kernelINS0_14default_configENS1_20scan_config_selectorIfEEZZNS1_9scan_implILNS1_25lookback_scan_determinismE0ELb0ELb0ES3_PKfPffZZZN2at6native31launch_logcumsumexp_cuda_kernelERKNSB_10TensorBaseESF_lENKUlvE_clEvENKUlvE0_clEvEUlffE_fEEDaPvRmT3_T4_T5_mT6_P12ihipStream_tbENKUlT_T0_E_clISt17integral_constantIbLb0EESW_EEDaSR_SS_EUlSR_E0_NS1_11comp_targetILNS1_3genE5ELNS1_11target_archE942ELNS1_3gpuE9ELNS1_3repE0EEENS1_30default_config_static_selectorELNS0_4arch9wavefront6targetE1EEEvT1_.num_agpr, 0
	.set _ZN7rocprim17ROCPRIM_400000_NS6detail17trampoline_kernelINS0_14default_configENS1_20scan_config_selectorIfEEZZNS1_9scan_implILNS1_25lookback_scan_determinismE0ELb0ELb0ES3_PKfPffZZZN2at6native31launch_logcumsumexp_cuda_kernelERKNSB_10TensorBaseESF_lENKUlvE_clEvENKUlvE0_clEvEUlffE_fEEDaPvRmT3_T4_T5_mT6_P12ihipStream_tbENKUlT_T0_E_clISt17integral_constantIbLb0EESW_EEDaSR_SS_EUlSR_E0_NS1_11comp_targetILNS1_3genE5ELNS1_11target_archE942ELNS1_3gpuE9ELNS1_3repE0EEENS1_30default_config_static_selectorELNS0_4arch9wavefront6targetE1EEEvT1_.numbered_sgpr, 0
	.set _ZN7rocprim17ROCPRIM_400000_NS6detail17trampoline_kernelINS0_14default_configENS1_20scan_config_selectorIfEEZZNS1_9scan_implILNS1_25lookback_scan_determinismE0ELb0ELb0ES3_PKfPffZZZN2at6native31launch_logcumsumexp_cuda_kernelERKNSB_10TensorBaseESF_lENKUlvE_clEvENKUlvE0_clEvEUlffE_fEEDaPvRmT3_T4_T5_mT6_P12ihipStream_tbENKUlT_T0_E_clISt17integral_constantIbLb0EESW_EEDaSR_SS_EUlSR_E0_NS1_11comp_targetILNS1_3genE5ELNS1_11target_archE942ELNS1_3gpuE9ELNS1_3repE0EEENS1_30default_config_static_selectorELNS0_4arch9wavefront6targetE1EEEvT1_.num_named_barrier, 0
	.set _ZN7rocprim17ROCPRIM_400000_NS6detail17trampoline_kernelINS0_14default_configENS1_20scan_config_selectorIfEEZZNS1_9scan_implILNS1_25lookback_scan_determinismE0ELb0ELb0ES3_PKfPffZZZN2at6native31launch_logcumsumexp_cuda_kernelERKNSB_10TensorBaseESF_lENKUlvE_clEvENKUlvE0_clEvEUlffE_fEEDaPvRmT3_T4_T5_mT6_P12ihipStream_tbENKUlT_T0_E_clISt17integral_constantIbLb0EESW_EEDaSR_SS_EUlSR_E0_NS1_11comp_targetILNS1_3genE5ELNS1_11target_archE942ELNS1_3gpuE9ELNS1_3repE0EEENS1_30default_config_static_selectorELNS0_4arch9wavefront6targetE1EEEvT1_.private_seg_size, 0
	.set _ZN7rocprim17ROCPRIM_400000_NS6detail17trampoline_kernelINS0_14default_configENS1_20scan_config_selectorIfEEZZNS1_9scan_implILNS1_25lookback_scan_determinismE0ELb0ELb0ES3_PKfPffZZZN2at6native31launch_logcumsumexp_cuda_kernelERKNSB_10TensorBaseESF_lENKUlvE_clEvENKUlvE0_clEvEUlffE_fEEDaPvRmT3_T4_T5_mT6_P12ihipStream_tbENKUlT_T0_E_clISt17integral_constantIbLb0EESW_EEDaSR_SS_EUlSR_E0_NS1_11comp_targetILNS1_3genE5ELNS1_11target_archE942ELNS1_3gpuE9ELNS1_3repE0EEENS1_30default_config_static_selectorELNS0_4arch9wavefront6targetE1EEEvT1_.uses_vcc, 0
	.set _ZN7rocprim17ROCPRIM_400000_NS6detail17trampoline_kernelINS0_14default_configENS1_20scan_config_selectorIfEEZZNS1_9scan_implILNS1_25lookback_scan_determinismE0ELb0ELb0ES3_PKfPffZZZN2at6native31launch_logcumsumexp_cuda_kernelERKNSB_10TensorBaseESF_lENKUlvE_clEvENKUlvE0_clEvEUlffE_fEEDaPvRmT3_T4_T5_mT6_P12ihipStream_tbENKUlT_T0_E_clISt17integral_constantIbLb0EESW_EEDaSR_SS_EUlSR_E0_NS1_11comp_targetILNS1_3genE5ELNS1_11target_archE942ELNS1_3gpuE9ELNS1_3repE0EEENS1_30default_config_static_selectorELNS0_4arch9wavefront6targetE1EEEvT1_.uses_flat_scratch, 0
	.set _ZN7rocprim17ROCPRIM_400000_NS6detail17trampoline_kernelINS0_14default_configENS1_20scan_config_selectorIfEEZZNS1_9scan_implILNS1_25lookback_scan_determinismE0ELb0ELb0ES3_PKfPffZZZN2at6native31launch_logcumsumexp_cuda_kernelERKNSB_10TensorBaseESF_lENKUlvE_clEvENKUlvE0_clEvEUlffE_fEEDaPvRmT3_T4_T5_mT6_P12ihipStream_tbENKUlT_T0_E_clISt17integral_constantIbLb0EESW_EEDaSR_SS_EUlSR_E0_NS1_11comp_targetILNS1_3genE5ELNS1_11target_archE942ELNS1_3gpuE9ELNS1_3repE0EEENS1_30default_config_static_selectorELNS0_4arch9wavefront6targetE1EEEvT1_.has_dyn_sized_stack, 0
	.set _ZN7rocprim17ROCPRIM_400000_NS6detail17trampoline_kernelINS0_14default_configENS1_20scan_config_selectorIfEEZZNS1_9scan_implILNS1_25lookback_scan_determinismE0ELb0ELb0ES3_PKfPffZZZN2at6native31launch_logcumsumexp_cuda_kernelERKNSB_10TensorBaseESF_lENKUlvE_clEvENKUlvE0_clEvEUlffE_fEEDaPvRmT3_T4_T5_mT6_P12ihipStream_tbENKUlT_T0_E_clISt17integral_constantIbLb0EESW_EEDaSR_SS_EUlSR_E0_NS1_11comp_targetILNS1_3genE5ELNS1_11target_archE942ELNS1_3gpuE9ELNS1_3repE0EEENS1_30default_config_static_selectorELNS0_4arch9wavefront6targetE1EEEvT1_.has_recursion, 0
	.set _ZN7rocprim17ROCPRIM_400000_NS6detail17trampoline_kernelINS0_14default_configENS1_20scan_config_selectorIfEEZZNS1_9scan_implILNS1_25lookback_scan_determinismE0ELb0ELb0ES3_PKfPffZZZN2at6native31launch_logcumsumexp_cuda_kernelERKNSB_10TensorBaseESF_lENKUlvE_clEvENKUlvE0_clEvEUlffE_fEEDaPvRmT3_T4_T5_mT6_P12ihipStream_tbENKUlT_T0_E_clISt17integral_constantIbLb0EESW_EEDaSR_SS_EUlSR_E0_NS1_11comp_targetILNS1_3genE5ELNS1_11target_archE942ELNS1_3gpuE9ELNS1_3repE0EEENS1_30default_config_static_selectorELNS0_4arch9wavefront6targetE1EEEvT1_.has_indirect_call, 0
	.section	.AMDGPU.csdata,"",@progbits
; Kernel info:
; codeLenInByte = 0
; TotalNumSgprs: 6
; NumVgprs: 0
; NumAgprs: 0
; TotalNumVgprs: 0
; ScratchSize: 0
; MemoryBound: 0
; FloatMode: 240
; IeeeMode: 1
; LDSByteSize: 0 bytes/workgroup (compile time only)
; SGPRBlocks: 0
; VGPRBlocks: 0
; NumSGPRsForWavesPerEU: 6
; NumVGPRsForWavesPerEU: 1
; AccumOffset: 4
; Occupancy: 8
; WaveLimiterHint : 0
; COMPUTE_PGM_RSRC2:SCRATCH_EN: 0
; COMPUTE_PGM_RSRC2:USER_SGPR: 2
; COMPUTE_PGM_RSRC2:TRAP_HANDLER: 0
; COMPUTE_PGM_RSRC2:TGID_X_EN: 1
; COMPUTE_PGM_RSRC2:TGID_Y_EN: 0
; COMPUTE_PGM_RSRC2:TGID_Z_EN: 0
; COMPUTE_PGM_RSRC2:TIDIG_COMP_CNT: 0
; COMPUTE_PGM_RSRC3_GFX90A:ACCUM_OFFSET: 0
; COMPUTE_PGM_RSRC3_GFX90A:TG_SPLIT: 0
	.section	.text._ZN7rocprim17ROCPRIM_400000_NS6detail17trampoline_kernelINS0_14default_configENS1_20scan_config_selectorIfEEZZNS1_9scan_implILNS1_25lookback_scan_determinismE0ELb0ELb0ES3_PKfPffZZZN2at6native31launch_logcumsumexp_cuda_kernelERKNSB_10TensorBaseESF_lENKUlvE_clEvENKUlvE0_clEvEUlffE_fEEDaPvRmT3_T4_T5_mT6_P12ihipStream_tbENKUlT_T0_E_clISt17integral_constantIbLb0EESW_EEDaSR_SS_EUlSR_E0_NS1_11comp_targetILNS1_3genE4ELNS1_11target_archE910ELNS1_3gpuE8ELNS1_3repE0EEENS1_30default_config_static_selectorELNS0_4arch9wavefront6targetE1EEEvT1_,"axG",@progbits,_ZN7rocprim17ROCPRIM_400000_NS6detail17trampoline_kernelINS0_14default_configENS1_20scan_config_selectorIfEEZZNS1_9scan_implILNS1_25lookback_scan_determinismE0ELb0ELb0ES3_PKfPffZZZN2at6native31launch_logcumsumexp_cuda_kernelERKNSB_10TensorBaseESF_lENKUlvE_clEvENKUlvE0_clEvEUlffE_fEEDaPvRmT3_T4_T5_mT6_P12ihipStream_tbENKUlT_T0_E_clISt17integral_constantIbLb0EESW_EEDaSR_SS_EUlSR_E0_NS1_11comp_targetILNS1_3genE4ELNS1_11target_archE910ELNS1_3gpuE8ELNS1_3repE0EEENS1_30default_config_static_selectorELNS0_4arch9wavefront6targetE1EEEvT1_,comdat
	.globl	_ZN7rocprim17ROCPRIM_400000_NS6detail17trampoline_kernelINS0_14default_configENS1_20scan_config_selectorIfEEZZNS1_9scan_implILNS1_25lookback_scan_determinismE0ELb0ELb0ES3_PKfPffZZZN2at6native31launch_logcumsumexp_cuda_kernelERKNSB_10TensorBaseESF_lENKUlvE_clEvENKUlvE0_clEvEUlffE_fEEDaPvRmT3_T4_T5_mT6_P12ihipStream_tbENKUlT_T0_E_clISt17integral_constantIbLb0EESW_EEDaSR_SS_EUlSR_E0_NS1_11comp_targetILNS1_3genE4ELNS1_11target_archE910ELNS1_3gpuE8ELNS1_3repE0EEENS1_30default_config_static_selectorELNS0_4arch9wavefront6targetE1EEEvT1_ ; -- Begin function _ZN7rocprim17ROCPRIM_400000_NS6detail17trampoline_kernelINS0_14default_configENS1_20scan_config_selectorIfEEZZNS1_9scan_implILNS1_25lookback_scan_determinismE0ELb0ELb0ES3_PKfPffZZZN2at6native31launch_logcumsumexp_cuda_kernelERKNSB_10TensorBaseESF_lENKUlvE_clEvENKUlvE0_clEvEUlffE_fEEDaPvRmT3_T4_T5_mT6_P12ihipStream_tbENKUlT_T0_E_clISt17integral_constantIbLb0EESW_EEDaSR_SS_EUlSR_E0_NS1_11comp_targetILNS1_3genE4ELNS1_11target_archE910ELNS1_3gpuE8ELNS1_3repE0EEENS1_30default_config_static_selectorELNS0_4arch9wavefront6targetE1EEEvT1_
	.p2align	8
	.type	_ZN7rocprim17ROCPRIM_400000_NS6detail17trampoline_kernelINS0_14default_configENS1_20scan_config_selectorIfEEZZNS1_9scan_implILNS1_25lookback_scan_determinismE0ELb0ELb0ES3_PKfPffZZZN2at6native31launch_logcumsumexp_cuda_kernelERKNSB_10TensorBaseESF_lENKUlvE_clEvENKUlvE0_clEvEUlffE_fEEDaPvRmT3_T4_T5_mT6_P12ihipStream_tbENKUlT_T0_E_clISt17integral_constantIbLb0EESW_EEDaSR_SS_EUlSR_E0_NS1_11comp_targetILNS1_3genE4ELNS1_11target_archE910ELNS1_3gpuE8ELNS1_3repE0EEENS1_30default_config_static_selectorELNS0_4arch9wavefront6targetE1EEEvT1_,@function
_ZN7rocprim17ROCPRIM_400000_NS6detail17trampoline_kernelINS0_14default_configENS1_20scan_config_selectorIfEEZZNS1_9scan_implILNS1_25lookback_scan_determinismE0ELb0ELb0ES3_PKfPffZZZN2at6native31launch_logcumsumexp_cuda_kernelERKNSB_10TensorBaseESF_lENKUlvE_clEvENKUlvE0_clEvEUlffE_fEEDaPvRmT3_T4_T5_mT6_P12ihipStream_tbENKUlT_T0_E_clISt17integral_constantIbLb0EESW_EEDaSR_SS_EUlSR_E0_NS1_11comp_targetILNS1_3genE4ELNS1_11target_archE910ELNS1_3gpuE8ELNS1_3repE0EEENS1_30default_config_static_selectorELNS0_4arch9wavefront6targetE1EEEvT1_: ; @_ZN7rocprim17ROCPRIM_400000_NS6detail17trampoline_kernelINS0_14default_configENS1_20scan_config_selectorIfEEZZNS1_9scan_implILNS1_25lookback_scan_determinismE0ELb0ELb0ES3_PKfPffZZZN2at6native31launch_logcumsumexp_cuda_kernelERKNSB_10TensorBaseESF_lENKUlvE_clEvENKUlvE0_clEvEUlffE_fEEDaPvRmT3_T4_T5_mT6_P12ihipStream_tbENKUlT_T0_E_clISt17integral_constantIbLb0EESW_EEDaSR_SS_EUlSR_E0_NS1_11comp_targetILNS1_3genE4ELNS1_11target_archE910ELNS1_3gpuE8ELNS1_3repE0EEENS1_30default_config_static_selectorELNS0_4arch9wavefront6targetE1EEEvT1_
; %bb.0:
	.section	.rodata,"a",@progbits
	.p2align	6, 0x0
	.amdhsa_kernel _ZN7rocprim17ROCPRIM_400000_NS6detail17trampoline_kernelINS0_14default_configENS1_20scan_config_selectorIfEEZZNS1_9scan_implILNS1_25lookback_scan_determinismE0ELb0ELb0ES3_PKfPffZZZN2at6native31launch_logcumsumexp_cuda_kernelERKNSB_10TensorBaseESF_lENKUlvE_clEvENKUlvE0_clEvEUlffE_fEEDaPvRmT3_T4_T5_mT6_P12ihipStream_tbENKUlT_T0_E_clISt17integral_constantIbLb0EESW_EEDaSR_SS_EUlSR_E0_NS1_11comp_targetILNS1_3genE4ELNS1_11target_archE910ELNS1_3gpuE8ELNS1_3repE0EEENS1_30default_config_static_selectorELNS0_4arch9wavefront6targetE1EEEvT1_
		.amdhsa_group_segment_fixed_size 0
		.amdhsa_private_segment_fixed_size 0
		.amdhsa_kernarg_size 32
		.amdhsa_user_sgpr_count 2
		.amdhsa_user_sgpr_dispatch_ptr 0
		.amdhsa_user_sgpr_queue_ptr 0
		.amdhsa_user_sgpr_kernarg_segment_ptr 1
		.amdhsa_user_sgpr_dispatch_id 0
		.amdhsa_user_sgpr_kernarg_preload_length 0
		.amdhsa_user_sgpr_kernarg_preload_offset 0
		.amdhsa_user_sgpr_private_segment_size 0
		.amdhsa_uses_dynamic_stack 0
		.amdhsa_enable_private_segment 0
		.amdhsa_system_sgpr_workgroup_id_x 1
		.amdhsa_system_sgpr_workgroup_id_y 0
		.amdhsa_system_sgpr_workgroup_id_z 0
		.amdhsa_system_sgpr_workgroup_info 0
		.amdhsa_system_vgpr_workitem_id 0
		.amdhsa_next_free_vgpr 1
		.amdhsa_next_free_sgpr 0
		.amdhsa_accum_offset 4
		.amdhsa_reserve_vcc 0
		.amdhsa_float_round_mode_32 0
		.amdhsa_float_round_mode_16_64 0
		.amdhsa_float_denorm_mode_32 3
		.amdhsa_float_denorm_mode_16_64 3
		.amdhsa_dx10_clamp 1
		.amdhsa_ieee_mode 1
		.amdhsa_fp16_overflow 0
		.amdhsa_tg_split 0
		.amdhsa_exception_fp_ieee_invalid_op 0
		.amdhsa_exception_fp_denorm_src 0
		.amdhsa_exception_fp_ieee_div_zero 0
		.amdhsa_exception_fp_ieee_overflow 0
		.amdhsa_exception_fp_ieee_underflow 0
		.amdhsa_exception_fp_ieee_inexact 0
		.amdhsa_exception_int_div_zero 0
	.end_amdhsa_kernel
	.section	.text._ZN7rocprim17ROCPRIM_400000_NS6detail17trampoline_kernelINS0_14default_configENS1_20scan_config_selectorIfEEZZNS1_9scan_implILNS1_25lookback_scan_determinismE0ELb0ELb0ES3_PKfPffZZZN2at6native31launch_logcumsumexp_cuda_kernelERKNSB_10TensorBaseESF_lENKUlvE_clEvENKUlvE0_clEvEUlffE_fEEDaPvRmT3_T4_T5_mT6_P12ihipStream_tbENKUlT_T0_E_clISt17integral_constantIbLb0EESW_EEDaSR_SS_EUlSR_E0_NS1_11comp_targetILNS1_3genE4ELNS1_11target_archE910ELNS1_3gpuE8ELNS1_3repE0EEENS1_30default_config_static_selectorELNS0_4arch9wavefront6targetE1EEEvT1_,"axG",@progbits,_ZN7rocprim17ROCPRIM_400000_NS6detail17trampoline_kernelINS0_14default_configENS1_20scan_config_selectorIfEEZZNS1_9scan_implILNS1_25lookback_scan_determinismE0ELb0ELb0ES3_PKfPffZZZN2at6native31launch_logcumsumexp_cuda_kernelERKNSB_10TensorBaseESF_lENKUlvE_clEvENKUlvE0_clEvEUlffE_fEEDaPvRmT3_T4_T5_mT6_P12ihipStream_tbENKUlT_T0_E_clISt17integral_constantIbLb0EESW_EEDaSR_SS_EUlSR_E0_NS1_11comp_targetILNS1_3genE4ELNS1_11target_archE910ELNS1_3gpuE8ELNS1_3repE0EEENS1_30default_config_static_selectorELNS0_4arch9wavefront6targetE1EEEvT1_,comdat
.Lfunc_end107:
	.size	_ZN7rocprim17ROCPRIM_400000_NS6detail17trampoline_kernelINS0_14default_configENS1_20scan_config_selectorIfEEZZNS1_9scan_implILNS1_25lookback_scan_determinismE0ELb0ELb0ES3_PKfPffZZZN2at6native31launch_logcumsumexp_cuda_kernelERKNSB_10TensorBaseESF_lENKUlvE_clEvENKUlvE0_clEvEUlffE_fEEDaPvRmT3_T4_T5_mT6_P12ihipStream_tbENKUlT_T0_E_clISt17integral_constantIbLb0EESW_EEDaSR_SS_EUlSR_E0_NS1_11comp_targetILNS1_3genE4ELNS1_11target_archE910ELNS1_3gpuE8ELNS1_3repE0EEENS1_30default_config_static_selectorELNS0_4arch9wavefront6targetE1EEEvT1_, .Lfunc_end107-_ZN7rocprim17ROCPRIM_400000_NS6detail17trampoline_kernelINS0_14default_configENS1_20scan_config_selectorIfEEZZNS1_9scan_implILNS1_25lookback_scan_determinismE0ELb0ELb0ES3_PKfPffZZZN2at6native31launch_logcumsumexp_cuda_kernelERKNSB_10TensorBaseESF_lENKUlvE_clEvENKUlvE0_clEvEUlffE_fEEDaPvRmT3_T4_T5_mT6_P12ihipStream_tbENKUlT_T0_E_clISt17integral_constantIbLb0EESW_EEDaSR_SS_EUlSR_E0_NS1_11comp_targetILNS1_3genE4ELNS1_11target_archE910ELNS1_3gpuE8ELNS1_3repE0EEENS1_30default_config_static_selectorELNS0_4arch9wavefront6targetE1EEEvT1_
                                        ; -- End function
	.set _ZN7rocprim17ROCPRIM_400000_NS6detail17trampoline_kernelINS0_14default_configENS1_20scan_config_selectorIfEEZZNS1_9scan_implILNS1_25lookback_scan_determinismE0ELb0ELb0ES3_PKfPffZZZN2at6native31launch_logcumsumexp_cuda_kernelERKNSB_10TensorBaseESF_lENKUlvE_clEvENKUlvE0_clEvEUlffE_fEEDaPvRmT3_T4_T5_mT6_P12ihipStream_tbENKUlT_T0_E_clISt17integral_constantIbLb0EESW_EEDaSR_SS_EUlSR_E0_NS1_11comp_targetILNS1_3genE4ELNS1_11target_archE910ELNS1_3gpuE8ELNS1_3repE0EEENS1_30default_config_static_selectorELNS0_4arch9wavefront6targetE1EEEvT1_.num_vgpr, 0
	.set _ZN7rocprim17ROCPRIM_400000_NS6detail17trampoline_kernelINS0_14default_configENS1_20scan_config_selectorIfEEZZNS1_9scan_implILNS1_25lookback_scan_determinismE0ELb0ELb0ES3_PKfPffZZZN2at6native31launch_logcumsumexp_cuda_kernelERKNSB_10TensorBaseESF_lENKUlvE_clEvENKUlvE0_clEvEUlffE_fEEDaPvRmT3_T4_T5_mT6_P12ihipStream_tbENKUlT_T0_E_clISt17integral_constantIbLb0EESW_EEDaSR_SS_EUlSR_E0_NS1_11comp_targetILNS1_3genE4ELNS1_11target_archE910ELNS1_3gpuE8ELNS1_3repE0EEENS1_30default_config_static_selectorELNS0_4arch9wavefront6targetE1EEEvT1_.num_agpr, 0
	.set _ZN7rocprim17ROCPRIM_400000_NS6detail17trampoline_kernelINS0_14default_configENS1_20scan_config_selectorIfEEZZNS1_9scan_implILNS1_25lookback_scan_determinismE0ELb0ELb0ES3_PKfPffZZZN2at6native31launch_logcumsumexp_cuda_kernelERKNSB_10TensorBaseESF_lENKUlvE_clEvENKUlvE0_clEvEUlffE_fEEDaPvRmT3_T4_T5_mT6_P12ihipStream_tbENKUlT_T0_E_clISt17integral_constantIbLb0EESW_EEDaSR_SS_EUlSR_E0_NS1_11comp_targetILNS1_3genE4ELNS1_11target_archE910ELNS1_3gpuE8ELNS1_3repE0EEENS1_30default_config_static_selectorELNS0_4arch9wavefront6targetE1EEEvT1_.numbered_sgpr, 0
	.set _ZN7rocprim17ROCPRIM_400000_NS6detail17trampoline_kernelINS0_14default_configENS1_20scan_config_selectorIfEEZZNS1_9scan_implILNS1_25lookback_scan_determinismE0ELb0ELb0ES3_PKfPffZZZN2at6native31launch_logcumsumexp_cuda_kernelERKNSB_10TensorBaseESF_lENKUlvE_clEvENKUlvE0_clEvEUlffE_fEEDaPvRmT3_T4_T5_mT6_P12ihipStream_tbENKUlT_T0_E_clISt17integral_constantIbLb0EESW_EEDaSR_SS_EUlSR_E0_NS1_11comp_targetILNS1_3genE4ELNS1_11target_archE910ELNS1_3gpuE8ELNS1_3repE0EEENS1_30default_config_static_selectorELNS0_4arch9wavefront6targetE1EEEvT1_.num_named_barrier, 0
	.set _ZN7rocprim17ROCPRIM_400000_NS6detail17trampoline_kernelINS0_14default_configENS1_20scan_config_selectorIfEEZZNS1_9scan_implILNS1_25lookback_scan_determinismE0ELb0ELb0ES3_PKfPffZZZN2at6native31launch_logcumsumexp_cuda_kernelERKNSB_10TensorBaseESF_lENKUlvE_clEvENKUlvE0_clEvEUlffE_fEEDaPvRmT3_T4_T5_mT6_P12ihipStream_tbENKUlT_T0_E_clISt17integral_constantIbLb0EESW_EEDaSR_SS_EUlSR_E0_NS1_11comp_targetILNS1_3genE4ELNS1_11target_archE910ELNS1_3gpuE8ELNS1_3repE0EEENS1_30default_config_static_selectorELNS0_4arch9wavefront6targetE1EEEvT1_.private_seg_size, 0
	.set _ZN7rocprim17ROCPRIM_400000_NS6detail17trampoline_kernelINS0_14default_configENS1_20scan_config_selectorIfEEZZNS1_9scan_implILNS1_25lookback_scan_determinismE0ELb0ELb0ES3_PKfPffZZZN2at6native31launch_logcumsumexp_cuda_kernelERKNSB_10TensorBaseESF_lENKUlvE_clEvENKUlvE0_clEvEUlffE_fEEDaPvRmT3_T4_T5_mT6_P12ihipStream_tbENKUlT_T0_E_clISt17integral_constantIbLb0EESW_EEDaSR_SS_EUlSR_E0_NS1_11comp_targetILNS1_3genE4ELNS1_11target_archE910ELNS1_3gpuE8ELNS1_3repE0EEENS1_30default_config_static_selectorELNS0_4arch9wavefront6targetE1EEEvT1_.uses_vcc, 0
	.set _ZN7rocprim17ROCPRIM_400000_NS6detail17trampoline_kernelINS0_14default_configENS1_20scan_config_selectorIfEEZZNS1_9scan_implILNS1_25lookback_scan_determinismE0ELb0ELb0ES3_PKfPffZZZN2at6native31launch_logcumsumexp_cuda_kernelERKNSB_10TensorBaseESF_lENKUlvE_clEvENKUlvE0_clEvEUlffE_fEEDaPvRmT3_T4_T5_mT6_P12ihipStream_tbENKUlT_T0_E_clISt17integral_constantIbLb0EESW_EEDaSR_SS_EUlSR_E0_NS1_11comp_targetILNS1_3genE4ELNS1_11target_archE910ELNS1_3gpuE8ELNS1_3repE0EEENS1_30default_config_static_selectorELNS0_4arch9wavefront6targetE1EEEvT1_.uses_flat_scratch, 0
	.set _ZN7rocprim17ROCPRIM_400000_NS6detail17trampoline_kernelINS0_14default_configENS1_20scan_config_selectorIfEEZZNS1_9scan_implILNS1_25lookback_scan_determinismE0ELb0ELb0ES3_PKfPffZZZN2at6native31launch_logcumsumexp_cuda_kernelERKNSB_10TensorBaseESF_lENKUlvE_clEvENKUlvE0_clEvEUlffE_fEEDaPvRmT3_T4_T5_mT6_P12ihipStream_tbENKUlT_T0_E_clISt17integral_constantIbLb0EESW_EEDaSR_SS_EUlSR_E0_NS1_11comp_targetILNS1_3genE4ELNS1_11target_archE910ELNS1_3gpuE8ELNS1_3repE0EEENS1_30default_config_static_selectorELNS0_4arch9wavefront6targetE1EEEvT1_.has_dyn_sized_stack, 0
	.set _ZN7rocprim17ROCPRIM_400000_NS6detail17trampoline_kernelINS0_14default_configENS1_20scan_config_selectorIfEEZZNS1_9scan_implILNS1_25lookback_scan_determinismE0ELb0ELb0ES3_PKfPffZZZN2at6native31launch_logcumsumexp_cuda_kernelERKNSB_10TensorBaseESF_lENKUlvE_clEvENKUlvE0_clEvEUlffE_fEEDaPvRmT3_T4_T5_mT6_P12ihipStream_tbENKUlT_T0_E_clISt17integral_constantIbLb0EESW_EEDaSR_SS_EUlSR_E0_NS1_11comp_targetILNS1_3genE4ELNS1_11target_archE910ELNS1_3gpuE8ELNS1_3repE0EEENS1_30default_config_static_selectorELNS0_4arch9wavefront6targetE1EEEvT1_.has_recursion, 0
	.set _ZN7rocprim17ROCPRIM_400000_NS6detail17trampoline_kernelINS0_14default_configENS1_20scan_config_selectorIfEEZZNS1_9scan_implILNS1_25lookback_scan_determinismE0ELb0ELb0ES3_PKfPffZZZN2at6native31launch_logcumsumexp_cuda_kernelERKNSB_10TensorBaseESF_lENKUlvE_clEvENKUlvE0_clEvEUlffE_fEEDaPvRmT3_T4_T5_mT6_P12ihipStream_tbENKUlT_T0_E_clISt17integral_constantIbLb0EESW_EEDaSR_SS_EUlSR_E0_NS1_11comp_targetILNS1_3genE4ELNS1_11target_archE910ELNS1_3gpuE8ELNS1_3repE0EEENS1_30default_config_static_selectorELNS0_4arch9wavefront6targetE1EEEvT1_.has_indirect_call, 0
	.section	.AMDGPU.csdata,"",@progbits
; Kernel info:
; codeLenInByte = 0
; TotalNumSgprs: 6
; NumVgprs: 0
; NumAgprs: 0
; TotalNumVgprs: 0
; ScratchSize: 0
; MemoryBound: 0
; FloatMode: 240
; IeeeMode: 1
; LDSByteSize: 0 bytes/workgroup (compile time only)
; SGPRBlocks: 0
; VGPRBlocks: 0
; NumSGPRsForWavesPerEU: 6
; NumVGPRsForWavesPerEU: 1
; AccumOffset: 4
; Occupancy: 8
; WaveLimiterHint : 0
; COMPUTE_PGM_RSRC2:SCRATCH_EN: 0
; COMPUTE_PGM_RSRC2:USER_SGPR: 2
; COMPUTE_PGM_RSRC2:TRAP_HANDLER: 0
; COMPUTE_PGM_RSRC2:TGID_X_EN: 1
; COMPUTE_PGM_RSRC2:TGID_Y_EN: 0
; COMPUTE_PGM_RSRC2:TGID_Z_EN: 0
; COMPUTE_PGM_RSRC2:TIDIG_COMP_CNT: 0
; COMPUTE_PGM_RSRC3_GFX90A:ACCUM_OFFSET: 0
; COMPUTE_PGM_RSRC3_GFX90A:TG_SPLIT: 0
	.section	.text._ZN7rocprim17ROCPRIM_400000_NS6detail17trampoline_kernelINS0_14default_configENS1_20scan_config_selectorIfEEZZNS1_9scan_implILNS1_25lookback_scan_determinismE0ELb0ELb0ES3_PKfPffZZZN2at6native31launch_logcumsumexp_cuda_kernelERKNSB_10TensorBaseESF_lENKUlvE_clEvENKUlvE0_clEvEUlffE_fEEDaPvRmT3_T4_T5_mT6_P12ihipStream_tbENKUlT_T0_E_clISt17integral_constantIbLb0EESW_EEDaSR_SS_EUlSR_E0_NS1_11comp_targetILNS1_3genE3ELNS1_11target_archE908ELNS1_3gpuE7ELNS1_3repE0EEENS1_30default_config_static_selectorELNS0_4arch9wavefront6targetE1EEEvT1_,"axG",@progbits,_ZN7rocprim17ROCPRIM_400000_NS6detail17trampoline_kernelINS0_14default_configENS1_20scan_config_selectorIfEEZZNS1_9scan_implILNS1_25lookback_scan_determinismE0ELb0ELb0ES3_PKfPffZZZN2at6native31launch_logcumsumexp_cuda_kernelERKNSB_10TensorBaseESF_lENKUlvE_clEvENKUlvE0_clEvEUlffE_fEEDaPvRmT3_T4_T5_mT6_P12ihipStream_tbENKUlT_T0_E_clISt17integral_constantIbLb0EESW_EEDaSR_SS_EUlSR_E0_NS1_11comp_targetILNS1_3genE3ELNS1_11target_archE908ELNS1_3gpuE7ELNS1_3repE0EEENS1_30default_config_static_selectorELNS0_4arch9wavefront6targetE1EEEvT1_,comdat
	.globl	_ZN7rocprim17ROCPRIM_400000_NS6detail17trampoline_kernelINS0_14default_configENS1_20scan_config_selectorIfEEZZNS1_9scan_implILNS1_25lookback_scan_determinismE0ELb0ELb0ES3_PKfPffZZZN2at6native31launch_logcumsumexp_cuda_kernelERKNSB_10TensorBaseESF_lENKUlvE_clEvENKUlvE0_clEvEUlffE_fEEDaPvRmT3_T4_T5_mT6_P12ihipStream_tbENKUlT_T0_E_clISt17integral_constantIbLb0EESW_EEDaSR_SS_EUlSR_E0_NS1_11comp_targetILNS1_3genE3ELNS1_11target_archE908ELNS1_3gpuE7ELNS1_3repE0EEENS1_30default_config_static_selectorELNS0_4arch9wavefront6targetE1EEEvT1_ ; -- Begin function _ZN7rocprim17ROCPRIM_400000_NS6detail17trampoline_kernelINS0_14default_configENS1_20scan_config_selectorIfEEZZNS1_9scan_implILNS1_25lookback_scan_determinismE0ELb0ELb0ES3_PKfPffZZZN2at6native31launch_logcumsumexp_cuda_kernelERKNSB_10TensorBaseESF_lENKUlvE_clEvENKUlvE0_clEvEUlffE_fEEDaPvRmT3_T4_T5_mT6_P12ihipStream_tbENKUlT_T0_E_clISt17integral_constantIbLb0EESW_EEDaSR_SS_EUlSR_E0_NS1_11comp_targetILNS1_3genE3ELNS1_11target_archE908ELNS1_3gpuE7ELNS1_3repE0EEENS1_30default_config_static_selectorELNS0_4arch9wavefront6targetE1EEEvT1_
	.p2align	8
	.type	_ZN7rocprim17ROCPRIM_400000_NS6detail17trampoline_kernelINS0_14default_configENS1_20scan_config_selectorIfEEZZNS1_9scan_implILNS1_25lookback_scan_determinismE0ELb0ELb0ES3_PKfPffZZZN2at6native31launch_logcumsumexp_cuda_kernelERKNSB_10TensorBaseESF_lENKUlvE_clEvENKUlvE0_clEvEUlffE_fEEDaPvRmT3_T4_T5_mT6_P12ihipStream_tbENKUlT_T0_E_clISt17integral_constantIbLb0EESW_EEDaSR_SS_EUlSR_E0_NS1_11comp_targetILNS1_3genE3ELNS1_11target_archE908ELNS1_3gpuE7ELNS1_3repE0EEENS1_30default_config_static_selectorELNS0_4arch9wavefront6targetE1EEEvT1_,@function
_ZN7rocprim17ROCPRIM_400000_NS6detail17trampoline_kernelINS0_14default_configENS1_20scan_config_selectorIfEEZZNS1_9scan_implILNS1_25lookback_scan_determinismE0ELb0ELb0ES3_PKfPffZZZN2at6native31launch_logcumsumexp_cuda_kernelERKNSB_10TensorBaseESF_lENKUlvE_clEvENKUlvE0_clEvEUlffE_fEEDaPvRmT3_T4_T5_mT6_P12ihipStream_tbENKUlT_T0_E_clISt17integral_constantIbLb0EESW_EEDaSR_SS_EUlSR_E0_NS1_11comp_targetILNS1_3genE3ELNS1_11target_archE908ELNS1_3gpuE7ELNS1_3repE0EEENS1_30default_config_static_selectorELNS0_4arch9wavefront6targetE1EEEvT1_: ; @_ZN7rocprim17ROCPRIM_400000_NS6detail17trampoline_kernelINS0_14default_configENS1_20scan_config_selectorIfEEZZNS1_9scan_implILNS1_25lookback_scan_determinismE0ELb0ELb0ES3_PKfPffZZZN2at6native31launch_logcumsumexp_cuda_kernelERKNSB_10TensorBaseESF_lENKUlvE_clEvENKUlvE0_clEvEUlffE_fEEDaPvRmT3_T4_T5_mT6_P12ihipStream_tbENKUlT_T0_E_clISt17integral_constantIbLb0EESW_EEDaSR_SS_EUlSR_E0_NS1_11comp_targetILNS1_3genE3ELNS1_11target_archE908ELNS1_3gpuE7ELNS1_3repE0EEENS1_30default_config_static_selectorELNS0_4arch9wavefront6targetE1EEEvT1_
; %bb.0:
	.section	.rodata,"a",@progbits
	.p2align	6, 0x0
	.amdhsa_kernel _ZN7rocprim17ROCPRIM_400000_NS6detail17trampoline_kernelINS0_14default_configENS1_20scan_config_selectorIfEEZZNS1_9scan_implILNS1_25lookback_scan_determinismE0ELb0ELb0ES3_PKfPffZZZN2at6native31launch_logcumsumexp_cuda_kernelERKNSB_10TensorBaseESF_lENKUlvE_clEvENKUlvE0_clEvEUlffE_fEEDaPvRmT3_T4_T5_mT6_P12ihipStream_tbENKUlT_T0_E_clISt17integral_constantIbLb0EESW_EEDaSR_SS_EUlSR_E0_NS1_11comp_targetILNS1_3genE3ELNS1_11target_archE908ELNS1_3gpuE7ELNS1_3repE0EEENS1_30default_config_static_selectorELNS0_4arch9wavefront6targetE1EEEvT1_
		.amdhsa_group_segment_fixed_size 0
		.amdhsa_private_segment_fixed_size 0
		.amdhsa_kernarg_size 32
		.amdhsa_user_sgpr_count 2
		.amdhsa_user_sgpr_dispatch_ptr 0
		.amdhsa_user_sgpr_queue_ptr 0
		.amdhsa_user_sgpr_kernarg_segment_ptr 1
		.amdhsa_user_sgpr_dispatch_id 0
		.amdhsa_user_sgpr_kernarg_preload_length 0
		.amdhsa_user_sgpr_kernarg_preload_offset 0
		.amdhsa_user_sgpr_private_segment_size 0
		.amdhsa_uses_dynamic_stack 0
		.amdhsa_enable_private_segment 0
		.amdhsa_system_sgpr_workgroup_id_x 1
		.amdhsa_system_sgpr_workgroup_id_y 0
		.amdhsa_system_sgpr_workgroup_id_z 0
		.amdhsa_system_sgpr_workgroup_info 0
		.amdhsa_system_vgpr_workitem_id 0
		.amdhsa_next_free_vgpr 1
		.amdhsa_next_free_sgpr 0
		.amdhsa_accum_offset 4
		.amdhsa_reserve_vcc 0
		.amdhsa_float_round_mode_32 0
		.amdhsa_float_round_mode_16_64 0
		.amdhsa_float_denorm_mode_32 3
		.amdhsa_float_denorm_mode_16_64 3
		.amdhsa_dx10_clamp 1
		.amdhsa_ieee_mode 1
		.amdhsa_fp16_overflow 0
		.amdhsa_tg_split 0
		.amdhsa_exception_fp_ieee_invalid_op 0
		.amdhsa_exception_fp_denorm_src 0
		.amdhsa_exception_fp_ieee_div_zero 0
		.amdhsa_exception_fp_ieee_overflow 0
		.amdhsa_exception_fp_ieee_underflow 0
		.amdhsa_exception_fp_ieee_inexact 0
		.amdhsa_exception_int_div_zero 0
	.end_amdhsa_kernel
	.section	.text._ZN7rocprim17ROCPRIM_400000_NS6detail17trampoline_kernelINS0_14default_configENS1_20scan_config_selectorIfEEZZNS1_9scan_implILNS1_25lookback_scan_determinismE0ELb0ELb0ES3_PKfPffZZZN2at6native31launch_logcumsumexp_cuda_kernelERKNSB_10TensorBaseESF_lENKUlvE_clEvENKUlvE0_clEvEUlffE_fEEDaPvRmT3_T4_T5_mT6_P12ihipStream_tbENKUlT_T0_E_clISt17integral_constantIbLb0EESW_EEDaSR_SS_EUlSR_E0_NS1_11comp_targetILNS1_3genE3ELNS1_11target_archE908ELNS1_3gpuE7ELNS1_3repE0EEENS1_30default_config_static_selectorELNS0_4arch9wavefront6targetE1EEEvT1_,"axG",@progbits,_ZN7rocprim17ROCPRIM_400000_NS6detail17trampoline_kernelINS0_14default_configENS1_20scan_config_selectorIfEEZZNS1_9scan_implILNS1_25lookback_scan_determinismE0ELb0ELb0ES3_PKfPffZZZN2at6native31launch_logcumsumexp_cuda_kernelERKNSB_10TensorBaseESF_lENKUlvE_clEvENKUlvE0_clEvEUlffE_fEEDaPvRmT3_T4_T5_mT6_P12ihipStream_tbENKUlT_T0_E_clISt17integral_constantIbLb0EESW_EEDaSR_SS_EUlSR_E0_NS1_11comp_targetILNS1_3genE3ELNS1_11target_archE908ELNS1_3gpuE7ELNS1_3repE0EEENS1_30default_config_static_selectorELNS0_4arch9wavefront6targetE1EEEvT1_,comdat
.Lfunc_end108:
	.size	_ZN7rocprim17ROCPRIM_400000_NS6detail17trampoline_kernelINS0_14default_configENS1_20scan_config_selectorIfEEZZNS1_9scan_implILNS1_25lookback_scan_determinismE0ELb0ELb0ES3_PKfPffZZZN2at6native31launch_logcumsumexp_cuda_kernelERKNSB_10TensorBaseESF_lENKUlvE_clEvENKUlvE0_clEvEUlffE_fEEDaPvRmT3_T4_T5_mT6_P12ihipStream_tbENKUlT_T0_E_clISt17integral_constantIbLb0EESW_EEDaSR_SS_EUlSR_E0_NS1_11comp_targetILNS1_3genE3ELNS1_11target_archE908ELNS1_3gpuE7ELNS1_3repE0EEENS1_30default_config_static_selectorELNS0_4arch9wavefront6targetE1EEEvT1_, .Lfunc_end108-_ZN7rocprim17ROCPRIM_400000_NS6detail17trampoline_kernelINS0_14default_configENS1_20scan_config_selectorIfEEZZNS1_9scan_implILNS1_25lookback_scan_determinismE0ELb0ELb0ES3_PKfPffZZZN2at6native31launch_logcumsumexp_cuda_kernelERKNSB_10TensorBaseESF_lENKUlvE_clEvENKUlvE0_clEvEUlffE_fEEDaPvRmT3_T4_T5_mT6_P12ihipStream_tbENKUlT_T0_E_clISt17integral_constantIbLb0EESW_EEDaSR_SS_EUlSR_E0_NS1_11comp_targetILNS1_3genE3ELNS1_11target_archE908ELNS1_3gpuE7ELNS1_3repE0EEENS1_30default_config_static_selectorELNS0_4arch9wavefront6targetE1EEEvT1_
                                        ; -- End function
	.set _ZN7rocprim17ROCPRIM_400000_NS6detail17trampoline_kernelINS0_14default_configENS1_20scan_config_selectorIfEEZZNS1_9scan_implILNS1_25lookback_scan_determinismE0ELb0ELb0ES3_PKfPffZZZN2at6native31launch_logcumsumexp_cuda_kernelERKNSB_10TensorBaseESF_lENKUlvE_clEvENKUlvE0_clEvEUlffE_fEEDaPvRmT3_T4_T5_mT6_P12ihipStream_tbENKUlT_T0_E_clISt17integral_constantIbLb0EESW_EEDaSR_SS_EUlSR_E0_NS1_11comp_targetILNS1_3genE3ELNS1_11target_archE908ELNS1_3gpuE7ELNS1_3repE0EEENS1_30default_config_static_selectorELNS0_4arch9wavefront6targetE1EEEvT1_.num_vgpr, 0
	.set _ZN7rocprim17ROCPRIM_400000_NS6detail17trampoline_kernelINS0_14default_configENS1_20scan_config_selectorIfEEZZNS1_9scan_implILNS1_25lookback_scan_determinismE0ELb0ELb0ES3_PKfPffZZZN2at6native31launch_logcumsumexp_cuda_kernelERKNSB_10TensorBaseESF_lENKUlvE_clEvENKUlvE0_clEvEUlffE_fEEDaPvRmT3_T4_T5_mT6_P12ihipStream_tbENKUlT_T0_E_clISt17integral_constantIbLb0EESW_EEDaSR_SS_EUlSR_E0_NS1_11comp_targetILNS1_3genE3ELNS1_11target_archE908ELNS1_3gpuE7ELNS1_3repE0EEENS1_30default_config_static_selectorELNS0_4arch9wavefront6targetE1EEEvT1_.num_agpr, 0
	.set _ZN7rocprim17ROCPRIM_400000_NS6detail17trampoline_kernelINS0_14default_configENS1_20scan_config_selectorIfEEZZNS1_9scan_implILNS1_25lookback_scan_determinismE0ELb0ELb0ES3_PKfPffZZZN2at6native31launch_logcumsumexp_cuda_kernelERKNSB_10TensorBaseESF_lENKUlvE_clEvENKUlvE0_clEvEUlffE_fEEDaPvRmT3_T4_T5_mT6_P12ihipStream_tbENKUlT_T0_E_clISt17integral_constantIbLb0EESW_EEDaSR_SS_EUlSR_E0_NS1_11comp_targetILNS1_3genE3ELNS1_11target_archE908ELNS1_3gpuE7ELNS1_3repE0EEENS1_30default_config_static_selectorELNS0_4arch9wavefront6targetE1EEEvT1_.numbered_sgpr, 0
	.set _ZN7rocprim17ROCPRIM_400000_NS6detail17trampoline_kernelINS0_14default_configENS1_20scan_config_selectorIfEEZZNS1_9scan_implILNS1_25lookback_scan_determinismE0ELb0ELb0ES3_PKfPffZZZN2at6native31launch_logcumsumexp_cuda_kernelERKNSB_10TensorBaseESF_lENKUlvE_clEvENKUlvE0_clEvEUlffE_fEEDaPvRmT3_T4_T5_mT6_P12ihipStream_tbENKUlT_T0_E_clISt17integral_constantIbLb0EESW_EEDaSR_SS_EUlSR_E0_NS1_11comp_targetILNS1_3genE3ELNS1_11target_archE908ELNS1_3gpuE7ELNS1_3repE0EEENS1_30default_config_static_selectorELNS0_4arch9wavefront6targetE1EEEvT1_.num_named_barrier, 0
	.set _ZN7rocprim17ROCPRIM_400000_NS6detail17trampoline_kernelINS0_14default_configENS1_20scan_config_selectorIfEEZZNS1_9scan_implILNS1_25lookback_scan_determinismE0ELb0ELb0ES3_PKfPffZZZN2at6native31launch_logcumsumexp_cuda_kernelERKNSB_10TensorBaseESF_lENKUlvE_clEvENKUlvE0_clEvEUlffE_fEEDaPvRmT3_T4_T5_mT6_P12ihipStream_tbENKUlT_T0_E_clISt17integral_constantIbLb0EESW_EEDaSR_SS_EUlSR_E0_NS1_11comp_targetILNS1_3genE3ELNS1_11target_archE908ELNS1_3gpuE7ELNS1_3repE0EEENS1_30default_config_static_selectorELNS0_4arch9wavefront6targetE1EEEvT1_.private_seg_size, 0
	.set _ZN7rocprim17ROCPRIM_400000_NS6detail17trampoline_kernelINS0_14default_configENS1_20scan_config_selectorIfEEZZNS1_9scan_implILNS1_25lookback_scan_determinismE0ELb0ELb0ES3_PKfPffZZZN2at6native31launch_logcumsumexp_cuda_kernelERKNSB_10TensorBaseESF_lENKUlvE_clEvENKUlvE0_clEvEUlffE_fEEDaPvRmT3_T4_T5_mT6_P12ihipStream_tbENKUlT_T0_E_clISt17integral_constantIbLb0EESW_EEDaSR_SS_EUlSR_E0_NS1_11comp_targetILNS1_3genE3ELNS1_11target_archE908ELNS1_3gpuE7ELNS1_3repE0EEENS1_30default_config_static_selectorELNS0_4arch9wavefront6targetE1EEEvT1_.uses_vcc, 0
	.set _ZN7rocprim17ROCPRIM_400000_NS6detail17trampoline_kernelINS0_14default_configENS1_20scan_config_selectorIfEEZZNS1_9scan_implILNS1_25lookback_scan_determinismE0ELb0ELb0ES3_PKfPffZZZN2at6native31launch_logcumsumexp_cuda_kernelERKNSB_10TensorBaseESF_lENKUlvE_clEvENKUlvE0_clEvEUlffE_fEEDaPvRmT3_T4_T5_mT6_P12ihipStream_tbENKUlT_T0_E_clISt17integral_constantIbLb0EESW_EEDaSR_SS_EUlSR_E0_NS1_11comp_targetILNS1_3genE3ELNS1_11target_archE908ELNS1_3gpuE7ELNS1_3repE0EEENS1_30default_config_static_selectorELNS0_4arch9wavefront6targetE1EEEvT1_.uses_flat_scratch, 0
	.set _ZN7rocprim17ROCPRIM_400000_NS6detail17trampoline_kernelINS0_14default_configENS1_20scan_config_selectorIfEEZZNS1_9scan_implILNS1_25lookback_scan_determinismE0ELb0ELb0ES3_PKfPffZZZN2at6native31launch_logcumsumexp_cuda_kernelERKNSB_10TensorBaseESF_lENKUlvE_clEvENKUlvE0_clEvEUlffE_fEEDaPvRmT3_T4_T5_mT6_P12ihipStream_tbENKUlT_T0_E_clISt17integral_constantIbLb0EESW_EEDaSR_SS_EUlSR_E0_NS1_11comp_targetILNS1_3genE3ELNS1_11target_archE908ELNS1_3gpuE7ELNS1_3repE0EEENS1_30default_config_static_selectorELNS0_4arch9wavefront6targetE1EEEvT1_.has_dyn_sized_stack, 0
	.set _ZN7rocprim17ROCPRIM_400000_NS6detail17trampoline_kernelINS0_14default_configENS1_20scan_config_selectorIfEEZZNS1_9scan_implILNS1_25lookback_scan_determinismE0ELb0ELb0ES3_PKfPffZZZN2at6native31launch_logcumsumexp_cuda_kernelERKNSB_10TensorBaseESF_lENKUlvE_clEvENKUlvE0_clEvEUlffE_fEEDaPvRmT3_T4_T5_mT6_P12ihipStream_tbENKUlT_T0_E_clISt17integral_constantIbLb0EESW_EEDaSR_SS_EUlSR_E0_NS1_11comp_targetILNS1_3genE3ELNS1_11target_archE908ELNS1_3gpuE7ELNS1_3repE0EEENS1_30default_config_static_selectorELNS0_4arch9wavefront6targetE1EEEvT1_.has_recursion, 0
	.set _ZN7rocprim17ROCPRIM_400000_NS6detail17trampoline_kernelINS0_14default_configENS1_20scan_config_selectorIfEEZZNS1_9scan_implILNS1_25lookback_scan_determinismE0ELb0ELb0ES3_PKfPffZZZN2at6native31launch_logcumsumexp_cuda_kernelERKNSB_10TensorBaseESF_lENKUlvE_clEvENKUlvE0_clEvEUlffE_fEEDaPvRmT3_T4_T5_mT6_P12ihipStream_tbENKUlT_T0_E_clISt17integral_constantIbLb0EESW_EEDaSR_SS_EUlSR_E0_NS1_11comp_targetILNS1_3genE3ELNS1_11target_archE908ELNS1_3gpuE7ELNS1_3repE0EEENS1_30default_config_static_selectorELNS0_4arch9wavefront6targetE1EEEvT1_.has_indirect_call, 0
	.section	.AMDGPU.csdata,"",@progbits
; Kernel info:
; codeLenInByte = 0
; TotalNumSgprs: 6
; NumVgprs: 0
; NumAgprs: 0
; TotalNumVgprs: 0
; ScratchSize: 0
; MemoryBound: 0
; FloatMode: 240
; IeeeMode: 1
; LDSByteSize: 0 bytes/workgroup (compile time only)
; SGPRBlocks: 0
; VGPRBlocks: 0
; NumSGPRsForWavesPerEU: 6
; NumVGPRsForWavesPerEU: 1
; AccumOffset: 4
; Occupancy: 8
; WaveLimiterHint : 0
; COMPUTE_PGM_RSRC2:SCRATCH_EN: 0
; COMPUTE_PGM_RSRC2:USER_SGPR: 2
; COMPUTE_PGM_RSRC2:TRAP_HANDLER: 0
; COMPUTE_PGM_RSRC2:TGID_X_EN: 1
; COMPUTE_PGM_RSRC2:TGID_Y_EN: 0
; COMPUTE_PGM_RSRC2:TGID_Z_EN: 0
; COMPUTE_PGM_RSRC2:TIDIG_COMP_CNT: 0
; COMPUTE_PGM_RSRC3_GFX90A:ACCUM_OFFSET: 0
; COMPUTE_PGM_RSRC3_GFX90A:TG_SPLIT: 0
	.section	.text._ZN7rocprim17ROCPRIM_400000_NS6detail17trampoline_kernelINS0_14default_configENS1_20scan_config_selectorIfEEZZNS1_9scan_implILNS1_25lookback_scan_determinismE0ELb0ELb0ES3_PKfPffZZZN2at6native31launch_logcumsumexp_cuda_kernelERKNSB_10TensorBaseESF_lENKUlvE_clEvENKUlvE0_clEvEUlffE_fEEDaPvRmT3_T4_T5_mT6_P12ihipStream_tbENKUlT_T0_E_clISt17integral_constantIbLb0EESW_EEDaSR_SS_EUlSR_E0_NS1_11comp_targetILNS1_3genE2ELNS1_11target_archE906ELNS1_3gpuE6ELNS1_3repE0EEENS1_30default_config_static_selectorELNS0_4arch9wavefront6targetE1EEEvT1_,"axG",@progbits,_ZN7rocprim17ROCPRIM_400000_NS6detail17trampoline_kernelINS0_14default_configENS1_20scan_config_selectorIfEEZZNS1_9scan_implILNS1_25lookback_scan_determinismE0ELb0ELb0ES3_PKfPffZZZN2at6native31launch_logcumsumexp_cuda_kernelERKNSB_10TensorBaseESF_lENKUlvE_clEvENKUlvE0_clEvEUlffE_fEEDaPvRmT3_T4_T5_mT6_P12ihipStream_tbENKUlT_T0_E_clISt17integral_constantIbLb0EESW_EEDaSR_SS_EUlSR_E0_NS1_11comp_targetILNS1_3genE2ELNS1_11target_archE906ELNS1_3gpuE6ELNS1_3repE0EEENS1_30default_config_static_selectorELNS0_4arch9wavefront6targetE1EEEvT1_,comdat
	.globl	_ZN7rocprim17ROCPRIM_400000_NS6detail17trampoline_kernelINS0_14default_configENS1_20scan_config_selectorIfEEZZNS1_9scan_implILNS1_25lookback_scan_determinismE0ELb0ELb0ES3_PKfPffZZZN2at6native31launch_logcumsumexp_cuda_kernelERKNSB_10TensorBaseESF_lENKUlvE_clEvENKUlvE0_clEvEUlffE_fEEDaPvRmT3_T4_T5_mT6_P12ihipStream_tbENKUlT_T0_E_clISt17integral_constantIbLb0EESW_EEDaSR_SS_EUlSR_E0_NS1_11comp_targetILNS1_3genE2ELNS1_11target_archE906ELNS1_3gpuE6ELNS1_3repE0EEENS1_30default_config_static_selectorELNS0_4arch9wavefront6targetE1EEEvT1_ ; -- Begin function _ZN7rocprim17ROCPRIM_400000_NS6detail17trampoline_kernelINS0_14default_configENS1_20scan_config_selectorIfEEZZNS1_9scan_implILNS1_25lookback_scan_determinismE0ELb0ELb0ES3_PKfPffZZZN2at6native31launch_logcumsumexp_cuda_kernelERKNSB_10TensorBaseESF_lENKUlvE_clEvENKUlvE0_clEvEUlffE_fEEDaPvRmT3_T4_T5_mT6_P12ihipStream_tbENKUlT_T0_E_clISt17integral_constantIbLb0EESW_EEDaSR_SS_EUlSR_E0_NS1_11comp_targetILNS1_3genE2ELNS1_11target_archE906ELNS1_3gpuE6ELNS1_3repE0EEENS1_30default_config_static_selectorELNS0_4arch9wavefront6targetE1EEEvT1_
	.p2align	8
	.type	_ZN7rocprim17ROCPRIM_400000_NS6detail17trampoline_kernelINS0_14default_configENS1_20scan_config_selectorIfEEZZNS1_9scan_implILNS1_25lookback_scan_determinismE0ELb0ELb0ES3_PKfPffZZZN2at6native31launch_logcumsumexp_cuda_kernelERKNSB_10TensorBaseESF_lENKUlvE_clEvENKUlvE0_clEvEUlffE_fEEDaPvRmT3_T4_T5_mT6_P12ihipStream_tbENKUlT_T0_E_clISt17integral_constantIbLb0EESW_EEDaSR_SS_EUlSR_E0_NS1_11comp_targetILNS1_3genE2ELNS1_11target_archE906ELNS1_3gpuE6ELNS1_3repE0EEENS1_30default_config_static_selectorELNS0_4arch9wavefront6targetE1EEEvT1_,@function
_ZN7rocprim17ROCPRIM_400000_NS6detail17trampoline_kernelINS0_14default_configENS1_20scan_config_selectorIfEEZZNS1_9scan_implILNS1_25lookback_scan_determinismE0ELb0ELb0ES3_PKfPffZZZN2at6native31launch_logcumsumexp_cuda_kernelERKNSB_10TensorBaseESF_lENKUlvE_clEvENKUlvE0_clEvEUlffE_fEEDaPvRmT3_T4_T5_mT6_P12ihipStream_tbENKUlT_T0_E_clISt17integral_constantIbLb0EESW_EEDaSR_SS_EUlSR_E0_NS1_11comp_targetILNS1_3genE2ELNS1_11target_archE906ELNS1_3gpuE6ELNS1_3repE0EEENS1_30default_config_static_selectorELNS0_4arch9wavefront6targetE1EEEvT1_: ; @_ZN7rocprim17ROCPRIM_400000_NS6detail17trampoline_kernelINS0_14default_configENS1_20scan_config_selectorIfEEZZNS1_9scan_implILNS1_25lookback_scan_determinismE0ELb0ELb0ES3_PKfPffZZZN2at6native31launch_logcumsumexp_cuda_kernelERKNSB_10TensorBaseESF_lENKUlvE_clEvENKUlvE0_clEvEUlffE_fEEDaPvRmT3_T4_T5_mT6_P12ihipStream_tbENKUlT_T0_E_clISt17integral_constantIbLb0EESW_EEDaSR_SS_EUlSR_E0_NS1_11comp_targetILNS1_3genE2ELNS1_11target_archE906ELNS1_3gpuE6ELNS1_3repE0EEENS1_30default_config_static_selectorELNS0_4arch9wavefront6targetE1EEEvT1_
; %bb.0:
	.section	.rodata,"a",@progbits
	.p2align	6, 0x0
	.amdhsa_kernel _ZN7rocprim17ROCPRIM_400000_NS6detail17trampoline_kernelINS0_14default_configENS1_20scan_config_selectorIfEEZZNS1_9scan_implILNS1_25lookback_scan_determinismE0ELb0ELb0ES3_PKfPffZZZN2at6native31launch_logcumsumexp_cuda_kernelERKNSB_10TensorBaseESF_lENKUlvE_clEvENKUlvE0_clEvEUlffE_fEEDaPvRmT3_T4_T5_mT6_P12ihipStream_tbENKUlT_T0_E_clISt17integral_constantIbLb0EESW_EEDaSR_SS_EUlSR_E0_NS1_11comp_targetILNS1_3genE2ELNS1_11target_archE906ELNS1_3gpuE6ELNS1_3repE0EEENS1_30default_config_static_selectorELNS0_4arch9wavefront6targetE1EEEvT1_
		.amdhsa_group_segment_fixed_size 0
		.amdhsa_private_segment_fixed_size 0
		.amdhsa_kernarg_size 32
		.amdhsa_user_sgpr_count 2
		.amdhsa_user_sgpr_dispatch_ptr 0
		.amdhsa_user_sgpr_queue_ptr 0
		.amdhsa_user_sgpr_kernarg_segment_ptr 1
		.amdhsa_user_sgpr_dispatch_id 0
		.amdhsa_user_sgpr_kernarg_preload_length 0
		.amdhsa_user_sgpr_kernarg_preload_offset 0
		.amdhsa_user_sgpr_private_segment_size 0
		.amdhsa_uses_dynamic_stack 0
		.amdhsa_enable_private_segment 0
		.amdhsa_system_sgpr_workgroup_id_x 1
		.amdhsa_system_sgpr_workgroup_id_y 0
		.amdhsa_system_sgpr_workgroup_id_z 0
		.amdhsa_system_sgpr_workgroup_info 0
		.amdhsa_system_vgpr_workitem_id 0
		.amdhsa_next_free_vgpr 1
		.amdhsa_next_free_sgpr 0
		.amdhsa_accum_offset 4
		.amdhsa_reserve_vcc 0
		.amdhsa_float_round_mode_32 0
		.amdhsa_float_round_mode_16_64 0
		.amdhsa_float_denorm_mode_32 3
		.amdhsa_float_denorm_mode_16_64 3
		.amdhsa_dx10_clamp 1
		.amdhsa_ieee_mode 1
		.amdhsa_fp16_overflow 0
		.amdhsa_tg_split 0
		.amdhsa_exception_fp_ieee_invalid_op 0
		.amdhsa_exception_fp_denorm_src 0
		.amdhsa_exception_fp_ieee_div_zero 0
		.amdhsa_exception_fp_ieee_overflow 0
		.amdhsa_exception_fp_ieee_underflow 0
		.amdhsa_exception_fp_ieee_inexact 0
		.amdhsa_exception_int_div_zero 0
	.end_amdhsa_kernel
	.section	.text._ZN7rocprim17ROCPRIM_400000_NS6detail17trampoline_kernelINS0_14default_configENS1_20scan_config_selectorIfEEZZNS1_9scan_implILNS1_25lookback_scan_determinismE0ELb0ELb0ES3_PKfPffZZZN2at6native31launch_logcumsumexp_cuda_kernelERKNSB_10TensorBaseESF_lENKUlvE_clEvENKUlvE0_clEvEUlffE_fEEDaPvRmT3_T4_T5_mT6_P12ihipStream_tbENKUlT_T0_E_clISt17integral_constantIbLb0EESW_EEDaSR_SS_EUlSR_E0_NS1_11comp_targetILNS1_3genE2ELNS1_11target_archE906ELNS1_3gpuE6ELNS1_3repE0EEENS1_30default_config_static_selectorELNS0_4arch9wavefront6targetE1EEEvT1_,"axG",@progbits,_ZN7rocprim17ROCPRIM_400000_NS6detail17trampoline_kernelINS0_14default_configENS1_20scan_config_selectorIfEEZZNS1_9scan_implILNS1_25lookback_scan_determinismE0ELb0ELb0ES3_PKfPffZZZN2at6native31launch_logcumsumexp_cuda_kernelERKNSB_10TensorBaseESF_lENKUlvE_clEvENKUlvE0_clEvEUlffE_fEEDaPvRmT3_T4_T5_mT6_P12ihipStream_tbENKUlT_T0_E_clISt17integral_constantIbLb0EESW_EEDaSR_SS_EUlSR_E0_NS1_11comp_targetILNS1_3genE2ELNS1_11target_archE906ELNS1_3gpuE6ELNS1_3repE0EEENS1_30default_config_static_selectorELNS0_4arch9wavefront6targetE1EEEvT1_,comdat
.Lfunc_end109:
	.size	_ZN7rocprim17ROCPRIM_400000_NS6detail17trampoline_kernelINS0_14default_configENS1_20scan_config_selectorIfEEZZNS1_9scan_implILNS1_25lookback_scan_determinismE0ELb0ELb0ES3_PKfPffZZZN2at6native31launch_logcumsumexp_cuda_kernelERKNSB_10TensorBaseESF_lENKUlvE_clEvENKUlvE0_clEvEUlffE_fEEDaPvRmT3_T4_T5_mT6_P12ihipStream_tbENKUlT_T0_E_clISt17integral_constantIbLb0EESW_EEDaSR_SS_EUlSR_E0_NS1_11comp_targetILNS1_3genE2ELNS1_11target_archE906ELNS1_3gpuE6ELNS1_3repE0EEENS1_30default_config_static_selectorELNS0_4arch9wavefront6targetE1EEEvT1_, .Lfunc_end109-_ZN7rocprim17ROCPRIM_400000_NS6detail17trampoline_kernelINS0_14default_configENS1_20scan_config_selectorIfEEZZNS1_9scan_implILNS1_25lookback_scan_determinismE0ELb0ELb0ES3_PKfPffZZZN2at6native31launch_logcumsumexp_cuda_kernelERKNSB_10TensorBaseESF_lENKUlvE_clEvENKUlvE0_clEvEUlffE_fEEDaPvRmT3_T4_T5_mT6_P12ihipStream_tbENKUlT_T0_E_clISt17integral_constantIbLb0EESW_EEDaSR_SS_EUlSR_E0_NS1_11comp_targetILNS1_3genE2ELNS1_11target_archE906ELNS1_3gpuE6ELNS1_3repE0EEENS1_30default_config_static_selectorELNS0_4arch9wavefront6targetE1EEEvT1_
                                        ; -- End function
	.set _ZN7rocprim17ROCPRIM_400000_NS6detail17trampoline_kernelINS0_14default_configENS1_20scan_config_selectorIfEEZZNS1_9scan_implILNS1_25lookback_scan_determinismE0ELb0ELb0ES3_PKfPffZZZN2at6native31launch_logcumsumexp_cuda_kernelERKNSB_10TensorBaseESF_lENKUlvE_clEvENKUlvE0_clEvEUlffE_fEEDaPvRmT3_T4_T5_mT6_P12ihipStream_tbENKUlT_T0_E_clISt17integral_constantIbLb0EESW_EEDaSR_SS_EUlSR_E0_NS1_11comp_targetILNS1_3genE2ELNS1_11target_archE906ELNS1_3gpuE6ELNS1_3repE0EEENS1_30default_config_static_selectorELNS0_4arch9wavefront6targetE1EEEvT1_.num_vgpr, 0
	.set _ZN7rocprim17ROCPRIM_400000_NS6detail17trampoline_kernelINS0_14default_configENS1_20scan_config_selectorIfEEZZNS1_9scan_implILNS1_25lookback_scan_determinismE0ELb0ELb0ES3_PKfPffZZZN2at6native31launch_logcumsumexp_cuda_kernelERKNSB_10TensorBaseESF_lENKUlvE_clEvENKUlvE0_clEvEUlffE_fEEDaPvRmT3_T4_T5_mT6_P12ihipStream_tbENKUlT_T0_E_clISt17integral_constantIbLb0EESW_EEDaSR_SS_EUlSR_E0_NS1_11comp_targetILNS1_3genE2ELNS1_11target_archE906ELNS1_3gpuE6ELNS1_3repE0EEENS1_30default_config_static_selectorELNS0_4arch9wavefront6targetE1EEEvT1_.num_agpr, 0
	.set _ZN7rocprim17ROCPRIM_400000_NS6detail17trampoline_kernelINS0_14default_configENS1_20scan_config_selectorIfEEZZNS1_9scan_implILNS1_25lookback_scan_determinismE0ELb0ELb0ES3_PKfPffZZZN2at6native31launch_logcumsumexp_cuda_kernelERKNSB_10TensorBaseESF_lENKUlvE_clEvENKUlvE0_clEvEUlffE_fEEDaPvRmT3_T4_T5_mT6_P12ihipStream_tbENKUlT_T0_E_clISt17integral_constantIbLb0EESW_EEDaSR_SS_EUlSR_E0_NS1_11comp_targetILNS1_3genE2ELNS1_11target_archE906ELNS1_3gpuE6ELNS1_3repE0EEENS1_30default_config_static_selectorELNS0_4arch9wavefront6targetE1EEEvT1_.numbered_sgpr, 0
	.set _ZN7rocprim17ROCPRIM_400000_NS6detail17trampoline_kernelINS0_14default_configENS1_20scan_config_selectorIfEEZZNS1_9scan_implILNS1_25lookback_scan_determinismE0ELb0ELb0ES3_PKfPffZZZN2at6native31launch_logcumsumexp_cuda_kernelERKNSB_10TensorBaseESF_lENKUlvE_clEvENKUlvE0_clEvEUlffE_fEEDaPvRmT3_T4_T5_mT6_P12ihipStream_tbENKUlT_T0_E_clISt17integral_constantIbLb0EESW_EEDaSR_SS_EUlSR_E0_NS1_11comp_targetILNS1_3genE2ELNS1_11target_archE906ELNS1_3gpuE6ELNS1_3repE0EEENS1_30default_config_static_selectorELNS0_4arch9wavefront6targetE1EEEvT1_.num_named_barrier, 0
	.set _ZN7rocprim17ROCPRIM_400000_NS6detail17trampoline_kernelINS0_14default_configENS1_20scan_config_selectorIfEEZZNS1_9scan_implILNS1_25lookback_scan_determinismE0ELb0ELb0ES3_PKfPffZZZN2at6native31launch_logcumsumexp_cuda_kernelERKNSB_10TensorBaseESF_lENKUlvE_clEvENKUlvE0_clEvEUlffE_fEEDaPvRmT3_T4_T5_mT6_P12ihipStream_tbENKUlT_T0_E_clISt17integral_constantIbLb0EESW_EEDaSR_SS_EUlSR_E0_NS1_11comp_targetILNS1_3genE2ELNS1_11target_archE906ELNS1_3gpuE6ELNS1_3repE0EEENS1_30default_config_static_selectorELNS0_4arch9wavefront6targetE1EEEvT1_.private_seg_size, 0
	.set _ZN7rocprim17ROCPRIM_400000_NS6detail17trampoline_kernelINS0_14default_configENS1_20scan_config_selectorIfEEZZNS1_9scan_implILNS1_25lookback_scan_determinismE0ELb0ELb0ES3_PKfPffZZZN2at6native31launch_logcumsumexp_cuda_kernelERKNSB_10TensorBaseESF_lENKUlvE_clEvENKUlvE0_clEvEUlffE_fEEDaPvRmT3_T4_T5_mT6_P12ihipStream_tbENKUlT_T0_E_clISt17integral_constantIbLb0EESW_EEDaSR_SS_EUlSR_E0_NS1_11comp_targetILNS1_3genE2ELNS1_11target_archE906ELNS1_3gpuE6ELNS1_3repE0EEENS1_30default_config_static_selectorELNS0_4arch9wavefront6targetE1EEEvT1_.uses_vcc, 0
	.set _ZN7rocprim17ROCPRIM_400000_NS6detail17trampoline_kernelINS0_14default_configENS1_20scan_config_selectorIfEEZZNS1_9scan_implILNS1_25lookback_scan_determinismE0ELb0ELb0ES3_PKfPffZZZN2at6native31launch_logcumsumexp_cuda_kernelERKNSB_10TensorBaseESF_lENKUlvE_clEvENKUlvE0_clEvEUlffE_fEEDaPvRmT3_T4_T5_mT6_P12ihipStream_tbENKUlT_T0_E_clISt17integral_constantIbLb0EESW_EEDaSR_SS_EUlSR_E0_NS1_11comp_targetILNS1_3genE2ELNS1_11target_archE906ELNS1_3gpuE6ELNS1_3repE0EEENS1_30default_config_static_selectorELNS0_4arch9wavefront6targetE1EEEvT1_.uses_flat_scratch, 0
	.set _ZN7rocprim17ROCPRIM_400000_NS6detail17trampoline_kernelINS0_14default_configENS1_20scan_config_selectorIfEEZZNS1_9scan_implILNS1_25lookback_scan_determinismE0ELb0ELb0ES3_PKfPffZZZN2at6native31launch_logcumsumexp_cuda_kernelERKNSB_10TensorBaseESF_lENKUlvE_clEvENKUlvE0_clEvEUlffE_fEEDaPvRmT3_T4_T5_mT6_P12ihipStream_tbENKUlT_T0_E_clISt17integral_constantIbLb0EESW_EEDaSR_SS_EUlSR_E0_NS1_11comp_targetILNS1_3genE2ELNS1_11target_archE906ELNS1_3gpuE6ELNS1_3repE0EEENS1_30default_config_static_selectorELNS0_4arch9wavefront6targetE1EEEvT1_.has_dyn_sized_stack, 0
	.set _ZN7rocprim17ROCPRIM_400000_NS6detail17trampoline_kernelINS0_14default_configENS1_20scan_config_selectorIfEEZZNS1_9scan_implILNS1_25lookback_scan_determinismE0ELb0ELb0ES3_PKfPffZZZN2at6native31launch_logcumsumexp_cuda_kernelERKNSB_10TensorBaseESF_lENKUlvE_clEvENKUlvE0_clEvEUlffE_fEEDaPvRmT3_T4_T5_mT6_P12ihipStream_tbENKUlT_T0_E_clISt17integral_constantIbLb0EESW_EEDaSR_SS_EUlSR_E0_NS1_11comp_targetILNS1_3genE2ELNS1_11target_archE906ELNS1_3gpuE6ELNS1_3repE0EEENS1_30default_config_static_selectorELNS0_4arch9wavefront6targetE1EEEvT1_.has_recursion, 0
	.set _ZN7rocprim17ROCPRIM_400000_NS6detail17trampoline_kernelINS0_14default_configENS1_20scan_config_selectorIfEEZZNS1_9scan_implILNS1_25lookback_scan_determinismE0ELb0ELb0ES3_PKfPffZZZN2at6native31launch_logcumsumexp_cuda_kernelERKNSB_10TensorBaseESF_lENKUlvE_clEvENKUlvE0_clEvEUlffE_fEEDaPvRmT3_T4_T5_mT6_P12ihipStream_tbENKUlT_T0_E_clISt17integral_constantIbLb0EESW_EEDaSR_SS_EUlSR_E0_NS1_11comp_targetILNS1_3genE2ELNS1_11target_archE906ELNS1_3gpuE6ELNS1_3repE0EEENS1_30default_config_static_selectorELNS0_4arch9wavefront6targetE1EEEvT1_.has_indirect_call, 0
	.section	.AMDGPU.csdata,"",@progbits
; Kernel info:
; codeLenInByte = 0
; TotalNumSgprs: 6
; NumVgprs: 0
; NumAgprs: 0
; TotalNumVgprs: 0
; ScratchSize: 0
; MemoryBound: 0
; FloatMode: 240
; IeeeMode: 1
; LDSByteSize: 0 bytes/workgroup (compile time only)
; SGPRBlocks: 0
; VGPRBlocks: 0
; NumSGPRsForWavesPerEU: 6
; NumVGPRsForWavesPerEU: 1
; AccumOffset: 4
; Occupancy: 8
; WaveLimiterHint : 0
; COMPUTE_PGM_RSRC2:SCRATCH_EN: 0
; COMPUTE_PGM_RSRC2:USER_SGPR: 2
; COMPUTE_PGM_RSRC2:TRAP_HANDLER: 0
; COMPUTE_PGM_RSRC2:TGID_X_EN: 1
; COMPUTE_PGM_RSRC2:TGID_Y_EN: 0
; COMPUTE_PGM_RSRC2:TGID_Z_EN: 0
; COMPUTE_PGM_RSRC2:TIDIG_COMP_CNT: 0
; COMPUTE_PGM_RSRC3_GFX90A:ACCUM_OFFSET: 0
; COMPUTE_PGM_RSRC3_GFX90A:TG_SPLIT: 0
	.section	.text._ZN7rocprim17ROCPRIM_400000_NS6detail17trampoline_kernelINS0_14default_configENS1_20scan_config_selectorIfEEZZNS1_9scan_implILNS1_25lookback_scan_determinismE0ELb0ELb0ES3_PKfPffZZZN2at6native31launch_logcumsumexp_cuda_kernelERKNSB_10TensorBaseESF_lENKUlvE_clEvENKUlvE0_clEvEUlffE_fEEDaPvRmT3_T4_T5_mT6_P12ihipStream_tbENKUlT_T0_E_clISt17integral_constantIbLb0EESW_EEDaSR_SS_EUlSR_E0_NS1_11comp_targetILNS1_3genE10ELNS1_11target_archE1201ELNS1_3gpuE5ELNS1_3repE0EEENS1_30default_config_static_selectorELNS0_4arch9wavefront6targetE1EEEvT1_,"axG",@progbits,_ZN7rocprim17ROCPRIM_400000_NS6detail17trampoline_kernelINS0_14default_configENS1_20scan_config_selectorIfEEZZNS1_9scan_implILNS1_25lookback_scan_determinismE0ELb0ELb0ES3_PKfPffZZZN2at6native31launch_logcumsumexp_cuda_kernelERKNSB_10TensorBaseESF_lENKUlvE_clEvENKUlvE0_clEvEUlffE_fEEDaPvRmT3_T4_T5_mT6_P12ihipStream_tbENKUlT_T0_E_clISt17integral_constantIbLb0EESW_EEDaSR_SS_EUlSR_E0_NS1_11comp_targetILNS1_3genE10ELNS1_11target_archE1201ELNS1_3gpuE5ELNS1_3repE0EEENS1_30default_config_static_selectorELNS0_4arch9wavefront6targetE1EEEvT1_,comdat
	.globl	_ZN7rocprim17ROCPRIM_400000_NS6detail17trampoline_kernelINS0_14default_configENS1_20scan_config_selectorIfEEZZNS1_9scan_implILNS1_25lookback_scan_determinismE0ELb0ELb0ES3_PKfPffZZZN2at6native31launch_logcumsumexp_cuda_kernelERKNSB_10TensorBaseESF_lENKUlvE_clEvENKUlvE0_clEvEUlffE_fEEDaPvRmT3_T4_T5_mT6_P12ihipStream_tbENKUlT_T0_E_clISt17integral_constantIbLb0EESW_EEDaSR_SS_EUlSR_E0_NS1_11comp_targetILNS1_3genE10ELNS1_11target_archE1201ELNS1_3gpuE5ELNS1_3repE0EEENS1_30default_config_static_selectorELNS0_4arch9wavefront6targetE1EEEvT1_ ; -- Begin function _ZN7rocprim17ROCPRIM_400000_NS6detail17trampoline_kernelINS0_14default_configENS1_20scan_config_selectorIfEEZZNS1_9scan_implILNS1_25lookback_scan_determinismE0ELb0ELb0ES3_PKfPffZZZN2at6native31launch_logcumsumexp_cuda_kernelERKNSB_10TensorBaseESF_lENKUlvE_clEvENKUlvE0_clEvEUlffE_fEEDaPvRmT3_T4_T5_mT6_P12ihipStream_tbENKUlT_T0_E_clISt17integral_constantIbLb0EESW_EEDaSR_SS_EUlSR_E0_NS1_11comp_targetILNS1_3genE10ELNS1_11target_archE1201ELNS1_3gpuE5ELNS1_3repE0EEENS1_30default_config_static_selectorELNS0_4arch9wavefront6targetE1EEEvT1_
	.p2align	8
	.type	_ZN7rocprim17ROCPRIM_400000_NS6detail17trampoline_kernelINS0_14default_configENS1_20scan_config_selectorIfEEZZNS1_9scan_implILNS1_25lookback_scan_determinismE0ELb0ELb0ES3_PKfPffZZZN2at6native31launch_logcumsumexp_cuda_kernelERKNSB_10TensorBaseESF_lENKUlvE_clEvENKUlvE0_clEvEUlffE_fEEDaPvRmT3_T4_T5_mT6_P12ihipStream_tbENKUlT_T0_E_clISt17integral_constantIbLb0EESW_EEDaSR_SS_EUlSR_E0_NS1_11comp_targetILNS1_3genE10ELNS1_11target_archE1201ELNS1_3gpuE5ELNS1_3repE0EEENS1_30default_config_static_selectorELNS0_4arch9wavefront6targetE1EEEvT1_,@function
_ZN7rocprim17ROCPRIM_400000_NS6detail17trampoline_kernelINS0_14default_configENS1_20scan_config_selectorIfEEZZNS1_9scan_implILNS1_25lookback_scan_determinismE0ELb0ELb0ES3_PKfPffZZZN2at6native31launch_logcumsumexp_cuda_kernelERKNSB_10TensorBaseESF_lENKUlvE_clEvENKUlvE0_clEvEUlffE_fEEDaPvRmT3_T4_T5_mT6_P12ihipStream_tbENKUlT_T0_E_clISt17integral_constantIbLb0EESW_EEDaSR_SS_EUlSR_E0_NS1_11comp_targetILNS1_3genE10ELNS1_11target_archE1201ELNS1_3gpuE5ELNS1_3repE0EEENS1_30default_config_static_selectorELNS0_4arch9wavefront6targetE1EEEvT1_: ; @_ZN7rocprim17ROCPRIM_400000_NS6detail17trampoline_kernelINS0_14default_configENS1_20scan_config_selectorIfEEZZNS1_9scan_implILNS1_25lookback_scan_determinismE0ELb0ELb0ES3_PKfPffZZZN2at6native31launch_logcumsumexp_cuda_kernelERKNSB_10TensorBaseESF_lENKUlvE_clEvENKUlvE0_clEvEUlffE_fEEDaPvRmT3_T4_T5_mT6_P12ihipStream_tbENKUlT_T0_E_clISt17integral_constantIbLb0EESW_EEDaSR_SS_EUlSR_E0_NS1_11comp_targetILNS1_3genE10ELNS1_11target_archE1201ELNS1_3gpuE5ELNS1_3repE0EEENS1_30default_config_static_selectorELNS0_4arch9wavefront6targetE1EEEvT1_
; %bb.0:
	.section	.rodata,"a",@progbits
	.p2align	6, 0x0
	.amdhsa_kernel _ZN7rocprim17ROCPRIM_400000_NS6detail17trampoline_kernelINS0_14default_configENS1_20scan_config_selectorIfEEZZNS1_9scan_implILNS1_25lookback_scan_determinismE0ELb0ELb0ES3_PKfPffZZZN2at6native31launch_logcumsumexp_cuda_kernelERKNSB_10TensorBaseESF_lENKUlvE_clEvENKUlvE0_clEvEUlffE_fEEDaPvRmT3_T4_T5_mT6_P12ihipStream_tbENKUlT_T0_E_clISt17integral_constantIbLb0EESW_EEDaSR_SS_EUlSR_E0_NS1_11comp_targetILNS1_3genE10ELNS1_11target_archE1201ELNS1_3gpuE5ELNS1_3repE0EEENS1_30default_config_static_selectorELNS0_4arch9wavefront6targetE1EEEvT1_
		.amdhsa_group_segment_fixed_size 0
		.amdhsa_private_segment_fixed_size 0
		.amdhsa_kernarg_size 32
		.amdhsa_user_sgpr_count 2
		.amdhsa_user_sgpr_dispatch_ptr 0
		.amdhsa_user_sgpr_queue_ptr 0
		.amdhsa_user_sgpr_kernarg_segment_ptr 1
		.amdhsa_user_sgpr_dispatch_id 0
		.amdhsa_user_sgpr_kernarg_preload_length 0
		.amdhsa_user_sgpr_kernarg_preload_offset 0
		.amdhsa_user_sgpr_private_segment_size 0
		.amdhsa_uses_dynamic_stack 0
		.amdhsa_enable_private_segment 0
		.amdhsa_system_sgpr_workgroup_id_x 1
		.amdhsa_system_sgpr_workgroup_id_y 0
		.amdhsa_system_sgpr_workgroup_id_z 0
		.amdhsa_system_sgpr_workgroup_info 0
		.amdhsa_system_vgpr_workitem_id 0
		.amdhsa_next_free_vgpr 1
		.amdhsa_next_free_sgpr 0
		.amdhsa_accum_offset 4
		.amdhsa_reserve_vcc 0
		.amdhsa_float_round_mode_32 0
		.amdhsa_float_round_mode_16_64 0
		.amdhsa_float_denorm_mode_32 3
		.amdhsa_float_denorm_mode_16_64 3
		.amdhsa_dx10_clamp 1
		.amdhsa_ieee_mode 1
		.amdhsa_fp16_overflow 0
		.amdhsa_tg_split 0
		.amdhsa_exception_fp_ieee_invalid_op 0
		.amdhsa_exception_fp_denorm_src 0
		.amdhsa_exception_fp_ieee_div_zero 0
		.amdhsa_exception_fp_ieee_overflow 0
		.amdhsa_exception_fp_ieee_underflow 0
		.amdhsa_exception_fp_ieee_inexact 0
		.amdhsa_exception_int_div_zero 0
	.end_amdhsa_kernel
	.section	.text._ZN7rocprim17ROCPRIM_400000_NS6detail17trampoline_kernelINS0_14default_configENS1_20scan_config_selectorIfEEZZNS1_9scan_implILNS1_25lookback_scan_determinismE0ELb0ELb0ES3_PKfPffZZZN2at6native31launch_logcumsumexp_cuda_kernelERKNSB_10TensorBaseESF_lENKUlvE_clEvENKUlvE0_clEvEUlffE_fEEDaPvRmT3_T4_T5_mT6_P12ihipStream_tbENKUlT_T0_E_clISt17integral_constantIbLb0EESW_EEDaSR_SS_EUlSR_E0_NS1_11comp_targetILNS1_3genE10ELNS1_11target_archE1201ELNS1_3gpuE5ELNS1_3repE0EEENS1_30default_config_static_selectorELNS0_4arch9wavefront6targetE1EEEvT1_,"axG",@progbits,_ZN7rocprim17ROCPRIM_400000_NS6detail17trampoline_kernelINS0_14default_configENS1_20scan_config_selectorIfEEZZNS1_9scan_implILNS1_25lookback_scan_determinismE0ELb0ELb0ES3_PKfPffZZZN2at6native31launch_logcumsumexp_cuda_kernelERKNSB_10TensorBaseESF_lENKUlvE_clEvENKUlvE0_clEvEUlffE_fEEDaPvRmT3_T4_T5_mT6_P12ihipStream_tbENKUlT_T0_E_clISt17integral_constantIbLb0EESW_EEDaSR_SS_EUlSR_E0_NS1_11comp_targetILNS1_3genE10ELNS1_11target_archE1201ELNS1_3gpuE5ELNS1_3repE0EEENS1_30default_config_static_selectorELNS0_4arch9wavefront6targetE1EEEvT1_,comdat
.Lfunc_end110:
	.size	_ZN7rocprim17ROCPRIM_400000_NS6detail17trampoline_kernelINS0_14default_configENS1_20scan_config_selectorIfEEZZNS1_9scan_implILNS1_25lookback_scan_determinismE0ELb0ELb0ES3_PKfPffZZZN2at6native31launch_logcumsumexp_cuda_kernelERKNSB_10TensorBaseESF_lENKUlvE_clEvENKUlvE0_clEvEUlffE_fEEDaPvRmT3_T4_T5_mT6_P12ihipStream_tbENKUlT_T0_E_clISt17integral_constantIbLb0EESW_EEDaSR_SS_EUlSR_E0_NS1_11comp_targetILNS1_3genE10ELNS1_11target_archE1201ELNS1_3gpuE5ELNS1_3repE0EEENS1_30default_config_static_selectorELNS0_4arch9wavefront6targetE1EEEvT1_, .Lfunc_end110-_ZN7rocprim17ROCPRIM_400000_NS6detail17trampoline_kernelINS0_14default_configENS1_20scan_config_selectorIfEEZZNS1_9scan_implILNS1_25lookback_scan_determinismE0ELb0ELb0ES3_PKfPffZZZN2at6native31launch_logcumsumexp_cuda_kernelERKNSB_10TensorBaseESF_lENKUlvE_clEvENKUlvE0_clEvEUlffE_fEEDaPvRmT3_T4_T5_mT6_P12ihipStream_tbENKUlT_T0_E_clISt17integral_constantIbLb0EESW_EEDaSR_SS_EUlSR_E0_NS1_11comp_targetILNS1_3genE10ELNS1_11target_archE1201ELNS1_3gpuE5ELNS1_3repE0EEENS1_30default_config_static_selectorELNS0_4arch9wavefront6targetE1EEEvT1_
                                        ; -- End function
	.set _ZN7rocprim17ROCPRIM_400000_NS6detail17trampoline_kernelINS0_14default_configENS1_20scan_config_selectorIfEEZZNS1_9scan_implILNS1_25lookback_scan_determinismE0ELb0ELb0ES3_PKfPffZZZN2at6native31launch_logcumsumexp_cuda_kernelERKNSB_10TensorBaseESF_lENKUlvE_clEvENKUlvE0_clEvEUlffE_fEEDaPvRmT3_T4_T5_mT6_P12ihipStream_tbENKUlT_T0_E_clISt17integral_constantIbLb0EESW_EEDaSR_SS_EUlSR_E0_NS1_11comp_targetILNS1_3genE10ELNS1_11target_archE1201ELNS1_3gpuE5ELNS1_3repE0EEENS1_30default_config_static_selectorELNS0_4arch9wavefront6targetE1EEEvT1_.num_vgpr, 0
	.set _ZN7rocprim17ROCPRIM_400000_NS6detail17trampoline_kernelINS0_14default_configENS1_20scan_config_selectorIfEEZZNS1_9scan_implILNS1_25lookback_scan_determinismE0ELb0ELb0ES3_PKfPffZZZN2at6native31launch_logcumsumexp_cuda_kernelERKNSB_10TensorBaseESF_lENKUlvE_clEvENKUlvE0_clEvEUlffE_fEEDaPvRmT3_T4_T5_mT6_P12ihipStream_tbENKUlT_T0_E_clISt17integral_constantIbLb0EESW_EEDaSR_SS_EUlSR_E0_NS1_11comp_targetILNS1_3genE10ELNS1_11target_archE1201ELNS1_3gpuE5ELNS1_3repE0EEENS1_30default_config_static_selectorELNS0_4arch9wavefront6targetE1EEEvT1_.num_agpr, 0
	.set _ZN7rocprim17ROCPRIM_400000_NS6detail17trampoline_kernelINS0_14default_configENS1_20scan_config_selectorIfEEZZNS1_9scan_implILNS1_25lookback_scan_determinismE0ELb0ELb0ES3_PKfPffZZZN2at6native31launch_logcumsumexp_cuda_kernelERKNSB_10TensorBaseESF_lENKUlvE_clEvENKUlvE0_clEvEUlffE_fEEDaPvRmT3_T4_T5_mT6_P12ihipStream_tbENKUlT_T0_E_clISt17integral_constantIbLb0EESW_EEDaSR_SS_EUlSR_E0_NS1_11comp_targetILNS1_3genE10ELNS1_11target_archE1201ELNS1_3gpuE5ELNS1_3repE0EEENS1_30default_config_static_selectorELNS0_4arch9wavefront6targetE1EEEvT1_.numbered_sgpr, 0
	.set _ZN7rocprim17ROCPRIM_400000_NS6detail17trampoline_kernelINS0_14default_configENS1_20scan_config_selectorIfEEZZNS1_9scan_implILNS1_25lookback_scan_determinismE0ELb0ELb0ES3_PKfPffZZZN2at6native31launch_logcumsumexp_cuda_kernelERKNSB_10TensorBaseESF_lENKUlvE_clEvENKUlvE0_clEvEUlffE_fEEDaPvRmT3_T4_T5_mT6_P12ihipStream_tbENKUlT_T0_E_clISt17integral_constantIbLb0EESW_EEDaSR_SS_EUlSR_E0_NS1_11comp_targetILNS1_3genE10ELNS1_11target_archE1201ELNS1_3gpuE5ELNS1_3repE0EEENS1_30default_config_static_selectorELNS0_4arch9wavefront6targetE1EEEvT1_.num_named_barrier, 0
	.set _ZN7rocprim17ROCPRIM_400000_NS6detail17trampoline_kernelINS0_14default_configENS1_20scan_config_selectorIfEEZZNS1_9scan_implILNS1_25lookback_scan_determinismE0ELb0ELb0ES3_PKfPffZZZN2at6native31launch_logcumsumexp_cuda_kernelERKNSB_10TensorBaseESF_lENKUlvE_clEvENKUlvE0_clEvEUlffE_fEEDaPvRmT3_T4_T5_mT6_P12ihipStream_tbENKUlT_T0_E_clISt17integral_constantIbLb0EESW_EEDaSR_SS_EUlSR_E0_NS1_11comp_targetILNS1_3genE10ELNS1_11target_archE1201ELNS1_3gpuE5ELNS1_3repE0EEENS1_30default_config_static_selectorELNS0_4arch9wavefront6targetE1EEEvT1_.private_seg_size, 0
	.set _ZN7rocprim17ROCPRIM_400000_NS6detail17trampoline_kernelINS0_14default_configENS1_20scan_config_selectorIfEEZZNS1_9scan_implILNS1_25lookback_scan_determinismE0ELb0ELb0ES3_PKfPffZZZN2at6native31launch_logcumsumexp_cuda_kernelERKNSB_10TensorBaseESF_lENKUlvE_clEvENKUlvE0_clEvEUlffE_fEEDaPvRmT3_T4_T5_mT6_P12ihipStream_tbENKUlT_T0_E_clISt17integral_constantIbLb0EESW_EEDaSR_SS_EUlSR_E0_NS1_11comp_targetILNS1_3genE10ELNS1_11target_archE1201ELNS1_3gpuE5ELNS1_3repE0EEENS1_30default_config_static_selectorELNS0_4arch9wavefront6targetE1EEEvT1_.uses_vcc, 0
	.set _ZN7rocprim17ROCPRIM_400000_NS6detail17trampoline_kernelINS0_14default_configENS1_20scan_config_selectorIfEEZZNS1_9scan_implILNS1_25lookback_scan_determinismE0ELb0ELb0ES3_PKfPffZZZN2at6native31launch_logcumsumexp_cuda_kernelERKNSB_10TensorBaseESF_lENKUlvE_clEvENKUlvE0_clEvEUlffE_fEEDaPvRmT3_T4_T5_mT6_P12ihipStream_tbENKUlT_T0_E_clISt17integral_constantIbLb0EESW_EEDaSR_SS_EUlSR_E0_NS1_11comp_targetILNS1_3genE10ELNS1_11target_archE1201ELNS1_3gpuE5ELNS1_3repE0EEENS1_30default_config_static_selectorELNS0_4arch9wavefront6targetE1EEEvT1_.uses_flat_scratch, 0
	.set _ZN7rocprim17ROCPRIM_400000_NS6detail17trampoline_kernelINS0_14default_configENS1_20scan_config_selectorIfEEZZNS1_9scan_implILNS1_25lookback_scan_determinismE0ELb0ELb0ES3_PKfPffZZZN2at6native31launch_logcumsumexp_cuda_kernelERKNSB_10TensorBaseESF_lENKUlvE_clEvENKUlvE0_clEvEUlffE_fEEDaPvRmT3_T4_T5_mT6_P12ihipStream_tbENKUlT_T0_E_clISt17integral_constantIbLb0EESW_EEDaSR_SS_EUlSR_E0_NS1_11comp_targetILNS1_3genE10ELNS1_11target_archE1201ELNS1_3gpuE5ELNS1_3repE0EEENS1_30default_config_static_selectorELNS0_4arch9wavefront6targetE1EEEvT1_.has_dyn_sized_stack, 0
	.set _ZN7rocprim17ROCPRIM_400000_NS6detail17trampoline_kernelINS0_14default_configENS1_20scan_config_selectorIfEEZZNS1_9scan_implILNS1_25lookback_scan_determinismE0ELb0ELb0ES3_PKfPffZZZN2at6native31launch_logcumsumexp_cuda_kernelERKNSB_10TensorBaseESF_lENKUlvE_clEvENKUlvE0_clEvEUlffE_fEEDaPvRmT3_T4_T5_mT6_P12ihipStream_tbENKUlT_T0_E_clISt17integral_constantIbLb0EESW_EEDaSR_SS_EUlSR_E0_NS1_11comp_targetILNS1_3genE10ELNS1_11target_archE1201ELNS1_3gpuE5ELNS1_3repE0EEENS1_30default_config_static_selectorELNS0_4arch9wavefront6targetE1EEEvT1_.has_recursion, 0
	.set _ZN7rocprim17ROCPRIM_400000_NS6detail17trampoline_kernelINS0_14default_configENS1_20scan_config_selectorIfEEZZNS1_9scan_implILNS1_25lookback_scan_determinismE0ELb0ELb0ES3_PKfPffZZZN2at6native31launch_logcumsumexp_cuda_kernelERKNSB_10TensorBaseESF_lENKUlvE_clEvENKUlvE0_clEvEUlffE_fEEDaPvRmT3_T4_T5_mT6_P12ihipStream_tbENKUlT_T0_E_clISt17integral_constantIbLb0EESW_EEDaSR_SS_EUlSR_E0_NS1_11comp_targetILNS1_3genE10ELNS1_11target_archE1201ELNS1_3gpuE5ELNS1_3repE0EEENS1_30default_config_static_selectorELNS0_4arch9wavefront6targetE1EEEvT1_.has_indirect_call, 0
	.section	.AMDGPU.csdata,"",@progbits
; Kernel info:
; codeLenInByte = 0
; TotalNumSgprs: 6
; NumVgprs: 0
; NumAgprs: 0
; TotalNumVgprs: 0
; ScratchSize: 0
; MemoryBound: 0
; FloatMode: 240
; IeeeMode: 1
; LDSByteSize: 0 bytes/workgroup (compile time only)
; SGPRBlocks: 0
; VGPRBlocks: 0
; NumSGPRsForWavesPerEU: 6
; NumVGPRsForWavesPerEU: 1
; AccumOffset: 4
; Occupancy: 8
; WaveLimiterHint : 0
; COMPUTE_PGM_RSRC2:SCRATCH_EN: 0
; COMPUTE_PGM_RSRC2:USER_SGPR: 2
; COMPUTE_PGM_RSRC2:TRAP_HANDLER: 0
; COMPUTE_PGM_RSRC2:TGID_X_EN: 1
; COMPUTE_PGM_RSRC2:TGID_Y_EN: 0
; COMPUTE_PGM_RSRC2:TGID_Z_EN: 0
; COMPUTE_PGM_RSRC2:TIDIG_COMP_CNT: 0
; COMPUTE_PGM_RSRC3_GFX90A:ACCUM_OFFSET: 0
; COMPUTE_PGM_RSRC3_GFX90A:TG_SPLIT: 0
	.section	.text._ZN7rocprim17ROCPRIM_400000_NS6detail17trampoline_kernelINS0_14default_configENS1_20scan_config_selectorIfEEZZNS1_9scan_implILNS1_25lookback_scan_determinismE0ELb0ELb0ES3_PKfPffZZZN2at6native31launch_logcumsumexp_cuda_kernelERKNSB_10TensorBaseESF_lENKUlvE_clEvENKUlvE0_clEvEUlffE_fEEDaPvRmT3_T4_T5_mT6_P12ihipStream_tbENKUlT_T0_E_clISt17integral_constantIbLb0EESW_EEDaSR_SS_EUlSR_E0_NS1_11comp_targetILNS1_3genE10ELNS1_11target_archE1200ELNS1_3gpuE4ELNS1_3repE0EEENS1_30default_config_static_selectorELNS0_4arch9wavefront6targetE1EEEvT1_,"axG",@progbits,_ZN7rocprim17ROCPRIM_400000_NS6detail17trampoline_kernelINS0_14default_configENS1_20scan_config_selectorIfEEZZNS1_9scan_implILNS1_25lookback_scan_determinismE0ELb0ELb0ES3_PKfPffZZZN2at6native31launch_logcumsumexp_cuda_kernelERKNSB_10TensorBaseESF_lENKUlvE_clEvENKUlvE0_clEvEUlffE_fEEDaPvRmT3_T4_T5_mT6_P12ihipStream_tbENKUlT_T0_E_clISt17integral_constantIbLb0EESW_EEDaSR_SS_EUlSR_E0_NS1_11comp_targetILNS1_3genE10ELNS1_11target_archE1200ELNS1_3gpuE4ELNS1_3repE0EEENS1_30default_config_static_selectorELNS0_4arch9wavefront6targetE1EEEvT1_,comdat
	.globl	_ZN7rocprim17ROCPRIM_400000_NS6detail17trampoline_kernelINS0_14default_configENS1_20scan_config_selectorIfEEZZNS1_9scan_implILNS1_25lookback_scan_determinismE0ELb0ELb0ES3_PKfPffZZZN2at6native31launch_logcumsumexp_cuda_kernelERKNSB_10TensorBaseESF_lENKUlvE_clEvENKUlvE0_clEvEUlffE_fEEDaPvRmT3_T4_T5_mT6_P12ihipStream_tbENKUlT_T0_E_clISt17integral_constantIbLb0EESW_EEDaSR_SS_EUlSR_E0_NS1_11comp_targetILNS1_3genE10ELNS1_11target_archE1200ELNS1_3gpuE4ELNS1_3repE0EEENS1_30default_config_static_selectorELNS0_4arch9wavefront6targetE1EEEvT1_ ; -- Begin function _ZN7rocprim17ROCPRIM_400000_NS6detail17trampoline_kernelINS0_14default_configENS1_20scan_config_selectorIfEEZZNS1_9scan_implILNS1_25lookback_scan_determinismE0ELb0ELb0ES3_PKfPffZZZN2at6native31launch_logcumsumexp_cuda_kernelERKNSB_10TensorBaseESF_lENKUlvE_clEvENKUlvE0_clEvEUlffE_fEEDaPvRmT3_T4_T5_mT6_P12ihipStream_tbENKUlT_T0_E_clISt17integral_constantIbLb0EESW_EEDaSR_SS_EUlSR_E0_NS1_11comp_targetILNS1_3genE10ELNS1_11target_archE1200ELNS1_3gpuE4ELNS1_3repE0EEENS1_30default_config_static_selectorELNS0_4arch9wavefront6targetE1EEEvT1_
	.p2align	8
	.type	_ZN7rocprim17ROCPRIM_400000_NS6detail17trampoline_kernelINS0_14default_configENS1_20scan_config_selectorIfEEZZNS1_9scan_implILNS1_25lookback_scan_determinismE0ELb0ELb0ES3_PKfPffZZZN2at6native31launch_logcumsumexp_cuda_kernelERKNSB_10TensorBaseESF_lENKUlvE_clEvENKUlvE0_clEvEUlffE_fEEDaPvRmT3_T4_T5_mT6_P12ihipStream_tbENKUlT_T0_E_clISt17integral_constantIbLb0EESW_EEDaSR_SS_EUlSR_E0_NS1_11comp_targetILNS1_3genE10ELNS1_11target_archE1200ELNS1_3gpuE4ELNS1_3repE0EEENS1_30default_config_static_selectorELNS0_4arch9wavefront6targetE1EEEvT1_,@function
_ZN7rocprim17ROCPRIM_400000_NS6detail17trampoline_kernelINS0_14default_configENS1_20scan_config_selectorIfEEZZNS1_9scan_implILNS1_25lookback_scan_determinismE0ELb0ELb0ES3_PKfPffZZZN2at6native31launch_logcumsumexp_cuda_kernelERKNSB_10TensorBaseESF_lENKUlvE_clEvENKUlvE0_clEvEUlffE_fEEDaPvRmT3_T4_T5_mT6_P12ihipStream_tbENKUlT_T0_E_clISt17integral_constantIbLb0EESW_EEDaSR_SS_EUlSR_E0_NS1_11comp_targetILNS1_3genE10ELNS1_11target_archE1200ELNS1_3gpuE4ELNS1_3repE0EEENS1_30default_config_static_selectorELNS0_4arch9wavefront6targetE1EEEvT1_: ; @_ZN7rocprim17ROCPRIM_400000_NS6detail17trampoline_kernelINS0_14default_configENS1_20scan_config_selectorIfEEZZNS1_9scan_implILNS1_25lookback_scan_determinismE0ELb0ELb0ES3_PKfPffZZZN2at6native31launch_logcumsumexp_cuda_kernelERKNSB_10TensorBaseESF_lENKUlvE_clEvENKUlvE0_clEvEUlffE_fEEDaPvRmT3_T4_T5_mT6_P12ihipStream_tbENKUlT_T0_E_clISt17integral_constantIbLb0EESW_EEDaSR_SS_EUlSR_E0_NS1_11comp_targetILNS1_3genE10ELNS1_11target_archE1200ELNS1_3gpuE4ELNS1_3repE0EEENS1_30default_config_static_selectorELNS0_4arch9wavefront6targetE1EEEvT1_
; %bb.0:
	.section	.rodata,"a",@progbits
	.p2align	6, 0x0
	.amdhsa_kernel _ZN7rocprim17ROCPRIM_400000_NS6detail17trampoline_kernelINS0_14default_configENS1_20scan_config_selectorIfEEZZNS1_9scan_implILNS1_25lookback_scan_determinismE0ELb0ELb0ES3_PKfPffZZZN2at6native31launch_logcumsumexp_cuda_kernelERKNSB_10TensorBaseESF_lENKUlvE_clEvENKUlvE0_clEvEUlffE_fEEDaPvRmT3_T4_T5_mT6_P12ihipStream_tbENKUlT_T0_E_clISt17integral_constantIbLb0EESW_EEDaSR_SS_EUlSR_E0_NS1_11comp_targetILNS1_3genE10ELNS1_11target_archE1200ELNS1_3gpuE4ELNS1_3repE0EEENS1_30default_config_static_selectorELNS0_4arch9wavefront6targetE1EEEvT1_
		.amdhsa_group_segment_fixed_size 0
		.amdhsa_private_segment_fixed_size 0
		.amdhsa_kernarg_size 32
		.amdhsa_user_sgpr_count 2
		.amdhsa_user_sgpr_dispatch_ptr 0
		.amdhsa_user_sgpr_queue_ptr 0
		.amdhsa_user_sgpr_kernarg_segment_ptr 1
		.amdhsa_user_sgpr_dispatch_id 0
		.amdhsa_user_sgpr_kernarg_preload_length 0
		.amdhsa_user_sgpr_kernarg_preload_offset 0
		.amdhsa_user_sgpr_private_segment_size 0
		.amdhsa_uses_dynamic_stack 0
		.amdhsa_enable_private_segment 0
		.amdhsa_system_sgpr_workgroup_id_x 1
		.amdhsa_system_sgpr_workgroup_id_y 0
		.amdhsa_system_sgpr_workgroup_id_z 0
		.amdhsa_system_sgpr_workgroup_info 0
		.amdhsa_system_vgpr_workitem_id 0
		.amdhsa_next_free_vgpr 1
		.amdhsa_next_free_sgpr 0
		.amdhsa_accum_offset 4
		.amdhsa_reserve_vcc 0
		.amdhsa_float_round_mode_32 0
		.amdhsa_float_round_mode_16_64 0
		.amdhsa_float_denorm_mode_32 3
		.amdhsa_float_denorm_mode_16_64 3
		.amdhsa_dx10_clamp 1
		.amdhsa_ieee_mode 1
		.amdhsa_fp16_overflow 0
		.amdhsa_tg_split 0
		.amdhsa_exception_fp_ieee_invalid_op 0
		.amdhsa_exception_fp_denorm_src 0
		.amdhsa_exception_fp_ieee_div_zero 0
		.amdhsa_exception_fp_ieee_overflow 0
		.amdhsa_exception_fp_ieee_underflow 0
		.amdhsa_exception_fp_ieee_inexact 0
		.amdhsa_exception_int_div_zero 0
	.end_amdhsa_kernel
	.section	.text._ZN7rocprim17ROCPRIM_400000_NS6detail17trampoline_kernelINS0_14default_configENS1_20scan_config_selectorIfEEZZNS1_9scan_implILNS1_25lookback_scan_determinismE0ELb0ELb0ES3_PKfPffZZZN2at6native31launch_logcumsumexp_cuda_kernelERKNSB_10TensorBaseESF_lENKUlvE_clEvENKUlvE0_clEvEUlffE_fEEDaPvRmT3_T4_T5_mT6_P12ihipStream_tbENKUlT_T0_E_clISt17integral_constantIbLb0EESW_EEDaSR_SS_EUlSR_E0_NS1_11comp_targetILNS1_3genE10ELNS1_11target_archE1200ELNS1_3gpuE4ELNS1_3repE0EEENS1_30default_config_static_selectorELNS0_4arch9wavefront6targetE1EEEvT1_,"axG",@progbits,_ZN7rocprim17ROCPRIM_400000_NS6detail17trampoline_kernelINS0_14default_configENS1_20scan_config_selectorIfEEZZNS1_9scan_implILNS1_25lookback_scan_determinismE0ELb0ELb0ES3_PKfPffZZZN2at6native31launch_logcumsumexp_cuda_kernelERKNSB_10TensorBaseESF_lENKUlvE_clEvENKUlvE0_clEvEUlffE_fEEDaPvRmT3_T4_T5_mT6_P12ihipStream_tbENKUlT_T0_E_clISt17integral_constantIbLb0EESW_EEDaSR_SS_EUlSR_E0_NS1_11comp_targetILNS1_3genE10ELNS1_11target_archE1200ELNS1_3gpuE4ELNS1_3repE0EEENS1_30default_config_static_selectorELNS0_4arch9wavefront6targetE1EEEvT1_,comdat
.Lfunc_end111:
	.size	_ZN7rocprim17ROCPRIM_400000_NS6detail17trampoline_kernelINS0_14default_configENS1_20scan_config_selectorIfEEZZNS1_9scan_implILNS1_25lookback_scan_determinismE0ELb0ELb0ES3_PKfPffZZZN2at6native31launch_logcumsumexp_cuda_kernelERKNSB_10TensorBaseESF_lENKUlvE_clEvENKUlvE0_clEvEUlffE_fEEDaPvRmT3_T4_T5_mT6_P12ihipStream_tbENKUlT_T0_E_clISt17integral_constantIbLb0EESW_EEDaSR_SS_EUlSR_E0_NS1_11comp_targetILNS1_3genE10ELNS1_11target_archE1200ELNS1_3gpuE4ELNS1_3repE0EEENS1_30default_config_static_selectorELNS0_4arch9wavefront6targetE1EEEvT1_, .Lfunc_end111-_ZN7rocprim17ROCPRIM_400000_NS6detail17trampoline_kernelINS0_14default_configENS1_20scan_config_selectorIfEEZZNS1_9scan_implILNS1_25lookback_scan_determinismE0ELb0ELb0ES3_PKfPffZZZN2at6native31launch_logcumsumexp_cuda_kernelERKNSB_10TensorBaseESF_lENKUlvE_clEvENKUlvE0_clEvEUlffE_fEEDaPvRmT3_T4_T5_mT6_P12ihipStream_tbENKUlT_T0_E_clISt17integral_constantIbLb0EESW_EEDaSR_SS_EUlSR_E0_NS1_11comp_targetILNS1_3genE10ELNS1_11target_archE1200ELNS1_3gpuE4ELNS1_3repE0EEENS1_30default_config_static_selectorELNS0_4arch9wavefront6targetE1EEEvT1_
                                        ; -- End function
	.set _ZN7rocprim17ROCPRIM_400000_NS6detail17trampoline_kernelINS0_14default_configENS1_20scan_config_selectorIfEEZZNS1_9scan_implILNS1_25lookback_scan_determinismE0ELb0ELb0ES3_PKfPffZZZN2at6native31launch_logcumsumexp_cuda_kernelERKNSB_10TensorBaseESF_lENKUlvE_clEvENKUlvE0_clEvEUlffE_fEEDaPvRmT3_T4_T5_mT6_P12ihipStream_tbENKUlT_T0_E_clISt17integral_constantIbLb0EESW_EEDaSR_SS_EUlSR_E0_NS1_11comp_targetILNS1_3genE10ELNS1_11target_archE1200ELNS1_3gpuE4ELNS1_3repE0EEENS1_30default_config_static_selectorELNS0_4arch9wavefront6targetE1EEEvT1_.num_vgpr, 0
	.set _ZN7rocprim17ROCPRIM_400000_NS6detail17trampoline_kernelINS0_14default_configENS1_20scan_config_selectorIfEEZZNS1_9scan_implILNS1_25lookback_scan_determinismE0ELb0ELb0ES3_PKfPffZZZN2at6native31launch_logcumsumexp_cuda_kernelERKNSB_10TensorBaseESF_lENKUlvE_clEvENKUlvE0_clEvEUlffE_fEEDaPvRmT3_T4_T5_mT6_P12ihipStream_tbENKUlT_T0_E_clISt17integral_constantIbLb0EESW_EEDaSR_SS_EUlSR_E0_NS1_11comp_targetILNS1_3genE10ELNS1_11target_archE1200ELNS1_3gpuE4ELNS1_3repE0EEENS1_30default_config_static_selectorELNS0_4arch9wavefront6targetE1EEEvT1_.num_agpr, 0
	.set _ZN7rocprim17ROCPRIM_400000_NS6detail17trampoline_kernelINS0_14default_configENS1_20scan_config_selectorIfEEZZNS1_9scan_implILNS1_25lookback_scan_determinismE0ELb0ELb0ES3_PKfPffZZZN2at6native31launch_logcumsumexp_cuda_kernelERKNSB_10TensorBaseESF_lENKUlvE_clEvENKUlvE0_clEvEUlffE_fEEDaPvRmT3_T4_T5_mT6_P12ihipStream_tbENKUlT_T0_E_clISt17integral_constantIbLb0EESW_EEDaSR_SS_EUlSR_E0_NS1_11comp_targetILNS1_3genE10ELNS1_11target_archE1200ELNS1_3gpuE4ELNS1_3repE0EEENS1_30default_config_static_selectorELNS0_4arch9wavefront6targetE1EEEvT1_.numbered_sgpr, 0
	.set _ZN7rocprim17ROCPRIM_400000_NS6detail17trampoline_kernelINS0_14default_configENS1_20scan_config_selectorIfEEZZNS1_9scan_implILNS1_25lookback_scan_determinismE0ELb0ELb0ES3_PKfPffZZZN2at6native31launch_logcumsumexp_cuda_kernelERKNSB_10TensorBaseESF_lENKUlvE_clEvENKUlvE0_clEvEUlffE_fEEDaPvRmT3_T4_T5_mT6_P12ihipStream_tbENKUlT_T0_E_clISt17integral_constantIbLb0EESW_EEDaSR_SS_EUlSR_E0_NS1_11comp_targetILNS1_3genE10ELNS1_11target_archE1200ELNS1_3gpuE4ELNS1_3repE0EEENS1_30default_config_static_selectorELNS0_4arch9wavefront6targetE1EEEvT1_.num_named_barrier, 0
	.set _ZN7rocprim17ROCPRIM_400000_NS6detail17trampoline_kernelINS0_14default_configENS1_20scan_config_selectorIfEEZZNS1_9scan_implILNS1_25lookback_scan_determinismE0ELb0ELb0ES3_PKfPffZZZN2at6native31launch_logcumsumexp_cuda_kernelERKNSB_10TensorBaseESF_lENKUlvE_clEvENKUlvE0_clEvEUlffE_fEEDaPvRmT3_T4_T5_mT6_P12ihipStream_tbENKUlT_T0_E_clISt17integral_constantIbLb0EESW_EEDaSR_SS_EUlSR_E0_NS1_11comp_targetILNS1_3genE10ELNS1_11target_archE1200ELNS1_3gpuE4ELNS1_3repE0EEENS1_30default_config_static_selectorELNS0_4arch9wavefront6targetE1EEEvT1_.private_seg_size, 0
	.set _ZN7rocprim17ROCPRIM_400000_NS6detail17trampoline_kernelINS0_14default_configENS1_20scan_config_selectorIfEEZZNS1_9scan_implILNS1_25lookback_scan_determinismE0ELb0ELb0ES3_PKfPffZZZN2at6native31launch_logcumsumexp_cuda_kernelERKNSB_10TensorBaseESF_lENKUlvE_clEvENKUlvE0_clEvEUlffE_fEEDaPvRmT3_T4_T5_mT6_P12ihipStream_tbENKUlT_T0_E_clISt17integral_constantIbLb0EESW_EEDaSR_SS_EUlSR_E0_NS1_11comp_targetILNS1_3genE10ELNS1_11target_archE1200ELNS1_3gpuE4ELNS1_3repE0EEENS1_30default_config_static_selectorELNS0_4arch9wavefront6targetE1EEEvT1_.uses_vcc, 0
	.set _ZN7rocprim17ROCPRIM_400000_NS6detail17trampoline_kernelINS0_14default_configENS1_20scan_config_selectorIfEEZZNS1_9scan_implILNS1_25lookback_scan_determinismE0ELb0ELb0ES3_PKfPffZZZN2at6native31launch_logcumsumexp_cuda_kernelERKNSB_10TensorBaseESF_lENKUlvE_clEvENKUlvE0_clEvEUlffE_fEEDaPvRmT3_T4_T5_mT6_P12ihipStream_tbENKUlT_T0_E_clISt17integral_constantIbLb0EESW_EEDaSR_SS_EUlSR_E0_NS1_11comp_targetILNS1_3genE10ELNS1_11target_archE1200ELNS1_3gpuE4ELNS1_3repE0EEENS1_30default_config_static_selectorELNS0_4arch9wavefront6targetE1EEEvT1_.uses_flat_scratch, 0
	.set _ZN7rocprim17ROCPRIM_400000_NS6detail17trampoline_kernelINS0_14default_configENS1_20scan_config_selectorIfEEZZNS1_9scan_implILNS1_25lookback_scan_determinismE0ELb0ELb0ES3_PKfPffZZZN2at6native31launch_logcumsumexp_cuda_kernelERKNSB_10TensorBaseESF_lENKUlvE_clEvENKUlvE0_clEvEUlffE_fEEDaPvRmT3_T4_T5_mT6_P12ihipStream_tbENKUlT_T0_E_clISt17integral_constantIbLb0EESW_EEDaSR_SS_EUlSR_E0_NS1_11comp_targetILNS1_3genE10ELNS1_11target_archE1200ELNS1_3gpuE4ELNS1_3repE0EEENS1_30default_config_static_selectorELNS0_4arch9wavefront6targetE1EEEvT1_.has_dyn_sized_stack, 0
	.set _ZN7rocprim17ROCPRIM_400000_NS6detail17trampoline_kernelINS0_14default_configENS1_20scan_config_selectorIfEEZZNS1_9scan_implILNS1_25lookback_scan_determinismE0ELb0ELb0ES3_PKfPffZZZN2at6native31launch_logcumsumexp_cuda_kernelERKNSB_10TensorBaseESF_lENKUlvE_clEvENKUlvE0_clEvEUlffE_fEEDaPvRmT3_T4_T5_mT6_P12ihipStream_tbENKUlT_T0_E_clISt17integral_constantIbLb0EESW_EEDaSR_SS_EUlSR_E0_NS1_11comp_targetILNS1_3genE10ELNS1_11target_archE1200ELNS1_3gpuE4ELNS1_3repE0EEENS1_30default_config_static_selectorELNS0_4arch9wavefront6targetE1EEEvT1_.has_recursion, 0
	.set _ZN7rocprim17ROCPRIM_400000_NS6detail17trampoline_kernelINS0_14default_configENS1_20scan_config_selectorIfEEZZNS1_9scan_implILNS1_25lookback_scan_determinismE0ELb0ELb0ES3_PKfPffZZZN2at6native31launch_logcumsumexp_cuda_kernelERKNSB_10TensorBaseESF_lENKUlvE_clEvENKUlvE0_clEvEUlffE_fEEDaPvRmT3_T4_T5_mT6_P12ihipStream_tbENKUlT_T0_E_clISt17integral_constantIbLb0EESW_EEDaSR_SS_EUlSR_E0_NS1_11comp_targetILNS1_3genE10ELNS1_11target_archE1200ELNS1_3gpuE4ELNS1_3repE0EEENS1_30default_config_static_selectorELNS0_4arch9wavefront6targetE1EEEvT1_.has_indirect_call, 0
	.section	.AMDGPU.csdata,"",@progbits
; Kernel info:
; codeLenInByte = 0
; TotalNumSgprs: 6
; NumVgprs: 0
; NumAgprs: 0
; TotalNumVgprs: 0
; ScratchSize: 0
; MemoryBound: 0
; FloatMode: 240
; IeeeMode: 1
; LDSByteSize: 0 bytes/workgroup (compile time only)
; SGPRBlocks: 0
; VGPRBlocks: 0
; NumSGPRsForWavesPerEU: 6
; NumVGPRsForWavesPerEU: 1
; AccumOffset: 4
; Occupancy: 8
; WaveLimiterHint : 0
; COMPUTE_PGM_RSRC2:SCRATCH_EN: 0
; COMPUTE_PGM_RSRC2:USER_SGPR: 2
; COMPUTE_PGM_RSRC2:TRAP_HANDLER: 0
; COMPUTE_PGM_RSRC2:TGID_X_EN: 1
; COMPUTE_PGM_RSRC2:TGID_Y_EN: 0
; COMPUTE_PGM_RSRC2:TGID_Z_EN: 0
; COMPUTE_PGM_RSRC2:TIDIG_COMP_CNT: 0
; COMPUTE_PGM_RSRC3_GFX90A:ACCUM_OFFSET: 0
; COMPUTE_PGM_RSRC3_GFX90A:TG_SPLIT: 0
	.section	.text._ZN7rocprim17ROCPRIM_400000_NS6detail17trampoline_kernelINS0_14default_configENS1_20scan_config_selectorIfEEZZNS1_9scan_implILNS1_25lookback_scan_determinismE0ELb0ELb0ES3_PKfPffZZZN2at6native31launch_logcumsumexp_cuda_kernelERKNSB_10TensorBaseESF_lENKUlvE_clEvENKUlvE0_clEvEUlffE_fEEDaPvRmT3_T4_T5_mT6_P12ihipStream_tbENKUlT_T0_E_clISt17integral_constantIbLb0EESW_EEDaSR_SS_EUlSR_E0_NS1_11comp_targetILNS1_3genE9ELNS1_11target_archE1100ELNS1_3gpuE3ELNS1_3repE0EEENS1_30default_config_static_selectorELNS0_4arch9wavefront6targetE1EEEvT1_,"axG",@progbits,_ZN7rocprim17ROCPRIM_400000_NS6detail17trampoline_kernelINS0_14default_configENS1_20scan_config_selectorIfEEZZNS1_9scan_implILNS1_25lookback_scan_determinismE0ELb0ELb0ES3_PKfPffZZZN2at6native31launch_logcumsumexp_cuda_kernelERKNSB_10TensorBaseESF_lENKUlvE_clEvENKUlvE0_clEvEUlffE_fEEDaPvRmT3_T4_T5_mT6_P12ihipStream_tbENKUlT_T0_E_clISt17integral_constantIbLb0EESW_EEDaSR_SS_EUlSR_E0_NS1_11comp_targetILNS1_3genE9ELNS1_11target_archE1100ELNS1_3gpuE3ELNS1_3repE0EEENS1_30default_config_static_selectorELNS0_4arch9wavefront6targetE1EEEvT1_,comdat
	.globl	_ZN7rocprim17ROCPRIM_400000_NS6detail17trampoline_kernelINS0_14default_configENS1_20scan_config_selectorIfEEZZNS1_9scan_implILNS1_25lookback_scan_determinismE0ELb0ELb0ES3_PKfPffZZZN2at6native31launch_logcumsumexp_cuda_kernelERKNSB_10TensorBaseESF_lENKUlvE_clEvENKUlvE0_clEvEUlffE_fEEDaPvRmT3_T4_T5_mT6_P12ihipStream_tbENKUlT_T0_E_clISt17integral_constantIbLb0EESW_EEDaSR_SS_EUlSR_E0_NS1_11comp_targetILNS1_3genE9ELNS1_11target_archE1100ELNS1_3gpuE3ELNS1_3repE0EEENS1_30default_config_static_selectorELNS0_4arch9wavefront6targetE1EEEvT1_ ; -- Begin function _ZN7rocprim17ROCPRIM_400000_NS6detail17trampoline_kernelINS0_14default_configENS1_20scan_config_selectorIfEEZZNS1_9scan_implILNS1_25lookback_scan_determinismE0ELb0ELb0ES3_PKfPffZZZN2at6native31launch_logcumsumexp_cuda_kernelERKNSB_10TensorBaseESF_lENKUlvE_clEvENKUlvE0_clEvEUlffE_fEEDaPvRmT3_T4_T5_mT6_P12ihipStream_tbENKUlT_T0_E_clISt17integral_constantIbLb0EESW_EEDaSR_SS_EUlSR_E0_NS1_11comp_targetILNS1_3genE9ELNS1_11target_archE1100ELNS1_3gpuE3ELNS1_3repE0EEENS1_30default_config_static_selectorELNS0_4arch9wavefront6targetE1EEEvT1_
	.p2align	8
	.type	_ZN7rocprim17ROCPRIM_400000_NS6detail17trampoline_kernelINS0_14default_configENS1_20scan_config_selectorIfEEZZNS1_9scan_implILNS1_25lookback_scan_determinismE0ELb0ELb0ES3_PKfPffZZZN2at6native31launch_logcumsumexp_cuda_kernelERKNSB_10TensorBaseESF_lENKUlvE_clEvENKUlvE0_clEvEUlffE_fEEDaPvRmT3_T4_T5_mT6_P12ihipStream_tbENKUlT_T0_E_clISt17integral_constantIbLb0EESW_EEDaSR_SS_EUlSR_E0_NS1_11comp_targetILNS1_3genE9ELNS1_11target_archE1100ELNS1_3gpuE3ELNS1_3repE0EEENS1_30default_config_static_selectorELNS0_4arch9wavefront6targetE1EEEvT1_,@function
_ZN7rocprim17ROCPRIM_400000_NS6detail17trampoline_kernelINS0_14default_configENS1_20scan_config_selectorIfEEZZNS1_9scan_implILNS1_25lookback_scan_determinismE0ELb0ELb0ES3_PKfPffZZZN2at6native31launch_logcumsumexp_cuda_kernelERKNSB_10TensorBaseESF_lENKUlvE_clEvENKUlvE0_clEvEUlffE_fEEDaPvRmT3_T4_T5_mT6_P12ihipStream_tbENKUlT_T0_E_clISt17integral_constantIbLb0EESW_EEDaSR_SS_EUlSR_E0_NS1_11comp_targetILNS1_3genE9ELNS1_11target_archE1100ELNS1_3gpuE3ELNS1_3repE0EEENS1_30default_config_static_selectorELNS0_4arch9wavefront6targetE1EEEvT1_: ; @_ZN7rocprim17ROCPRIM_400000_NS6detail17trampoline_kernelINS0_14default_configENS1_20scan_config_selectorIfEEZZNS1_9scan_implILNS1_25lookback_scan_determinismE0ELb0ELb0ES3_PKfPffZZZN2at6native31launch_logcumsumexp_cuda_kernelERKNSB_10TensorBaseESF_lENKUlvE_clEvENKUlvE0_clEvEUlffE_fEEDaPvRmT3_T4_T5_mT6_P12ihipStream_tbENKUlT_T0_E_clISt17integral_constantIbLb0EESW_EEDaSR_SS_EUlSR_E0_NS1_11comp_targetILNS1_3genE9ELNS1_11target_archE1100ELNS1_3gpuE3ELNS1_3repE0EEENS1_30default_config_static_selectorELNS0_4arch9wavefront6targetE1EEEvT1_
; %bb.0:
	.section	.rodata,"a",@progbits
	.p2align	6, 0x0
	.amdhsa_kernel _ZN7rocprim17ROCPRIM_400000_NS6detail17trampoline_kernelINS0_14default_configENS1_20scan_config_selectorIfEEZZNS1_9scan_implILNS1_25lookback_scan_determinismE0ELb0ELb0ES3_PKfPffZZZN2at6native31launch_logcumsumexp_cuda_kernelERKNSB_10TensorBaseESF_lENKUlvE_clEvENKUlvE0_clEvEUlffE_fEEDaPvRmT3_T4_T5_mT6_P12ihipStream_tbENKUlT_T0_E_clISt17integral_constantIbLb0EESW_EEDaSR_SS_EUlSR_E0_NS1_11comp_targetILNS1_3genE9ELNS1_11target_archE1100ELNS1_3gpuE3ELNS1_3repE0EEENS1_30default_config_static_selectorELNS0_4arch9wavefront6targetE1EEEvT1_
		.amdhsa_group_segment_fixed_size 0
		.amdhsa_private_segment_fixed_size 0
		.amdhsa_kernarg_size 32
		.amdhsa_user_sgpr_count 2
		.amdhsa_user_sgpr_dispatch_ptr 0
		.amdhsa_user_sgpr_queue_ptr 0
		.amdhsa_user_sgpr_kernarg_segment_ptr 1
		.amdhsa_user_sgpr_dispatch_id 0
		.amdhsa_user_sgpr_kernarg_preload_length 0
		.amdhsa_user_sgpr_kernarg_preload_offset 0
		.amdhsa_user_sgpr_private_segment_size 0
		.amdhsa_uses_dynamic_stack 0
		.amdhsa_enable_private_segment 0
		.amdhsa_system_sgpr_workgroup_id_x 1
		.amdhsa_system_sgpr_workgroup_id_y 0
		.amdhsa_system_sgpr_workgroup_id_z 0
		.amdhsa_system_sgpr_workgroup_info 0
		.amdhsa_system_vgpr_workitem_id 0
		.amdhsa_next_free_vgpr 1
		.amdhsa_next_free_sgpr 0
		.amdhsa_accum_offset 4
		.amdhsa_reserve_vcc 0
		.amdhsa_float_round_mode_32 0
		.amdhsa_float_round_mode_16_64 0
		.amdhsa_float_denorm_mode_32 3
		.amdhsa_float_denorm_mode_16_64 3
		.amdhsa_dx10_clamp 1
		.amdhsa_ieee_mode 1
		.amdhsa_fp16_overflow 0
		.amdhsa_tg_split 0
		.amdhsa_exception_fp_ieee_invalid_op 0
		.amdhsa_exception_fp_denorm_src 0
		.amdhsa_exception_fp_ieee_div_zero 0
		.amdhsa_exception_fp_ieee_overflow 0
		.amdhsa_exception_fp_ieee_underflow 0
		.amdhsa_exception_fp_ieee_inexact 0
		.amdhsa_exception_int_div_zero 0
	.end_amdhsa_kernel
	.section	.text._ZN7rocprim17ROCPRIM_400000_NS6detail17trampoline_kernelINS0_14default_configENS1_20scan_config_selectorIfEEZZNS1_9scan_implILNS1_25lookback_scan_determinismE0ELb0ELb0ES3_PKfPffZZZN2at6native31launch_logcumsumexp_cuda_kernelERKNSB_10TensorBaseESF_lENKUlvE_clEvENKUlvE0_clEvEUlffE_fEEDaPvRmT3_T4_T5_mT6_P12ihipStream_tbENKUlT_T0_E_clISt17integral_constantIbLb0EESW_EEDaSR_SS_EUlSR_E0_NS1_11comp_targetILNS1_3genE9ELNS1_11target_archE1100ELNS1_3gpuE3ELNS1_3repE0EEENS1_30default_config_static_selectorELNS0_4arch9wavefront6targetE1EEEvT1_,"axG",@progbits,_ZN7rocprim17ROCPRIM_400000_NS6detail17trampoline_kernelINS0_14default_configENS1_20scan_config_selectorIfEEZZNS1_9scan_implILNS1_25lookback_scan_determinismE0ELb0ELb0ES3_PKfPffZZZN2at6native31launch_logcumsumexp_cuda_kernelERKNSB_10TensorBaseESF_lENKUlvE_clEvENKUlvE0_clEvEUlffE_fEEDaPvRmT3_T4_T5_mT6_P12ihipStream_tbENKUlT_T0_E_clISt17integral_constantIbLb0EESW_EEDaSR_SS_EUlSR_E0_NS1_11comp_targetILNS1_3genE9ELNS1_11target_archE1100ELNS1_3gpuE3ELNS1_3repE0EEENS1_30default_config_static_selectorELNS0_4arch9wavefront6targetE1EEEvT1_,comdat
.Lfunc_end112:
	.size	_ZN7rocprim17ROCPRIM_400000_NS6detail17trampoline_kernelINS0_14default_configENS1_20scan_config_selectorIfEEZZNS1_9scan_implILNS1_25lookback_scan_determinismE0ELb0ELb0ES3_PKfPffZZZN2at6native31launch_logcumsumexp_cuda_kernelERKNSB_10TensorBaseESF_lENKUlvE_clEvENKUlvE0_clEvEUlffE_fEEDaPvRmT3_T4_T5_mT6_P12ihipStream_tbENKUlT_T0_E_clISt17integral_constantIbLb0EESW_EEDaSR_SS_EUlSR_E0_NS1_11comp_targetILNS1_3genE9ELNS1_11target_archE1100ELNS1_3gpuE3ELNS1_3repE0EEENS1_30default_config_static_selectorELNS0_4arch9wavefront6targetE1EEEvT1_, .Lfunc_end112-_ZN7rocprim17ROCPRIM_400000_NS6detail17trampoline_kernelINS0_14default_configENS1_20scan_config_selectorIfEEZZNS1_9scan_implILNS1_25lookback_scan_determinismE0ELb0ELb0ES3_PKfPffZZZN2at6native31launch_logcumsumexp_cuda_kernelERKNSB_10TensorBaseESF_lENKUlvE_clEvENKUlvE0_clEvEUlffE_fEEDaPvRmT3_T4_T5_mT6_P12ihipStream_tbENKUlT_T0_E_clISt17integral_constantIbLb0EESW_EEDaSR_SS_EUlSR_E0_NS1_11comp_targetILNS1_3genE9ELNS1_11target_archE1100ELNS1_3gpuE3ELNS1_3repE0EEENS1_30default_config_static_selectorELNS0_4arch9wavefront6targetE1EEEvT1_
                                        ; -- End function
	.set _ZN7rocprim17ROCPRIM_400000_NS6detail17trampoline_kernelINS0_14default_configENS1_20scan_config_selectorIfEEZZNS1_9scan_implILNS1_25lookback_scan_determinismE0ELb0ELb0ES3_PKfPffZZZN2at6native31launch_logcumsumexp_cuda_kernelERKNSB_10TensorBaseESF_lENKUlvE_clEvENKUlvE0_clEvEUlffE_fEEDaPvRmT3_T4_T5_mT6_P12ihipStream_tbENKUlT_T0_E_clISt17integral_constantIbLb0EESW_EEDaSR_SS_EUlSR_E0_NS1_11comp_targetILNS1_3genE9ELNS1_11target_archE1100ELNS1_3gpuE3ELNS1_3repE0EEENS1_30default_config_static_selectorELNS0_4arch9wavefront6targetE1EEEvT1_.num_vgpr, 0
	.set _ZN7rocprim17ROCPRIM_400000_NS6detail17trampoline_kernelINS0_14default_configENS1_20scan_config_selectorIfEEZZNS1_9scan_implILNS1_25lookback_scan_determinismE0ELb0ELb0ES3_PKfPffZZZN2at6native31launch_logcumsumexp_cuda_kernelERKNSB_10TensorBaseESF_lENKUlvE_clEvENKUlvE0_clEvEUlffE_fEEDaPvRmT3_T4_T5_mT6_P12ihipStream_tbENKUlT_T0_E_clISt17integral_constantIbLb0EESW_EEDaSR_SS_EUlSR_E0_NS1_11comp_targetILNS1_3genE9ELNS1_11target_archE1100ELNS1_3gpuE3ELNS1_3repE0EEENS1_30default_config_static_selectorELNS0_4arch9wavefront6targetE1EEEvT1_.num_agpr, 0
	.set _ZN7rocprim17ROCPRIM_400000_NS6detail17trampoline_kernelINS0_14default_configENS1_20scan_config_selectorIfEEZZNS1_9scan_implILNS1_25lookback_scan_determinismE0ELb0ELb0ES3_PKfPffZZZN2at6native31launch_logcumsumexp_cuda_kernelERKNSB_10TensorBaseESF_lENKUlvE_clEvENKUlvE0_clEvEUlffE_fEEDaPvRmT3_T4_T5_mT6_P12ihipStream_tbENKUlT_T0_E_clISt17integral_constantIbLb0EESW_EEDaSR_SS_EUlSR_E0_NS1_11comp_targetILNS1_3genE9ELNS1_11target_archE1100ELNS1_3gpuE3ELNS1_3repE0EEENS1_30default_config_static_selectorELNS0_4arch9wavefront6targetE1EEEvT1_.numbered_sgpr, 0
	.set _ZN7rocprim17ROCPRIM_400000_NS6detail17trampoline_kernelINS0_14default_configENS1_20scan_config_selectorIfEEZZNS1_9scan_implILNS1_25lookback_scan_determinismE0ELb0ELb0ES3_PKfPffZZZN2at6native31launch_logcumsumexp_cuda_kernelERKNSB_10TensorBaseESF_lENKUlvE_clEvENKUlvE0_clEvEUlffE_fEEDaPvRmT3_T4_T5_mT6_P12ihipStream_tbENKUlT_T0_E_clISt17integral_constantIbLb0EESW_EEDaSR_SS_EUlSR_E0_NS1_11comp_targetILNS1_3genE9ELNS1_11target_archE1100ELNS1_3gpuE3ELNS1_3repE0EEENS1_30default_config_static_selectorELNS0_4arch9wavefront6targetE1EEEvT1_.num_named_barrier, 0
	.set _ZN7rocprim17ROCPRIM_400000_NS6detail17trampoline_kernelINS0_14default_configENS1_20scan_config_selectorIfEEZZNS1_9scan_implILNS1_25lookback_scan_determinismE0ELb0ELb0ES3_PKfPffZZZN2at6native31launch_logcumsumexp_cuda_kernelERKNSB_10TensorBaseESF_lENKUlvE_clEvENKUlvE0_clEvEUlffE_fEEDaPvRmT3_T4_T5_mT6_P12ihipStream_tbENKUlT_T0_E_clISt17integral_constantIbLb0EESW_EEDaSR_SS_EUlSR_E0_NS1_11comp_targetILNS1_3genE9ELNS1_11target_archE1100ELNS1_3gpuE3ELNS1_3repE0EEENS1_30default_config_static_selectorELNS0_4arch9wavefront6targetE1EEEvT1_.private_seg_size, 0
	.set _ZN7rocprim17ROCPRIM_400000_NS6detail17trampoline_kernelINS0_14default_configENS1_20scan_config_selectorIfEEZZNS1_9scan_implILNS1_25lookback_scan_determinismE0ELb0ELb0ES3_PKfPffZZZN2at6native31launch_logcumsumexp_cuda_kernelERKNSB_10TensorBaseESF_lENKUlvE_clEvENKUlvE0_clEvEUlffE_fEEDaPvRmT3_T4_T5_mT6_P12ihipStream_tbENKUlT_T0_E_clISt17integral_constantIbLb0EESW_EEDaSR_SS_EUlSR_E0_NS1_11comp_targetILNS1_3genE9ELNS1_11target_archE1100ELNS1_3gpuE3ELNS1_3repE0EEENS1_30default_config_static_selectorELNS0_4arch9wavefront6targetE1EEEvT1_.uses_vcc, 0
	.set _ZN7rocprim17ROCPRIM_400000_NS6detail17trampoline_kernelINS0_14default_configENS1_20scan_config_selectorIfEEZZNS1_9scan_implILNS1_25lookback_scan_determinismE0ELb0ELb0ES3_PKfPffZZZN2at6native31launch_logcumsumexp_cuda_kernelERKNSB_10TensorBaseESF_lENKUlvE_clEvENKUlvE0_clEvEUlffE_fEEDaPvRmT3_T4_T5_mT6_P12ihipStream_tbENKUlT_T0_E_clISt17integral_constantIbLb0EESW_EEDaSR_SS_EUlSR_E0_NS1_11comp_targetILNS1_3genE9ELNS1_11target_archE1100ELNS1_3gpuE3ELNS1_3repE0EEENS1_30default_config_static_selectorELNS0_4arch9wavefront6targetE1EEEvT1_.uses_flat_scratch, 0
	.set _ZN7rocprim17ROCPRIM_400000_NS6detail17trampoline_kernelINS0_14default_configENS1_20scan_config_selectorIfEEZZNS1_9scan_implILNS1_25lookback_scan_determinismE0ELb0ELb0ES3_PKfPffZZZN2at6native31launch_logcumsumexp_cuda_kernelERKNSB_10TensorBaseESF_lENKUlvE_clEvENKUlvE0_clEvEUlffE_fEEDaPvRmT3_T4_T5_mT6_P12ihipStream_tbENKUlT_T0_E_clISt17integral_constantIbLb0EESW_EEDaSR_SS_EUlSR_E0_NS1_11comp_targetILNS1_3genE9ELNS1_11target_archE1100ELNS1_3gpuE3ELNS1_3repE0EEENS1_30default_config_static_selectorELNS0_4arch9wavefront6targetE1EEEvT1_.has_dyn_sized_stack, 0
	.set _ZN7rocprim17ROCPRIM_400000_NS6detail17trampoline_kernelINS0_14default_configENS1_20scan_config_selectorIfEEZZNS1_9scan_implILNS1_25lookback_scan_determinismE0ELb0ELb0ES3_PKfPffZZZN2at6native31launch_logcumsumexp_cuda_kernelERKNSB_10TensorBaseESF_lENKUlvE_clEvENKUlvE0_clEvEUlffE_fEEDaPvRmT3_T4_T5_mT6_P12ihipStream_tbENKUlT_T0_E_clISt17integral_constantIbLb0EESW_EEDaSR_SS_EUlSR_E0_NS1_11comp_targetILNS1_3genE9ELNS1_11target_archE1100ELNS1_3gpuE3ELNS1_3repE0EEENS1_30default_config_static_selectorELNS0_4arch9wavefront6targetE1EEEvT1_.has_recursion, 0
	.set _ZN7rocprim17ROCPRIM_400000_NS6detail17trampoline_kernelINS0_14default_configENS1_20scan_config_selectorIfEEZZNS1_9scan_implILNS1_25lookback_scan_determinismE0ELb0ELb0ES3_PKfPffZZZN2at6native31launch_logcumsumexp_cuda_kernelERKNSB_10TensorBaseESF_lENKUlvE_clEvENKUlvE0_clEvEUlffE_fEEDaPvRmT3_T4_T5_mT6_P12ihipStream_tbENKUlT_T0_E_clISt17integral_constantIbLb0EESW_EEDaSR_SS_EUlSR_E0_NS1_11comp_targetILNS1_3genE9ELNS1_11target_archE1100ELNS1_3gpuE3ELNS1_3repE0EEENS1_30default_config_static_selectorELNS0_4arch9wavefront6targetE1EEEvT1_.has_indirect_call, 0
	.section	.AMDGPU.csdata,"",@progbits
; Kernel info:
; codeLenInByte = 0
; TotalNumSgprs: 6
; NumVgprs: 0
; NumAgprs: 0
; TotalNumVgprs: 0
; ScratchSize: 0
; MemoryBound: 0
; FloatMode: 240
; IeeeMode: 1
; LDSByteSize: 0 bytes/workgroup (compile time only)
; SGPRBlocks: 0
; VGPRBlocks: 0
; NumSGPRsForWavesPerEU: 6
; NumVGPRsForWavesPerEU: 1
; AccumOffset: 4
; Occupancy: 8
; WaveLimiterHint : 0
; COMPUTE_PGM_RSRC2:SCRATCH_EN: 0
; COMPUTE_PGM_RSRC2:USER_SGPR: 2
; COMPUTE_PGM_RSRC2:TRAP_HANDLER: 0
; COMPUTE_PGM_RSRC2:TGID_X_EN: 1
; COMPUTE_PGM_RSRC2:TGID_Y_EN: 0
; COMPUTE_PGM_RSRC2:TGID_Z_EN: 0
; COMPUTE_PGM_RSRC2:TIDIG_COMP_CNT: 0
; COMPUTE_PGM_RSRC3_GFX90A:ACCUM_OFFSET: 0
; COMPUTE_PGM_RSRC3_GFX90A:TG_SPLIT: 0
	.section	.text._ZN7rocprim17ROCPRIM_400000_NS6detail17trampoline_kernelINS0_14default_configENS1_20scan_config_selectorIfEEZZNS1_9scan_implILNS1_25lookback_scan_determinismE0ELb0ELb0ES3_PKfPffZZZN2at6native31launch_logcumsumexp_cuda_kernelERKNSB_10TensorBaseESF_lENKUlvE_clEvENKUlvE0_clEvEUlffE_fEEDaPvRmT3_T4_T5_mT6_P12ihipStream_tbENKUlT_T0_E_clISt17integral_constantIbLb0EESW_EEDaSR_SS_EUlSR_E0_NS1_11comp_targetILNS1_3genE8ELNS1_11target_archE1030ELNS1_3gpuE2ELNS1_3repE0EEENS1_30default_config_static_selectorELNS0_4arch9wavefront6targetE1EEEvT1_,"axG",@progbits,_ZN7rocprim17ROCPRIM_400000_NS6detail17trampoline_kernelINS0_14default_configENS1_20scan_config_selectorIfEEZZNS1_9scan_implILNS1_25lookback_scan_determinismE0ELb0ELb0ES3_PKfPffZZZN2at6native31launch_logcumsumexp_cuda_kernelERKNSB_10TensorBaseESF_lENKUlvE_clEvENKUlvE0_clEvEUlffE_fEEDaPvRmT3_T4_T5_mT6_P12ihipStream_tbENKUlT_T0_E_clISt17integral_constantIbLb0EESW_EEDaSR_SS_EUlSR_E0_NS1_11comp_targetILNS1_3genE8ELNS1_11target_archE1030ELNS1_3gpuE2ELNS1_3repE0EEENS1_30default_config_static_selectorELNS0_4arch9wavefront6targetE1EEEvT1_,comdat
	.globl	_ZN7rocprim17ROCPRIM_400000_NS6detail17trampoline_kernelINS0_14default_configENS1_20scan_config_selectorIfEEZZNS1_9scan_implILNS1_25lookback_scan_determinismE0ELb0ELb0ES3_PKfPffZZZN2at6native31launch_logcumsumexp_cuda_kernelERKNSB_10TensorBaseESF_lENKUlvE_clEvENKUlvE0_clEvEUlffE_fEEDaPvRmT3_T4_T5_mT6_P12ihipStream_tbENKUlT_T0_E_clISt17integral_constantIbLb0EESW_EEDaSR_SS_EUlSR_E0_NS1_11comp_targetILNS1_3genE8ELNS1_11target_archE1030ELNS1_3gpuE2ELNS1_3repE0EEENS1_30default_config_static_selectorELNS0_4arch9wavefront6targetE1EEEvT1_ ; -- Begin function _ZN7rocprim17ROCPRIM_400000_NS6detail17trampoline_kernelINS0_14default_configENS1_20scan_config_selectorIfEEZZNS1_9scan_implILNS1_25lookback_scan_determinismE0ELb0ELb0ES3_PKfPffZZZN2at6native31launch_logcumsumexp_cuda_kernelERKNSB_10TensorBaseESF_lENKUlvE_clEvENKUlvE0_clEvEUlffE_fEEDaPvRmT3_T4_T5_mT6_P12ihipStream_tbENKUlT_T0_E_clISt17integral_constantIbLb0EESW_EEDaSR_SS_EUlSR_E0_NS1_11comp_targetILNS1_3genE8ELNS1_11target_archE1030ELNS1_3gpuE2ELNS1_3repE0EEENS1_30default_config_static_selectorELNS0_4arch9wavefront6targetE1EEEvT1_
	.p2align	8
	.type	_ZN7rocprim17ROCPRIM_400000_NS6detail17trampoline_kernelINS0_14default_configENS1_20scan_config_selectorIfEEZZNS1_9scan_implILNS1_25lookback_scan_determinismE0ELb0ELb0ES3_PKfPffZZZN2at6native31launch_logcumsumexp_cuda_kernelERKNSB_10TensorBaseESF_lENKUlvE_clEvENKUlvE0_clEvEUlffE_fEEDaPvRmT3_T4_T5_mT6_P12ihipStream_tbENKUlT_T0_E_clISt17integral_constantIbLb0EESW_EEDaSR_SS_EUlSR_E0_NS1_11comp_targetILNS1_3genE8ELNS1_11target_archE1030ELNS1_3gpuE2ELNS1_3repE0EEENS1_30default_config_static_selectorELNS0_4arch9wavefront6targetE1EEEvT1_,@function
_ZN7rocprim17ROCPRIM_400000_NS6detail17trampoline_kernelINS0_14default_configENS1_20scan_config_selectorIfEEZZNS1_9scan_implILNS1_25lookback_scan_determinismE0ELb0ELb0ES3_PKfPffZZZN2at6native31launch_logcumsumexp_cuda_kernelERKNSB_10TensorBaseESF_lENKUlvE_clEvENKUlvE0_clEvEUlffE_fEEDaPvRmT3_T4_T5_mT6_P12ihipStream_tbENKUlT_T0_E_clISt17integral_constantIbLb0EESW_EEDaSR_SS_EUlSR_E0_NS1_11comp_targetILNS1_3genE8ELNS1_11target_archE1030ELNS1_3gpuE2ELNS1_3repE0EEENS1_30default_config_static_selectorELNS0_4arch9wavefront6targetE1EEEvT1_: ; @_ZN7rocprim17ROCPRIM_400000_NS6detail17trampoline_kernelINS0_14default_configENS1_20scan_config_selectorIfEEZZNS1_9scan_implILNS1_25lookback_scan_determinismE0ELb0ELb0ES3_PKfPffZZZN2at6native31launch_logcumsumexp_cuda_kernelERKNSB_10TensorBaseESF_lENKUlvE_clEvENKUlvE0_clEvEUlffE_fEEDaPvRmT3_T4_T5_mT6_P12ihipStream_tbENKUlT_T0_E_clISt17integral_constantIbLb0EESW_EEDaSR_SS_EUlSR_E0_NS1_11comp_targetILNS1_3genE8ELNS1_11target_archE1030ELNS1_3gpuE2ELNS1_3repE0EEENS1_30default_config_static_selectorELNS0_4arch9wavefront6targetE1EEEvT1_
; %bb.0:
	.section	.rodata,"a",@progbits
	.p2align	6, 0x0
	.amdhsa_kernel _ZN7rocprim17ROCPRIM_400000_NS6detail17trampoline_kernelINS0_14default_configENS1_20scan_config_selectorIfEEZZNS1_9scan_implILNS1_25lookback_scan_determinismE0ELb0ELb0ES3_PKfPffZZZN2at6native31launch_logcumsumexp_cuda_kernelERKNSB_10TensorBaseESF_lENKUlvE_clEvENKUlvE0_clEvEUlffE_fEEDaPvRmT3_T4_T5_mT6_P12ihipStream_tbENKUlT_T0_E_clISt17integral_constantIbLb0EESW_EEDaSR_SS_EUlSR_E0_NS1_11comp_targetILNS1_3genE8ELNS1_11target_archE1030ELNS1_3gpuE2ELNS1_3repE0EEENS1_30default_config_static_selectorELNS0_4arch9wavefront6targetE1EEEvT1_
		.amdhsa_group_segment_fixed_size 0
		.amdhsa_private_segment_fixed_size 0
		.amdhsa_kernarg_size 32
		.amdhsa_user_sgpr_count 2
		.amdhsa_user_sgpr_dispatch_ptr 0
		.amdhsa_user_sgpr_queue_ptr 0
		.amdhsa_user_sgpr_kernarg_segment_ptr 1
		.amdhsa_user_sgpr_dispatch_id 0
		.amdhsa_user_sgpr_kernarg_preload_length 0
		.amdhsa_user_sgpr_kernarg_preload_offset 0
		.amdhsa_user_sgpr_private_segment_size 0
		.amdhsa_uses_dynamic_stack 0
		.amdhsa_enable_private_segment 0
		.amdhsa_system_sgpr_workgroup_id_x 1
		.amdhsa_system_sgpr_workgroup_id_y 0
		.amdhsa_system_sgpr_workgroup_id_z 0
		.amdhsa_system_sgpr_workgroup_info 0
		.amdhsa_system_vgpr_workitem_id 0
		.amdhsa_next_free_vgpr 1
		.amdhsa_next_free_sgpr 0
		.amdhsa_accum_offset 4
		.amdhsa_reserve_vcc 0
		.amdhsa_float_round_mode_32 0
		.amdhsa_float_round_mode_16_64 0
		.amdhsa_float_denorm_mode_32 3
		.amdhsa_float_denorm_mode_16_64 3
		.amdhsa_dx10_clamp 1
		.amdhsa_ieee_mode 1
		.amdhsa_fp16_overflow 0
		.amdhsa_tg_split 0
		.amdhsa_exception_fp_ieee_invalid_op 0
		.amdhsa_exception_fp_denorm_src 0
		.amdhsa_exception_fp_ieee_div_zero 0
		.amdhsa_exception_fp_ieee_overflow 0
		.amdhsa_exception_fp_ieee_underflow 0
		.amdhsa_exception_fp_ieee_inexact 0
		.amdhsa_exception_int_div_zero 0
	.end_amdhsa_kernel
	.section	.text._ZN7rocprim17ROCPRIM_400000_NS6detail17trampoline_kernelINS0_14default_configENS1_20scan_config_selectorIfEEZZNS1_9scan_implILNS1_25lookback_scan_determinismE0ELb0ELb0ES3_PKfPffZZZN2at6native31launch_logcumsumexp_cuda_kernelERKNSB_10TensorBaseESF_lENKUlvE_clEvENKUlvE0_clEvEUlffE_fEEDaPvRmT3_T4_T5_mT6_P12ihipStream_tbENKUlT_T0_E_clISt17integral_constantIbLb0EESW_EEDaSR_SS_EUlSR_E0_NS1_11comp_targetILNS1_3genE8ELNS1_11target_archE1030ELNS1_3gpuE2ELNS1_3repE0EEENS1_30default_config_static_selectorELNS0_4arch9wavefront6targetE1EEEvT1_,"axG",@progbits,_ZN7rocprim17ROCPRIM_400000_NS6detail17trampoline_kernelINS0_14default_configENS1_20scan_config_selectorIfEEZZNS1_9scan_implILNS1_25lookback_scan_determinismE0ELb0ELb0ES3_PKfPffZZZN2at6native31launch_logcumsumexp_cuda_kernelERKNSB_10TensorBaseESF_lENKUlvE_clEvENKUlvE0_clEvEUlffE_fEEDaPvRmT3_T4_T5_mT6_P12ihipStream_tbENKUlT_T0_E_clISt17integral_constantIbLb0EESW_EEDaSR_SS_EUlSR_E0_NS1_11comp_targetILNS1_3genE8ELNS1_11target_archE1030ELNS1_3gpuE2ELNS1_3repE0EEENS1_30default_config_static_selectorELNS0_4arch9wavefront6targetE1EEEvT1_,comdat
.Lfunc_end113:
	.size	_ZN7rocprim17ROCPRIM_400000_NS6detail17trampoline_kernelINS0_14default_configENS1_20scan_config_selectorIfEEZZNS1_9scan_implILNS1_25lookback_scan_determinismE0ELb0ELb0ES3_PKfPffZZZN2at6native31launch_logcumsumexp_cuda_kernelERKNSB_10TensorBaseESF_lENKUlvE_clEvENKUlvE0_clEvEUlffE_fEEDaPvRmT3_T4_T5_mT6_P12ihipStream_tbENKUlT_T0_E_clISt17integral_constantIbLb0EESW_EEDaSR_SS_EUlSR_E0_NS1_11comp_targetILNS1_3genE8ELNS1_11target_archE1030ELNS1_3gpuE2ELNS1_3repE0EEENS1_30default_config_static_selectorELNS0_4arch9wavefront6targetE1EEEvT1_, .Lfunc_end113-_ZN7rocprim17ROCPRIM_400000_NS6detail17trampoline_kernelINS0_14default_configENS1_20scan_config_selectorIfEEZZNS1_9scan_implILNS1_25lookback_scan_determinismE0ELb0ELb0ES3_PKfPffZZZN2at6native31launch_logcumsumexp_cuda_kernelERKNSB_10TensorBaseESF_lENKUlvE_clEvENKUlvE0_clEvEUlffE_fEEDaPvRmT3_T4_T5_mT6_P12ihipStream_tbENKUlT_T0_E_clISt17integral_constantIbLb0EESW_EEDaSR_SS_EUlSR_E0_NS1_11comp_targetILNS1_3genE8ELNS1_11target_archE1030ELNS1_3gpuE2ELNS1_3repE0EEENS1_30default_config_static_selectorELNS0_4arch9wavefront6targetE1EEEvT1_
                                        ; -- End function
	.set _ZN7rocprim17ROCPRIM_400000_NS6detail17trampoline_kernelINS0_14default_configENS1_20scan_config_selectorIfEEZZNS1_9scan_implILNS1_25lookback_scan_determinismE0ELb0ELb0ES3_PKfPffZZZN2at6native31launch_logcumsumexp_cuda_kernelERKNSB_10TensorBaseESF_lENKUlvE_clEvENKUlvE0_clEvEUlffE_fEEDaPvRmT3_T4_T5_mT6_P12ihipStream_tbENKUlT_T0_E_clISt17integral_constantIbLb0EESW_EEDaSR_SS_EUlSR_E0_NS1_11comp_targetILNS1_3genE8ELNS1_11target_archE1030ELNS1_3gpuE2ELNS1_3repE0EEENS1_30default_config_static_selectorELNS0_4arch9wavefront6targetE1EEEvT1_.num_vgpr, 0
	.set _ZN7rocprim17ROCPRIM_400000_NS6detail17trampoline_kernelINS0_14default_configENS1_20scan_config_selectorIfEEZZNS1_9scan_implILNS1_25lookback_scan_determinismE0ELb0ELb0ES3_PKfPffZZZN2at6native31launch_logcumsumexp_cuda_kernelERKNSB_10TensorBaseESF_lENKUlvE_clEvENKUlvE0_clEvEUlffE_fEEDaPvRmT3_T4_T5_mT6_P12ihipStream_tbENKUlT_T0_E_clISt17integral_constantIbLb0EESW_EEDaSR_SS_EUlSR_E0_NS1_11comp_targetILNS1_3genE8ELNS1_11target_archE1030ELNS1_3gpuE2ELNS1_3repE0EEENS1_30default_config_static_selectorELNS0_4arch9wavefront6targetE1EEEvT1_.num_agpr, 0
	.set _ZN7rocprim17ROCPRIM_400000_NS6detail17trampoline_kernelINS0_14default_configENS1_20scan_config_selectorIfEEZZNS1_9scan_implILNS1_25lookback_scan_determinismE0ELb0ELb0ES3_PKfPffZZZN2at6native31launch_logcumsumexp_cuda_kernelERKNSB_10TensorBaseESF_lENKUlvE_clEvENKUlvE0_clEvEUlffE_fEEDaPvRmT3_T4_T5_mT6_P12ihipStream_tbENKUlT_T0_E_clISt17integral_constantIbLb0EESW_EEDaSR_SS_EUlSR_E0_NS1_11comp_targetILNS1_3genE8ELNS1_11target_archE1030ELNS1_3gpuE2ELNS1_3repE0EEENS1_30default_config_static_selectorELNS0_4arch9wavefront6targetE1EEEvT1_.numbered_sgpr, 0
	.set _ZN7rocprim17ROCPRIM_400000_NS6detail17trampoline_kernelINS0_14default_configENS1_20scan_config_selectorIfEEZZNS1_9scan_implILNS1_25lookback_scan_determinismE0ELb0ELb0ES3_PKfPffZZZN2at6native31launch_logcumsumexp_cuda_kernelERKNSB_10TensorBaseESF_lENKUlvE_clEvENKUlvE0_clEvEUlffE_fEEDaPvRmT3_T4_T5_mT6_P12ihipStream_tbENKUlT_T0_E_clISt17integral_constantIbLb0EESW_EEDaSR_SS_EUlSR_E0_NS1_11comp_targetILNS1_3genE8ELNS1_11target_archE1030ELNS1_3gpuE2ELNS1_3repE0EEENS1_30default_config_static_selectorELNS0_4arch9wavefront6targetE1EEEvT1_.num_named_barrier, 0
	.set _ZN7rocprim17ROCPRIM_400000_NS6detail17trampoline_kernelINS0_14default_configENS1_20scan_config_selectorIfEEZZNS1_9scan_implILNS1_25lookback_scan_determinismE0ELb0ELb0ES3_PKfPffZZZN2at6native31launch_logcumsumexp_cuda_kernelERKNSB_10TensorBaseESF_lENKUlvE_clEvENKUlvE0_clEvEUlffE_fEEDaPvRmT3_T4_T5_mT6_P12ihipStream_tbENKUlT_T0_E_clISt17integral_constantIbLb0EESW_EEDaSR_SS_EUlSR_E0_NS1_11comp_targetILNS1_3genE8ELNS1_11target_archE1030ELNS1_3gpuE2ELNS1_3repE0EEENS1_30default_config_static_selectorELNS0_4arch9wavefront6targetE1EEEvT1_.private_seg_size, 0
	.set _ZN7rocprim17ROCPRIM_400000_NS6detail17trampoline_kernelINS0_14default_configENS1_20scan_config_selectorIfEEZZNS1_9scan_implILNS1_25lookback_scan_determinismE0ELb0ELb0ES3_PKfPffZZZN2at6native31launch_logcumsumexp_cuda_kernelERKNSB_10TensorBaseESF_lENKUlvE_clEvENKUlvE0_clEvEUlffE_fEEDaPvRmT3_T4_T5_mT6_P12ihipStream_tbENKUlT_T0_E_clISt17integral_constantIbLb0EESW_EEDaSR_SS_EUlSR_E0_NS1_11comp_targetILNS1_3genE8ELNS1_11target_archE1030ELNS1_3gpuE2ELNS1_3repE0EEENS1_30default_config_static_selectorELNS0_4arch9wavefront6targetE1EEEvT1_.uses_vcc, 0
	.set _ZN7rocprim17ROCPRIM_400000_NS6detail17trampoline_kernelINS0_14default_configENS1_20scan_config_selectorIfEEZZNS1_9scan_implILNS1_25lookback_scan_determinismE0ELb0ELb0ES3_PKfPffZZZN2at6native31launch_logcumsumexp_cuda_kernelERKNSB_10TensorBaseESF_lENKUlvE_clEvENKUlvE0_clEvEUlffE_fEEDaPvRmT3_T4_T5_mT6_P12ihipStream_tbENKUlT_T0_E_clISt17integral_constantIbLb0EESW_EEDaSR_SS_EUlSR_E0_NS1_11comp_targetILNS1_3genE8ELNS1_11target_archE1030ELNS1_3gpuE2ELNS1_3repE0EEENS1_30default_config_static_selectorELNS0_4arch9wavefront6targetE1EEEvT1_.uses_flat_scratch, 0
	.set _ZN7rocprim17ROCPRIM_400000_NS6detail17trampoline_kernelINS0_14default_configENS1_20scan_config_selectorIfEEZZNS1_9scan_implILNS1_25lookback_scan_determinismE0ELb0ELb0ES3_PKfPffZZZN2at6native31launch_logcumsumexp_cuda_kernelERKNSB_10TensorBaseESF_lENKUlvE_clEvENKUlvE0_clEvEUlffE_fEEDaPvRmT3_T4_T5_mT6_P12ihipStream_tbENKUlT_T0_E_clISt17integral_constantIbLb0EESW_EEDaSR_SS_EUlSR_E0_NS1_11comp_targetILNS1_3genE8ELNS1_11target_archE1030ELNS1_3gpuE2ELNS1_3repE0EEENS1_30default_config_static_selectorELNS0_4arch9wavefront6targetE1EEEvT1_.has_dyn_sized_stack, 0
	.set _ZN7rocprim17ROCPRIM_400000_NS6detail17trampoline_kernelINS0_14default_configENS1_20scan_config_selectorIfEEZZNS1_9scan_implILNS1_25lookback_scan_determinismE0ELb0ELb0ES3_PKfPffZZZN2at6native31launch_logcumsumexp_cuda_kernelERKNSB_10TensorBaseESF_lENKUlvE_clEvENKUlvE0_clEvEUlffE_fEEDaPvRmT3_T4_T5_mT6_P12ihipStream_tbENKUlT_T0_E_clISt17integral_constantIbLb0EESW_EEDaSR_SS_EUlSR_E0_NS1_11comp_targetILNS1_3genE8ELNS1_11target_archE1030ELNS1_3gpuE2ELNS1_3repE0EEENS1_30default_config_static_selectorELNS0_4arch9wavefront6targetE1EEEvT1_.has_recursion, 0
	.set _ZN7rocprim17ROCPRIM_400000_NS6detail17trampoline_kernelINS0_14default_configENS1_20scan_config_selectorIfEEZZNS1_9scan_implILNS1_25lookback_scan_determinismE0ELb0ELb0ES3_PKfPffZZZN2at6native31launch_logcumsumexp_cuda_kernelERKNSB_10TensorBaseESF_lENKUlvE_clEvENKUlvE0_clEvEUlffE_fEEDaPvRmT3_T4_T5_mT6_P12ihipStream_tbENKUlT_T0_E_clISt17integral_constantIbLb0EESW_EEDaSR_SS_EUlSR_E0_NS1_11comp_targetILNS1_3genE8ELNS1_11target_archE1030ELNS1_3gpuE2ELNS1_3repE0EEENS1_30default_config_static_selectorELNS0_4arch9wavefront6targetE1EEEvT1_.has_indirect_call, 0
	.section	.AMDGPU.csdata,"",@progbits
; Kernel info:
; codeLenInByte = 0
; TotalNumSgprs: 6
; NumVgprs: 0
; NumAgprs: 0
; TotalNumVgprs: 0
; ScratchSize: 0
; MemoryBound: 0
; FloatMode: 240
; IeeeMode: 1
; LDSByteSize: 0 bytes/workgroup (compile time only)
; SGPRBlocks: 0
; VGPRBlocks: 0
; NumSGPRsForWavesPerEU: 6
; NumVGPRsForWavesPerEU: 1
; AccumOffset: 4
; Occupancy: 8
; WaveLimiterHint : 0
; COMPUTE_PGM_RSRC2:SCRATCH_EN: 0
; COMPUTE_PGM_RSRC2:USER_SGPR: 2
; COMPUTE_PGM_RSRC2:TRAP_HANDLER: 0
; COMPUTE_PGM_RSRC2:TGID_X_EN: 1
; COMPUTE_PGM_RSRC2:TGID_Y_EN: 0
; COMPUTE_PGM_RSRC2:TGID_Z_EN: 0
; COMPUTE_PGM_RSRC2:TIDIG_COMP_CNT: 0
; COMPUTE_PGM_RSRC3_GFX90A:ACCUM_OFFSET: 0
; COMPUTE_PGM_RSRC3_GFX90A:TG_SPLIT: 0
	.section	.text._ZN7rocprim17ROCPRIM_400000_NS6detail31init_lookback_scan_state_kernelINS1_19lookback_scan_stateIfLb1ELb1EEENS1_16block_id_wrapperIjLb1EEEEEvT_jT0_jPNS7_10value_typeE,"axG",@progbits,_ZN7rocprim17ROCPRIM_400000_NS6detail31init_lookback_scan_state_kernelINS1_19lookback_scan_stateIfLb1ELb1EEENS1_16block_id_wrapperIjLb1EEEEEvT_jT0_jPNS7_10value_typeE,comdat
	.protected	_ZN7rocprim17ROCPRIM_400000_NS6detail31init_lookback_scan_state_kernelINS1_19lookback_scan_stateIfLb1ELb1EEENS1_16block_id_wrapperIjLb1EEEEEvT_jT0_jPNS7_10value_typeE ; -- Begin function _ZN7rocprim17ROCPRIM_400000_NS6detail31init_lookback_scan_state_kernelINS1_19lookback_scan_stateIfLb1ELb1EEENS1_16block_id_wrapperIjLb1EEEEEvT_jT0_jPNS7_10value_typeE
	.globl	_ZN7rocprim17ROCPRIM_400000_NS6detail31init_lookback_scan_state_kernelINS1_19lookback_scan_stateIfLb1ELb1EEENS1_16block_id_wrapperIjLb1EEEEEvT_jT0_jPNS7_10value_typeE
	.p2align	8
	.type	_ZN7rocprim17ROCPRIM_400000_NS6detail31init_lookback_scan_state_kernelINS1_19lookback_scan_stateIfLb1ELb1EEENS1_16block_id_wrapperIjLb1EEEEEvT_jT0_jPNS7_10value_typeE,@function
_ZN7rocprim17ROCPRIM_400000_NS6detail31init_lookback_scan_state_kernelINS1_19lookback_scan_stateIfLb1ELb1EEENS1_16block_id_wrapperIjLb1EEEEEvT_jT0_jPNS7_10value_typeE: ; @_ZN7rocprim17ROCPRIM_400000_NS6detail31init_lookback_scan_state_kernelINS1_19lookback_scan_stateIfLb1ELb1EEENS1_16block_id_wrapperIjLb1EEEEEvT_jT0_jPNS7_10value_typeE
; %bb.0:
	s_load_dword s3, s[0:1], 0x34
	s_load_dwordx2 s[6:7], s[0:1], 0x20
	s_load_dwordx2 s[4:5], s[0:1], 0x0
	s_load_dword s10, s[0:1], 0x8
	s_waitcnt lgkmcnt(0)
	s_and_b32 s3, s3, 0xffff
	s_mul_i32 s2, s2, s3
	s_cmp_eq_u64 s[6:7], 0
	v_add_u32_e32 v0, s2, v0
	s_cbranch_scc1 .LBB114_9
; %bb.1:
	s_load_dword s8, s[0:1], 0x18
	s_mov_b32 s9, 0
	s_waitcnt lgkmcnt(0)
	s_cmp_lt_u32 s8, s10
	s_cselect_b32 s2, s8, 0
	v_cmp_eq_u32_e32 vcc, s2, v0
	s_and_saveexec_b64 s[2:3], vcc
	s_cbranch_execz .LBB114_8
; %bb.2:
	s_add_i32 s8, s8, 64
	s_lshl_b64 s[8:9], s[8:9], 3
	s_add_u32 s8, s4, s8
	s_addc_u32 s9, s5, s9
	v_mov_b32_e32 v2, 0
	global_load_dwordx2 v[4:5], v2, s[8:9] sc1
	s_waitcnt vmcnt(0)
	v_and_b32_e32 v3, 0xff, v5
	v_cmp_ne_u64_e32 vcc, 0, v[2:3]
	s_cbranch_vccnz .LBB114_7
; %bb.3:
	s_mov_b32 s11, 1
.LBB114_4:                              ; =>This Loop Header: Depth=1
                                        ;     Child Loop BB114_5 Depth 2
	s_mov_b32 s12, s11
.LBB114_5:                              ;   Parent Loop BB114_4 Depth=1
                                        ; =>  This Inner Loop Header: Depth=2
	s_add_i32 s12, s12, -1
	s_cmp_eq_u32 s12, 0
	s_sleep 1
	s_cbranch_scc0 .LBB114_5
; %bb.6:                                ;   in Loop: Header=BB114_4 Depth=1
	global_load_dwordx2 v[4:5], v2, s[8:9] sc1
	s_cmp_lt_u32 s11, 32
	s_cselect_b64 s[12:13], -1, 0
	s_cmp_lg_u64 s[12:13], 0
	s_addc_u32 s11, s11, 0
	s_waitcnt vmcnt(0)
	v_and_b32_e32 v3, 0xff, v5
	v_cmp_ne_u64_e32 vcc, 0, v[2:3]
	s_cbranch_vccz .LBB114_4
.LBB114_7:
	v_mov_b32_e32 v1, 0
	global_store_dword v1, v4, s[6:7]
.LBB114_8:
	s_or_b64 exec, exec, s[2:3]
.LBB114_9:
	v_cmp_eq_u32_e32 vcc, 0, v0
	s_and_saveexec_b64 s[2:3], vcc
	s_cbranch_execnz .LBB114_13
; %bb.10:
	s_or_b64 exec, exec, s[2:3]
	v_cmp_gt_u32_e32 vcc, s10, v0
	s_and_saveexec_b64 s[0:1], vcc
	s_cbranch_execnz .LBB114_14
.LBB114_11:
	s_or_b64 exec, exec, s[0:1]
	v_cmp_gt_u32_e32 vcc, 64, v0
	s_and_saveexec_b64 s[0:1], vcc
	s_cbranch_execnz .LBB114_15
.LBB114_12:
	s_endpgm
.LBB114_13:
	s_load_dwordx2 s[0:1], s[0:1], 0x10
	v_mov_b32_e32 v1, 0
	s_waitcnt lgkmcnt(0)
	global_store_dword v1, v1, s[0:1]
	s_or_b64 exec, exec, s[2:3]
	v_cmp_gt_u32_e32 vcc, s10, v0
	s_and_saveexec_b64 s[0:1], vcc
	s_cbranch_execz .LBB114_11
.LBB114_14:
	v_add_u32_e32 v2, 64, v0
	v_mov_b32_e32 v3, 0
	v_lshl_add_u64 v[4:5], v[2:3], 3, s[4:5]
	v_mov_b32_e32 v2, v3
	global_store_dwordx2 v[4:5], v[2:3], off
	s_or_b64 exec, exec, s[0:1]
	v_cmp_gt_u32_e32 vcc, 64, v0
	s_and_saveexec_b64 s[0:1], vcc
	s_cbranch_execz .LBB114_12
.LBB114_15:
	v_mov_b32_e32 v1, 0
	v_lshl_add_u64 v[2:3], v[0:1], 3, s[4:5]
	v_mov_b32_e32 v5, 0xff
	v_mov_b32_e32 v4, v1
	global_store_dwordx2 v[2:3], v[4:5], off
	s_endpgm
	.section	.rodata,"a",@progbits
	.p2align	6, 0x0
	.amdhsa_kernel _ZN7rocprim17ROCPRIM_400000_NS6detail31init_lookback_scan_state_kernelINS1_19lookback_scan_stateIfLb1ELb1EEENS1_16block_id_wrapperIjLb1EEEEEvT_jT0_jPNS7_10value_typeE
		.amdhsa_group_segment_fixed_size 0
		.amdhsa_private_segment_fixed_size 0
		.amdhsa_kernarg_size 296
		.amdhsa_user_sgpr_count 2
		.amdhsa_user_sgpr_dispatch_ptr 0
		.amdhsa_user_sgpr_queue_ptr 0
		.amdhsa_user_sgpr_kernarg_segment_ptr 1
		.amdhsa_user_sgpr_dispatch_id 0
		.amdhsa_user_sgpr_kernarg_preload_length 0
		.amdhsa_user_sgpr_kernarg_preload_offset 0
		.amdhsa_user_sgpr_private_segment_size 0
		.amdhsa_uses_dynamic_stack 0
		.amdhsa_enable_private_segment 0
		.amdhsa_system_sgpr_workgroup_id_x 1
		.amdhsa_system_sgpr_workgroup_id_y 0
		.amdhsa_system_sgpr_workgroup_id_z 0
		.amdhsa_system_sgpr_workgroup_info 0
		.amdhsa_system_vgpr_workitem_id 0
		.amdhsa_next_free_vgpr 6
		.amdhsa_next_free_sgpr 14
		.amdhsa_accum_offset 8
		.amdhsa_reserve_vcc 1
		.amdhsa_float_round_mode_32 0
		.amdhsa_float_round_mode_16_64 0
		.amdhsa_float_denorm_mode_32 3
		.amdhsa_float_denorm_mode_16_64 3
		.amdhsa_dx10_clamp 1
		.amdhsa_ieee_mode 1
		.amdhsa_fp16_overflow 0
		.amdhsa_tg_split 0
		.amdhsa_exception_fp_ieee_invalid_op 0
		.amdhsa_exception_fp_denorm_src 0
		.amdhsa_exception_fp_ieee_div_zero 0
		.amdhsa_exception_fp_ieee_overflow 0
		.amdhsa_exception_fp_ieee_underflow 0
		.amdhsa_exception_fp_ieee_inexact 0
		.amdhsa_exception_int_div_zero 0
	.end_amdhsa_kernel
	.section	.text._ZN7rocprim17ROCPRIM_400000_NS6detail31init_lookback_scan_state_kernelINS1_19lookback_scan_stateIfLb1ELb1EEENS1_16block_id_wrapperIjLb1EEEEEvT_jT0_jPNS7_10value_typeE,"axG",@progbits,_ZN7rocprim17ROCPRIM_400000_NS6detail31init_lookback_scan_state_kernelINS1_19lookback_scan_stateIfLb1ELb1EEENS1_16block_id_wrapperIjLb1EEEEEvT_jT0_jPNS7_10value_typeE,comdat
.Lfunc_end114:
	.size	_ZN7rocprim17ROCPRIM_400000_NS6detail31init_lookback_scan_state_kernelINS1_19lookback_scan_stateIfLb1ELb1EEENS1_16block_id_wrapperIjLb1EEEEEvT_jT0_jPNS7_10value_typeE, .Lfunc_end114-_ZN7rocprim17ROCPRIM_400000_NS6detail31init_lookback_scan_state_kernelINS1_19lookback_scan_stateIfLb1ELb1EEENS1_16block_id_wrapperIjLb1EEEEEvT_jT0_jPNS7_10value_typeE
                                        ; -- End function
	.set _ZN7rocprim17ROCPRIM_400000_NS6detail31init_lookback_scan_state_kernelINS1_19lookback_scan_stateIfLb1ELb1EEENS1_16block_id_wrapperIjLb1EEEEEvT_jT0_jPNS7_10value_typeE.num_vgpr, 6
	.set _ZN7rocprim17ROCPRIM_400000_NS6detail31init_lookback_scan_state_kernelINS1_19lookback_scan_stateIfLb1ELb1EEENS1_16block_id_wrapperIjLb1EEEEEvT_jT0_jPNS7_10value_typeE.num_agpr, 0
	.set _ZN7rocprim17ROCPRIM_400000_NS6detail31init_lookback_scan_state_kernelINS1_19lookback_scan_stateIfLb1ELb1EEENS1_16block_id_wrapperIjLb1EEEEEvT_jT0_jPNS7_10value_typeE.numbered_sgpr, 14
	.set _ZN7rocprim17ROCPRIM_400000_NS6detail31init_lookback_scan_state_kernelINS1_19lookback_scan_stateIfLb1ELb1EEENS1_16block_id_wrapperIjLb1EEEEEvT_jT0_jPNS7_10value_typeE.num_named_barrier, 0
	.set _ZN7rocprim17ROCPRIM_400000_NS6detail31init_lookback_scan_state_kernelINS1_19lookback_scan_stateIfLb1ELb1EEENS1_16block_id_wrapperIjLb1EEEEEvT_jT0_jPNS7_10value_typeE.private_seg_size, 0
	.set _ZN7rocprim17ROCPRIM_400000_NS6detail31init_lookback_scan_state_kernelINS1_19lookback_scan_stateIfLb1ELb1EEENS1_16block_id_wrapperIjLb1EEEEEvT_jT0_jPNS7_10value_typeE.uses_vcc, 1
	.set _ZN7rocprim17ROCPRIM_400000_NS6detail31init_lookback_scan_state_kernelINS1_19lookback_scan_stateIfLb1ELb1EEENS1_16block_id_wrapperIjLb1EEEEEvT_jT0_jPNS7_10value_typeE.uses_flat_scratch, 0
	.set _ZN7rocprim17ROCPRIM_400000_NS6detail31init_lookback_scan_state_kernelINS1_19lookback_scan_stateIfLb1ELb1EEENS1_16block_id_wrapperIjLb1EEEEEvT_jT0_jPNS7_10value_typeE.has_dyn_sized_stack, 0
	.set _ZN7rocprim17ROCPRIM_400000_NS6detail31init_lookback_scan_state_kernelINS1_19lookback_scan_stateIfLb1ELb1EEENS1_16block_id_wrapperIjLb1EEEEEvT_jT0_jPNS7_10value_typeE.has_recursion, 0
	.set _ZN7rocprim17ROCPRIM_400000_NS6detail31init_lookback_scan_state_kernelINS1_19lookback_scan_stateIfLb1ELb1EEENS1_16block_id_wrapperIjLb1EEEEEvT_jT0_jPNS7_10value_typeE.has_indirect_call, 0
	.section	.AMDGPU.csdata,"",@progbits
; Kernel info:
; codeLenInByte = 396
; TotalNumSgprs: 20
; NumVgprs: 6
; NumAgprs: 0
; TotalNumVgprs: 6
; ScratchSize: 0
; MemoryBound: 0
; FloatMode: 240
; IeeeMode: 1
; LDSByteSize: 0 bytes/workgroup (compile time only)
; SGPRBlocks: 2
; VGPRBlocks: 0
; NumSGPRsForWavesPerEU: 20
; NumVGPRsForWavesPerEU: 6
; AccumOffset: 8
; Occupancy: 8
; WaveLimiterHint : 0
; COMPUTE_PGM_RSRC2:SCRATCH_EN: 0
; COMPUTE_PGM_RSRC2:USER_SGPR: 2
; COMPUTE_PGM_RSRC2:TRAP_HANDLER: 0
; COMPUTE_PGM_RSRC2:TGID_X_EN: 1
; COMPUTE_PGM_RSRC2:TGID_Y_EN: 0
; COMPUTE_PGM_RSRC2:TGID_Z_EN: 0
; COMPUTE_PGM_RSRC2:TIDIG_COMP_CNT: 0
; COMPUTE_PGM_RSRC3_GFX90A:ACCUM_OFFSET: 1
; COMPUTE_PGM_RSRC3_GFX90A:TG_SPLIT: 0
	.section	.text._ZN7rocprim17ROCPRIM_400000_NS6detail17trampoline_kernelINS0_14default_configENS1_20scan_config_selectorIfEEZZNS1_9scan_implILNS1_25lookback_scan_determinismE0ELb0ELb0ES3_PKfPffZZZN2at6native31launch_logcumsumexp_cuda_kernelERKNSB_10TensorBaseESF_lENKUlvE_clEvENKUlvE0_clEvEUlffE_fEEDaPvRmT3_T4_T5_mT6_P12ihipStream_tbENKUlT_T0_E_clISt17integral_constantIbLb1EESW_EEDaSR_SS_EUlSR_E_NS1_11comp_targetILNS1_3genE0ELNS1_11target_archE4294967295ELNS1_3gpuE0ELNS1_3repE0EEENS1_30default_config_static_selectorELNS0_4arch9wavefront6targetE1EEEvT1_,"axG",@progbits,_ZN7rocprim17ROCPRIM_400000_NS6detail17trampoline_kernelINS0_14default_configENS1_20scan_config_selectorIfEEZZNS1_9scan_implILNS1_25lookback_scan_determinismE0ELb0ELb0ES3_PKfPffZZZN2at6native31launch_logcumsumexp_cuda_kernelERKNSB_10TensorBaseESF_lENKUlvE_clEvENKUlvE0_clEvEUlffE_fEEDaPvRmT3_T4_T5_mT6_P12ihipStream_tbENKUlT_T0_E_clISt17integral_constantIbLb1EESW_EEDaSR_SS_EUlSR_E_NS1_11comp_targetILNS1_3genE0ELNS1_11target_archE4294967295ELNS1_3gpuE0ELNS1_3repE0EEENS1_30default_config_static_selectorELNS0_4arch9wavefront6targetE1EEEvT1_,comdat
	.globl	_ZN7rocprim17ROCPRIM_400000_NS6detail17trampoline_kernelINS0_14default_configENS1_20scan_config_selectorIfEEZZNS1_9scan_implILNS1_25lookback_scan_determinismE0ELb0ELb0ES3_PKfPffZZZN2at6native31launch_logcumsumexp_cuda_kernelERKNSB_10TensorBaseESF_lENKUlvE_clEvENKUlvE0_clEvEUlffE_fEEDaPvRmT3_T4_T5_mT6_P12ihipStream_tbENKUlT_T0_E_clISt17integral_constantIbLb1EESW_EEDaSR_SS_EUlSR_E_NS1_11comp_targetILNS1_3genE0ELNS1_11target_archE4294967295ELNS1_3gpuE0ELNS1_3repE0EEENS1_30default_config_static_selectorELNS0_4arch9wavefront6targetE1EEEvT1_ ; -- Begin function _ZN7rocprim17ROCPRIM_400000_NS6detail17trampoline_kernelINS0_14default_configENS1_20scan_config_selectorIfEEZZNS1_9scan_implILNS1_25lookback_scan_determinismE0ELb0ELb0ES3_PKfPffZZZN2at6native31launch_logcumsumexp_cuda_kernelERKNSB_10TensorBaseESF_lENKUlvE_clEvENKUlvE0_clEvEUlffE_fEEDaPvRmT3_T4_T5_mT6_P12ihipStream_tbENKUlT_T0_E_clISt17integral_constantIbLb1EESW_EEDaSR_SS_EUlSR_E_NS1_11comp_targetILNS1_3genE0ELNS1_11target_archE4294967295ELNS1_3gpuE0ELNS1_3repE0EEENS1_30default_config_static_selectorELNS0_4arch9wavefront6targetE1EEEvT1_
	.p2align	8
	.type	_ZN7rocprim17ROCPRIM_400000_NS6detail17trampoline_kernelINS0_14default_configENS1_20scan_config_selectorIfEEZZNS1_9scan_implILNS1_25lookback_scan_determinismE0ELb0ELb0ES3_PKfPffZZZN2at6native31launch_logcumsumexp_cuda_kernelERKNSB_10TensorBaseESF_lENKUlvE_clEvENKUlvE0_clEvEUlffE_fEEDaPvRmT3_T4_T5_mT6_P12ihipStream_tbENKUlT_T0_E_clISt17integral_constantIbLb1EESW_EEDaSR_SS_EUlSR_E_NS1_11comp_targetILNS1_3genE0ELNS1_11target_archE4294967295ELNS1_3gpuE0ELNS1_3repE0EEENS1_30default_config_static_selectorELNS0_4arch9wavefront6targetE1EEEvT1_,@function
_ZN7rocprim17ROCPRIM_400000_NS6detail17trampoline_kernelINS0_14default_configENS1_20scan_config_selectorIfEEZZNS1_9scan_implILNS1_25lookback_scan_determinismE0ELb0ELb0ES3_PKfPffZZZN2at6native31launch_logcumsumexp_cuda_kernelERKNSB_10TensorBaseESF_lENKUlvE_clEvENKUlvE0_clEvEUlffE_fEEDaPvRmT3_T4_T5_mT6_P12ihipStream_tbENKUlT_T0_E_clISt17integral_constantIbLb1EESW_EEDaSR_SS_EUlSR_E_NS1_11comp_targetILNS1_3genE0ELNS1_11target_archE4294967295ELNS1_3gpuE0ELNS1_3repE0EEENS1_30default_config_static_selectorELNS0_4arch9wavefront6targetE1EEEvT1_: ; @_ZN7rocprim17ROCPRIM_400000_NS6detail17trampoline_kernelINS0_14default_configENS1_20scan_config_selectorIfEEZZNS1_9scan_implILNS1_25lookback_scan_determinismE0ELb0ELb0ES3_PKfPffZZZN2at6native31launch_logcumsumexp_cuda_kernelERKNSB_10TensorBaseESF_lENKUlvE_clEvENKUlvE0_clEvEUlffE_fEEDaPvRmT3_T4_T5_mT6_P12ihipStream_tbENKUlT_T0_E_clISt17integral_constantIbLb1EESW_EEDaSR_SS_EUlSR_E_NS1_11comp_targetILNS1_3genE0ELNS1_11target_archE4294967295ELNS1_3gpuE0ELNS1_3repE0EEENS1_30default_config_static_selectorELNS0_4arch9wavefront6targetE1EEEvT1_
; %bb.0:
	s_endpgm
	.section	.rodata,"a",@progbits
	.p2align	6, 0x0
	.amdhsa_kernel _ZN7rocprim17ROCPRIM_400000_NS6detail17trampoline_kernelINS0_14default_configENS1_20scan_config_selectorIfEEZZNS1_9scan_implILNS1_25lookback_scan_determinismE0ELb0ELb0ES3_PKfPffZZZN2at6native31launch_logcumsumexp_cuda_kernelERKNSB_10TensorBaseESF_lENKUlvE_clEvENKUlvE0_clEvEUlffE_fEEDaPvRmT3_T4_T5_mT6_P12ihipStream_tbENKUlT_T0_E_clISt17integral_constantIbLb1EESW_EEDaSR_SS_EUlSR_E_NS1_11comp_targetILNS1_3genE0ELNS1_11target_archE4294967295ELNS1_3gpuE0ELNS1_3repE0EEENS1_30default_config_static_selectorELNS0_4arch9wavefront6targetE1EEEvT1_
		.amdhsa_group_segment_fixed_size 0
		.amdhsa_private_segment_fixed_size 0
		.amdhsa_kernarg_size 96
		.amdhsa_user_sgpr_count 2
		.amdhsa_user_sgpr_dispatch_ptr 0
		.amdhsa_user_sgpr_queue_ptr 0
		.amdhsa_user_sgpr_kernarg_segment_ptr 1
		.amdhsa_user_sgpr_dispatch_id 0
		.amdhsa_user_sgpr_kernarg_preload_length 0
		.amdhsa_user_sgpr_kernarg_preload_offset 0
		.amdhsa_user_sgpr_private_segment_size 0
		.amdhsa_uses_dynamic_stack 0
		.amdhsa_enable_private_segment 0
		.amdhsa_system_sgpr_workgroup_id_x 1
		.amdhsa_system_sgpr_workgroup_id_y 0
		.amdhsa_system_sgpr_workgroup_id_z 0
		.amdhsa_system_sgpr_workgroup_info 0
		.amdhsa_system_vgpr_workitem_id 0
		.amdhsa_next_free_vgpr 1
		.amdhsa_next_free_sgpr 0
		.amdhsa_accum_offset 4
		.amdhsa_reserve_vcc 0
		.amdhsa_float_round_mode_32 0
		.amdhsa_float_round_mode_16_64 0
		.amdhsa_float_denorm_mode_32 3
		.amdhsa_float_denorm_mode_16_64 3
		.amdhsa_dx10_clamp 1
		.amdhsa_ieee_mode 1
		.amdhsa_fp16_overflow 0
		.amdhsa_tg_split 0
		.amdhsa_exception_fp_ieee_invalid_op 0
		.amdhsa_exception_fp_denorm_src 0
		.amdhsa_exception_fp_ieee_div_zero 0
		.amdhsa_exception_fp_ieee_overflow 0
		.amdhsa_exception_fp_ieee_underflow 0
		.amdhsa_exception_fp_ieee_inexact 0
		.amdhsa_exception_int_div_zero 0
	.end_amdhsa_kernel
	.section	.text._ZN7rocprim17ROCPRIM_400000_NS6detail17trampoline_kernelINS0_14default_configENS1_20scan_config_selectorIfEEZZNS1_9scan_implILNS1_25lookback_scan_determinismE0ELb0ELb0ES3_PKfPffZZZN2at6native31launch_logcumsumexp_cuda_kernelERKNSB_10TensorBaseESF_lENKUlvE_clEvENKUlvE0_clEvEUlffE_fEEDaPvRmT3_T4_T5_mT6_P12ihipStream_tbENKUlT_T0_E_clISt17integral_constantIbLb1EESW_EEDaSR_SS_EUlSR_E_NS1_11comp_targetILNS1_3genE0ELNS1_11target_archE4294967295ELNS1_3gpuE0ELNS1_3repE0EEENS1_30default_config_static_selectorELNS0_4arch9wavefront6targetE1EEEvT1_,"axG",@progbits,_ZN7rocprim17ROCPRIM_400000_NS6detail17trampoline_kernelINS0_14default_configENS1_20scan_config_selectorIfEEZZNS1_9scan_implILNS1_25lookback_scan_determinismE0ELb0ELb0ES3_PKfPffZZZN2at6native31launch_logcumsumexp_cuda_kernelERKNSB_10TensorBaseESF_lENKUlvE_clEvENKUlvE0_clEvEUlffE_fEEDaPvRmT3_T4_T5_mT6_P12ihipStream_tbENKUlT_T0_E_clISt17integral_constantIbLb1EESW_EEDaSR_SS_EUlSR_E_NS1_11comp_targetILNS1_3genE0ELNS1_11target_archE4294967295ELNS1_3gpuE0ELNS1_3repE0EEENS1_30default_config_static_selectorELNS0_4arch9wavefront6targetE1EEEvT1_,comdat
.Lfunc_end115:
	.size	_ZN7rocprim17ROCPRIM_400000_NS6detail17trampoline_kernelINS0_14default_configENS1_20scan_config_selectorIfEEZZNS1_9scan_implILNS1_25lookback_scan_determinismE0ELb0ELb0ES3_PKfPffZZZN2at6native31launch_logcumsumexp_cuda_kernelERKNSB_10TensorBaseESF_lENKUlvE_clEvENKUlvE0_clEvEUlffE_fEEDaPvRmT3_T4_T5_mT6_P12ihipStream_tbENKUlT_T0_E_clISt17integral_constantIbLb1EESW_EEDaSR_SS_EUlSR_E_NS1_11comp_targetILNS1_3genE0ELNS1_11target_archE4294967295ELNS1_3gpuE0ELNS1_3repE0EEENS1_30default_config_static_selectorELNS0_4arch9wavefront6targetE1EEEvT1_, .Lfunc_end115-_ZN7rocprim17ROCPRIM_400000_NS6detail17trampoline_kernelINS0_14default_configENS1_20scan_config_selectorIfEEZZNS1_9scan_implILNS1_25lookback_scan_determinismE0ELb0ELb0ES3_PKfPffZZZN2at6native31launch_logcumsumexp_cuda_kernelERKNSB_10TensorBaseESF_lENKUlvE_clEvENKUlvE0_clEvEUlffE_fEEDaPvRmT3_T4_T5_mT6_P12ihipStream_tbENKUlT_T0_E_clISt17integral_constantIbLb1EESW_EEDaSR_SS_EUlSR_E_NS1_11comp_targetILNS1_3genE0ELNS1_11target_archE4294967295ELNS1_3gpuE0ELNS1_3repE0EEENS1_30default_config_static_selectorELNS0_4arch9wavefront6targetE1EEEvT1_
                                        ; -- End function
	.set _ZN7rocprim17ROCPRIM_400000_NS6detail17trampoline_kernelINS0_14default_configENS1_20scan_config_selectorIfEEZZNS1_9scan_implILNS1_25lookback_scan_determinismE0ELb0ELb0ES3_PKfPffZZZN2at6native31launch_logcumsumexp_cuda_kernelERKNSB_10TensorBaseESF_lENKUlvE_clEvENKUlvE0_clEvEUlffE_fEEDaPvRmT3_T4_T5_mT6_P12ihipStream_tbENKUlT_T0_E_clISt17integral_constantIbLb1EESW_EEDaSR_SS_EUlSR_E_NS1_11comp_targetILNS1_3genE0ELNS1_11target_archE4294967295ELNS1_3gpuE0ELNS1_3repE0EEENS1_30default_config_static_selectorELNS0_4arch9wavefront6targetE1EEEvT1_.num_vgpr, 0
	.set _ZN7rocprim17ROCPRIM_400000_NS6detail17trampoline_kernelINS0_14default_configENS1_20scan_config_selectorIfEEZZNS1_9scan_implILNS1_25lookback_scan_determinismE0ELb0ELb0ES3_PKfPffZZZN2at6native31launch_logcumsumexp_cuda_kernelERKNSB_10TensorBaseESF_lENKUlvE_clEvENKUlvE0_clEvEUlffE_fEEDaPvRmT3_T4_T5_mT6_P12ihipStream_tbENKUlT_T0_E_clISt17integral_constantIbLb1EESW_EEDaSR_SS_EUlSR_E_NS1_11comp_targetILNS1_3genE0ELNS1_11target_archE4294967295ELNS1_3gpuE0ELNS1_3repE0EEENS1_30default_config_static_selectorELNS0_4arch9wavefront6targetE1EEEvT1_.num_agpr, 0
	.set _ZN7rocprim17ROCPRIM_400000_NS6detail17trampoline_kernelINS0_14default_configENS1_20scan_config_selectorIfEEZZNS1_9scan_implILNS1_25lookback_scan_determinismE0ELb0ELb0ES3_PKfPffZZZN2at6native31launch_logcumsumexp_cuda_kernelERKNSB_10TensorBaseESF_lENKUlvE_clEvENKUlvE0_clEvEUlffE_fEEDaPvRmT3_T4_T5_mT6_P12ihipStream_tbENKUlT_T0_E_clISt17integral_constantIbLb1EESW_EEDaSR_SS_EUlSR_E_NS1_11comp_targetILNS1_3genE0ELNS1_11target_archE4294967295ELNS1_3gpuE0ELNS1_3repE0EEENS1_30default_config_static_selectorELNS0_4arch9wavefront6targetE1EEEvT1_.numbered_sgpr, 0
	.set _ZN7rocprim17ROCPRIM_400000_NS6detail17trampoline_kernelINS0_14default_configENS1_20scan_config_selectorIfEEZZNS1_9scan_implILNS1_25lookback_scan_determinismE0ELb0ELb0ES3_PKfPffZZZN2at6native31launch_logcumsumexp_cuda_kernelERKNSB_10TensorBaseESF_lENKUlvE_clEvENKUlvE0_clEvEUlffE_fEEDaPvRmT3_T4_T5_mT6_P12ihipStream_tbENKUlT_T0_E_clISt17integral_constantIbLb1EESW_EEDaSR_SS_EUlSR_E_NS1_11comp_targetILNS1_3genE0ELNS1_11target_archE4294967295ELNS1_3gpuE0ELNS1_3repE0EEENS1_30default_config_static_selectorELNS0_4arch9wavefront6targetE1EEEvT1_.num_named_barrier, 0
	.set _ZN7rocprim17ROCPRIM_400000_NS6detail17trampoline_kernelINS0_14default_configENS1_20scan_config_selectorIfEEZZNS1_9scan_implILNS1_25lookback_scan_determinismE0ELb0ELb0ES3_PKfPffZZZN2at6native31launch_logcumsumexp_cuda_kernelERKNSB_10TensorBaseESF_lENKUlvE_clEvENKUlvE0_clEvEUlffE_fEEDaPvRmT3_T4_T5_mT6_P12ihipStream_tbENKUlT_T0_E_clISt17integral_constantIbLb1EESW_EEDaSR_SS_EUlSR_E_NS1_11comp_targetILNS1_3genE0ELNS1_11target_archE4294967295ELNS1_3gpuE0ELNS1_3repE0EEENS1_30default_config_static_selectorELNS0_4arch9wavefront6targetE1EEEvT1_.private_seg_size, 0
	.set _ZN7rocprim17ROCPRIM_400000_NS6detail17trampoline_kernelINS0_14default_configENS1_20scan_config_selectorIfEEZZNS1_9scan_implILNS1_25lookback_scan_determinismE0ELb0ELb0ES3_PKfPffZZZN2at6native31launch_logcumsumexp_cuda_kernelERKNSB_10TensorBaseESF_lENKUlvE_clEvENKUlvE0_clEvEUlffE_fEEDaPvRmT3_T4_T5_mT6_P12ihipStream_tbENKUlT_T0_E_clISt17integral_constantIbLb1EESW_EEDaSR_SS_EUlSR_E_NS1_11comp_targetILNS1_3genE0ELNS1_11target_archE4294967295ELNS1_3gpuE0ELNS1_3repE0EEENS1_30default_config_static_selectorELNS0_4arch9wavefront6targetE1EEEvT1_.uses_vcc, 0
	.set _ZN7rocprim17ROCPRIM_400000_NS6detail17trampoline_kernelINS0_14default_configENS1_20scan_config_selectorIfEEZZNS1_9scan_implILNS1_25lookback_scan_determinismE0ELb0ELb0ES3_PKfPffZZZN2at6native31launch_logcumsumexp_cuda_kernelERKNSB_10TensorBaseESF_lENKUlvE_clEvENKUlvE0_clEvEUlffE_fEEDaPvRmT3_T4_T5_mT6_P12ihipStream_tbENKUlT_T0_E_clISt17integral_constantIbLb1EESW_EEDaSR_SS_EUlSR_E_NS1_11comp_targetILNS1_3genE0ELNS1_11target_archE4294967295ELNS1_3gpuE0ELNS1_3repE0EEENS1_30default_config_static_selectorELNS0_4arch9wavefront6targetE1EEEvT1_.uses_flat_scratch, 0
	.set _ZN7rocprim17ROCPRIM_400000_NS6detail17trampoline_kernelINS0_14default_configENS1_20scan_config_selectorIfEEZZNS1_9scan_implILNS1_25lookback_scan_determinismE0ELb0ELb0ES3_PKfPffZZZN2at6native31launch_logcumsumexp_cuda_kernelERKNSB_10TensorBaseESF_lENKUlvE_clEvENKUlvE0_clEvEUlffE_fEEDaPvRmT3_T4_T5_mT6_P12ihipStream_tbENKUlT_T0_E_clISt17integral_constantIbLb1EESW_EEDaSR_SS_EUlSR_E_NS1_11comp_targetILNS1_3genE0ELNS1_11target_archE4294967295ELNS1_3gpuE0ELNS1_3repE0EEENS1_30default_config_static_selectorELNS0_4arch9wavefront6targetE1EEEvT1_.has_dyn_sized_stack, 0
	.set _ZN7rocprim17ROCPRIM_400000_NS6detail17trampoline_kernelINS0_14default_configENS1_20scan_config_selectorIfEEZZNS1_9scan_implILNS1_25lookback_scan_determinismE0ELb0ELb0ES3_PKfPffZZZN2at6native31launch_logcumsumexp_cuda_kernelERKNSB_10TensorBaseESF_lENKUlvE_clEvENKUlvE0_clEvEUlffE_fEEDaPvRmT3_T4_T5_mT6_P12ihipStream_tbENKUlT_T0_E_clISt17integral_constantIbLb1EESW_EEDaSR_SS_EUlSR_E_NS1_11comp_targetILNS1_3genE0ELNS1_11target_archE4294967295ELNS1_3gpuE0ELNS1_3repE0EEENS1_30default_config_static_selectorELNS0_4arch9wavefront6targetE1EEEvT1_.has_recursion, 0
	.set _ZN7rocprim17ROCPRIM_400000_NS6detail17trampoline_kernelINS0_14default_configENS1_20scan_config_selectorIfEEZZNS1_9scan_implILNS1_25lookback_scan_determinismE0ELb0ELb0ES3_PKfPffZZZN2at6native31launch_logcumsumexp_cuda_kernelERKNSB_10TensorBaseESF_lENKUlvE_clEvENKUlvE0_clEvEUlffE_fEEDaPvRmT3_T4_T5_mT6_P12ihipStream_tbENKUlT_T0_E_clISt17integral_constantIbLb1EESW_EEDaSR_SS_EUlSR_E_NS1_11comp_targetILNS1_3genE0ELNS1_11target_archE4294967295ELNS1_3gpuE0ELNS1_3repE0EEENS1_30default_config_static_selectorELNS0_4arch9wavefront6targetE1EEEvT1_.has_indirect_call, 0
	.section	.AMDGPU.csdata,"",@progbits
; Kernel info:
; codeLenInByte = 4
; TotalNumSgprs: 6
; NumVgprs: 0
; NumAgprs: 0
; TotalNumVgprs: 0
; ScratchSize: 0
; MemoryBound: 0
; FloatMode: 240
; IeeeMode: 1
; LDSByteSize: 0 bytes/workgroup (compile time only)
; SGPRBlocks: 0
; VGPRBlocks: 0
; NumSGPRsForWavesPerEU: 6
; NumVGPRsForWavesPerEU: 1
; AccumOffset: 4
; Occupancy: 8
; WaveLimiterHint : 0
; COMPUTE_PGM_RSRC2:SCRATCH_EN: 0
; COMPUTE_PGM_RSRC2:USER_SGPR: 2
; COMPUTE_PGM_RSRC2:TRAP_HANDLER: 0
; COMPUTE_PGM_RSRC2:TGID_X_EN: 1
; COMPUTE_PGM_RSRC2:TGID_Y_EN: 0
; COMPUTE_PGM_RSRC2:TGID_Z_EN: 0
; COMPUTE_PGM_RSRC2:TIDIG_COMP_CNT: 0
; COMPUTE_PGM_RSRC3_GFX90A:ACCUM_OFFSET: 0
; COMPUTE_PGM_RSRC3_GFX90A:TG_SPLIT: 0
	.section	.text._ZN7rocprim17ROCPRIM_400000_NS6detail17trampoline_kernelINS0_14default_configENS1_20scan_config_selectorIfEEZZNS1_9scan_implILNS1_25lookback_scan_determinismE0ELb0ELb0ES3_PKfPffZZZN2at6native31launch_logcumsumexp_cuda_kernelERKNSB_10TensorBaseESF_lENKUlvE_clEvENKUlvE0_clEvEUlffE_fEEDaPvRmT3_T4_T5_mT6_P12ihipStream_tbENKUlT_T0_E_clISt17integral_constantIbLb1EESW_EEDaSR_SS_EUlSR_E_NS1_11comp_targetILNS1_3genE5ELNS1_11target_archE942ELNS1_3gpuE9ELNS1_3repE0EEENS1_30default_config_static_selectorELNS0_4arch9wavefront6targetE1EEEvT1_,"axG",@progbits,_ZN7rocprim17ROCPRIM_400000_NS6detail17trampoline_kernelINS0_14default_configENS1_20scan_config_selectorIfEEZZNS1_9scan_implILNS1_25lookback_scan_determinismE0ELb0ELb0ES3_PKfPffZZZN2at6native31launch_logcumsumexp_cuda_kernelERKNSB_10TensorBaseESF_lENKUlvE_clEvENKUlvE0_clEvEUlffE_fEEDaPvRmT3_T4_T5_mT6_P12ihipStream_tbENKUlT_T0_E_clISt17integral_constantIbLb1EESW_EEDaSR_SS_EUlSR_E_NS1_11comp_targetILNS1_3genE5ELNS1_11target_archE942ELNS1_3gpuE9ELNS1_3repE0EEENS1_30default_config_static_selectorELNS0_4arch9wavefront6targetE1EEEvT1_,comdat
	.globl	_ZN7rocprim17ROCPRIM_400000_NS6detail17trampoline_kernelINS0_14default_configENS1_20scan_config_selectorIfEEZZNS1_9scan_implILNS1_25lookback_scan_determinismE0ELb0ELb0ES3_PKfPffZZZN2at6native31launch_logcumsumexp_cuda_kernelERKNSB_10TensorBaseESF_lENKUlvE_clEvENKUlvE0_clEvEUlffE_fEEDaPvRmT3_T4_T5_mT6_P12ihipStream_tbENKUlT_T0_E_clISt17integral_constantIbLb1EESW_EEDaSR_SS_EUlSR_E_NS1_11comp_targetILNS1_3genE5ELNS1_11target_archE942ELNS1_3gpuE9ELNS1_3repE0EEENS1_30default_config_static_selectorELNS0_4arch9wavefront6targetE1EEEvT1_ ; -- Begin function _ZN7rocprim17ROCPRIM_400000_NS6detail17trampoline_kernelINS0_14default_configENS1_20scan_config_selectorIfEEZZNS1_9scan_implILNS1_25lookback_scan_determinismE0ELb0ELb0ES3_PKfPffZZZN2at6native31launch_logcumsumexp_cuda_kernelERKNSB_10TensorBaseESF_lENKUlvE_clEvENKUlvE0_clEvEUlffE_fEEDaPvRmT3_T4_T5_mT6_P12ihipStream_tbENKUlT_T0_E_clISt17integral_constantIbLb1EESW_EEDaSR_SS_EUlSR_E_NS1_11comp_targetILNS1_3genE5ELNS1_11target_archE942ELNS1_3gpuE9ELNS1_3repE0EEENS1_30default_config_static_selectorELNS0_4arch9wavefront6targetE1EEEvT1_
	.p2align	8
	.type	_ZN7rocprim17ROCPRIM_400000_NS6detail17trampoline_kernelINS0_14default_configENS1_20scan_config_selectorIfEEZZNS1_9scan_implILNS1_25lookback_scan_determinismE0ELb0ELb0ES3_PKfPffZZZN2at6native31launch_logcumsumexp_cuda_kernelERKNSB_10TensorBaseESF_lENKUlvE_clEvENKUlvE0_clEvEUlffE_fEEDaPvRmT3_T4_T5_mT6_P12ihipStream_tbENKUlT_T0_E_clISt17integral_constantIbLb1EESW_EEDaSR_SS_EUlSR_E_NS1_11comp_targetILNS1_3genE5ELNS1_11target_archE942ELNS1_3gpuE9ELNS1_3repE0EEENS1_30default_config_static_selectorELNS0_4arch9wavefront6targetE1EEEvT1_,@function
_ZN7rocprim17ROCPRIM_400000_NS6detail17trampoline_kernelINS0_14default_configENS1_20scan_config_selectorIfEEZZNS1_9scan_implILNS1_25lookback_scan_determinismE0ELb0ELb0ES3_PKfPffZZZN2at6native31launch_logcumsumexp_cuda_kernelERKNSB_10TensorBaseESF_lENKUlvE_clEvENKUlvE0_clEvEUlffE_fEEDaPvRmT3_T4_T5_mT6_P12ihipStream_tbENKUlT_T0_E_clISt17integral_constantIbLb1EESW_EEDaSR_SS_EUlSR_E_NS1_11comp_targetILNS1_3genE5ELNS1_11target_archE942ELNS1_3gpuE9ELNS1_3repE0EEENS1_30default_config_static_selectorELNS0_4arch9wavefront6targetE1EEEvT1_: ; @_ZN7rocprim17ROCPRIM_400000_NS6detail17trampoline_kernelINS0_14default_configENS1_20scan_config_selectorIfEEZZNS1_9scan_implILNS1_25lookback_scan_determinismE0ELb0ELb0ES3_PKfPffZZZN2at6native31launch_logcumsumexp_cuda_kernelERKNSB_10TensorBaseESF_lENKUlvE_clEvENKUlvE0_clEvEUlffE_fEEDaPvRmT3_T4_T5_mT6_P12ihipStream_tbENKUlT_T0_E_clISt17integral_constantIbLb1EESW_EEDaSR_SS_EUlSR_E_NS1_11comp_targetILNS1_3genE5ELNS1_11target_archE942ELNS1_3gpuE9ELNS1_3repE0EEENS1_30default_config_static_selectorELNS0_4arch9wavefront6targetE1EEEvT1_
; %bb.0:
	.section	.rodata,"a",@progbits
	.p2align	6, 0x0
	.amdhsa_kernel _ZN7rocprim17ROCPRIM_400000_NS6detail17trampoline_kernelINS0_14default_configENS1_20scan_config_selectorIfEEZZNS1_9scan_implILNS1_25lookback_scan_determinismE0ELb0ELb0ES3_PKfPffZZZN2at6native31launch_logcumsumexp_cuda_kernelERKNSB_10TensorBaseESF_lENKUlvE_clEvENKUlvE0_clEvEUlffE_fEEDaPvRmT3_T4_T5_mT6_P12ihipStream_tbENKUlT_T0_E_clISt17integral_constantIbLb1EESW_EEDaSR_SS_EUlSR_E_NS1_11comp_targetILNS1_3genE5ELNS1_11target_archE942ELNS1_3gpuE9ELNS1_3repE0EEENS1_30default_config_static_selectorELNS0_4arch9wavefront6targetE1EEEvT1_
		.amdhsa_group_segment_fixed_size 0
		.amdhsa_private_segment_fixed_size 0
		.amdhsa_kernarg_size 96
		.amdhsa_user_sgpr_count 2
		.amdhsa_user_sgpr_dispatch_ptr 0
		.amdhsa_user_sgpr_queue_ptr 0
		.amdhsa_user_sgpr_kernarg_segment_ptr 1
		.amdhsa_user_sgpr_dispatch_id 0
		.amdhsa_user_sgpr_kernarg_preload_length 0
		.amdhsa_user_sgpr_kernarg_preload_offset 0
		.amdhsa_user_sgpr_private_segment_size 0
		.amdhsa_uses_dynamic_stack 0
		.amdhsa_enable_private_segment 0
		.amdhsa_system_sgpr_workgroup_id_x 1
		.amdhsa_system_sgpr_workgroup_id_y 0
		.amdhsa_system_sgpr_workgroup_id_z 0
		.amdhsa_system_sgpr_workgroup_info 0
		.amdhsa_system_vgpr_workitem_id 0
		.amdhsa_next_free_vgpr 1
		.amdhsa_next_free_sgpr 0
		.amdhsa_accum_offset 4
		.amdhsa_reserve_vcc 0
		.amdhsa_float_round_mode_32 0
		.amdhsa_float_round_mode_16_64 0
		.amdhsa_float_denorm_mode_32 3
		.amdhsa_float_denorm_mode_16_64 3
		.amdhsa_dx10_clamp 1
		.amdhsa_ieee_mode 1
		.amdhsa_fp16_overflow 0
		.amdhsa_tg_split 0
		.amdhsa_exception_fp_ieee_invalid_op 0
		.amdhsa_exception_fp_denorm_src 0
		.amdhsa_exception_fp_ieee_div_zero 0
		.amdhsa_exception_fp_ieee_overflow 0
		.amdhsa_exception_fp_ieee_underflow 0
		.amdhsa_exception_fp_ieee_inexact 0
		.amdhsa_exception_int_div_zero 0
	.end_amdhsa_kernel
	.section	.text._ZN7rocprim17ROCPRIM_400000_NS6detail17trampoline_kernelINS0_14default_configENS1_20scan_config_selectorIfEEZZNS1_9scan_implILNS1_25lookback_scan_determinismE0ELb0ELb0ES3_PKfPffZZZN2at6native31launch_logcumsumexp_cuda_kernelERKNSB_10TensorBaseESF_lENKUlvE_clEvENKUlvE0_clEvEUlffE_fEEDaPvRmT3_T4_T5_mT6_P12ihipStream_tbENKUlT_T0_E_clISt17integral_constantIbLb1EESW_EEDaSR_SS_EUlSR_E_NS1_11comp_targetILNS1_3genE5ELNS1_11target_archE942ELNS1_3gpuE9ELNS1_3repE0EEENS1_30default_config_static_selectorELNS0_4arch9wavefront6targetE1EEEvT1_,"axG",@progbits,_ZN7rocprim17ROCPRIM_400000_NS6detail17trampoline_kernelINS0_14default_configENS1_20scan_config_selectorIfEEZZNS1_9scan_implILNS1_25lookback_scan_determinismE0ELb0ELb0ES3_PKfPffZZZN2at6native31launch_logcumsumexp_cuda_kernelERKNSB_10TensorBaseESF_lENKUlvE_clEvENKUlvE0_clEvEUlffE_fEEDaPvRmT3_T4_T5_mT6_P12ihipStream_tbENKUlT_T0_E_clISt17integral_constantIbLb1EESW_EEDaSR_SS_EUlSR_E_NS1_11comp_targetILNS1_3genE5ELNS1_11target_archE942ELNS1_3gpuE9ELNS1_3repE0EEENS1_30default_config_static_selectorELNS0_4arch9wavefront6targetE1EEEvT1_,comdat
.Lfunc_end116:
	.size	_ZN7rocprim17ROCPRIM_400000_NS6detail17trampoline_kernelINS0_14default_configENS1_20scan_config_selectorIfEEZZNS1_9scan_implILNS1_25lookback_scan_determinismE0ELb0ELb0ES3_PKfPffZZZN2at6native31launch_logcumsumexp_cuda_kernelERKNSB_10TensorBaseESF_lENKUlvE_clEvENKUlvE0_clEvEUlffE_fEEDaPvRmT3_T4_T5_mT6_P12ihipStream_tbENKUlT_T0_E_clISt17integral_constantIbLb1EESW_EEDaSR_SS_EUlSR_E_NS1_11comp_targetILNS1_3genE5ELNS1_11target_archE942ELNS1_3gpuE9ELNS1_3repE0EEENS1_30default_config_static_selectorELNS0_4arch9wavefront6targetE1EEEvT1_, .Lfunc_end116-_ZN7rocprim17ROCPRIM_400000_NS6detail17trampoline_kernelINS0_14default_configENS1_20scan_config_selectorIfEEZZNS1_9scan_implILNS1_25lookback_scan_determinismE0ELb0ELb0ES3_PKfPffZZZN2at6native31launch_logcumsumexp_cuda_kernelERKNSB_10TensorBaseESF_lENKUlvE_clEvENKUlvE0_clEvEUlffE_fEEDaPvRmT3_T4_T5_mT6_P12ihipStream_tbENKUlT_T0_E_clISt17integral_constantIbLb1EESW_EEDaSR_SS_EUlSR_E_NS1_11comp_targetILNS1_3genE5ELNS1_11target_archE942ELNS1_3gpuE9ELNS1_3repE0EEENS1_30default_config_static_selectorELNS0_4arch9wavefront6targetE1EEEvT1_
                                        ; -- End function
	.set _ZN7rocprim17ROCPRIM_400000_NS6detail17trampoline_kernelINS0_14default_configENS1_20scan_config_selectorIfEEZZNS1_9scan_implILNS1_25lookback_scan_determinismE0ELb0ELb0ES3_PKfPffZZZN2at6native31launch_logcumsumexp_cuda_kernelERKNSB_10TensorBaseESF_lENKUlvE_clEvENKUlvE0_clEvEUlffE_fEEDaPvRmT3_T4_T5_mT6_P12ihipStream_tbENKUlT_T0_E_clISt17integral_constantIbLb1EESW_EEDaSR_SS_EUlSR_E_NS1_11comp_targetILNS1_3genE5ELNS1_11target_archE942ELNS1_3gpuE9ELNS1_3repE0EEENS1_30default_config_static_selectorELNS0_4arch9wavefront6targetE1EEEvT1_.num_vgpr, 0
	.set _ZN7rocprim17ROCPRIM_400000_NS6detail17trampoline_kernelINS0_14default_configENS1_20scan_config_selectorIfEEZZNS1_9scan_implILNS1_25lookback_scan_determinismE0ELb0ELb0ES3_PKfPffZZZN2at6native31launch_logcumsumexp_cuda_kernelERKNSB_10TensorBaseESF_lENKUlvE_clEvENKUlvE0_clEvEUlffE_fEEDaPvRmT3_T4_T5_mT6_P12ihipStream_tbENKUlT_T0_E_clISt17integral_constantIbLb1EESW_EEDaSR_SS_EUlSR_E_NS1_11comp_targetILNS1_3genE5ELNS1_11target_archE942ELNS1_3gpuE9ELNS1_3repE0EEENS1_30default_config_static_selectorELNS0_4arch9wavefront6targetE1EEEvT1_.num_agpr, 0
	.set _ZN7rocprim17ROCPRIM_400000_NS6detail17trampoline_kernelINS0_14default_configENS1_20scan_config_selectorIfEEZZNS1_9scan_implILNS1_25lookback_scan_determinismE0ELb0ELb0ES3_PKfPffZZZN2at6native31launch_logcumsumexp_cuda_kernelERKNSB_10TensorBaseESF_lENKUlvE_clEvENKUlvE0_clEvEUlffE_fEEDaPvRmT3_T4_T5_mT6_P12ihipStream_tbENKUlT_T0_E_clISt17integral_constantIbLb1EESW_EEDaSR_SS_EUlSR_E_NS1_11comp_targetILNS1_3genE5ELNS1_11target_archE942ELNS1_3gpuE9ELNS1_3repE0EEENS1_30default_config_static_selectorELNS0_4arch9wavefront6targetE1EEEvT1_.numbered_sgpr, 0
	.set _ZN7rocprim17ROCPRIM_400000_NS6detail17trampoline_kernelINS0_14default_configENS1_20scan_config_selectorIfEEZZNS1_9scan_implILNS1_25lookback_scan_determinismE0ELb0ELb0ES3_PKfPffZZZN2at6native31launch_logcumsumexp_cuda_kernelERKNSB_10TensorBaseESF_lENKUlvE_clEvENKUlvE0_clEvEUlffE_fEEDaPvRmT3_T4_T5_mT6_P12ihipStream_tbENKUlT_T0_E_clISt17integral_constantIbLb1EESW_EEDaSR_SS_EUlSR_E_NS1_11comp_targetILNS1_3genE5ELNS1_11target_archE942ELNS1_3gpuE9ELNS1_3repE0EEENS1_30default_config_static_selectorELNS0_4arch9wavefront6targetE1EEEvT1_.num_named_barrier, 0
	.set _ZN7rocprim17ROCPRIM_400000_NS6detail17trampoline_kernelINS0_14default_configENS1_20scan_config_selectorIfEEZZNS1_9scan_implILNS1_25lookback_scan_determinismE0ELb0ELb0ES3_PKfPffZZZN2at6native31launch_logcumsumexp_cuda_kernelERKNSB_10TensorBaseESF_lENKUlvE_clEvENKUlvE0_clEvEUlffE_fEEDaPvRmT3_T4_T5_mT6_P12ihipStream_tbENKUlT_T0_E_clISt17integral_constantIbLb1EESW_EEDaSR_SS_EUlSR_E_NS1_11comp_targetILNS1_3genE5ELNS1_11target_archE942ELNS1_3gpuE9ELNS1_3repE0EEENS1_30default_config_static_selectorELNS0_4arch9wavefront6targetE1EEEvT1_.private_seg_size, 0
	.set _ZN7rocprim17ROCPRIM_400000_NS6detail17trampoline_kernelINS0_14default_configENS1_20scan_config_selectorIfEEZZNS1_9scan_implILNS1_25lookback_scan_determinismE0ELb0ELb0ES3_PKfPffZZZN2at6native31launch_logcumsumexp_cuda_kernelERKNSB_10TensorBaseESF_lENKUlvE_clEvENKUlvE0_clEvEUlffE_fEEDaPvRmT3_T4_T5_mT6_P12ihipStream_tbENKUlT_T0_E_clISt17integral_constantIbLb1EESW_EEDaSR_SS_EUlSR_E_NS1_11comp_targetILNS1_3genE5ELNS1_11target_archE942ELNS1_3gpuE9ELNS1_3repE0EEENS1_30default_config_static_selectorELNS0_4arch9wavefront6targetE1EEEvT1_.uses_vcc, 0
	.set _ZN7rocprim17ROCPRIM_400000_NS6detail17trampoline_kernelINS0_14default_configENS1_20scan_config_selectorIfEEZZNS1_9scan_implILNS1_25lookback_scan_determinismE0ELb0ELb0ES3_PKfPffZZZN2at6native31launch_logcumsumexp_cuda_kernelERKNSB_10TensorBaseESF_lENKUlvE_clEvENKUlvE0_clEvEUlffE_fEEDaPvRmT3_T4_T5_mT6_P12ihipStream_tbENKUlT_T0_E_clISt17integral_constantIbLb1EESW_EEDaSR_SS_EUlSR_E_NS1_11comp_targetILNS1_3genE5ELNS1_11target_archE942ELNS1_3gpuE9ELNS1_3repE0EEENS1_30default_config_static_selectorELNS0_4arch9wavefront6targetE1EEEvT1_.uses_flat_scratch, 0
	.set _ZN7rocprim17ROCPRIM_400000_NS6detail17trampoline_kernelINS0_14default_configENS1_20scan_config_selectorIfEEZZNS1_9scan_implILNS1_25lookback_scan_determinismE0ELb0ELb0ES3_PKfPffZZZN2at6native31launch_logcumsumexp_cuda_kernelERKNSB_10TensorBaseESF_lENKUlvE_clEvENKUlvE0_clEvEUlffE_fEEDaPvRmT3_T4_T5_mT6_P12ihipStream_tbENKUlT_T0_E_clISt17integral_constantIbLb1EESW_EEDaSR_SS_EUlSR_E_NS1_11comp_targetILNS1_3genE5ELNS1_11target_archE942ELNS1_3gpuE9ELNS1_3repE0EEENS1_30default_config_static_selectorELNS0_4arch9wavefront6targetE1EEEvT1_.has_dyn_sized_stack, 0
	.set _ZN7rocprim17ROCPRIM_400000_NS6detail17trampoline_kernelINS0_14default_configENS1_20scan_config_selectorIfEEZZNS1_9scan_implILNS1_25lookback_scan_determinismE0ELb0ELb0ES3_PKfPffZZZN2at6native31launch_logcumsumexp_cuda_kernelERKNSB_10TensorBaseESF_lENKUlvE_clEvENKUlvE0_clEvEUlffE_fEEDaPvRmT3_T4_T5_mT6_P12ihipStream_tbENKUlT_T0_E_clISt17integral_constantIbLb1EESW_EEDaSR_SS_EUlSR_E_NS1_11comp_targetILNS1_3genE5ELNS1_11target_archE942ELNS1_3gpuE9ELNS1_3repE0EEENS1_30default_config_static_selectorELNS0_4arch9wavefront6targetE1EEEvT1_.has_recursion, 0
	.set _ZN7rocprim17ROCPRIM_400000_NS6detail17trampoline_kernelINS0_14default_configENS1_20scan_config_selectorIfEEZZNS1_9scan_implILNS1_25lookback_scan_determinismE0ELb0ELb0ES3_PKfPffZZZN2at6native31launch_logcumsumexp_cuda_kernelERKNSB_10TensorBaseESF_lENKUlvE_clEvENKUlvE0_clEvEUlffE_fEEDaPvRmT3_T4_T5_mT6_P12ihipStream_tbENKUlT_T0_E_clISt17integral_constantIbLb1EESW_EEDaSR_SS_EUlSR_E_NS1_11comp_targetILNS1_3genE5ELNS1_11target_archE942ELNS1_3gpuE9ELNS1_3repE0EEENS1_30default_config_static_selectorELNS0_4arch9wavefront6targetE1EEEvT1_.has_indirect_call, 0
	.section	.AMDGPU.csdata,"",@progbits
; Kernel info:
; codeLenInByte = 0
; TotalNumSgprs: 6
; NumVgprs: 0
; NumAgprs: 0
; TotalNumVgprs: 0
; ScratchSize: 0
; MemoryBound: 0
; FloatMode: 240
; IeeeMode: 1
; LDSByteSize: 0 bytes/workgroup (compile time only)
; SGPRBlocks: 0
; VGPRBlocks: 0
; NumSGPRsForWavesPerEU: 6
; NumVGPRsForWavesPerEU: 1
; AccumOffset: 4
; Occupancy: 8
; WaveLimiterHint : 0
; COMPUTE_PGM_RSRC2:SCRATCH_EN: 0
; COMPUTE_PGM_RSRC2:USER_SGPR: 2
; COMPUTE_PGM_RSRC2:TRAP_HANDLER: 0
; COMPUTE_PGM_RSRC2:TGID_X_EN: 1
; COMPUTE_PGM_RSRC2:TGID_Y_EN: 0
; COMPUTE_PGM_RSRC2:TGID_Z_EN: 0
; COMPUTE_PGM_RSRC2:TIDIG_COMP_CNT: 0
; COMPUTE_PGM_RSRC3_GFX90A:ACCUM_OFFSET: 0
; COMPUTE_PGM_RSRC3_GFX90A:TG_SPLIT: 0
	.section	.text._ZN7rocprim17ROCPRIM_400000_NS6detail17trampoline_kernelINS0_14default_configENS1_20scan_config_selectorIfEEZZNS1_9scan_implILNS1_25lookback_scan_determinismE0ELb0ELb0ES3_PKfPffZZZN2at6native31launch_logcumsumexp_cuda_kernelERKNSB_10TensorBaseESF_lENKUlvE_clEvENKUlvE0_clEvEUlffE_fEEDaPvRmT3_T4_T5_mT6_P12ihipStream_tbENKUlT_T0_E_clISt17integral_constantIbLb1EESW_EEDaSR_SS_EUlSR_E_NS1_11comp_targetILNS1_3genE4ELNS1_11target_archE910ELNS1_3gpuE8ELNS1_3repE0EEENS1_30default_config_static_selectorELNS0_4arch9wavefront6targetE1EEEvT1_,"axG",@progbits,_ZN7rocprim17ROCPRIM_400000_NS6detail17trampoline_kernelINS0_14default_configENS1_20scan_config_selectorIfEEZZNS1_9scan_implILNS1_25lookback_scan_determinismE0ELb0ELb0ES3_PKfPffZZZN2at6native31launch_logcumsumexp_cuda_kernelERKNSB_10TensorBaseESF_lENKUlvE_clEvENKUlvE0_clEvEUlffE_fEEDaPvRmT3_T4_T5_mT6_P12ihipStream_tbENKUlT_T0_E_clISt17integral_constantIbLb1EESW_EEDaSR_SS_EUlSR_E_NS1_11comp_targetILNS1_3genE4ELNS1_11target_archE910ELNS1_3gpuE8ELNS1_3repE0EEENS1_30default_config_static_selectorELNS0_4arch9wavefront6targetE1EEEvT1_,comdat
	.globl	_ZN7rocprim17ROCPRIM_400000_NS6detail17trampoline_kernelINS0_14default_configENS1_20scan_config_selectorIfEEZZNS1_9scan_implILNS1_25lookback_scan_determinismE0ELb0ELb0ES3_PKfPffZZZN2at6native31launch_logcumsumexp_cuda_kernelERKNSB_10TensorBaseESF_lENKUlvE_clEvENKUlvE0_clEvEUlffE_fEEDaPvRmT3_T4_T5_mT6_P12ihipStream_tbENKUlT_T0_E_clISt17integral_constantIbLb1EESW_EEDaSR_SS_EUlSR_E_NS1_11comp_targetILNS1_3genE4ELNS1_11target_archE910ELNS1_3gpuE8ELNS1_3repE0EEENS1_30default_config_static_selectorELNS0_4arch9wavefront6targetE1EEEvT1_ ; -- Begin function _ZN7rocprim17ROCPRIM_400000_NS6detail17trampoline_kernelINS0_14default_configENS1_20scan_config_selectorIfEEZZNS1_9scan_implILNS1_25lookback_scan_determinismE0ELb0ELb0ES3_PKfPffZZZN2at6native31launch_logcumsumexp_cuda_kernelERKNSB_10TensorBaseESF_lENKUlvE_clEvENKUlvE0_clEvEUlffE_fEEDaPvRmT3_T4_T5_mT6_P12ihipStream_tbENKUlT_T0_E_clISt17integral_constantIbLb1EESW_EEDaSR_SS_EUlSR_E_NS1_11comp_targetILNS1_3genE4ELNS1_11target_archE910ELNS1_3gpuE8ELNS1_3repE0EEENS1_30default_config_static_selectorELNS0_4arch9wavefront6targetE1EEEvT1_
	.p2align	8
	.type	_ZN7rocprim17ROCPRIM_400000_NS6detail17trampoline_kernelINS0_14default_configENS1_20scan_config_selectorIfEEZZNS1_9scan_implILNS1_25lookback_scan_determinismE0ELb0ELb0ES3_PKfPffZZZN2at6native31launch_logcumsumexp_cuda_kernelERKNSB_10TensorBaseESF_lENKUlvE_clEvENKUlvE0_clEvEUlffE_fEEDaPvRmT3_T4_T5_mT6_P12ihipStream_tbENKUlT_T0_E_clISt17integral_constantIbLb1EESW_EEDaSR_SS_EUlSR_E_NS1_11comp_targetILNS1_3genE4ELNS1_11target_archE910ELNS1_3gpuE8ELNS1_3repE0EEENS1_30default_config_static_selectorELNS0_4arch9wavefront6targetE1EEEvT1_,@function
_ZN7rocprim17ROCPRIM_400000_NS6detail17trampoline_kernelINS0_14default_configENS1_20scan_config_selectorIfEEZZNS1_9scan_implILNS1_25lookback_scan_determinismE0ELb0ELb0ES3_PKfPffZZZN2at6native31launch_logcumsumexp_cuda_kernelERKNSB_10TensorBaseESF_lENKUlvE_clEvENKUlvE0_clEvEUlffE_fEEDaPvRmT3_T4_T5_mT6_P12ihipStream_tbENKUlT_T0_E_clISt17integral_constantIbLb1EESW_EEDaSR_SS_EUlSR_E_NS1_11comp_targetILNS1_3genE4ELNS1_11target_archE910ELNS1_3gpuE8ELNS1_3repE0EEENS1_30default_config_static_selectorELNS0_4arch9wavefront6targetE1EEEvT1_: ; @_ZN7rocprim17ROCPRIM_400000_NS6detail17trampoline_kernelINS0_14default_configENS1_20scan_config_selectorIfEEZZNS1_9scan_implILNS1_25lookback_scan_determinismE0ELb0ELb0ES3_PKfPffZZZN2at6native31launch_logcumsumexp_cuda_kernelERKNSB_10TensorBaseESF_lENKUlvE_clEvENKUlvE0_clEvEUlffE_fEEDaPvRmT3_T4_T5_mT6_P12ihipStream_tbENKUlT_T0_E_clISt17integral_constantIbLb1EESW_EEDaSR_SS_EUlSR_E_NS1_11comp_targetILNS1_3genE4ELNS1_11target_archE910ELNS1_3gpuE8ELNS1_3repE0EEENS1_30default_config_static_selectorELNS0_4arch9wavefront6targetE1EEEvT1_
; %bb.0:
	.section	.rodata,"a",@progbits
	.p2align	6, 0x0
	.amdhsa_kernel _ZN7rocprim17ROCPRIM_400000_NS6detail17trampoline_kernelINS0_14default_configENS1_20scan_config_selectorIfEEZZNS1_9scan_implILNS1_25lookback_scan_determinismE0ELb0ELb0ES3_PKfPffZZZN2at6native31launch_logcumsumexp_cuda_kernelERKNSB_10TensorBaseESF_lENKUlvE_clEvENKUlvE0_clEvEUlffE_fEEDaPvRmT3_T4_T5_mT6_P12ihipStream_tbENKUlT_T0_E_clISt17integral_constantIbLb1EESW_EEDaSR_SS_EUlSR_E_NS1_11comp_targetILNS1_3genE4ELNS1_11target_archE910ELNS1_3gpuE8ELNS1_3repE0EEENS1_30default_config_static_selectorELNS0_4arch9wavefront6targetE1EEEvT1_
		.amdhsa_group_segment_fixed_size 0
		.amdhsa_private_segment_fixed_size 0
		.amdhsa_kernarg_size 96
		.amdhsa_user_sgpr_count 2
		.amdhsa_user_sgpr_dispatch_ptr 0
		.amdhsa_user_sgpr_queue_ptr 0
		.amdhsa_user_sgpr_kernarg_segment_ptr 1
		.amdhsa_user_sgpr_dispatch_id 0
		.amdhsa_user_sgpr_kernarg_preload_length 0
		.amdhsa_user_sgpr_kernarg_preload_offset 0
		.amdhsa_user_sgpr_private_segment_size 0
		.amdhsa_uses_dynamic_stack 0
		.amdhsa_enable_private_segment 0
		.amdhsa_system_sgpr_workgroup_id_x 1
		.amdhsa_system_sgpr_workgroup_id_y 0
		.amdhsa_system_sgpr_workgroup_id_z 0
		.amdhsa_system_sgpr_workgroup_info 0
		.amdhsa_system_vgpr_workitem_id 0
		.amdhsa_next_free_vgpr 1
		.amdhsa_next_free_sgpr 0
		.amdhsa_accum_offset 4
		.amdhsa_reserve_vcc 0
		.amdhsa_float_round_mode_32 0
		.amdhsa_float_round_mode_16_64 0
		.amdhsa_float_denorm_mode_32 3
		.amdhsa_float_denorm_mode_16_64 3
		.amdhsa_dx10_clamp 1
		.amdhsa_ieee_mode 1
		.amdhsa_fp16_overflow 0
		.amdhsa_tg_split 0
		.amdhsa_exception_fp_ieee_invalid_op 0
		.amdhsa_exception_fp_denorm_src 0
		.amdhsa_exception_fp_ieee_div_zero 0
		.amdhsa_exception_fp_ieee_overflow 0
		.amdhsa_exception_fp_ieee_underflow 0
		.amdhsa_exception_fp_ieee_inexact 0
		.amdhsa_exception_int_div_zero 0
	.end_amdhsa_kernel
	.section	.text._ZN7rocprim17ROCPRIM_400000_NS6detail17trampoline_kernelINS0_14default_configENS1_20scan_config_selectorIfEEZZNS1_9scan_implILNS1_25lookback_scan_determinismE0ELb0ELb0ES3_PKfPffZZZN2at6native31launch_logcumsumexp_cuda_kernelERKNSB_10TensorBaseESF_lENKUlvE_clEvENKUlvE0_clEvEUlffE_fEEDaPvRmT3_T4_T5_mT6_P12ihipStream_tbENKUlT_T0_E_clISt17integral_constantIbLb1EESW_EEDaSR_SS_EUlSR_E_NS1_11comp_targetILNS1_3genE4ELNS1_11target_archE910ELNS1_3gpuE8ELNS1_3repE0EEENS1_30default_config_static_selectorELNS0_4arch9wavefront6targetE1EEEvT1_,"axG",@progbits,_ZN7rocprim17ROCPRIM_400000_NS6detail17trampoline_kernelINS0_14default_configENS1_20scan_config_selectorIfEEZZNS1_9scan_implILNS1_25lookback_scan_determinismE0ELb0ELb0ES3_PKfPffZZZN2at6native31launch_logcumsumexp_cuda_kernelERKNSB_10TensorBaseESF_lENKUlvE_clEvENKUlvE0_clEvEUlffE_fEEDaPvRmT3_T4_T5_mT6_P12ihipStream_tbENKUlT_T0_E_clISt17integral_constantIbLb1EESW_EEDaSR_SS_EUlSR_E_NS1_11comp_targetILNS1_3genE4ELNS1_11target_archE910ELNS1_3gpuE8ELNS1_3repE0EEENS1_30default_config_static_selectorELNS0_4arch9wavefront6targetE1EEEvT1_,comdat
.Lfunc_end117:
	.size	_ZN7rocprim17ROCPRIM_400000_NS6detail17trampoline_kernelINS0_14default_configENS1_20scan_config_selectorIfEEZZNS1_9scan_implILNS1_25lookback_scan_determinismE0ELb0ELb0ES3_PKfPffZZZN2at6native31launch_logcumsumexp_cuda_kernelERKNSB_10TensorBaseESF_lENKUlvE_clEvENKUlvE0_clEvEUlffE_fEEDaPvRmT3_T4_T5_mT6_P12ihipStream_tbENKUlT_T0_E_clISt17integral_constantIbLb1EESW_EEDaSR_SS_EUlSR_E_NS1_11comp_targetILNS1_3genE4ELNS1_11target_archE910ELNS1_3gpuE8ELNS1_3repE0EEENS1_30default_config_static_selectorELNS0_4arch9wavefront6targetE1EEEvT1_, .Lfunc_end117-_ZN7rocprim17ROCPRIM_400000_NS6detail17trampoline_kernelINS0_14default_configENS1_20scan_config_selectorIfEEZZNS1_9scan_implILNS1_25lookback_scan_determinismE0ELb0ELb0ES3_PKfPffZZZN2at6native31launch_logcumsumexp_cuda_kernelERKNSB_10TensorBaseESF_lENKUlvE_clEvENKUlvE0_clEvEUlffE_fEEDaPvRmT3_T4_T5_mT6_P12ihipStream_tbENKUlT_T0_E_clISt17integral_constantIbLb1EESW_EEDaSR_SS_EUlSR_E_NS1_11comp_targetILNS1_3genE4ELNS1_11target_archE910ELNS1_3gpuE8ELNS1_3repE0EEENS1_30default_config_static_selectorELNS0_4arch9wavefront6targetE1EEEvT1_
                                        ; -- End function
	.set _ZN7rocprim17ROCPRIM_400000_NS6detail17trampoline_kernelINS0_14default_configENS1_20scan_config_selectorIfEEZZNS1_9scan_implILNS1_25lookback_scan_determinismE0ELb0ELb0ES3_PKfPffZZZN2at6native31launch_logcumsumexp_cuda_kernelERKNSB_10TensorBaseESF_lENKUlvE_clEvENKUlvE0_clEvEUlffE_fEEDaPvRmT3_T4_T5_mT6_P12ihipStream_tbENKUlT_T0_E_clISt17integral_constantIbLb1EESW_EEDaSR_SS_EUlSR_E_NS1_11comp_targetILNS1_3genE4ELNS1_11target_archE910ELNS1_3gpuE8ELNS1_3repE0EEENS1_30default_config_static_selectorELNS0_4arch9wavefront6targetE1EEEvT1_.num_vgpr, 0
	.set _ZN7rocprim17ROCPRIM_400000_NS6detail17trampoline_kernelINS0_14default_configENS1_20scan_config_selectorIfEEZZNS1_9scan_implILNS1_25lookback_scan_determinismE0ELb0ELb0ES3_PKfPffZZZN2at6native31launch_logcumsumexp_cuda_kernelERKNSB_10TensorBaseESF_lENKUlvE_clEvENKUlvE0_clEvEUlffE_fEEDaPvRmT3_T4_T5_mT6_P12ihipStream_tbENKUlT_T0_E_clISt17integral_constantIbLb1EESW_EEDaSR_SS_EUlSR_E_NS1_11comp_targetILNS1_3genE4ELNS1_11target_archE910ELNS1_3gpuE8ELNS1_3repE0EEENS1_30default_config_static_selectorELNS0_4arch9wavefront6targetE1EEEvT1_.num_agpr, 0
	.set _ZN7rocprim17ROCPRIM_400000_NS6detail17trampoline_kernelINS0_14default_configENS1_20scan_config_selectorIfEEZZNS1_9scan_implILNS1_25lookback_scan_determinismE0ELb0ELb0ES3_PKfPffZZZN2at6native31launch_logcumsumexp_cuda_kernelERKNSB_10TensorBaseESF_lENKUlvE_clEvENKUlvE0_clEvEUlffE_fEEDaPvRmT3_T4_T5_mT6_P12ihipStream_tbENKUlT_T0_E_clISt17integral_constantIbLb1EESW_EEDaSR_SS_EUlSR_E_NS1_11comp_targetILNS1_3genE4ELNS1_11target_archE910ELNS1_3gpuE8ELNS1_3repE0EEENS1_30default_config_static_selectorELNS0_4arch9wavefront6targetE1EEEvT1_.numbered_sgpr, 0
	.set _ZN7rocprim17ROCPRIM_400000_NS6detail17trampoline_kernelINS0_14default_configENS1_20scan_config_selectorIfEEZZNS1_9scan_implILNS1_25lookback_scan_determinismE0ELb0ELb0ES3_PKfPffZZZN2at6native31launch_logcumsumexp_cuda_kernelERKNSB_10TensorBaseESF_lENKUlvE_clEvENKUlvE0_clEvEUlffE_fEEDaPvRmT3_T4_T5_mT6_P12ihipStream_tbENKUlT_T0_E_clISt17integral_constantIbLb1EESW_EEDaSR_SS_EUlSR_E_NS1_11comp_targetILNS1_3genE4ELNS1_11target_archE910ELNS1_3gpuE8ELNS1_3repE0EEENS1_30default_config_static_selectorELNS0_4arch9wavefront6targetE1EEEvT1_.num_named_barrier, 0
	.set _ZN7rocprim17ROCPRIM_400000_NS6detail17trampoline_kernelINS0_14default_configENS1_20scan_config_selectorIfEEZZNS1_9scan_implILNS1_25lookback_scan_determinismE0ELb0ELb0ES3_PKfPffZZZN2at6native31launch_logcumsumexp_cuda_kernelERKNSB_10TensorBaseESF_lENKUlvE_clEvENKUlvE0_clEvEUlffE_fEEDaPvRmT3_T4_T5_mT6_P12ihipStream_tbENKUlT_T0_E_clISt17integral_constantIbLb1EESW_EEDaSR_SS_EUlSR_E_NS1_11comp_targetILNS1_3genE4ELNS1_11target_archE910ELNS1_3gpuE8ELNS1_3repE0EEENS1_30default_config_static_selectorELNS0_4arch9wavefront6targetE1EEEvT1_.private_seg_size, 0
	.set _ZN7rocprim17ROCPRIM_400000_NS6detail17trampoline_kernelINS0_14default_configENS1_20scan_config_selectorIfEEZZNS1_9scan_implILNS1_25lookback_scan_determinismE0ELb0ELb0ES3_PKfPffZZZN2at6native31launch_logcumsumexp_cuda_kernelERKNSB_10TensorBaseESF_lENKUlvE_clEvENKUlvE0_clEvEUlffE_fEEDaPvRmT3_T4_T5_mT6_P12ihipStream_tbENKUlT_T0_E_clISt17integral_constantIbLb1EESW_EEDaSR_SS_EUlSR_E_NS1_11comp_targetILNS1_3genE4ELNS1_11target_archE910ELNS1_3gpuE8ELNS1_3repE0EEENS1_30default_config_static_selectorELNS0_4arch9wavefront6targetE1EEEvT1_.uses_vcc, 0
	.set _ZN7rocprim17ROCPRIM_400000_NS6detail17trampoline_kernelINS0_14default_configENS1_20scan_config_selectorIfEEZZNS1_9scan_implILNS1_25lookback_scan_determinismE0ELb0ELb0ES3_PKfPffZZZN2at6native31launch_logcumsumexp_cuda_kernelERKNSB_10TensorBaseESF_lENKUlvE_clEvENKUlvE0_clEvEUlffE_fEEDaPvRmT3_T4_T5_mT6_P12ihipStream_tbENKUlT_T0_E_clISt17integral_constantIbLb1EESW_EEDaSR_SS_EUlSR_E_NS1_11comp_targetILNS1_3genE4ELNS1_11target_archE910ELNS1_3gpuE8ELNS1_3repE0EEENS1_30default_config_static_selectorELNS0_4arch9wavefront6targetE1EEEvT1_.uses_flat_scratch, 0
	.set _ZN7rocprim17ROCPRIM_400000_NS6detail17trampoline_kernelINS0_14default_configENS1_20scan_config_selectorIfEEZZNS1_9scan_implILNS1_25lookback_scan_determinismE0ELb0ELb0ES3_PKfPffZZZN2at6native31launch_logcumsumexp_cuda_kernelERKNSB_10TensorBaseESF_lENKUlvE_clEvENKUlvE0_clEvEUlffE_fEEDaPvRmT3_T4_T5_mT6_P12ihipStream_tbENKUlT_T0_E_clISt17integral_constantIbLb1EESW_EEDaSR_SS_EUlSR_E_NS1_11comp_targetILNS1_3genE4ELNS1_11target_archE910ELNS1_3gpuE8ELNS1_3repE0EEENS1_30default_config_static_selectorELNS0_4arch9wavefront6targetE1EEEvT1_.has_dyn_sized_stack, 0
	.set _ZN7rocprim17ROCPRIM_400000_NS6detail17trampoline_kernelINS0_14default_configENS1_20scan_config_selectorIfEEZZNS1_9scan_implILNS1_25lookback_scan_determinismE0ELb0ELb0ES3_PKfPffZZZN2at6native31launch_logcumsumexp_cuda_kernelERKNSB_10TensorBaseESF_lENKUlvE_clEvENKUlvE0_clEvEUlffE_fEEDaPvRmT3_T4_T5_mT6_P12ihipStream_tbENKUlT_T0_E_clISt17integral_constantIbLb1EESW_EEDaSR_SS_EUlSR_E_NS1_11comp_targetILNS1_3genE4ELNS1_11target_archE910ELNS1_3gpuE8ELNS1_3repE0EEENS1_30default_config_static_selectorELNS0_4arch9wavefront6targetE1EEEvT1_.has_recursion, 0
	.set _ZN7rocprim17ROCPRIM_400000_NS6detail17trampoline_kernelINS0_14default_configENS1_20scan_config_selectorIfEEZZNS1_9scan_implILNS1_25lookback_scan_determinismE0ELb0ELb0ES3_PKfPffZZZN2at6native31launch_logcumsumexp_cuda_kernelERKNSB_10TensorBaseESF_lENKUlvE_clEvENKUlvE0_clEvEUlffE_fEEDaPvRmT3_T4_T5_mT6_P12ihipStream_tbENKUlT_T0_E_clISt17integral_constantIbLb1EESW_EEDaSR_SS_EUlSR_E_NS1_11comp_targetILNS1_3genE4ELNS1_11target_archE910ELNS1_3gpuE8ELNS1_3repE0EEENS1_30default_config_static_selectorELNS0_4arch9wavefront6targetE1EEEvT1_.has_indirect_call, 0
	.section	.AMDGPU.csdata,"",@progbits
; Kernel info:
; codeLenInByte = 0
; TotalNumSgprs: 6
; NumVgprs: 0
; NumAgprs: 0
; TotalNumVgprs: 0
; ScratchSize: 0
; MemoryBound: 0
; FloatMode: 240
; IeeeMode: 1
; LDSByteSize: 0 bytes/workgroup (compile time only)
; SGPRBlocks: 0
; VGPRBlocks: 0
; NumSGPRsForWavesPerEU: 6
; NumVGPRsForWavesPerEU: 1
; AccumOffset: 4
; Occupancy: 8
; WaveLimiterHint : 0
; COMPUTE_PGM_RSRC2:SCRATCH_EN: 0
; COMPUTE_PGM_RSRC2:USER_SGPR: 2
; COMPUTE_PGM_RSRC2:TRAP_HANDLER: 0
; COMPUTE_PGM_RSRC2:TGID_X_EN: 1
; COMPUTE_PGM_RSRC2:TGID_Y_EN: 0
; COMPUTE_PGM_RSRC2:TGID_Z_EN: 0
; COMPUTE_PGM_RSRC2:TIDIG_COMP_CNT: 0
; COMPUTE_PGM_RSRC3_GFX90A:ACCUM_OFFSET: 0
; COMPUTE_PGM_RSRC3_GFX90A:TG_SPLIT: 0
	.section	.text._ZN7rocprim17ROCPRIM_400000_NS6detail17trampoline_kernelINS0_14default_configENS1_20scan_config_selectorIfEEZZNS1_9scan_implILNS1_25lookback_scan_determinismE0ELb0ELb0ES3_PKfPffZZZN2at6native31launch_logcumsumexp_cuda_kernelERKNSB_10TensorBaseESF_lENKUlvE_clEvENKUlvE0_clEvEUlffE_fEEDaPvRmT3_T4_T5_mT6_P12ihipStream_tbENKUlT_T0_E_clISt17integral_constantIbLb1EESW_EEDaSR_SS_EUlSR_E_NS1_11comp_targetILNS1_3genE3ELNS1_11target_archE908ELNS1_3gpuE7ELNS1_3repE0EEENS1_30default_config_static_selectorELNS0_4arch9wavefront6targetE1EEEvT1_,"axG",@progbits,_ZN7rocprim17ROCPRIM_400000_NS6detail17trampoline_kernelINS0_14default_configENS1_20scan_config_selectorIfEEZZNS1_9scan_implILNS1_25lookback_scan_determinismE0ELb0ELb0ES3_PKfPffZZZN2at6native31launch_logcumsumexp_cuda_kernelERKNSB_10TensorBaseESF_lENKUlvE_clEvENKUlvE0_clEvEUlffE_fEEDaPvRmT3_T4_T5_mT6_P12ihipStream_tbENKUlT_T0_E_clISt17integral_constantIbLb1EESW_EEDaSR_SS_EUlSR_E_NS1_11comp_targetILNS1_3genE3ELNS1_11target_archE908ELNS1_3gpuE7ELNS1_3repE0EEENS1_30default_config_static_selectorELNS0_4arch9wavefront6targetE1EEEvT1_,comdat
	.globl	_ZN7rocprim17ROCPRIM_400000_NS6detail17trampoline_kernelINS0_14default_configENS1_20scan_config_selectorIfEEZZNS1_9scan_implILNS1_25lookback_scan_determinismE0ELb0ELb0ES3_PKfPffZZZN2at6native31launch_logcumsumexp_cuda_kernelERKNSB_10TensorBaseESF_lENKUlvE_clEvENKUlvE0_clEvEUlffE_fEEDaPvRmT3_T4_T5_mT6_P12ihipStream_tbENKUlT_T0_E_clISt17integral_constantIbLb1EESW_EEDaSR_SS_EUlSR_E_NS1_11comp_targetILNS1_3genE3ELNS1_11target_archE908ELNS1_3gpuE7ELNS1_3repE0EEENS1_30default_config_static_selectorELNS0_4arch9wavefront6targetE1EEEvT1_ ; -- Begin function _ZN7rocprim17ROCPRIM_400000_NS6detail17trampoline_kernelINS0_14default_configENS1_20scan_config_selectorIfEEZZNS1_9scan_implILNS1_25lookback_scan_determinismE0ELb0ELb0ES3_PKfPffZZZN2at6native31launch_logcumsumexp_cuda_kernelERKNSB_10TensorBaseESF_lENKUlvE_clEvENKUlvE0_clEvEUlffE_fEEDaPvRmT3_T4_T5_mT6_P12ihipStream_tbENKUlT_T0_E_clISt17integral_constantIbLb1EESW_EEDaSR_SS_EUlSR_E_NS1_11comp_targetILNS1_3genE3ELNS1_11target_archE908ELNS1_3gpuE7ELNS1_3repE0EEENS1_30default_config_static_selectorELNS0_4arch9wavefront6targetE1EEEvT1_
	.p2align	8
	.type	_ZN7rocprim17ROCPRIM_400000_NS6detail17trampoline_kernelINS0_14default_configENS1_20scan_config_selectorIfEEZZNS1_9scan_implILNS1_25lookback_scan_determinismE0ELb0ELb0ES3_PKfPffZZZN2at6native31launch_logcumsumexp_cuda_kernelERKNSB_10TensorBaseESF_lENKUlvE_clEvENKUlvE0_clEvEUlffE_fEEDaPvRmT3_T4_T5_mT6_P12ihipStream_tbENKUlT_T0_E_clISt17integral_constantIbLb1EESW_EEDaSR_SS_EUlSR_E_NS1_11comp_targetILNS1_3genE3ELNS1_11target_archE908ELNS1_3gpuE7ELNS1_3repE0EEENS1_30default_config_static_selectorELNS0_4arch9wavefront6targetE1EEEvT1_,@function
_ZN7rocprim17ROCPRIM_400000_NS6detail17trampoline_kernelINS0_14default_configENS1_20scan_config_selectorIfEEZZNS1_9scan_implILNS1_25lookback_scan_determinismE0ELb0ELb0ES3_PKfPffZZZN2at6native31launch_logcumsumexp_cuda_kernelERKNSB_10TensorBaseESF_lENKUlvE_clEvENKUlvE0_clEvEUlffE_fEEDaPvRmT3_T4_T5_mT6_P12ihipStream_tbENKUlT_T0_E_clISt17integral_constantIbLb1EESW_EEDaSR_SS_EUlSR_E_NS1_11comp_targetILNS1_3genE3ELNS1_11target_archE908ELNS1_3gpuE7ELNS1_3repE0EEENS1_30default_config_static_selectorELNS0_4arch9wavefront6targetE1EEEvT1_: ; @_ZN7rocprim17ROCPRIM_400000_NS6detail17trampoline_kernelINS0_14default_configENS1_20scan_config_selectorIfEEZZNS1_9scan_implILNS1_25lookback_scan_determinismE0ELb0ELb0ES3_PKfPffZZZN2at6native31launch_logcumsumexp_cuda_kernelERKNSB_10TensorBaseESF_lENKUlvE_clEvENKUlvE0_clEvEUlffE_fEEDaPvRmT3_T4_T5_mT6_P12ihipStream_tbENKUlT_T0_E_clISt17integral_constantIbLb1EESW_EEDaSR_SS_EUlSR_E_NS1_11comp_targetILNS1_3genE3ELNS1_11target_archE908ELNS1_3gpuE7ELNS1_3repE0EEENS1_30default_config_static_selectorELNS0_4arch9wavefront6targetE1EEEvT1_
; %bb.0:
	.section	.rodata,"a",@progbits
	.p2align	6, 0x0
	.amdhsa_kernel _ZN7rocprim17ROCPRIM_400000_NS6detail17trampoline_kernelINS0_14default_configENS1_20scan_config_selectorIfEEZZNS1_9scan_implILNS1_25lookback_scan_determinismE0ELb0ELb0ES3_PKfPffZZZN2at6native31launch_logcumsumexp_cuda_kernelERKNSB_10TensorBaseESF_lENKUlvE_clEvENKUlvE0_clEvEUlffE_fEEDaPvRmT3_T4_T5_mT6_P12ihipStream_tbENKUlT_T0_E_clISt17integral_constantIbLb1EESW_EEDaSR_SS_EUlSR_E_NS1_11comp_targetILNS1_3genE3ELNS1_11target_archE908ELNS1_3gpuE7ELNS1_3repE0EEENS1_30default_config_static_selectorELNS0_4arch9wavefront6targetE1EEEvT1_
		.amdhsa_group_segment_fixed_size 0
		.amdhsa_private_segment_fixed_size 0
		.amdhsa_kernarg_size 96
		.amdhsa_user_sgpr_count 2
		.amdhsa_user_sgpr_dispatch_ptr 0
		.amdhsa_user_sgpr_queue_ptr 0
		.amdhsa_user_sgpr_kernarg_segment_ptr 1
		.amdhsa_user_sgpr_dispatch_id 0
		.amdhsa_user_sgpr_kernarg_preload_length 0
		.amdhsa_user_sgpr_kernarg_preload_offset 0
		.amdhsa_user_sgpr_private_segment_size 0
		.amdhsa_uses_dynamic_stack 0
		.amdhsa_enable_private_segment 0
		.amdhsa_system_sgpr_workgroup_id_x 1
		.amdhsa_system_sgpr_workgroup_id_y 0
		.amdhsa_system_sgpr_workgroup_id_z 0
		.amdhsa_system_sgpr_workgroup_info 0
		.amdhsa_system_vgpr_workitem_id 0
		.amdhsa_next_free_vgpr 1
		.amdhsa_next_free_sgpr 0
		.amdhsa_accum_offset 4
		.amdhsa_reserve_vcc 0
		.amdhsa_float_round_mode_32 0
		.amdhsa_float_round_mode_16_64 0
		.amdhsa_float_denorm_mode_32 3
		.amdhsa_float_denorm_mode_16_64 3
		.amdhsa_dx10_clamp 1
		.amdhsa_ieee_mode 1
		.amdhsa_fp16_overflow 0
		.amdhsa_tg_split 0
		.amdhsa_exception_fp_ieee_invalid_op 0
		.amdhsa_exception_fp_denorm_src 0
		.amdhsa_exception_fp_ieee_div_zero 0
		.amdhsa_exception_fp_ieee_overflow 0
		.amdhsa_exception_fp_ieee_underflow 0
		.amdhsa_exception_fp_ieee_inexact 0
		.amdhsa_exception_int_div_zero 0
	.end_amdhsa_kernel
	.section	.text._ZN7rocprim17ROCPRIM_400000_NS6detail17trampoline_kernelINS0_14default_configENS1_20scan_config_selectorIfEEZZNS1_9scan_implILNS1_25lookback_scan_determinismE0ELb0ELb0ES3_PKfPffZZZN2at6native31launch_logcumsumexp_cuda_kernelERKNSB_10TensorBaseESF_lENKUlvE_clEvENKUlvE0_clEvEUlffE_fEEDaPvRmT3_T4_T5_mT6_P12ihipStream_tbENKUlT_T0_E_clISt17integral_constantIbLb1EESW_EEDaSR_SS_EUlSR_E_NS1_11comp_targetILNS1_3genE3ELNS1_11target_archE908ELNS1_3gpuE7ELNS1_3repE0EEENS1_30default_config_static_selectorELNS0_4arch9wavefront6targetE1EEEvT1_,"axG",@progbits,_ZN7rocprim17ROCPRIM_400000_NS6detail17trampoline_kernelINS0_14default_configENS1_20scan_config_selectorIfEEZZNS1_9scan_implILNS1_25lookback_scan_determinismE0ELb0ELb0ES3_PKfPffZZZN2at6native31launch_logcumsumexp_cuda_kernelERKNSB_10TensorBaseESF_lENKUlvE_clEvENKUlvE0_clEvEUlffE_fEEDaPvRmT3_T4_T5_mT6_P12ihipStream_tbENKUlT_T0_E_clISt17integral_constantIbLb1EESW_EEDaSR_SS_EUlSR_E_NS1_11comp_targetILNS1_3genE3ELNS1_11target_archE908ELNS1_3gpuE7ELNS1_3repE0EEENS1_30default_config_static_selectorELNS0_4arch9wavefront6targetE1EEEvT1_,comdat
.Lfunc_end118:
	.size	_ZN7rocprim17ROCPRIM_400000_NS6detail17trampoline_kernelINS0_14default_configENS1_20scan_config_selectorIfEEZZNS1_9scan_implILNS1_25lookback_scan_determinismE0ELb0ELb0ES3_PKfPffZZZN2at6native31launch_logcumsumexp_cuda_kernelERKNSB_10TensorBaseESF_lENKUlvE_clEvENKUlvE0_clEvEUlffE_fEEDaPvRmT3_T4_T5_mT6_P12ihipStream_tbENKUlT_T0_E_clISt17integral_constantIbLb1EESW_EEDaSR_SS_EUlSR_E_NS1_11comp_targetILNS1_3genE3ELNS1_11target_archE908ELNS1_3gpuE7ELNS1_3repE0EEENS1_30default_config_static_selectorELNS0_4arch9wavefront6targetE1EEEvT1_, .Lfunc_end118-_ZN7rocprim17ROCPRIM_400000_NS6detail17trampoline_kernelINS0_14default_configENS1_20scan_config_selectorIfEEZZNS1_9scan_implILNS1_25lookback_scan_determinismE0ELb0ELb0ES3_PKfPffZZZN2at6native31launch_logcumsumexp_cuda_kernelERKNSB_10TensorBaseESF_lENKUlvE_clEvENKUlvE0_clEvEUlffE_fEEDaPvRmT3_T4_T5_mT6_P12ihipStream_tbENKUlT_T0_E_clISt17integral_constantIbLb1EESW_EEDaSR_SS_EUlSR_E_NS1_11comp_targetILNS1_3genE3ELNS1_11target_archE908ELNS1_3gpuE7ELNS1_3repE0EEENS1_30default_config_static_selectorELNS0_4arch9wavefront6targetE1EEEvT1_
                                        ; -- End function
	.set _ZN7rocprim17ROCPRIM_400000_NS6detail17trampoline_kernelINS0_14default_configENS1_20scan_config_selectorIfEEZZNS1_9scan_implILNS1_25lookback_scan_determinismE0ELb0ELb0ES3_PKfPffZZZN2at6native31launch_logcumsumexp_cuda_kernelERKNSB_10TensorBaseESF_lENKUlvE_clEvENKUlvE0_clEvEUlffE_fEEDaPvRmT3_T4_T5_mT6_P12ihipStream_tbENKUlT_T0_E_clISt17integral_constantIbLb1EESW_EEDaSR_SS_EUlSR_E_NS1_11comp_targetILNS1_3genE3ELNS1_11target_archE908ELNS1_3gpuE7ELNS1_3repE0EEENS1_30default_config_static_selectorELNS0_4arch9wavefront6targetE1EEEvT1_.num_vgpr, 0
	.set _ZN7rocprim17ROCPRIM_400000_NS6detail17trampoline_kernelINS0_14default_configENS1_20scan_config_selectorIfEEZZNS1_9scan_implILNS1_25lookback_scan_determinismE0ELb0ELb0ES3_PKfPffZZZN2at6native31launch_logcumsumexp_cuda_kernelERKNSB_10TensorBaseESF_lENKUlvE_clEvENKUlvE0_clEvEUlffE_fEEDaPvRmT3_T4_T5_mT6_P12ihipStream_tbENKUlT_T0_E_clISt17integral_constantIbLb1EESW_EEDaSR_SS_EUlSR_E_NS1_11comp_targetILNS1_3genE3ELNS1_11target_archE908ELNS1_3gpuE7ELNS1_3repE0EEENS1_30default_config_static_selectorELNS0_4arch9wavefront6targetE1EEEvT1_.num_agpr, 0
	.set _ZN7rocprim17ROCPRIM_400000_NS6detail17trampoline_kernelINS0_14default_configENS1_20scan_config_selectorIfEEZZNS1_9scan_implILNS1_25lookback_scan_determinismE0ELb0ELb0ES3_PKfPffZZZN2at6native31launch_logcumsumexp_cuda_kernelERKNSB_10TensorBaseESF_lENKUlvE_clEvENKUlvE0_clEvEUlffE_fEEDaPvRmT3_T4_T5_mT6_P12ihipStream_tbENKUlT_T0_E_clISt17integral_constantIbLb1EESW_EEDaSR_SS_EUlSR_E_NS1_11comp_targetILNS1_3genE3ELNS1_11target_archE908ELNS1_3gpuE7ELNS1_3repE0EEENS1_30default_config_static_selectorELNS0_4arch9wavefront6targetE1EEEvT1_.numbered_sgpr, 0
	.set _ZN7rocprim17ROCPRIM_400000_NS6detail17trampoline_kernelINS0_14default_configENS1_20scan_config_selectorIfEEZZNS1_9scan_implILNS1_25lookback_scan_determinismE0ELb0ELb0ES3_PKfPffZZZN2at6native31launch_logcumsumexp_cuda_kernelERKNSB_10TensorBaseESF_lENKUlvE_clEvENKUlvE0_clEvEUlffE_fEEDaPvRmT3_T4_T5_mT6_P12ihipStream_tbENKUlT_T0_E_clISt17integral_constantIbLb1EESW_EEDaSR_SS_EUlSR_E_NS1_11comp_targetILNS1_3genE3ELNS1_11target_archE908ELNS1_3gpuE7ELNS1_3repE0EEENS1_30default_config_static_selectorELNS0_4arch9wavefront6targetE1EEEvT1_.num_named_barrier, 0
	.set _ZN7rocprim17ROCPRIM_400000_NS6detail17trampoline_kernelINS0_14default_configENS1_20scan_config_selectorIfEEZZNS1_9scan_implILNS1_25lookback_scan_determinismE0ELb0ELb0ES3_PKfPffZZZN2at6native31launch_logcumsumexp_cuda_kernelERKNSB_10TensorBaseESF_lENKUlvE_clEvENKUlvE0_clEvEUlffE_fEEDaPvRmT3_T4_T5_mT6_P12ihipStream_tbENKUlT_T0_E_clISt17integral_constantIbLb1EESW_EEDaSR_SS_EUlSR_E_NS1_11comp_targetILNS1_3genE3ELNS1_11target_archE908ELNS1_3gpuE7ELNS1_3repE0EEENS1_30default_config_static_selectorELNS0_4arch9wavefront6targetE1EEEvT1_.private_seg_size, 0
	.set _ZN7rocprim17ROCPRIM_400000_NS6detail17trampoline_kernelINS0_14default_configENS1_20scan_config_selectorIfEEZZNS1_9scan_implILNS1_25lookback_scan_determinismE0ELb0ELb0ES3_PKfPffZZZN2at6native31launch_logcumsumexp_cuda_kernelERKNSB_10TensorBaseESF_lENKUlvE_clEvENKUlvE0_clEvEUlffE_fEEDaPvRmT3_T4_T5_mT6_P12ihipStream_tbENKUlT_T0_E_clISt17integral_constantIbLb1EESW_EEDaSR_SS_EUlSR_E_NS1_11comp_targetILNS1_3genE3ELNS1_11target_archE908ELNS1_3gpuE7ELNS1_3repE0EEENS1_30default_config_static_selectorELNS0_4arch9wavefront6targetE1EEEvT1_.uses_vcc, 0
	.set _ZN7rocprim17ROCPRIM_400000_NS6detail17trampoline_kernelINS0_14default_configENS1_20scan_config_selectorIfEEZZNS1_9scan_implILNS1_25lookback_scan_determinismE0ELb0ELb0ES3_PKfPffZZZN2at6native31launch_logcumsumexp_cuda_kernelERKNSB_10TensorBaseESF_lENKUlvE_clEvENKUlvE0_clEvEUlffE_fEEDaPvRmT3_T4_T5_mT6_P12ihipStream_tbENKUlT_T0_E_clISt17integral_constantIbLb1EESW_EEDaSR_SS_EUlSR_E_NS1_11comp_targetILNS1_3genE3ELNS1_11target_archE908ELNS1_3gpuE7ELNS1_3repE0EEENS1_30default_config_static_selectorELNS0_4arch9wavefront6targetE1EEEvT1_.uses_flat_scratch, 0
	.set _ZN7rocprim17ROCPRIM_400000_NS6detail17trampoline_kernelINS0_14default_configENS1_20scan_config_selectorIfEEZZNS1_9scan_implILNS1_25lookback_scan_determinismE0ELb0ELb0ES3_PKfPffZZZN2at6native31launch_logcumsumexp_cuda_kernelERKNSB_10TensorBaseESF_lENKUlvE_clEvENKUlvE0_clEvEUlffE_fEEDaPvRmT3_T4_T5_mT6_P12ihipStream_tbENKUlT_T0_E_clISt17integral_constantIbLb1EESW_EEDaSR_SS_EUlSR_E_NS1_11comp_targetILNS1_3genE3ELNS1_11target_archE908ELNS1_3gpuE7ELNS1_3repE0EEENS1_30default_config_static_selectorELNS0_4arch9wavefront6targetE1EEEvT1_.has_dyn_sized_stack, 0
	.set _ZN7rocprim17ROCPRIM_400000_NS6detail17trampoline_kernelINS0_14default_configENS1_20scan_config_selectorIfEEZZNS1_9scan_implILNS1_25lookback_scan_determinismE0ELb0ELb0ES3_PKfPffZZZN2at6native31launch_logcumsumexp_cuda_kernelERKNSB_10TensorBaseESF_lENKUlvE_clEvENKUlvE0_clEvEUlffE_fEEDaPvRmT3_T4_T5_mT6_P12ihipStream_tbENKUlT_T0_E_clISt17integral_constantIbLb1EESW_EEDaSR_SS_EUlSR_E_NS1_11comp_targetILNS1_3genE3ELNS1_11target_archE908ELNS1_3gpuE7ELNS1_3repE0EEENS1_30default_config_static_selectorELNS0_4arch9wavefront6targetE1EEEvT1_.has_recursion, 0
	.set _ZN7rocprim17ROCPRIM_400000_NS6detail17trampoline_kernelINS0_14default_configENS1_20scan_config_selectorIfEEZZNS1_9scan_implILNS1_25lookback_scan_determinismE0ELb0ELb0ES3_PKfPffZZZN2at6native31launch_logcumsumexp_cuda_kernelERKNSB_10TensorBaseESF_lENKUlvE_clEvENKUlvE0_clEvEUlffE_fEEDaPvRmT3_T4_T5_mT6_P12ihipStream_tbENKUlT_T0_E_clISt17integral_constantIbLb1EESW_EEDaSR_SS_EUlSR_E_NS1_11comp_targetILNS1_3genE3ELNS1_11target_archE908ELNS1_3gpuE7ELNS1_3repE0EEENS1_30default_config_static_selectorELNS0_4arch9wavefront6targetE1EEEvT1_.has_indirect_call, 0
	.section	.AMDGPU.csdata,"",@progbits
; Kernel info:
; codeLenInByte = 0
; TotalNumSgprs: 6
; NumVgprs: 0
; NumAgprs: 0
; TotalNumVgprs: 0
; ScratchSize: 0
; MemoryBound: 0
; FloatMode: 240
; IeeeMode: 1
; LDSByteSize: 0 bytes/workgroup (compile time only)
; SGPRBlocks: 0
; VGPRBlocks: 0
; NumSGPRsForWavesPerEU: 6
; NumVGPRsForWavesPerEU: 1
; AccumOffset: 4
; Occupancy: 8
; WaveLimiterHint : 0
; COMPUTE_PGM_RSRC2:SCRATCH_EN: 0
; COMPUTE_PGM_RSRC2:USER_SGPR: 2
; COMPUTE_PGM_RSRC2:TRAP_HANDLER: 0
; COMPUTE_PGM_RSRC2:TGID_X_EN: 1
; COMPUTE_PGM_RSRC2:TGID_Y_EN: 0
; COMPUTE_PGM_RSRC2:TGID_Z_EN: 0
; COMPUTE_PGM_RSRC2:TIDIG_COMP_CNT: 0
; COMPUTE_PGM_RSRC3_GFX90A:ACCUM_OFFSET: 0
; COMPUTE_PGM_RSRC3_GFX90A:TG_SPLIT: 0
	.section	.text._ZN7rocprim17ROCPRIM_400000_NS6detail17trampoline_kernelINS0_14default_configENS1_20scan_config_selectorIfEEZZNS1_9scan_implILNS1_25lookback_scan_determinismE0ELb0ELb0ES3_PKfPffZZZN2at6native31launch_logcumsumexp_cuda_kernelERKNSB_10TensorBaseESF_lENKUlvE_clEvENKUlvE0_clEvEUlffE_fEEDaPvRmT3_T4_T5_mT6_P12ihipStream_tbENKUlT_T0_E_clISt17integral_constantIbLb1EESW_EEDaSR_SS_EUlSR_E_NS1_11comp_targetILNS1_3genE2ELNS1_11target_archE906ELNS1_3gpuE6ELNS1_3repE0EEENS1_30default_config_static_selectorELNS0_4arch9wavefront6targetE1EEEvT1_,"axG",@progbits,_ZN7rocprim17ROCPRIM_400000_NS6detail17trampoline_kernelINS0_14default_configENS1_20scan_config_selectorIfEEZZNS1_9scan_implILNS1_25lookback_scan_determinismE0ELb0ELb0ES3_PKfPffZZZN2at6native31launch_logcumsumexp_cuda_kernelERKNSB_10TensorBaseESF_lENKUlvE_clEvENKUlvE0_clEvEUlffE_fEEDaPvRmT3_T4_T5_mT6_P12ihipStream_tbENKUlT_T0_E_clISt17integral_constantIbLb1EESW_EEDaSR_SS_EUlSR_E_NS1_11comp_targetILNS1_3genE2ELNS1_11target_archE906ELNS1_3gpuE6ELNS1_3repE0EEENS1_30default_config_static_selectorELNS0_4arch9wavefront6targetE1EEEvT1_,comdat
	.globl	_ZN7rocprim17ROCPRIM_400000_NS6detail17trampoline_kernelINS0_14default_configENS1_20scan_config_selectorIfEEZZNS1_9scan_implILNS1_25lookback_scan_determinismE0ELb0ELb0ES3_PKfPffZZZN2at6native31launch_logcumsumexp_cuda_kernelERKNSB_10TensorBaseESF_lENKUlvE_clEvENKUlvE0_clEvEUlffE_fEEDaPvRmT3_T4_T5_mT6_P12ihipStream_tbENKUlT_T0_E_clISt17integral_constantIbLb1EESW_EEDaSR_SS_EUlSR_E_NS1_11comp_targetILNS1_3genE2ELNS1_11target_archE906ELNS1_3gpuE6ELNS1_3repE0EEENS1_30default_config_static_selectorELNS0_4arch9wavefront6targetE1EEEvT1_ ; -- Begin function _ZN7rocprim17ROCPRIM_400000_NS6detail17trampoline_kernelINS0_14default_configENS1_20scan_config_selectorIfEEZZNS1_9scan_implILNS1_25lookback_scan_determinismE0ELb0ELb0ES3_PKfPffZZZN2at6native31launch_logcumsumexp_cuda_kernelERKNSB_10TensorBaseESF_lENKUlvE_clEvENKUlvE0_clEvEUlffE_fEEDaPvRmT3_T4_T5_mT6_P12ihipStream_tbENKUlT_T0_E_clISt17integral_constantIbLb1EESW_EEDaSR_SS_EUlSR_E_NS1_11comp_targetILNS1_3genE2ELNS1_11target_archE906ELNS1_3gpuE6ELNS1_3repE0EEENS1_30default_config_static_selectorELNS0_4arch9wavefront6targetE1EEEvT1_
	.p2align	8
	.type	_ZN7rocprim17ROCPRIM_400000_NS6detail17trampoline_kernelINS0_14default_configENS1_20scan_config_selectorIfEEZZNS1_9scan_implILNS1_25lookback_scan_determinismE0ELb0ELb0ES3_PKfPffZZZN2at6native31launch_logcumsumexp_cuda_kernelERKNSB_10TensorBaseESF_lENKUlvE_clEvENKUlvE0_clEvEUlffE_fEEDaPvRmT3_T4_T5_mT6_P12ihipStream_tbENKUlT_T0_E_clISt17integral_constantIbLb1EESW_EEDaSR_SS_EUlSR_E_NS1_11comp_targetILNS1_3genE2ELNS1_11target_archE906ELNS1_3gpuE6ELNS1_3repE0EEENS1_30default_config_static_selectorELNS0_4arch9wavefront6targetE1EEEvT1_,@function
_ZN7rocprim17ROCPRIM_400000_NS6detail17trampoline_kernelINS0_14default_configENS1_20scan_config_selectorIfEEZZNS1_9scan_implILNS1_25lookback_scan_determinismE0ELb0ELb0ES3_PKfPffZZZN2at6native31launch_logcumsumexp_cuda_kernelERKNSB_10TensorBaseESF_lENKUlvE_clEvENKUlvE0_clEvEUlffE_fEEDaPvRmT3_T4_T5_mT6_P12ihipStream_tbENKUlT_T0_E_clISt17integral_constantIbLb1EESW_EEDaSR_SS_EUlSR_E_NS1_11comp_targetILNS1_3genE2ELNS1_11target_archE906ELNS1_3gpuE6ELNS1_3repE0EEENS1_30default_config_static_selectorELNS0_4arch9wavefront6targetE1EEEvT1_: ; @_ZN7rocprim17ROCPRIM_400000_NS6detail17trampoline_kernelINS0_14default_configENS1_20scan_config_selectorIfEEZZNS1_9scan_implILNS1_25lookback_scan_determinismE0ELb0ELb0ES3_PKfPffZZZN2at6native31launch_logcumsumexp_cuda_kernelERKNSB_10TensorBaseESF_lENKUlvE_clEvENKUlvE0_clEvEUlffE_fEEDaPvRmT3_T4_T5_mT6_P12ihipStream_tbENKUlT_T0_E_clISt17integral_constantIbLb1EESW_EEDaSR_SS_EUlSR_E_NS1_11comp_targetILNS1_3genE2ELNS1_11target_archE906ELNS1_3gpuE6ELNS1_3repE0EEENS1_30default_config_static_selectorELNS0_4arch9wavefront6targetE1EEEvT1_
; %bb.0:
	.section	.rodata,"a",@progbits
	.p2align	6, 0x0
	.amdhsa_kernel _ZN7rocprim17ROCPRIM_400000_NS6detail17trampoline_kernelINS0_14default_configENS1_20scan_config_selectorIfEEZZNS1_9scan_implILNS1_25lookback_scan_determinismE0ELb0ELb0ES3_PKfPffZZZN2at6native31launch_logcumsumexp_cuda_kernelERKNSB_10TensorBaseESF_lENKUlvE_clEvENKUlvE0_clEvEUlffE_fEEDaPvRmT3_T4_T5_mT6_P12ihipStream_tbENKUlT_T0_E_clISt17integral_constantIbLb1EESW_EEDaSR_SS_EUlSR_E_NS1_11comp_targetILNS1_3genE2ELNS1_11target_archE906ELNS1_3gpuE6ELNS1_3repE0EEENS1_30default_config_static_selectorELNS0_4arch9wavefront6targetE1EEEvT1_
		.amdhsa_group_segment_fixed_size 0
		.amdhsa_private_segment_fixed_size 0
		.amdhsa_kernarg_size 96
		.amdhsa_user_sgpr_count 2
		.amdhsa_user_sgpr_dispatch_ptr 0
		.amdhsa_user_sgpr_queue_ptr 0
		.amdhsa_user_sgpr_kernarg_segment_ptr 1
		.amdhsa_user_sgpr_dispatch_id 0
		.amdhsa_user_sgpr_kernarg_preload_length 0
		.amdhsa_user_sgpr_kernarg_preload_offset 0
		.amdhsa_user_sgpr_private_segment_size 0
		.amdhsa_uses_dynamic_stack 0
		.amdhsa_enable_private_segment 0
		.amdhsa_system_sgpr_workgroup_id_x 1
		.amdhsa_system_sgpr_workgroup_id_y 0
		.amdhsa_system_sgpr_workgroup_id_z 0
		.amdhsa_system_sgpr_workgroup_info 0
		.amdhsa_system_vgpr_workitem_id 0
		.amdhsa_next_free_vgpr 1
		.amdhsa_next_free_sgpr 0
		.amdhsa_accum_offset 4
		.amdhsa_reserve_vcc 0
		.amdhsa_float_round_mode_32 0
		.amdhsa_float_round_mode_16_64 0
		.amdhsa_float_denorm_mode_32 3
		.amdhsa_float_denorm_mode_16_64 3
		.amdhsa_dx10_clamp 1
		.amdhsa_ieee_mode 1
		.amdhsa_fp16_overflow 0
		.amdhsa_tg_split 0
		.amdhsa_exception_fp_ieee_invalid_op 0
		.amdhsa_exception_fp_denorm_src 0
		.amdhsa_exception_fp_ieee_div_zero 0
		.amdhsa_exception_fp_ieee_overflow 0
		.amdhsa_exception_fp_ieee_underflow 0
		.amdhsa_exception_fp_ieee_inexact 0
		.amdhsa_exception_int_div_zero 0
	.end_amdhsa_kernel
	.section	.text._ZN7rocprim17ROCPRIM_400000_NS6detail17trampoline_kernelINS0_14default_configENS1_20scan_config_selectorIfEEZZNS1_9scan_implILNS1_25lookback_scan_determinismE0ELb0ELb0ES3_PKfPffZZZN2at6native31launch_logcumsumexp_cuda_kernelERKNSB_10TensorBaseESF_lENKUlvE_clEvENKUlvE0_clEvEUlffE_fEEDaPvRmT3_T4_T5_mT6_P12ihipStream_tbENKUlT_T0_E_clISt17integral_constantIbLb1EESW_EEDaSR_SS_EUlSR_E_NS1_11comp_targetILNS1_3genE2ELNS1_11target_archE906ELNS1_3gpuE6ELNS1_3repE0EEENS1_30default_config_static_selectorELNS0_4arch9wavefront6targetE1EEEvT1_,"axG",@progbits,_ZN7rocprim17ROCPRIM_400000_NS6detail17trampoline_kernelINS0_14default_configENS1_20scan_config_selectorIfEEZZNS1_9scan_implILNS1_25lookback_scan_determinismE0ELb0ELb0ES3_PKfPffZZZN2at6native31launch_logcumsumexp_cuda_kernelERKNSB_10TensorBaseESF_lENKUlvE_clEvENKUlvE0_clEvEUlffE_fEEDaPvRmT3_T4_T5_mT6_P12ihipStream_tbENKUlT_T0_E_clISt17integral_constantIbLb1EESW_EEDaSR_SS_EUlSR_E_NS1_11comp_targetILNS1_3genE2ELNS1_11target_archE906ELNS1_3gpuE6ELNS1_3repE0EEENS1_30default_config_static_selectorELNS0_4arch9wavefront6targetE1EEEvT1_,comdat
.Lfunc_end119:
	.size	_ZN7rocprim17ROCPRIM_400000_NS6detail17trampoline_kernelINS0_14default_configENS1_20scan_config_selectorIfEEZZNS1_9scan_implILNS1_25lookback_scan_determinismE0ELb0ELb0ES3_PKfPffZZZN2at6native31launch_logcumsumexp_cuda_kernelERKNSB_10TensorBaseESF_lENKUlvE_clEvENKUlvE0_clEvEUlffE_fEEDaPvRmT3_T4_T5_mT6_P12ihipStream_tbENKUlT_T0_E_clISt17integral_constantIbLb1EESW_EEDaSR_SS_EUlSR_E_NS1_11comp_targetILNS1_3genE2ELNS1_11target_archE906ELNS1_3gpuE6ELNS1_3repE0EEENS1_30default_config_static_selectorELNS0_4arch9wavefront6targetE1EEEvT1_, .Lfunc_end119-_ZN7rocprim17ROCPRIM_400000_NS6detail17trampoline_kernelINS0_14default_configENS1_20scan_config_selectorIfEEZZNS1_9scan_implILNS1_25lookback_scan_determinismE0ELb0ELb0ES3_PKfPffZZZN2at6native31launch_logcumsumexp_cuda_kernelERKNSB_10TensorBaseESF_lENKUlvE_clEvENKUlvE0_clEvEUlffE_fEEDaPvRmT3_T4_T5_mT6_P12ihipStream_tbENKUlT_T0_E_clISt17integral_constantIbLb1EESW_EEDaSR_SS_EUlSR_E_NS1_11comp_targetILNS1_3genE2ELNS1_11target_archE906ELNS1_3gpuE6ELNS1_3repE0EEENS1_30default_config_static_selectorELNS0_4arch9wavefront6targetE1EEEvT1_
                                        ; -- End function
	.set _ZN7rocprim17ROCPRIM_400000_NS6detail17trampoline_kernelINS0_14default_configENS1_20scan_config_selectorIfEEZZNS1_9scan_implILNS1_25lookback_scan_determinismE0ELb0ELb0ES3_PKfPffZZZN2at6native31launch_logcumsumexp_cuda_kernelERKNSB_10TensorBaseESF_lENKUlvE_clEvENKUlvE0_clEvEUlffE_fEEDaPvRmT3_T4_T5_mT6_P12ihipStream_tbENKUlT_T0_E_clISt17integral_constantIbLb1EESW_EEDaSR_SS_EUlSR_E_NS1_11comp_targetILNS1_3genE2ELNS1_11target_archE906ELNS1_3gpuE6ELNS1_3repE0EEENS1_30default_config_static_selectorELNS0_4arch9wavefront6targetE1EEEvT1_.num_vgpr, 0
	.set _ZN7rocprim17ROCPRIM_400000_NS6detail17trampoline_kernelINS0_14default_configENS1_20scan_config_selectorIfEEZZNS1_9scan_implILNS1_25lookback_scan_determinismE0ELb0ELb0ES3_PKfPffZZZN2at6native31launch_logcumsumexp_cuda_kernelERKNSB_10TensorBaseESF_lENKUlvE_clEvENKUlvE0_clEvEUlffE_fEEDaPvRmT3_T4_T5_mT6_P12ihipStream_tbENKUlT_T0_E_clISt17integral_constantIbLb1EESW_EEDaSR_SS_EUlSR_E_NS1_11comp_targetILNS1_3genE2ELNS1_11target_archE906ELNS1_3gpuE6ELNS1_3repE0EEENS1_30default_config_static_selectorELNS0_4arch9wavefront6targetE1EEEvT1_.num_agpr, 0
	.set _ZN7rocprim17ROCPRIM_400000_NS6detail17trampoline_kernelINS0_14default_configENS1_20scan_config_selectorIfEEZZNS1_9scan_implILNS1_25lookback_scan_determinismE0ELb0ELb0ES3_PKfPffZZZN2at6native31launch_logcumsumexp_cuda_kernelERKNSB_10TensorBaseESF_lENKUlvE_clEvENKUlvE0_clEvEUlffE_fEEDaPvRmT3_T4_T5_mT6_P12ihipStream_tbENKUlT_T0_E_clISt17integral_constantIbLb1EESW_EEDaSR_SS_EUlSR_E_NS1_11comp_targetILNS1_3genE2ELNS1_11target_archE906ELNS1_3gpuE6ELNS1_3repE0EEENS1_30default_config_static_selectorELNS0_4arch9wavefront6targetE1EEEvT1_.numbered_sgpr, 0
	.set _ZN7rocprim17ROCPRIM_400000_NS6detail17trampoline_kernelINS0_14default_configENS1_20scan_config_selectorIfEEZZNS1_9scan_implILNS1_25lookback_scan_determinismE0ELb0ELb0ES3_PKfPffZZZN2at6native31launch_logcumsumexp_cuda_kernelERKNSB_10TensorBaseESF_lENKUlvE_clEvENKUlvE0_clEvEUlffE_fEEDaPvRmT3_T4_T5_mT6_P12ihipStream_tbENKUlT_T0_E_clISt17integral_constantIbLb1EESW_EEDaSR_SS_EUlSR_E_NS1_11comp_targetILNS1_3genE2ELNS1_11target_archE906ELNS1_3gpuE6ELNS1_3repE0EEENS1_30default_config_static_selectorELNS0_4arch9wavefront6targetE1EEEvT1_.num_named_barrier, 0
	.set _ZN7rocprim17ROCPRIM_400000_NS6detail17trampoline_kernelINS0_14default_configENS1_20scan_config_selectorIfEEZZNS1_9scan_implILNS1_25lookback_scan_determinismE0ELb0ELb0ES3_PKfPffZZZN2at6native31launch_logcumsumexp_cuda_kernelERKNSB_10TensorBaseESF_lENKUlvE_clEvENKUlvE0_clEvEUlffE_fEEDaPvRmT3_T4_T5_mT6_P12ihipStream_tbENKUlT_T0_E_clISt17integral_constantIbLb1EESW_EEDaSR_SS_EUlSR_E_NS1_11comp_targetILNS1_3genE2ELNS1_11target_archE906ELNS1_3gpuE6ELNS1_3repE0EEENS1_30default_config_static_selectorELNS0_4arch9wavefront6targetE1EEEvT1_.private_seg_size, 0
	.set _ZN7rocprim17ROCPRIM_400000_NS6detail17trampoline_kernelINS0_14default_configENS1_20scan_config_selectorIfEEZZNS1_9scan_implILNS1_25lookback_scan_determinismE0ELb0ELb0ES3_PKfPffZZZN2at6native31launch_logcumsumexp_cuda_kernelERKNSB_10TensorBaseESF_lENKUlvE_clEvENKUlvE0_clEvEUlffE_fEEDaPvRmT3_T4_T5_mT6_P12ihipStream_tbENKUlT_T0_E_clISt17integral_constantIbLb1EESW_EEDaSR_SS_EUlSR_E_NS1_11comp_targetILNS1_3genE2ELNS1_11target_archE906ELNS1_3gpuE6ELNS1_3repE0EEENS1_30default_config_static_selectorELNS0_4arch9wavefront6targetE1EEEvT1_.uses_vcc, 0
	.set _ZN7rocprim17ROCPRIM_400000_NS6detail17trampoline_kernelINS0_14default_configENS1_20scan_config_selectorIfEEZZNS1_9scan_implILNS1_25lookback_scan_determinismE0ELb0ELb0ES3_PKfPffZZZN2at6native31launch_logcumsumexp_cuda_kernelERKNSB_10TensorBaseESF_lENKUlvE_clEvENKUlvE0_clEvEUlffE_fEEDaPvRmT3_T4_T5_mT6_P12ihipStream_tbENKUlT_T0_E_clISt17integral_constantIbLb1EESW_EEDaSR_SS_EUlSR_E_NS1_11comp_targetILNS1_3genE2ELNS1_11target_archE906ELNS1_3gpuE6ELNS1_3repE0EEENS1_30default_config_static_selectorELNS0_4arch9wavefront6targetE1EEEvT1_.uses_flat_scratch, 0
	.set _ZN7rocprim17ROCPRIM_400000_NS6detail17trampoline_kernelINS0_14default_configENS1_20scan_config_selectorIfEEZZNS1_9scan_implILNS1_25lookback_scan_determinismE0ELb0ELb0ES3_PKfPffZZZN2at6native31launch_logcumsumexp_cuda_kernelERKNSB_10TensorBaseESF_lENKUlvE_clEvENKUlvE0_clEvEUlffE_fEEDaPvRmT3_T4_T5_mT6_P12ihipStream_tbENKUlT_T0_E_clISt17integral_constantIbLb1EESW_EEDaSR_SS_EUlSR_E_NS1_11comp_targetILNS1_3genE2ELNS1_11target_archE906ELNS1_3gpuE6ELNS1_3repE0EEENS1_30default_config_static_selectorELNS0_4arch9wavefront6targetE1EEEvT1_.has_dyn_sized_stack, 0
	.set _ZN7rocprim17ROCPRIM_400000_NS6detail17trampoline_kernelINS0_14default_configENS1_20scan_config_selectorIfEEZZNS1_9scan_implILNS1_25lookback_scan_determinismE0ELb0ELb0ES3_PKfPffZZZN2at6native31launch_logcumsumexp_cuda_kernelERKNSB_10TensorBaseESF_lENKUlvE_clEvENKUlvE0_clEvEUlffE_fEEDaPvRmT3_T4_T5_mT6_P12ihipStream_tbENKUlT_T0_E_clISt17integral_constantIbLb1EESW_EEDaSR_SS_EUlSR_E_NS1_11comp_targetILNS1_3genE2ELNS1_11target_archE906ELNS1_3gpuE6ELNS1_3repE0EEENS1_30default_config_static_selectorELNS0_4arch9wavefront6targetE1EEEvT1_.has_recursion, 0
	.set _ZN7rocprim17ROCPRIM_400000_NS6detail17trampoline_kernelINS0_14default_configENS1_20scan_config_selectorIfEEZZNS1_9scan_implILNS1_25lookback_scan_determinismE0ELb0ELb0ES3_PKfPffZZZN2at6native31launch_logcumsumexp_cuda_kernelERKNSB_10TensorBaseESF_lENKUlvE_clEvENKUlvE0_clEvEUlffE_fEEDaPvRmT3_T4_T5_mT6_P12ihipStream_tbENKUlT_T0_E_clISt17integral_constantIbLb1EESW_EEDaSR_SS_EUlSR_E_NS1_11comp_targetILNS1_3genE2ELNS1_11target_archE906ELNS1_3gpuE6ELNS1_3repE0EEENS1_30default_config_static_selectorELNS0_4arch9wavefront6targetE1EEEvT1_.has_indirect_call, 0
	.section	.AMDGPU.csdata,"",@progbits
; Kernel info:
; codeLenInByte = 0
; TotalNumSgprs: 6
; NumVgprs: 0
; NumAgprs: 0
; TotalNumVgprs: 0
; ScratchSize: 0
; MemoryBound: 0
; FloatMode: 240
; IeeeMode: 1
; LDSByteSize: 0 bytes/workgroup (compile time only)
; SGPRBlocks: 0
; VGPRBlocks: 0
; NumSGPRsForWavesPerEU: 6
; NumVGPRsForWavesPerEU: 1
; AccumOffset: 4
; Occupancy: 8
; WaveLimiterHint : 0
; COMPUTE_PGM_RSRC2:SCRATCH_EN: 0
; COMPUTE_PGM_RSRC2:USER_SGPR: 2
; COMPUTE_PGM_RSRC2:TRAP_HANDLER: 0
; COMPUTE_PGM_RSRC2:TGID_X_EN: 1
; COMPUTE_PGM_RSRC2:TGID_Y_EN: 0
; COMPUTE_PGM_RSRC2:TGID_Z_EN: 0
; COMPUTE_PGM_RSRC2:TIDIG_COMP_CNT: 0
; COMPUTE_PGM_RSRC3_GFX90A:ACCUM_OFFSET: 0
; COMPUTE_PGM_RSRC3_GFX90A:TG_SPLIT: 0
	.section	.text._ZN7rocprim17ROCPRIM_400000_NS6detail17trampoline_kernelINS0_14default_configENS1_20scan_config_selectorIfEEZZNS1_9scan_implILNS1_25lookback_scan_determinismE0ELb0ELb0ES3_PKfPffZZZN2at6native31launch_logcumsumexp_cuda_kernelERKNSB_10TensorBaseESF_lENKUlvE_clEvENKUlvE0_clEvEUlffE_fEEDaPvRmT3_T4_T5_mT6_P12ihipStream_tbENKUlT_T0_E_clISt17integral_constantIbLb1EESW_EEDaSR_SS_EUlSR_E_NS1_11comp_targetILNS1_3genE10ELNS1_11target_archE1201ELNS1_3gpuE5ELNS1_3repE0EEENS1_30default_config_static_selectorELNS0_4arch9wavefront6targetE1EEEvT1_,"axG",@progbits,_ZN7rocprim17ROCPRIM_400000_NS6detail17trampoline_kernelINS0_14default_configENS1_20scan_config_selectorIfEEZZNS1_9scan_implILNS1_25lookback_scan_determinismE0ELb0ELb0ES3_PKfPffZZZN2at6native31launch_logcumsumexp_cuda_kernelERKNSB_10TensorBaseESF_lENKUlvE_clEvENKUlvE0_clEvEUlffE_fEEDaPvRmT3_T4_T5_mT6_P12ihipStream_tbENKUlT_T0_E_clISt17integral_constantIbLb1EESW_EEDaSR_SS_EUlSR_E_NS1_11comp_targetILNS1_3genE10ELNS1_11target_archE1201ELNS1_3gpuE5ELNS1_3repE0EEENS1_30default_config_static_selectorELNS0_4arch9wavefront6targetE1EEEvT1_,comdat
	.globl	_ZN7rocprim17ROCPRIM_400000_NS6detail17trampoline_kernelINS0_14default_configENS1_20scan_config_selectorIfEEZZNS1_9scan_implILNS1_25lookback_scan_determinismE0ELb0ELb0ES3_PKfPffZZZN2at6native31launch_logcumsumexp_cuda_kernelERKNSB_10TensorBaseESF_lENKUlvE_clEvENKUlvE0_clEvEUlffE_fEEDaPvRmT3_T4_T5_mT6_P12ihipStream_tbENKUlT_T0_E_clISt17integral_constantIbLb1EESW_EEDaSR_SS_EUlSR_E_NS1_11comp_targetILNS1_3genE10ELNS1_11target_archE1201ELNS1_3gpuE5ELNS1_3repE0EEENS1_30default_config_static_selectorELNS0_4arch9wavefront6targetE1EEEvT1_ ; -- Begin function _ZN7rocprim17ROCPRIM_400000_NS6detail17trampoline_kernelINS0_14default_configENS1_20scan_config_selectorIfEEZZNS1_9scan_implILNS1_25lookback_scan_determinismE0ELb0ELb0ES3_PKfPffZZZN2at6native31launch_logcumsumexp_cuda_kernelERKNSB_10TensorBaseESF_lENKUlvE_clEvENKUlvE0_clEvEUlffE_fEEDaPvRmT3_T4_T5_mT6_P12ihipStream_tbENKUlT_T0_E_clISt17integral_constantIbLb1EESW_EEDaSR_SS_EUlSR_E_NS1_11comp_targetILNS1_3genE10ELNS1_11target_archE1201ELNS1_3gpuE5ELNS1_3repE0EEENS1_30default_config_static_selectorELNS0_4arch9wavefront6targetE1EEEvT1_
	.p2align	8
	.type	_ZN7rocprim17ROCPRIM_400000_NS6detail17trampoline_kernelINS0_14default_configENS1_20scan_config_selectorIfEEZZNS1_9scan_implILNS1_25lookback_scan_determinismE0ELb0ELb0ES3_PKfPffZZZN2at6native31launch_logcumsumexp_cuda_kernelERKNSB_10TensorBaseESF_lENKUlvE_clEvENKUlvE0_clEvEUlffE_fEEDaPvRmT3_T4_T5_mT6_P12ihipStream_tbENKUlT_T0_E_clISt17integral_constantIbLb1EESW_EEDaSR_SS_EUlSR_E_NS1_11comp_targetILNS1_3genE10ELNS1_11target_archE1201ELNS1_3gpuE5ELNS1_3repE0EEENS1_30default_config_static_selectorELNS0_4arch9wavefront6targetE1EEEvT1_,@function
_ZN7rocprim17ROCPRIM_400000_NS6detail17trampoline_kernelINS0_14default_configENS1_20scan_config_selectorIfEEZZNS1_9scan_implILNS1_25lookback_scan_determinismE0ELb0ELb0ES3_PKfPffZZZN2at6native31launch_logcumsumexp_cuda_kernelERKNSB_10TensorBaseESF_lENKUlvE_clEvENKUlvE0_clEvEUlffE_fEEDaPvRmT3_T4_T5_mT6_P12ihipStream_tbENKUlT_T0_E_clISt17integral_constantIbLb1EESW_EEDaSR_SS_EUlSR_E_NS1_11comp_targetILNS1_3genE10ELNS1_11target_archE1201ELNS1_3gpuE5ELNS1_3repE0EEENS1_30default_config_static_selectorELNS0_4arch9wavefront6targetE1EEEvT1_: ; @_ZN7rocprim17ROCPRIM_400000_NS6detail17trampoline_kernelINS0_14default_configENS1_20scan_config_selectorIfEEZZNS1_9scan_implILNS1_25lookback_scan_determinismE0ELb0ELb0ES3_PKfPffZZZN2at6native31launch_logcumsumexp_cuda_kernelERKNSB_10TensorBaseESF_lENKUlvE_clEvENKUlvE0_clEvEUlffE_fEEDaPvRmT3_T4_T5_mT6_P12ihipStream_tbENKUlT_T0_E_clISt17integral_constantIbLb1EESW_EEDaSR_SS_EUlSR_E_NS1_11comp_targetILNS1_3genE10ELNS1_11target_archE1201ELNS1_3gpuE5ELNS1_3repE0EEENS1_30default_config_static_selectorELNS0_4arch9wavefront6targetE1EEEvT1_
; %bb.0:
	.section	.rodata,"a",@progbits
	.p2align	6, 0x0
	.amdhsa_kernel _ZN7rocprim17ROCPRIM_400000_NS6detail17trampoline_kernelINS0_14default_configENS1_20scan_config_selectorIfEEZZNS1_9scan_implILNS1_25lookback_scan_determinismE0ELb0ELb0ES3_PKfPffZZZN2at6native31launch_logcumsumexp_cuda_kernelERKNSB_10TensorBaseESF_lENKUlvE_clEvENKUlvE0_clEvEUlffE_fEEDaPvRmT3_T4_T5_mT6_P12ihipStream_tbENKUlT_T0_E_clISt17integral_constantIbLb1EESW_EEDaSR_SS_EUlSR_E_NS1_11comp_targetILNS1_3genE10ELNS1_11target_archE1201ELNS1_3gpuE5ELNS1_3repE0EEENS1_30default_config_static_selectorELNS0_4arch9wavefront6targetE1EEEvT1_
		.amdhsa_group_segment_fixed_size 0
		.amdhsa_private_segment_fixed_size 0
		.amdhsa_kernarg_size 96
		.amdhsa_user_sgpr_count 2
		.amdhsa_user_sgpr_dispatch_ptr 0
		.amdhsa_user_sgpr_queue_ptr 0
		.amdhsa_user_sgpr_kernarg_segment_ptr 1
		.amdhsa_user_sgpr_dispatch_id 0
		.amdhsa_user_sgpr_kernarg_preload_length 0
		.amdhsa_user_sgpr_kernarg_preload_offset 0
		.amdhsa_user_sgpr_private_segment_size 0
		.amdhsa_uses_dynamic_stack 0
		.amdhsa_enable_private_segment 0
		.amdhsa_system_sgpr_workgroup_id_x 1
		.amdhsa_system_sgpr_workgroup_id_y 0
		.amdhsa_system_sgpr_workgroup_id_z 0
		.amdhsa_system_sgpr_workgroup_info 0
		.amdhsa_system_vgpr_workitem_id 0
		.amdhsa_next_free_vgpr 1
		.amdhsa_next_free_sgpr 0
		.amdhsa_accum_offset 4
		.amdhsa_reserve_vcc 0
		.amdhsa_float_round_mode_32 0
		.amdhsa_float_round_mode_16_64 0
		.amdhsa_float_denorm_mode_32 3
		.amdhsa_float_denorm_mode_16_64 3
		.amdhsa_dx10_clamp 1
		.amdhsa_ieee_mode 1
		.amdhsa_fp16_overflow 0
		.amdhsa_tg_split 0
		.amdhsa_exception_fp_ieee_invalid_op 0
		.amdhsa_exception_fp_denorm_src 0
		.amdhsa_exception_fp_ieee_div_zero 0
		.amdhsa_exception_fp_ieee_overflow 0
		.amdhsa_exception_fp_ieee_underflow 0
		.amdhsa_exception_fp_ieee_inexact 0
		.amdhsa_exception_int_div_zero 0
	.end_amdhsa_kernel
	.section	.text._ZN7rocprim17ROCPRIM_400000_NS6detail17trampoline_kernelINS0_14default_configENS1_20scan_config_selectorIfEEZZNS1_9scan_implILNS1_25lookback_scan_determinismE0ELb0ELb0ES3_PKfPffZZZN2at6native31launch_logcumsumexp_cuda_kernelERKNSB_10TensorBaseESF_lENKUlvE_clEvENKUlvE0_clEvEUlffE_fEEDaPvRmT3_T4_T5_mT6_P12ihipStream_tbENKUlT_T0_E_clISt17integral_constantIbLb1EESW_EEDaSR_SS_EUlSR_E_NS1_11comp_targetILNS1_3genE10ELNS1_11target_archE1201ELNS1_3gpuE5ELNS1_3repE0EEENS1_30default_config_static_selectorELNS0_4arch9wavefront6targetE1EEEvT1_,"axG",@progbits,_ZN7rocprim17ROCPRIM_400000_NS6detail17trampoline_kernelINS0_14default_configENS1_20scan_config_selectorIfEEZZNS1_9scan_implILNS1_25lookback_scan_determinismE0ELb0ELb0ES3_PKfPffZZZN2at6native31launch_logcumsumexp_cuda_kernelERKNSB_10TensorBaseESF_lENKUlvE_clEvENKUlvE0_clEvEUlffE_fEEDaPvRmT3_T4_T5_mT6_P12ihipStream_tbENKUlT_T0_E_clISt17integral_constantIbLb1EESW_EEDaSR_SS_EUlSR_E_NS1_11comp_targetILNS1_3genE10ELNS1_11target_archE1201ELNS1_3gpuE5ELNS1_3repE0EEENS1_30default_config_static_selectorELNS0_4arch9wavefront6targetE1EEEvT1_,comdat
.Lfunc_end120:
	.size	_ZN7rocprim17ROCPRIM_400000_NS6detail17trampoline_kernelINS0_14default_configENS1_20scan_config_selectorIfEEZZNS1_9scan_implILNS1_25lookback_scan_determinismE0ELb0ELb0ES3_PKfPffZZZN2at6native31launch_logcumsumexp_cuda_kernelERKNSB_10TensorBaseESF_lENKUlvE_clEvENKUlvE0_clEvEUlffE_fEEDaPvRmT3_T4_T5_mT6_P12ihipStream_tbENKUlT_T0_E_clISt17integral_constantIbLb1EESW_EEDaSR_SS_EUlSR_E_NS1_11comp_targetILNS1_3genE10ELNS1_11target_archE1201ELNS1_3gpuE5ELNS1_3repE0EEENS1_30default_config_static_selectorELNS0_4arch9wavefront6targetE1EEEvT1_, .Lfunc_end120-_ZN7rocprim17ROCPRIM_400000_NS6detail17trampoline_kernelINS0_14default_configENS1_20scan_config_selectorIfEEZZNS1_9scan_implILNS1_25lookback_scan_determinismE0ELb0ELb0ES3_PKfPffZZZN2at6native31launch_logcumsumexp_cuda_kernelERKNSB_10TensorBaseESF_lENKUlvE_clEvENKUlvE0_clEvEUlffE_fEEDaPvRmT3_T4_T5_mT6_P12ihipStream_tbENKUlT_T0_E_clISt17integral_constantIbLb1EESW_EEDaSR_SS_EUlSR_E_NS1_11comp_targetILNS1_3genE10ELNS1_11target_archE1201ELNS1_3gpuE5ELNS1_3repE0EEENS1_30default_config_static_selectorELNS0_4arch9wavefront6targetE1EEEvT1_
                                        ; -- End function
	.set _ZN7rocprim17ROCPRIM_400000_NS6detail17trampoline_kernelINS0_14default_configENS1_20scan_config_selectorIfEEZZNS1_9scan_implILNS1_25lookback_scan_determinismE0ELb0ELb0ES3_PKfPffZZZN2at6native31launch_logcumsumexp_cuda_kernelERKNSB_10TensorBaseESF_lENKUlvE_clEvENKUlvE0_clEvEUlffE_fEEDaPvRmT3_T4_T5_mT6_P12ihipStream_tbENKUlT_T0_E_clISt17integral_constantIbLb1EESW_EEDaSR_SS_EUlSR_E_NS1_11comp_targetILNS1_3genE10ELNS1_11target_archE1201ELNS1_3gpuE5ELNS1_3repE0EEENS1_30default_config_static_selectorELNS0_4arch9wavefront6targetE1EEEvT1_.num_vgpr, 0
	.set _ZN7rocprim17ROCPRIM_400000_NS6detail17trampoline_kernelINS0_14default_configENS1_20scan_config_selectorIfEEZZNS1_9scan_implILNS1_25lookback_scan_determinismE0ELb0ELb0ES3_PKfPffZZZN2at6native31launch_logcumsumexp_cuda_kernelERKNSB_10TensorBaseESF_lENKUlvE_clEvENKUlvE0_clEvEUlffE_fEEDaPvRmT3_T4_T5_mT6_P12ihipStream_tbENKUlT_T0_E_clISt17integral_constantIbLb1EESW_EEDaSR_SS_EUlSR_E_NS1_11comp_targetILNS1_3genE10ELNS1_11target_archE1201ELNS1_3gpuE5ELNS1_3repE0EEENS1_30default_config_static_selectorELNS0_4arch9wavefront6targetE1EEEvT1_.num_agpr, 0
	.set _ZN7rocprim17ROCPRIM_400000_NS6detail17trampoline_kernelINS0_14default_configENS1_20scan_config_selectorIfEEZZNS1_9scan_implILNS1_25lookback_scan_determinismE0ELb0ELb0ES3_PKfPffZZZN2at6native31launch_logcumsumexp_cuda_kernelERKNSB_10TensorBaseESF_lENKUlvE_clEvENKUlvE0_clEvEUlffE_fEEDaPvRmT3_T4_T5_mT6_P12ihipStream_tbENKUlT_T0_E_clISt17integral_constantIbLb1EESW_EEDaSR_SS_EUlSR_E_NS1_11comp_targetILNS1_3genE10ELNS1_11target_archE1201ELNS1_3gpuE5ELNS1_3repE0EEENS1_30default_config_static_selectorELNS0_4arch9wavefront6targetE1EEEvT1_.numbered_sgpr, 0
	.set _ZN7rocprim17ROCPRIM_400000_NS6detail17trampoline_kernelINS0_14default_configENS1_20scan_config_selectorIfEEZZNS1_9scan_implILNS1_25lookback_scan_determinismE0ELb0ELb0ES3_PKfPffZZZN2at6native31launch_logcumsumexp_cuda_kernelERKNSB_10TensorBaseESF_lENKUlvE_clEvENKUlvE0_clEvEUlffE_fEEDaPvRmT3_T4_T5_mT6_P12ihipStream_tbENKUlT_T0_E_clISt17integral_constantIbLb1EESW_EEDaSR_SS_EUlSR_E_NS1_11comp_targetILNS1_3genE10ELNS1_11target_archE1201ELNS1_3gpuE5ELNS1_3repE0EEENS1_30default_config_static_selectorELNS0_4arch9wavefront6targetE1EEEvT1_.num_named_barrier, 0
	.set _ZN7rocprim17ROCPRIM_400000_NS6detail17trampoline_kernelINS0_14default_configENS1_20scan_config_selectorIfEEZZNS1_9scan_implILNS1_25lookback_scan_determinismE0ELb0ELb0ES3_PKfPffZZZN2at6native31launch_logcumsumexp_cuda_kernelERKNSB_10TensorBaseESF_lENKUlvE_clEvENKUlvE0_clEvEUlffE_fEEDaPvRmT3_T4_T5_mT6_P12ihipStream_tbENKUlT_T0_E_clISt17integral_constantIbLb1EESW_EEDaSR_SS_EUlSR_E_NS1_11comp_targetILNS1_3genE10ELNS1_11target_archE1201ELNS1_3gpuE5ELNS1_3repE0EEENS1_30default_config_static_selectorELNS0_4arch9wavefront6targetE1EEEvT1_.private_seg_size, 0
	.set _ZN7rocprim17ROCPRIM_400000_NS6detail17trampoline_kernelINS0_14default_configENS1_20scan_config_selectorIfEEZZNS1_9scan_implILNS1_25lookback_scan_determinismE0ELb0ELb0ES3_PKfPffZZZN2at6native31launch_logcumsumexp_cuda_kernelERKNSB_10TensorBaseESF_lENKUlvE_clEvENKUlvE0_clEvEUlffE_fEEDaPvRmT3_T4_T5_mT6_P12ihipStream_tbENKUlT_T0_E_clISt17integral_constantIbLb1EESW_EEDaSR_SS_EUlSR_E_NS1_11comp_targetILNS1_3genE10ELNS1_11target_archE1201ELNS1_3gpuE5ELNS1_3repE0EEENS1_30default_config_static_selectorELNS0_4arch9wavefront6targetE1EEEvT1_.uses_vcc, 0
	.set _ZN7rocprim17ROCPRIM_400000_NS6detail17trampoline_kernelINS0_14default_configENS1_20scan_config_selectorIfEEZZNS1_9scan_implILNS1_25lookback_scan_determinismE0ELb0ELb0ES3_PKfPffZZZN2at6native31launch_logcumsumexp_cuda_kernelERKNSB_10TensorBaseESF_lENKUlvE_clEvENKUlvE0_clEvEUlffE_fEEDaPvRmT3_T4_T5_mT6_P12ihipStream_tbENKUlT_T0_E_clISt17integral_constantIbLb1EESW_EEDaSR_SS_EUlSR_E_NS1_11comp_targetILNS1_3genE10ELNS1_11target_archE1201ELNS1_3gpuE5ELNS1_3repE0EEENS1_30default_config_static_selectorELNS0_4arch9wavefront6targetE1EEEvT1_.uses_flat_scratch, 0
	.set _ZN7rocprim17ROCPRIM_400000_NS6detail17trampoline_kernelINS0_14default_configENS1_20scan_config_selectorIfEEZZNS1_9scan_implILNS1_25lookback_scan_determinismE0ELb0ELb0ES3_PKfPffZZZN2at6native31launch_logcumsumexp_cuda_kernelERKNSB_10TensorBaseESF_lENKUlvE_clEvENKUlvE0_clEvEUlffE_fEEDaPvRmT3_T4_T5_mT6_P12ihipStream_tbENKUlT_T0_E_clISt17integral_constantIbLb1EESW_EEDaSR_SS_EUlSR_E_NS1_11comp_targetILNS1_3genE10ELNS1_11target_archE1201ELNS1_3gpuE5ELNS1_3repE0EEENS1_30default_config_static_selectorELNS0_4arch9wavefront6targetE1EEEvT1_.has_dyn_sized_stack, 0
	.set _ZN7rocprim17ROCPRIM_400000_NS6detail17trampoline_kernelINS0_14default_configENS1_20scan_config_selectorIfEEZZNS1_9scan_implILNS1_25lookback_scan_determinismE0ELb0ELb0ES3_PKfPffZZZN2at6native31launch_logcumsumexp_cuda_kernelERKNSB_10TensorBaseESF_lENKUlvE_clEvENKUlvE0_clEvEUlffE_fEEDaPvRmT3_T4_T5_mT6_P12ihipStream_tbENKUlT_T0_E_clISt17integral_constantIbLb1EESW_EEDaSR_SS_EUlSR_E_NS1_11comp_targetILNS1_3genE10ELNS1_11target_archE1201ELNS1_3gpuE5ELNS1_3repE0EEENS1_30default_config_static_selectorELNS0_4arch9wavefront6targetE1EEEvT1_.has_recursion, 0
	.set _ZN7rocprim17ROCPRIM_400000_NS6detail17trampoline_kernelINS0_14default_configENS1_20scan_config_selectorIfEEZZNS1_9scan_implILNS1_25lookback_scan_determinismE0ELb0ELb0ES3_PKfPffZZZN2at6native31launch_logcumsumexp_cuda_kernelERKNSB_10TensorBaseESF_lENKUlvE_clEvENKUlvE0_clEvEUlffE_fEEDaPvRmT3_T4_T5_mT6_P12ihipStream_tbENKUlT_T0_E_clISt17integral_constantIbLb1EESW_EEDaSR_SS_EUlSR_E_NS1_11comp_targetILNS1_3genE10ELNS1_11target_archE1201ELNS1_3gpuE5ELNS1_3repE0EEENS1_30default_config_static_selectorELNS0_4arch9wavefront6targetE1EEEvT1_.has_indirect_call, 0
	.section	.AMDGPU.csdata,"",@progbits
; Kernel info:
; codeLenInByte = 0
; TotalNumSgprs: 6
; NumVgprs: 0
; NumAgprs: 0
; TotalNumVgprs: 0
; ScratchSize: 0
; MemoryBound: 0
; FloatMode: 240
; IeeeMode: 1
; LDSByteSize: 0 bytes/workgroup (compile time only)
; SGPRBlocks: 0
; VGPRBlocks: 0
; NumSGPRsForWavesPerEU: 6
; NumVGPRsForWavesPerEU: 1
; AccumOffset: 4
; Occupancy: 8
; WaveLimiterHint : 0
; COMPUTE_PGM_RSRC2:SCRATCH_EN: 0
; COMPUTE_PGM_RSRC2:USER_SGPR: 2
; COMPUTE_PGM_RSRC2:TRAP_HANDLER: 0
; COMPUTE_PGM_RSRC2:TGID_X_EN: 1
; COMPUTE_PGM_RSRC2:TGID_Y_EN: 0
; COMPUTE_PGM_RSRC2:TGID_Z_EN: 0
; COMPUTE_PGM_RSRC2:TIDIG_COMP_CNT: 0
; COMPUTE_PGM_RSRC3_GFX90A:ACCUM_OFFSET: 0
; COMPUTE_PGM_RSRC3_GFX90A:TG_SPLIT: 0
	.section	.text._ZN7rocprim17ROCPRIM_400000_NS6detail17trampoline_kernelINS0_14default_configENS1_20scan_config_selectorIfEEZZNS1_9scan_implILNS1_25lookback_scan_determinismE0ELb0ELb0ES3_PKfPffZZZN2at6native31launch_logcumsumexp_cuda_kernelERKNSB_10TensorBaseESF_lENKUlvE_clEvENKUlvE0_clEvEUlffE_fEEDaPvRmT3_T4_T5_mT6_P12ihipStream_tbENKUlT_T0_E_clISt17integral_constantIbLb1EESW_EEDaSR_SS_EUlSR_E_NS1_11comp_targetILNS1_3genE10ELNS1_11target_archE1200ELNS1_3gpuE4ELNS1_3repE0EEENS1_30default_config_static_selectorELNS0_4arch9wavefront6targetE1EEEvT1_,"axG",@progbits,_ZN7rocprim17ROCPRIM_400000_NS6detail17trampoline_kernelINS0_14default_configENS1_20scan_config_selectorIfEEZZNS1_9scan_implILNS1_25lookback_scan_determinismE0ELb0ELb0ES3_PKfPffZZZN2at6native31launch_logcumsumexp_cuda_kernelERKNSB_10TensorBaseESF_lENKUlvE_clEvENKUlvE0_clEvEUlffE_fEEDaPvRmT3_T4_T5_mT6_P12ihipStream_tbENKUlT_T0_E_clISt17integral_constantIbLb1EESW_EEDaSR_SS_EUlSR_E_NS1_11comp_targetILNS1_3genE10ELNS1_11target_archE1200ELNS1_3gpuE4ELNS1_3repE0EEENS1_30default_config_static_selectorELNS0_4arch9wavefront6targetE1EEEvT1_,comdat
	.globl	_ZN7rocprim17ROCPRIM_400000_NS6detail17trampoline_kernelINS0_14default_configENS1_20scan_config_selectorIfEEZZNS1_9scan_implILNS1_25lookback_scan_determinismE0ELb0ELb0ES3_PKfPffZZZN2at6native31launch_logcumsumexp_cuda_kernelERKNSB_10TensorBaseESF_lENKUlvE_clEvENKUlvE0_clEvEUlffE_fEEDaPvRmT3_T4_T5_mT6_P12ihipStream_tbENKUlT_T0_E_clISt17integral_constantIbLb1EESW_EEDaSR_SS_EUlSR_E_NS1_11comp_targetILNS1_3genE10ELNS1_11target_archE1200ELNS1_3gpuE4ELNS1_3repE0EEENS1_30default_config_static_selectorELNS0_4arch9wavefront6targetE1EEEvT1_ ; -- Begin function _ZN7rocprim17ROCPRIM_400000_NS6detail17trampoline_kernelINS0_14default_configENS1_20scan_config_selectorIfEEZZNS1_9scan_implILNS1_25lookback_scan_determinismE0ELb0ELb0ES3_PKfPffZZZN2at6native31launch_logcumsumexp_cuda_kernelERKNSB_10TensorBaseESF_lENKUlvE_clEvENKUlvE0_clEvEUlffE_fEEDaPvRmT3_T4_T5_mT6_P12ihipStream_tbENKUlT_T0_E_clISt17integral_constantIbLb1EESW_EEDaSR_SS_EUlSR_E_NS1_11comp_targetILNS1_3genE10ELNS1_11target_archE1200ELNS1_3gpuE4ELNS1_3repE0EEENS1_30default_config_static_selectorELNS0_4arch9wavefront6targetE1EEEvT1_
	.p2align	8
	.type	_ZN7rocprim17ROCPRIM_400000_NS6detail17trampoline_kernelINS0_14default_configENS1_20scan_config_selectorIfEEZZNS1_9scan_implILNS1_25lookback_scan_determinismE0ELb0ELb0ES3_PKfPffZZZN2at6native31launch_logcumsumexp_cuda_kernelERKNSB_10TensorBaseESF_lENKUlvE_clEvENKUlvE0_clEvEUlffE_fEEDaPvRmT3_T4_T5_mT6_P12ihipStream_tbENKUlT_T0_E_clISt17integral_constantIbLb1EESW_EEDaSR_SS_EUlSR_E_NS1_11comp_targetILNS1_3genE10ELNS1_11target_archE1200ELNS1_3gpuE4ELNS1_3repE0EEENS1_30default_config_static_selectorELNS0_4arch9wavefront6targetE1EEEvT1_,@function
_ZN7rocprim17ROCPRIM_400000_NS6detail17trampoline_kernelINS0_14default_configENS1_20scan_config_selectorIfEEZZNS1_9scan_implILNS1_25lookback_scan_determinismE0ELb0ELb0ES3_PKfPffZZZN2at6native31launch_logcumsumexp_cuda_kernelERKNSB_10TensorBaseESF_lENKUlvE_clEvENKUlvE0_clEvEUlffE_fEEDaPvRmT3_T4_T5_mT6_P12ihipStream_tbENKUlT_T0_E_clISt17integral_constantIbLb1EESW_EEDaSR_SS_EUlSR_E_NS1_11comp_targetILNS1_3genE10ELNS1_11target_archE1200ELNS1_3gpuE4ELNS1_3repE0EEENS1_30default_config_static_selectorELNS0_4arch9wavefront6targetE1EEEvT1_: ; @_ZN7rocprim17ROCPRIM_400000_NS6detail17trampoline_kernelINS0_14default_configENS1_20scan_config_selectorIfEEZZNS1_9scan_implILNS1_25lookback_scan_determinismE0ELb0ELb0ES3_PKfPffZZZN2at6native31launch_logcumsumexp_cuda_kernelERKNSB_10TensorBaseESF_lENKUlvE_clEvENKUlvE0_clEvEUlffE_fEEDaPvRmT3_T4_T5_mT6_P12ihipStream_tbENKUlT_T0_E_clISt17integral_constantIbLb1EESW_EEDaSR_SS_EUlSR_E_NS1_11comp_targetILNS1_3genE10ELNS1_11target_archE1200ELNS1_3gpuE4ELNS1_3repE0EEENS1_30default_config_static_selectorELNS0_4arch9wavefront6targetE1EEEvT1_
; %bb.0:
	.section	.rodata,"a",@progbits
	.p2align	6, 0x0
	.amdhsa_kernel _ZN7rocprim17ROCPRIM_400000_NS6detail17trampoline_kernelINS0_14default_configENS1_20scan_config_selectorIfEEZZNS1_9scan_implILNS1_25lookback_scan_determinismE0ELb0ELb0ES3_PKfPffZZZN2at6native31launch_logcumsumexp_cuda_kernelERKNSB_10TensorBaseESF_lENKUlvE_clEvENKUlvE0_clEvEUlffE_fEEDaPvRmT3_T4_T5_mT6_P12ihipStream_tbENKUlT_T0_E_clISt17integral_constantIbLb1EESW_EEDaSR_SS_EUlSR_E_NS1_11comp_targetILNS1_3genE10ELNS1_11target_archE1200ELNS1_3gpuE4ELNS1_3repE0EEENS1_30default_config_static_selectorELNS0_4arch9wavefront6targetE1EEEvT1_
		.amdhsa_group_segment_fixed_size 0
		.amdhsa_private_segment_fixed_size 0
		.amdhsa_kernarg_size 96
		.amdhsa_user_sgpr_count 2
		.amdhsa_user_sgpr_dispatch_ptr 0
		.amdhsa_user_sgpr_queue_ptr 0
		.amdhsa_user_sgpr_kernarg_segment_ptr 1
		.amdhsa_user_sgpr_dispatch_id 0
		.amdhsa_user_sgpr_kernarg_preload_length 0
		.amdhsa_user_sgpr_kernarg_preload_offset 0
		.amdhsa_user_sgpr_private_segment_size 0
		.amdhsa_uses_dynamic_stack 0
		.amdhsa_enable_private_segment 0
		.amdhsa_system_sgpr_workgroup_id_x 1
		.amdhsa_system_sgpr_workgroup_id_y 0
		.amdhsa_system_sgpr_workgroup_id_z 0
		.amdhsa_system_sgpr_workgroup_info 0
		.amdhsa_system_vgpr_workitem_id 0
		.amdhsa_next_free_vgpr 1
		.amdhsa_next_free_sgpr 0
		.amdhsa_accum_offset 4
		.amdhsa_reserve_vcc 0
		.amdhsa_float_round_mode_32 0
		.amdhsa_float_round_mode_16_64 0
		.amdhsa_float_denorm_mode_32 3
		.amdhsa_float_denorm_mode_16_64 3
		.amdhsa_dx10_clamp 1
		.amdhsa_ieee_mode 1
		.amdhsa_fp16_overflow 0
		.amdhsa_tg_split 0
		.amdhsa_exception_fp_ieee_invalid_op 0
		.amdhsa_exception_fp_denorm_src 0
		.amdhsa_exception_fp_ieee_div_zero 0
		.amdhsa_exception_fp_ieee_overflow 0
		.amdhsa_exception_fp_ieee_underflow 0
		.amdhsa_exception_fp_ieee_inexact 0
		.amdhsa_exception_int_div_zero 0
	.end_amdhsa_kernel
	.section	.text._ZN7rocprim17ROCPRIM_400000_NS6detail17trampoline_kernelINS0_14default_configENS1_20scan_config_selectorIfEEZZNS1_9scan_implILNS1_25lookback_scan_determinismE0ELb0ELb0ES3_PKfPffZZZN2at6native31launch_logcumsumexp_cuda_kernelERKNSB_10TensorBaseESF_lENKUlvE_clEvENKUlvE0_clEvEUlffE_fEEDaPvRmT3_T4_T5_mT6_P12ihipStream_tbENKUlT_T0_E_clISt17integral_constantIbLb1EESW_EEDaSR_SS_EUlSR_E_NS1_11comp_targetILNS1_3genE10ELNS1_11target_archE1200ELNS1_3gpuE4ELNS1_3repE0EEENS1_30default_config_static_selectorELNS0_4arch9wavefront6targetE1EEEvT1_,"axG",@progbits,_ZN7rocprim17ROCPRIM_400000_NS6detail17trampoline_kernelINS0_14default_configENS1_20scan_config_selectorIfEEZZNS1_9scan_implILNS1_25lookback_scan_determinismE0ELb0ELb0ES3_PKfPffZZZN2at6native31launch_logcumsumexp_cuda_kernelERKNSB_10TensorBaseESF_lENKUlvE_clEvENKUlvE0_clEvEUlffE_fEEDaPvRmT3_T4_T5_mT6_P12ihipStream_tbENKUlT_T0_E_clISt17integral_constantIbLb1EESW_EEDaSR_SS_EUlSR_E_NS1_11comp_targetILNS1_3genE10ELNS1_11target_archE1200ELNS1_3gpuE4ELNS1_3repE0EEENS1_30default_config_static_selectorELNS0_4arch9wavefront6targetE1EEEvT1_,comdat
.Lfunc_end121:
	.size	_ZN7rocprim17ROCPRIM_400000_NS6detail17trampoline_kernelINS0_14default_configENS1_20scan_config_selectorIfEEZZNS1_9scan_implILNS1_25lookback_scan_determinismE0ELb0ELb0ES3_PKfPffZZZN2at6native31launch_logcumsumexp_cuda_kernelERKNSB_10TensorBaseESF_lENKUlvE_clEvENKUlvE0_clEvEUlffE_fEEDaPvRmT3_T4_T5_mT6_P12ihipStream_tbENKUlT_T0_E_clISt17integral_constantIbLb1EESW_EEDaSR_SS_EUlSR_E_NS1_11comp_targetILNS1_3genE10ELNS1_11target_archE1200ELNS1_3gpuE4ELNS1_3repE0EEENS1_30default_config_static_selectorELNS0_4arch9wavefront6targetE1EEEvT1_, .Lfunc_end121-_ZN7rocprim17ROCPRIM_400000_NS6detail17trampoline_kernelINS0_14default_configENS1_20scan_config_selectorIfEEZZNS1_9scan_implILNS1_25lookback_scan_determinismE0ELb0ELb0ES3_PKfPffZZZN2at6native31launch_logcumsumexp_cuda_kernelERKNSB_10TensorBaseESF_lENKUlvE_clEvENKUlvE0_clEvEUlffE_fEEDaPvRmT3_T4_T5_mT6_P12ihipStream_tbENKUlT_T0_E_clISt17integral_constantIbLb1EESW_EEDaSR_SS_EUlSR_E_NS1_11comp_targetILNS1_3genE10ELNS1_11target_archE1200ELNS1_3gpuE4ELNS1_3repE0EEENS1_30default_config_static_selectorELNS0_4arch9wavefront6targetE1EEEvT1_
                                        ; -- End function
	.set _ZN7rocprim17ROCPRIM_400000_NS6detail17trampoline_kernelINS0_14default_configENS1_20scan_config_selectorIfEEZZNS1_9scan_implILNS1_25lookback_scan_determinismE0ELb0ELb0ES3_PKfPffZZZN2at6native31launch_logcumsumexp_cuda_kernelERKNSB_10TensorBaseESF_lENKUlvE_clEvENKUlvE0_clEvEUlffE_fEEDaPvRmT3_T4_T5_mT6_P12ihipStream_tbENKUlT_T0_E_clISt17integral_constantIbLb1EESW_EEDaSR_SS_EUlSR_E_NS1_11comp_targetILNS1_3genE10ELNS1_11target_archE1200ELNS1_3gpuE4ELNS1_3repE0EEENS1_30default_config_static_selectorELNS0_4arch9wavefront6targetE1EEEvT1_.num_vgpr, 0
	.set _ZN7rocprim17ROCPRIM_400000_NS6detail17trampoline_kernelINS0_14default_configENS1_20scan_config_selectorIfEEZZNS1_9scan_implILNS1_25lookback_scan_determinismE0ELb0ELb0ES3_PKfPffZZZN2at6native31launch_logcumsumexp_cuda_kernelERKNSB_10TensorBaseESF_lENKUlvE_clEvENKUlvE0_clEvEUlffE_fEEDaPvRmT3_T4_T5_mT6_P12ihipStream_tbENKUlT_T0_E_clISt17integral_constantIbLb1EESW_EEDaSR_SS_EUlSR_E_NS1_11comp_targetILNS1_3genE10ELNS1_11target_archE1200ELNS1_3gpuE4ELNS1_3repE0EEENS1_30default_config_static_selectorELNS0_4arch9wavefront6targetE1EEEvT1_.num_agpr, 0
	.set _ZN7rocprim17ROCPRIM_400000_NS6detail17trampoline_kernelINS0_14default_configENS1_20scan_config_selectorIfEEZZNS1_9scan_implILNS1_25lookback_scan_determinismE0ELb0ELb0ES3_PKfPffZZZN2at6native31launch_logcumsumexp_cuda_kernelERKNSB_10TensorBaseESF_lENKUlvE_clEvENKUlvE0_clEvEUlffE_fEEDaPvRmT3_T4_T5_mT6_P12ihipStream_tbENKUlT_T0_E_clISt17integral_constantIbLb1EESW_EEDaSR_SS_EUlSR_E_NS1_11comp_targetILNS1_3genE10ELNS1_11target_archE1200ELNS1_3gpuE4ELNS1_3repE0EEENS1_30default_config_static_selectorELNS0_4arch9wavefront6targetE1EEEvT1_.numbered_sgpr, 0
	.set _ZN7rocprim17ROCPRIM_400000_NS6detail17trampoline_kernelINS0_14default_configENS1_20scan_config_selectorIfEEZZNS1_9scan_implILNS1_25lookback_scan_determinismE0ELb0ELb0ES3_PKfPffZZZN2at6native31launch_logcumsumexp_cuda_kernelERKNSB_10TensorBaseESF_lENKUlvE_clEvENKUlvE0_clEvEUlffE_fEEDaPvRmT3_T4_T5_mT6_P12ihipStream_tbENKUlT_T0_E_clISt17integral_constantIbLb1EESW_EEDaSR_SS_EUlSR_E_NS1_11comp_targetILNS1_3genE10ELNS1_11target_archE1200ELNS1_3gpuE4ELNS1_3repE0EEENS1_30default_config_static_selectorELNS0_4arch9wavefront6targetE1EEEvT1_.num_named_barrier, 0
	.set _ZN7rocprim17ROCPRIM_400000_NS6detail17trampoline_kernelINS0_14default_configENS1_20scan_config_selectorIfEEZZNS1_9scan_implILNS1_25lookback_scan_determinismE0ELb0ELb0ES3_PKfPffZZZN2at6native31launch_logcumsumexp_cuda_kernelERKNSB_10TensorBaseESF_lENKUlvE_clEvENKUlvE0_clEvEUlffE_fEEDaPvRmT3_T4_T5_mT6_P12ihipStream_tbENKUlT_T0_E_clISt17integral_constantIbLb1EESW_EEDaSR_SS_EUlSR_E_NS1_11comp_targetILNS1_3genE10ELNS1_11target_archE1200ELNS1_3gpuE4ELNS1_3repE0EEENS1_30default_config_static_selectorELNS0_4arch9wavefront6targetE1EEEvT1_.private_seg_size, 0
	.set _ZN7rocprim17ROCPRIM_400000_NS6detail17trampoline_kernelINS0_14default_configENS1_20scan_config_selectorIfEEZZNS1_9scan_implILNS1_25lookback_scan_determinismE0ELb0ELb0ES3_PKfPffZZZN2at6native31launch_logcumsumexp_cuda_kernelERKNSB_10TensorBaseESF_lENKUlvE_clEvENKUlvE0_clEvEUlffE_fEEDaPvRmT3_T4_T5_mT6_P12ihipStream_tbENKUlT_T0_E_clISt17integral_constantIbLb1EESW_EEDaSR_SS_EUlSR_E_NS1_11comp_targetILNS1_3genE10ELNS1_11target_archE1200ELNS1_3gpuE4ELNS1_3repE0EEENS1_30default_config_static_selectorELNS0_4arch9wavefront6targetE1EEEvT1_.uses_vcc, 0
	.set _ZN7rocprim17ROCPRIM_400000_NS6detail17trampoline_kernelINS0_14default_configENS1_20scan_config_selectorIfEEZZNS1_9scan_implILNS1_25lookback_scan_determinismE0ELb0ELb0ES3_PKfPffZZZN2at6native31launch_logcumsumexp_cuda_kernelERKNSB_10TensorBaseESF_lENKUlvE_clEvENKUlvE0_clEvEUlffE_fEEDaPvRmT3_T4_T5_mT6_P12ihipStream_tbENKUlT_T0_E_clISt17integral_constantIbLb1EESW_EEDaSR_SS_EUlSR_E_NS1_11comp_targetILNS1_3genE10ELNS1_11target_archE1200ELNS1_3gpuE4ELNS1_3repE0EEENS1_30default_config_static_selectorELNS0_4arch9wavefront6targetE1EEEvT1_.uses_flat_scratch, 0
	.set _ZN7rocprim17ROCPRIM_400000_NS6detail17trampoline_kernelINS0_14default_configENS1_20scan_config_selectorIfEEZZNS1_9scan_implILNS1_25lookback_scan_determinismE0ELb0ELb0ES3_PKfPffZZZN2at6native31launch_logcumsumexp_cuda_kernelERKNSB_10TensorBaseESF_lENKUlvE_clEvENKUlvE0_clEvEUlffE_fEEDaPvRmT3_T4_T5_mT6_P12ihipStream_tbENKUlT_T0_E_clISt17integral_constantIbLb1EESW_EEDaSR_SS_EUlSR_E_NS1_11comp_targetILNS1_3genE10ELNS1_11target_archE1200ELNS1_3gpuE4ELNS1_3repE0EEENS1_30default_config_static_selectorELNS0_4arch9wavefront6targetE1EEEvT1_.has_dyn_sized_stack, 0
	.set _ZN7rocprim17ROCPRIM_400000_NS6detail17trampoline_kernelINS0_14default_configENS1_20scan_config_selectorIfEEZZNS1_9scan_implILNS1_25lookback_scan_determinismE0ELb0ELb0ES3_PKfPffZZZN2at6native31launch_logcumsumexp_cuda_kernelERKNSB_10TensorBaseESF_lENKUlvE_clEvENKUlvE0_clEvEUlffE_fEEDaPvRmT3_T4_T5_mT6_P12ihipStream_tbENKUlT_T0_E_clISt17integral_constantIbLb1EESW_EEDaSR_SS_EUlSR_E_NS1_11comp_targetILNS1_3genE10ELNS1_11target_archE1200ELNS1_3gpuE4ELNS1_3repE0EEENS1_30default_config_static_selectorELNS0_4arch9wavefront6targetE1EEEvT1_.has_recursion, 0
	.set _ZN7rocprim17ROCPRIM_400000_NS6detail17trampoline_kernelINS0_14default_configENS1_20scan_config_selectorIfEEZZNS1_9scan_implILNS1_25lookback_scan_determinismE0ELb0ELb0ES3_PKfPffZZZN2at6native31launch_logcumsumexp_cuda_kernelERKNSB_10TensorBaseESF_lENKUlvE_clEvENKUlvE0_clEvEUlffE_fEEDaPvRmT3_T4_T5_mT6_P12ihipStream_tbENKUlT_T0_E_clISt17integral_constantIbLb1EESW_EEDaSR_SS_EUlSR_E_NS1_11comp_targetILNS1_3genE10ELNS1_11target_archE1200ELNS1_3gpuE4ELNS1_3repE0EEENS1_30default_config_static_selectorELNS0_4arch9wavefront6targetE1EEEvT1_.has_indirect_call, 0
	.section	.AMDGPU.csdata,"",@progbits
; Kernel info:
; codeLenInByte = 0
; TotalNumSgprs: 6
; NumVgprs: 0
; NumAgprs: 0
; TotalNumVgprs: 0
; ScratchSize: 0
; MemoryBound: 0
; FloatMode: 240
; IeeeMode: 1
; LDSByteSize: 0 bytes/workgroup (compile time only)
; SGPRBlocks: 0
; VGPRBlocks: 0
; NumSGPRsForWavesPerEU: 6
; NumVGPRsForWavesPerEU: 1
; AccumOffset: 4
; Occupancy: 8
; WaveLimiterHint : 0
; COMPUTE_PGM_RSRC2:SCRATCH_EN: 0
; COMPUTE_PGM_RSRC2:USER_SGPR: 2
; COMPUTE_PGM_RSRC2:TRAP_HANDLER: 0
; COMPUTE_PGM_RSRC2:TGID_X_EN: 1
; COMPUTE_PGM_RSRC2:TGID_Y_EN: 0
; COMPUTE_PGM_RSRC2:TGID_Z_EN: 0
; COMPUTE_PGM_RSRC2:TIDIG_COMP_CNT: 0
; COMPUTE_PGM_RSRC3_GFX90A:ACCUM_OFFSET: 0
; COMPUTE_PGM_RSRC3_GFX90A:TG_SPLIT: 0
	.section	.text._ZN7rocprim17ROCPRIM_400000_NS6detail17trampoline_kernelINS0_14default_configENS1_20scan_config_selectorIfEEZZNS1_9scan_implILNS1_25lookback_scan_determinismE0ELb0ELb0ES3_PKfPffZZZN2at6native31launch_logcumsumexp_cuda_kernelERKNSB_10TensorBaseESF_lENKUlvE_clEvENKUlvE0_clEvEUlffE_fEEDaPvRmT3_T4_T5_mT6_P12ihipStream_tbENKUlT_T0_E_clISt17integral_constantIbLb1EESW_EEDaSR_SS_EUlSR_E_NS1_11comp_targetILNS1_3genE9ELNS1_11target_archE1100ELNS1_3gpuE3ELNS1_3repE0EEENS1_30default_config_static_selectorELNS0_4arch9wavefront6targetE1EEEvT1_,"axG",@progbits,_ZN7rocprim17ROCPRIM_400000_NS6detail17trampoline_kernelINS0_14default_configENS1_20scan_config_selectorIfEEZZNS1_9scan_implILNS1_25lookback_scan_determinismE0ELb0ELb0ES3_PKfPffZZZN2at6native31launch_logcumsumexp_cuda_kernelERKNSB_10TensorBaseESF_lENKUlvE_clEvENKUlvE0_clEvEUlffE_fEEDaPvRmT3_T4_T5_mT6_P12ihipStream_tbENKUlT_T0_E_clISt17integral_constantIbLb1EESW_EEDaSR_SS_EUlSR_E_NS1_11comp_targetILNS1_3genE9ELNS1_11target_archE1100ELNS1_3gpuE3ELNS1_3repE0EEENS1_30default_config_static_selectorELNS0_4arch9wavefront6targetE1EEEvT1_,comdat
	.globl	_ZN7rocprim17ROCPRIM_400000_NS6detail17trampoline_kernelINS0_14default_configENS1_20scan_config_selectorIfEEZZNS1_9scan_implILNS1_25lookback_scan_determinismE0ELb0ELb0ES3_PKfPffZZZN2at6native31launch_logcumsumexp_cuda_kernelERKNSB_10TensorBaseESF_lENKUlvE_clEvENKUlvE0_clEvEUlffE_fEEDaPvRmT3_T4_T5_mT6_P12ihipStream_tbENKUlT_T0_E_clISt17integral_constantIbLb1EESW_EEDaSR_SS_EUlSR_E_NS1_11comp_targetILNS1_3genE9ELNS1_11target_archE1100ELNS1_3gpuE3ELNS1_3repE0EEENS1_30default_config_static_selectorELNS0_4arch9wavefront6targetE1EEEvT1_ ; -- Begin function _ZN7rocprim17ROCPRIM_400000_NS6detail17trampoline_kernelINS0_14default_configENS1_20scan_config_selectorIfEEZZNS1_9scan_implILNS1_25lookback_scan_determinismE0ELb0ELb0ES3_PKfPffZZZN2at6native31launch_logcumsumexp_cuda_kernelERKNSB_10TensorBaseESF_lENKUlvE_clEvENKUlvE0_clEvEUlffE_fEEDaPvRmT3_T4_T5_mT6_P12ihipStream_tbENKUlT_T0_E_clISt17integral_constantIbLb1EESW_EEDaSR_SS_EUlSR_E_NS1_11comp_targetILNS1_3genE9ELNS1_11target_archE1100ELNS1_3gpuE3ELNS1_3repE0EEENS1_30default_config_static_selectorELNS0_4arch9wavefront6targetE1EEEvT1_
	.p2align	8
	.type	_ZN7rocprim17ROCPRIM_400000_NS6detail17trampoline_kernelINS0_14default_configENS1_20scan_config_selectorIfEEZZNS1_9scan_implILNS1_25lookback_scan_determinismE0ELb0ELb0ES3_PKfPffZZZN2at6native31launch_logcumsumexp_cuda_kernelERKNSB_10TensorBaseESF_lENKUlvE_clEvENKUlvE0_clEvEUlffE_fEEDaPvRmT3_T4_T5_mT6_P12ihipStream_tbENKUlT_T0_E_clISt17integral_constantIbLb1EESW_EEDaSR_SS_EUlSR_E_NS1_11comp_targetILNS1_3genE9ELNS1_11target_archE1100ELNS1_3gpuE3ELNS1_3repE0EEENS1_30default_config_static_selectorELNS0_4arch9wavefront6targetE1EEEvT1_,@function
_ZN7rocprim17ROCPRIM_400000_NS6detail17trampoline_kernelINS0_14default_configENS1_20scan_config_selectorIfEEZZNS1_9scan_implILNS1_25lookback_scan_determinismE0ELb0ELb0ES3_PKfPffZZZN2at6native31launch_logcumsumexp_cuda_kernelERKNSB_10TensorBaseESF_lENKUlvE_clEvENKUlvE0_clEvEUlffE_fEEDaPvRmT3_T4_T5_mT6_P12ihipStream_tbENKUlT_T0_E_clISt17integral_constantIbLb1EESW_EEDaSR_SS_EUlSR_E_NS1_11comp_targetILNS1_3genE9ELNS1_11target_archE1100ELNS1_3gpuE3ELNS1_3repE0EEENS1_30default_config_static_selectorELNS0_4arch9wavefront6targetE1EEEvT1_: ; @_ZN7rocprim17ROCPRIM_400000_NS6detail17trampoline_kernelINS0_14default_configENS1_20scan_config_selectorIfEEZZNS1_9scan_implILNS1_25lookback_scan_determinismE0ELb0ELb0ES3_PKfPffZZZN2at6native31launch_logcumsumexp_cuda_kernelERKNSB_10TensorBaseESF_lENKUlvE_clEvENKUlvE0_clEvEUlffE_fEEDaPvRmT3_T4_T5_mT6_P12ihipStream_tbENKUlT_T0_E_clISt17integral_constantIbLb1EESW_EEDaSR_SS_EUlSR_E_NS1_11comp_targetILNS1_3genE9ELNS1_11target_archE1100ELNS1_3gpuE3ELNS1_3repE0EEENS1_30default_config_static_selectorELNS0_4arch9wavefront6targetE1EEEvT1_
; %bb.0:
	.section	.rodata,"a",@progbits
	.p2align	6, 0x0
	.amdhsa_kernel _ZN7rocprim17ROCPRIM_400000_NS6detail17trampoline_kernelINS0_14default_configENS1_20scan_config_selectorIfEEZZNS1_9scan_implILNS1_25lookback_scan_determinismE0ELb0ELb0ES3_PKfPffZZZN2at6native31launch_logcumsumexp_cuda_kernelERKNSB_10TensorBaseESF_lENKUlvE_clEvENKUlvE0_clEvEUlffE_fEEDaPvRmT3_T4_T5_mT6_P12ihipStream_tbENKUlT_T0_E_clISt17integral_constantIbLb1EESW_EEDaSR_SS_EUlSR_E_NS1_11comp_targetILNS1_3genE9ELNS1_11target_archE1100ELNS1_3gpuE3ELNS1_3repE0EEENS1_30default_config_static_selectorELNS0_4arch9wavefront6targetE1EEEvT1_
		.amdhsa_group_segment_fixed_size 0
		.amdhsa_private_segment_fixed_size 0
		.amdhsa_kernarg_size 96
		.amdhsa_user_sgpr_count 2
		.amdhsa_user_sgpr_dispatch_ptr 0
		.amdhsa_user_sgpr_queue_ptr 0
		.amdhsa_user_sgpr_kernarg_segment_ptr 1
		.amdhsa_user_sgpr_dispatch_id 0
		.amdhsa_user_sgpr_kernarg_preload_length 0
		.amdhsa_user_sgpr_kernarg_preload_offset 0
		.amdhsa_user_sgpr_private_segment_size 0
		.amdhsa_uses_dynamic_stack 0
		.amdhsa_enable_private_segment 0
		.amdhsa_system_sgpr_workgroup_id_x 1
		.amdhsa_system_sgpr_workgroup_id_y 0
		.amdhsa_system_sgpr_workgroup_id_z 0
		.amdhsa_system_sgpr_workgroup_info 0
		.amdhsa_system_vgpr_workitem_id 0
		.amdhsa_next_free_vgpr 1
		.amdhsa_next_free_sgpr 0
		.amdhsa_accum_offset 4
		.amdhsa_reserve_vcc 0
		.amdhsa_float_round_mode_32 0
		.amdhsa_float_round_mode_16_64 0
		.amdhsa_float_denorm_mode_32 3
		.amdhsa_float_denorm_mode_16_64 3
		.amdhsa_dx10_clamp 1
		.amdhsa_ieee_mode 1
		.amdhsa_fp16_overflow 0
		.amdhsa_tg_split 0
		.amdhsa_exception_fp_ieee_invalid_op 0
		.amdhsa_exception_fp_denorm_src 0
		.amdhsa_exception_fp_ieee_div_zero 0
		.amdhsa_exception_fp_ieee_overflow 0
		.amdhsa_exception_fp_ieee_underflow 0
		.amdhsa_exception_fp_ieee_inexact 0
		.amdhsa_exception_int_div_zero 0
	.end_amdhsa_kernel
	.section	.text._ZN7rocprim17ROCPRIM_400000_NS6detail17trampoline_kernelINS0_14default_configENS1_20scan_config_selectorIfEEZZNS1_9scan_implILNS1_25lookback_scan_determinismE0ELb0ELb0ES3_PKfPffZZZN2at6native31launch_logcumsumexp_cuda_kernelERKNSB_10TensorBaseESF_lENKUlvE_clEvENKUlvE0_clEvEUlffE_fEEDaPvRmT3_T4_T5_mT6_P12ihipStream_tbENKUlT_T0_E_clISt17integral_constantIbLb1EESW_EEDaSR_SS_EUlSR_E_NS1_11comp_targetILNS1_3genE9ELNS1_11target_archE1100ELNS1_3gpuE3ELNS1_3repE0EEENS1_30default_config_static_selectorELNS0_4arch9wavefront6targetE1EEEvT1_,"axG",@progbits,_ZN7rocprim17ROCPRIM_400000_NS6detail17trampoline_kernelINS0_14default_configENS1_20scan_config_selectorIfEEZZNS1_9scan_implILNS1_25lookback_scan_determinismE0ELb0ELb0ES3_PKfPffZZZN2at6native31launch_logcumsumexp_cuda_kernelERKNSB_10TensorBaseESF_lENKUlvE_clEvENKUlvE0_clEvEUlffE_fEEDaPvRmT3_T4_T5_mT6_P12ihipStream_tbENKUlT_T0_E_clISt17integral_constantIbLb1EESW_EEDaSR_SS_EUlSR_E_NS1_11comp_targetILNS1_3genE9ELNS1_11target_archE1100ELNS1_3gpuE3ELNS1_3repE0EEENS1_30default_config_static_selectorELNS0_4arch9wavefront6targetE1EEEvT1_,comdat
.Lfunc_end122:
	.size	_ZN7rocprim17ROCPRIM_400000_NS6detail17trampoline_kernelINS0_14default_configENS1_20scan_config_selectorIfEEZZNS1_9scan_implILNS1_25lookback_scan_determinismE0ELb0ELb0ES3_PKfPffZZZN2at6native31launch_logcumsumexp_cuda_kernelERKNSB_10TensorBaseESF_lENKUlvE_clEvENKUlvE0_clEvEUlffE_fEEDaPvRmT3_T4_T5_mT6_P12ihipStream_tbENKUlT_T0_E_clISt17integral_constantIbLb1EESW_EEDaSR_SS_EUlSR_E_NS1_11comp_targetILNS1_3genE9ELNS1_11target_archE1100ELNS1_3gpuE3ELNS1_3repE0EEENS1_30default_config_static_selectorELNS0_4arch9wavefront6targetE1EEEvT1_, .Lfunc_end122-_ZN7rocprim17ROCPRIM_400000_NS6detail17trampoline_kernelINS0_14default_configENS1_20scan_config_selectorIfEEZZNS1_9scan_implILNS1_25lookback_scan_determinismE0ELb0ELb0ES3_PKfPffZZZN2at6native31launch_logcumsumexp_cuda_kernelERKNSB_10TensorBaseESF_lENKUlvE_clEvENKUlvE0_clEvEUlffE_fEEDaPvRmT3_T4_T5_mT6_P12ihipStream_tbENKUlT_T0_E_clISt17integral_constantIbLb1EESW_EEDaSR_SS_EUlSR_E_NS1_11comp_targetILNS1_3genE9ELNS1_11target_archE1100ELNS1_3gpuE3ELNS1_3repE0EEENS1_30default_config_static_selectorELNS0_4arch9wavefront6targetE1EEEvT1_
                                        ; -- End function
	.set _ZN7rocprim17ROCPRIM_400000_NS6detail17trampoline_kernelINS0_14default_configENS1_20scan_config_selectorIfEEZZNS1_9scan_implILNS1_25lookback_scan_determinismE0ELb0ELb0ES3_PKfPffZZZN2at6native31launch_logcumsumexp_cuda_kernelERKNSB_10TensorBaseESF_lENKUlvE_clEvENKUlvE0_clEvEUlffE_fEEDaPvRmT3_T4_T5_mT6_P12ihipStream_tbENKUlT_T0_E_clISt17integral_constantIbLb1EESW_EEDaSR_SS_EUlSR_E_NS1_11comp_targetILNS1_3genE9ELNS1_11target_archE1100ELNS1_3gpuE3ELNS1_3repE0EEENS1_30default_config_static_selectorELNS0_4arch9wavefront6targetE1EEEvT1_.num_vgpr, 0
	.set _ZN7rocprim17ROCPRIM_400000_NS6detail17trampoline_kernelINS0_14default_configENS1_20scan_config_selectorIfEEZZNS1_9scan_implILNS1_25lookback_scan_determinismE0ELb0ELb0ES3_PKfPffZZZN2at6native31launch_logcumsumexp_cuda_kernelERKNSB_10TensorBaseESF_lENKUlvE_clEvENKUlvE0_clEvEUlffE_fEEDaPvRmT3_T4_T5_mT6_P12ihipStream_tbENKUlT_T0_E_clISt17integral_constantIbLb1EESW_EEDaSR_SS_EUlSR_E_NS1_11comp_targetILNS1_3genE9ELNS1_11target_archE1100ELNS1_3gpuE3ELNS1_3repE0EEENS1_30default_config_static_selectorELNS0_4arch9wavefront6targetE1EEEvT1_.num_agpr, 0
	.set _ZN7rocprim17ROCPRIM_400000_NS6detail17trampoline_kernelINS0_14default_configENS1_20scan_config_selectorIfEEZZNS1_9scan_implILNS1_25lookback_scan_determinismE0ELb0ELb0ES3_PKfPffZZZN2at6native31launch_logcumsumexp_cuda_kernelERKNSB_10TensorBaseESF_lENKUlvE_clEvENKUlvE0_clEvEUlffE_fEEDaPvRmT3_T4_T5_mT6_P12ihipStream_tbENKUlT_T0_E_clISt17integral_constantIbLb1EESW_EEDaSR_SS_EUlSR_E_NS1_11comp_targetILNS1_3genE9ELNS1_11target_archE1100ELNS1_3gpuE3ELNS1_3repE0EEENS1_30default_config_static_selectorELNS0_4arch9wavefront6targetE1EEEvT1_.numbered_sgpr, 0
	.set _ZN7rocprim17ROCPRIM_400000_NS6detail17trampoline_kernelINS0_14default_configENS1_20scan_config_selectorIfEEZZNS1_9scan_implILNS1_25lookback_scan_determinismE0ELb0ELb0ES3_PKfPffZZZN2at6native31launch_logcumsumexp_cuda_kernelERKNSB_10TensorBaseESF_lENKUlvE_clEvENKUlvE0_clEvEUlffE_fEEDaPvRmT3_T4_T5_mT6_P12ihipStream_tbENKUlT_T0_E_clISt17integral_constantIbLb1EESW_EEDaSR_SS_EUlSR_E_NS1_11comp_targetILNS1_3genE9ELNS1_11target_archE1100ELNS1_3gpuE3ELNS1_3repE0EEENS1_30default_config_static_selectorELNS0_4arch9wavefront6targetE1EEEvT1_.num_named_barrier, 0
	.set _ZN7rocprim17ROCPRIM_400000_NS6detail17trampoline_kernelINS0_14default_configENS1_20scan_config_selectorIfEEZZNS1_9scan_implILNS1_25lookback_scan_determinismE0ELb0ELb0ES3_PKfPffZZZN2at6native31launch_logcumsumexp_cuda_kernelERKNSB_10TensorBaseESF_lENKUlvE_clEvENKUlvE0_clEvEUlffE_fEEDaPvRmT3_T4_T5_mT6_P12ihipStream_tbENKUlT_T0_E_clISt17integral_constantIbLb1EESW_EEDaSR_SS_EUlSR_E_NS1_11comp_targetILNS1_3genE9ELNS1_11target_archE1100ELNS1_3gpuE3ELNS1_3repE0EEENS1_30default_config_static_selectorELNS0_4arch9wavefront6targetE1EEEvT1_.private_seg_size, 0
	.set _ZN7rocprim17ROCPRIM_400000_NS6detail17trampoline_kernelINS0_14default_configENS1_20scan_config_selectorIfEEZZNS1_9scan_implILNS1_25lookback_scan_determinismE0ELb0ELb0ES3_PKfPffZZZN2at6native31launch_logcumsumexp_cuda_kernelERKNSB_10TensorBaseESF_lENKUlvE_clEvENKUlvE0_clEvEUlffE_fEEDaPvRmT3_T4_T5_mT6_P12ihipStream_tbENKUlT_T0_E_clISt17integral_constantIbLb1EESW_EEDaSR_SS_EUlSR_E_NS1_11comp_targetILNS1_3genE9ELNS1_11target_archE1100ELNS1_3gpuE3ELNS1_3repE0EEENS1_30default_config_static_selectorELNS0_4arch9wavefront6targetE1EEEvT1_.uses_vcc, 0
	.set _ZN7rocprim17ROCPRIM_400000_NS6detail17trampoline_kernelINS0_14default_configENS1_20scan_config_selectorIfEEZZNS1_9scan_implILNS1_25lookback_scan_determinismE0ELb0ELb0ES3_PKfPffZZZN2at6native31launch_logcumsumexp_cuda_kernelERKNSB_10TensorBaseESF_lENKUlvE_clEvENKUlvE0_clEvEUlffE_fEEDaPvRmT3_T4_T5_mT6_P12ihipStream_tbENKUlT_T0_E_clISt17integral_constantIbLb1EESW_EEDaSR_SS_EUlSR_E_NS1_11comp_targetILNS1_3genE9ELNS1_11target_archE1100ELNS1_3gpuE3ELNS1_3repE0EEENS1_30default_config_static_selectorELNS0_4arch9wavefront6targetE1EEEvT1_.uses_flat_scratch, 0
	.set _ZN7rocprim17ROCPRIM_400000_NS6detail17trampoline_kernelINS0_14default_configENS1_20scan_config_selectorIfEEZZNS1_9scan_implILNS1_25lookback_scan_determinismE0ELb0ELb0ES3_PKfPffZZZN2at6native31launch_logcumsumexp_cuda_kernelERKNSB_10TensorBaseESF_lENKUlvE_clEvENKUlvE0_clEvEUlffE_fEEDaPvRmT3_T4_T5_mT6_P12ihipStream_tbENKUlT_T0_E_clISt17integral_constantIbLb1EESW_EEDaSR_SS_EUlSR_E_NS1_11comp_targetILNS1_3genE9ELNS1_11target_archE1100ELNS1_3gpuE3ELNS1_3repE0EEENS1_30default_config_static_selectorELNS0_4arch9wavefront6targetE1EEEvT1_.has_dyn_sized_stack, 0
	.set _ZN7rocprim17ROCPRIM_400000_NS6detail17trampoline_kernelINS0_14default_configENS1_20scan_config_selectorIfEEZZNS1_9scan_implILNS1_25lookback_scan_determinismE0ELb0ELb0ES3_PKfPffZZZN2at6native31launch_logcumsumexp_cuda_kernelERKNSB_10TensorBaseESF_lENKUlvE_clEvENKUlvE0_clEvEUlffE_fEEDaPvRmT3_T4_T5_mT6_P12ihipStream_tbENKUlT_T0_E_clISt17integral_constantIbLb1EESW_EEDaSR_SS_EUlSR_E_NS1_11comp_targetILNS1_3genE9ELNS1_11target_archE1100ELNS1_3gpuE3ELNS1_3repE0EEENS1_30default_config_static_selectorELNS0_4arch9wavefront6targetE1EEEvT1_.has_recursion, 0
	.set _ZN7rocprim17ROCPRIM_400000_NS6detail17trampoline_kernelINS0_14default_configENS1_20scan_config_selectorIfEEZZNS1_9scan_implILNS1_25lookback_scan_determinismE0ELb0ELb0ES3_PKfPffZZZN2at6native31launch_logcumsumexp_cuda_kernelERKNSB_10TensorBaseESF_lENKUlvE_clEvENKUlvE0_clEvEUlffE_fEEDaPvRmT3_T4_T5_mT6_P12ihipStream_tbENKUlT_T0_E_clISt17integral_constantIbLb1EESW_EEDaSR_SS_EUlSR_E_NS1_11comp_targetILNS1_3genE9ELNS1_11target_archE1100ELNS1_3gpuE3ELNS1_3repE0EEENS1_30default_config_static_selectorELNS0_4arch9wavefront6targetE1EEEvT1_.has_indirect_call, 0
	.section	.AMDGPU.csdata,"",@progbits
; Kernel info:
; codeLenInByte = 0
; TotalNumSgprs: 6
; NumVgprs: 0
; NumAgprs: 0
; TotalNumVgprs: 0
; ScratchSize: 0
; MemoryBound: 0
; FloatMode: 240
; IeeeMode: 1
; LDSByteSize: 0 bytes/workgroup (compile time only)
; SGPRBlocks: 0
; VGPRBlocks: 0
; NumSGPRsForWavesPerEU: 6
; NumVGPRsForWavesPerEU: 1
; AccumOffset: 4
; Occupancy: 8
; WaveLimiterHint : 0
; COMPUTE_PGM_RSRC2:SCRATCH_EN: 0
; COMPUTE_PGM_RSRC2:USER_SGPR: 2
; COMPUTE_PGM_RSRC2:TRAP_HANDLER: 0
; COMPUTE_PGM_RSRC2:TGID_X_EN: 1
; COMPUTE_PGM_RSRC2:TGID_Y_EN: 0
; COMPUTE_PGM_RSRC2:TGID_Z_EN: 0
; COMPUTE_PGM_RSRC2:TIDIG_COMP_CNT: 0
; COMPUTE_PGM_RSRC3_GFX90A:ACCUM_OFFSET: 0
; COMPUTE_PGM_RSRC3_GFX90A:TG_SPLIT: 0
	.section	.text._ZN7rocprim17ROCPRIM_400000_NS6detail17trampoline_kernelINS0_14default_configENS1_20scan_config_selectorIfEEZZNS1_9scan_implILNS1_25lookback_scan_determinismE0ELb0ELb0ES3_PKfPffZZZN2at6native31launch_logcumsumexp_cuda_kernelERKNSB_10TensorBaseESF_lENKUlvE_clEvENKUlvE0_clEvEUlffE_fEEDaPvRmT3_T4_T5_mT6_P12ihipStream_tbENKUlT_T0_E_clISt17integral_constantIbLb1EESW_EEDaSR_SS_EUlSR_E_NS1_11comp_targetILNS1_3genE8ELNS1_11target_archE1030ELNS1_3gpuE2ELNS1_3repE0EEENS1_30default_config_static_selectorELNS0_4arch9wavefront6targetE1EEEvT1_,"axG",@progbits,_ZN7rocprim17ROCPRIM_400000_NS6detail17trampoline_kernelINS0_14default_configENS1_20scan_config_selectorIfEEZZNS1_9scan_implILNS1_25lookback_scan_determinismE0ELb0ELb0ES3_PKfPffZZZN2at6native31launch_logcumsumexp_cuda_kernelERKNSB_10TensorBaseESF_lENKUlvE_clEvENKUlvE0_clEvEUlffE_fEEDaPvRmT3_T4_T5_mT6_P12ihipStream_tbENKUlT_T0_E_clISt17integral_constantIbLb1EESW_EEDaSR_SS_EUlSR_E_NS1_11comp_targetILNS1_3genE8ELNS1_11target_archE1030ELNS1_3gpuE2ELNS1_3repE0EEENS1_30default_config_static_selectorELNS0_4arch9wavefront6targetE1EEEvT1_,comdat
	.globl	_ZN7rocprim17ROCPRIM_400000_NS6detail17trampoline_kernelINS0_14default_configENS1_20scan_config_selectorIfEEZZNS1_9scan_implILNS1_25lookback_scan_determinismE0ELb0ELb0ES3_PKfPffZZZN2at6native31launch_logcumsumexp_cuda_kernelERKNSB_10TensorBaseESF_lENKUlvE_clEvENKUlvE0_clEvEUlffE_fEEDaPvRmT3_T4_T5_mT6_P12ihipStream_tbENKUlT_T0_E_clISt17integral_constantIbLb1EESW_EEDaSR_SS_EUlSR_E_NS1_11comp_targetILNS1_3genE8ELNS1_11target_archE1030ELNS1_3gpuE2ELNS1_3repE0EEENS1_30default_config_static_selectorELNS0_4arch9wavefront6targetE1EEEvT1_ ; -- Begin function _ZN7rocprim17ROCPRIM_400000_NS6detail17trampoline_kernelINS0_14default_configENS1_20scan_config_selectorIfEEZZNS1_9scan_implILNS1_25lookback_scan_determinismE0ELb0ELb0ES3_PKfPffZZZN2at6native31launch_logcumsumexp_cuda_kernelERKNSB_10TensorBaseESF_lENKUlvE_clEvENKUlvE0_clEvEUlffE_fEEDaPvRmT3_T4_T5_mT6_P12ihipStream_tbENKUlT_T0_E_clISt17integral_constantIbLb1EESW_EEDaSR_SS_EUlSR_E_NS1_11comp_targetILNS1_3genE8ELNS1_11target_archE1030ELNS1_3gpuE2ELNS1_3repE0EEENS1_30default_config_static_selectorELNS0_4arch9wavefront6targetE1EEEvT1_
	.p2align	8
	.type	_ZN7rocprim17ROCPRIM_400000_NS6detail17trampoline_kernelINS0_14default_configENS1_20scan_config_selectorIfEEZZNS1_9scan_implILNS1_25lookback_scan_determinismE0ELb0ELb0ES3_PKfPffZZZN2at6native31launch_logcumsumexp_cuda_kernelERKNSB_10TensorBaseESF_lENKUlvE_clEvENKUlvE0_clEvEUlffE_fEEDaPvRmT3_T4_T5_mT6_P12ihipStream_tbENKUlT_T0_E_clISt17integral_constantIbLb1EESW_EEDaSR_SS_EUlSR_E_NS1_11comp_targetILNS1_3genE8ELNS1_11target_archE1030ELNS1_3gpuE2ELNS1_3repE0EEENS1_30default_config_static_selectorELNS0_4arch9wavefront6targetE1EEEvT1_,@function
_ZN7rocprim17ROCPRIM_400000_NS6detail17trampoline_kernelINS0_14default_configENS1_20scan_config_selectorIfEEZZNS1_9scan_implILNS1_25lookback_scan_determinismE0ELb0ELb0ES3_PKfPffZZZN2at6native31launch_logcumsumexp_cuda_kernelERKNSB_10TensorBaseESF_lENKUlvE_clEvENKUlvE0_clEvEUlffE_fEEDaPvRmT3_T4_T5_mT6_P12ihipStream_tbENKUlT_T0_E_clISt17integral_constantIbLb1EESW_EEDaSR_SS_EUlSR_E_NS1_11comp_targetILNS1_3genE8ELNS1_11target_archE1030ELNS1_3gpuE2ELNS1_3repE0EEENS1_30default_config_static_selectorELNS0_4arch9wavefront6targetE1EEEvT1_: ; @_ZN7rocprim17ROCPRIM_400000_NS6detail17trampoline_kernelINS0_14default_configENS1_20scan_config_selectorIfEEZZNS1_9scan_implILNS1_25lookback_scan_determinismE0ELb0ELb0ES3_PKfPffZZZN2at6native31launch_logcumsumexp_cuda_kernelERKNSB_10TensorBaseESF_lENKUlvE_clEvENKUlvE0_clEvEUlffE_fEEDaPvRmT3_T4_T5_mT6_P12ihipStream_tbENKUlT_T0_E_clISt17integral_constantIbLb1EESW_EEDaSR_SS_EUlSR_E_NS1_11comp_targetILNS1_3genE8ELNS1_11target_archE1030ELNS1_3gpuE2ELNS1_3repE0EEENS1_30default_config_static_selectorELNS0_4arch9wavefront6targetE1EEEvT1_
; %bb.0:
	.section	.rodata,"a",@progbits
	.p2align	6, 0x0
	.amdhsa_kernel _ZN7rocprim17ROCPRIM_400000_NS6detail17trampoline_kernelINS0_14default_configENS1_20scan_config_selectorIfEEZZNS1_9scan_implILNS1_25lookback_scan_determinismE0ELb0ELb0ES3_PKfPffZZZN2at6native31launch_logcumsumexp_cuda_kernelERKNSB_10TensorBaseESF_lENKUlvE_clEvENKUlvE0_clEvEUlffE_fEEDaPvRmT3_T4_T5_mT6_P12ihipStream_tbENKUlT_T0_E_clISt17integral_constantIbLb1EESW_EEDaSR_SS_EUlSR_E_NS1_11comp_targetILNS1_3genE8ELNS1_11target_archE1030ELNS1_3gpuE2ELNS1_3repE0EEENS1_30default_config_static_selectorELNS0_4arch9wavefront6targetE1EEEvT1_
		.amdhsa_group_segment_fixed_size 0
		.amdhsa_private_segment_fixed_size 0
		.amdhsa_kernarg_size 96
		.amdhsa_user_sgpr_count 2
		.amdhsa_user_sgpr_dispatch_ptr 0
		.amdhsa_user_sgpr_queue_ptr 0
		.amdhsa_user_sgpr_kernarg_segment_ptr 1
		.amdhsa_user_sgpr_dispatch_id 0
		.amdhsa_user_sgpr_kernarg_preload_length 0
		.amdhsa_user_sgpr_kernarg_preload_offset 0
		.amdhsa_user_sgpr_private_segment_size 0
		.amdhsa_uses_dynamic_stack 0
		.amdhsa_enable_private_segment 0
		.amdhsa_system_sgpr_workgroup_id_x 1
		.amdhsa_system_sgpr_workgroup_id_y 0
		.amdhsa_system_sgpr_workgroup_id_z 0
		.amdhsa_system_sgpr_workgroup_info 0
		.amdhsa_system_vgpr_workitem_id 0
		.amdhsa_next_free_vgpr 1
		.amdhsa_next_free_sgpr 0
		.amdhsa_accum_offset 4
		.amdhsa_reserve_vcc 0
		.amdhsa_float_round_mode_32 0
		.amdhsa_float_round_mode_16_64 0
		.amdhsa_float_denorm_mode_32 3
		.amdhsa_float_denorm_mode_16_64 3
		.amdhsa_dx10_clamp 1
		.amdhsa_ieee_mode 1
		.amdhsa_fp16_overflow 0
		.amdhsa_tg_split 0
		.amdhsa_exception_fp_ieee_invalid_op 0
		.amdhsa_exception_fp_denorm_src 0
		.amdhsa_exception_fp_ieee_div_zero 0
		.amdhsa_exception_fp_ieee_overflow 0
		.amdhsa_exception_fp_ieee_underflow 0
		.amdhsa_exception_fp_ieee_inexact 0
		.amdhsa_exception_int_div_zero 0
	.end_amdhsa_kernel
	.section	.text._ZN7rocprim17ROCPRIM_400000_NS6detail17trampoline_kernelINS0_14default_configENS1_20scan_config_selectorIfEEZZNS1_9scan_implILNS1_25lookback_scan_determinismE0ELb0ELb0ES3_PKfPffZZZN2at6native31launch_logcumsumexp_cuda_kernelERKNSB_10TensorBaseESF_lENKUlvE_clEvENKUlvE0_clEvEUlffE_fEEDaPvRmT3_T4_T5_mT6_P12ihipStream_tbENKUlT_T0_E_clISt17integral_constantIbLb1EESW_EEDaSR_SS_EUlSR_E_NS1_11comp_targetILNS1_3genE8ELNS1_11target_archE1030ELNS1_3gpuE2ELNS1_3repE0EEENS1_30default_config_static_selectorELNS0_4arch9wavefront6targetE1EEEvT1_,"axG",@progbits,_ZN7rocprim17ROCPRIM_400000_NS6detail17trampoline_kernelINS0_14default_configENS1_20scan_config_selectorIfEEZZNS1_9scan_implILNS1_25lookback_scan_determinismE0ELb0ELb0ES3_PKfPffZZZN2at6native31launch_logcumsumexp_cuda_kernelERKNSB_10TensorBaseESF_lENKUlvE_clEvENKUlvE0_clEvEUlffE_fEEDaPvRmT3_T4_T5_mT6_P12ihipStream_tbENKUlT_T0_E_clISt17integral_constantIbLb1EESW_EEDaSR_SS_EUlSR_E_NS1_11comp_targetILNS1_3genE8ELNS1_11target_archE1030ELNS1_3gpuE2ELNS1_3repE0EEENS1_30default_config_static_selectorELNS0_4arch9wavefront6targetE1EEEvT1_,comdat
.Lfunc_end123:
	.size	_ZN7rocprim17ROCPRIM_400000_NS6detail17trampoline_kernelINS0_14default_configENS1_20scan_config_selectorIfEEZZNS1_9scan_implILNS1_25lookback_scan_determinismE0ELb0ELb0ES3_PKfPffZZZN2at6native31launch_logcumsumexp_cuda_kernelERKNSB_10TensorBaseESF_lENKUlvE_clEvENKUlvE0_clEvEUlffE_fEEDaPvRmT3_T4_T5_mT6_P12ihipStream_tbENKUlT_T0_E_clISt17integral_constantIbLb1EESW_EEDaSR_SS_EUlSR_E_NS1_11comp_targetILNS1_3genE8ELNS1_11target_archE1030ELNS1_3gpuE2ELNS1_3repE0EEENS1_30default_config_static_selectorELNS0_4arch9wavefront6targetE1EEEvT1_, .Lfunc_end123-_ZN7rocprim17ROCPRIM_400000_NS6detail17trampoline_kernelINS0_14default_configENS1_20scan_config_selectorIfEEZZNS1_9scan_implILNS1_25lookback_scan_determinismE0ELb0ELb0ES3_PKfPffZZZN2at6native31launch_logcumsumexp_cuda_kernelERKNSB_10TensorBaseESF_lENKUlvE_clEvENKUlvE0_clEvEUlffE_fEEDaPvRmT3_T4_T5_mT6_P12ihipStream_tbENKUlT_T0_E_clISt17integral_constantIbLb1EESW_EEDaSR_SS_EUlSR_E_NS1_11comp_targetILNS1_3genE8ELNS1_11target_archE1030ELNS1_3gpuE2ELNS1_3repE0EEENS1_30default_config_static_selectorELNS0_4arch9wavefront6targetE1EEEvT1_
                                        ; -- End function
	.set _ZN7rocprim17ROCPRIM_400000_NS6detail17trampoline_kernelINS0_14default_configENS1_20scan_config_selectorIfEEZZNS1_9scan_implILNS1_25lookback_scan_determinismE0ELb0ELb0ES3_PKfPffZZZN2at6native31launch_logcumsumexp_cuda_kernelERKNSB_10TensorBaseESF_lENKUlvE_clEvENKUlvE0_clEvEUlffE_fEEDaPvRmT3_T4_T5_mT6_P12ihipStream_tbENKUlT_T0_E_clISt17integral_constantIbLb1EESW_EEDaSR_SS_EUlSR_E_NS1_11comp_targetILNS1_3genE8ELNS1_11target_archE1030ELNS1_3gpuE2ELNS1_3repE0EEENS1_30default_config_static_selectorELNS0_4arch9wavefront6targetE1EEEvT1_.num_vgpr, 0
	.set _ZN7rocprim17ROCPRIM_400000_NS6detail17trampoline_kernelINS0_14default_configENS1_20scan_config_selectorIfEEZZNS1_9scan_implILNS1_25lookback_scan_determinismE0ELb0ELb0ES3_PKfPffZZZN2at6native31launch_logcumsumexp_cuda_kernelERKNSB_10TensorBaseESF_lENKUlvE_clEvENKUlvE0_clEvEUlffE_fEEDaPvRmT3_T4_T5_mT6_P12ihipStream_tbENKUlT_T0_E_clISt17integral_constantIbLb1EESW_EEDaSR_SS_EUlSR_E_NS1_11comp_targetILNS1_3genE8ELNS1_11target_archE1030ELNS1_3gpuE2ELNS1_3repE0EEENS1_30default_config_static_selectorELNS0_4arch9wavefront6targetE1EEEvT1_.num_agpr, 0
	.set _ZN7rocprim17ROCPRIM_400000_NS6detail17trampoline_kernelINS0_14default_configENS1_20scan_config_selectorIfEEZZNS1_9scan_implILNS1_25lookback_scan_determinismE0ELb0ELb0ES3_PKfPffZZZN2at6native31launch_logcumsumexp_cuda_kernelERKNSB_10TensorBaseESF_lENKUlvE_clEvENKUlvE0_clEvEUlffE_fEEDaPvRmT3_T4_T5_mT6_P12ihipStream_tbENKUlT_T0_E_clISt17integral_constantIbLb1EESW_EEDaSR_SS_EUlSR_E_NS1_11comp_targetILNS1_3genE8ELNS1_11target_archE1030ELNS1_3gpuE2ELNS1_3repE0EEENS1_30default_config_static_selectorELNS0_4arch9wavefront6targetE1EEEvT1_.numbered_sgpr, 0
	.set _ZN7rocprim17ROCPRIM_400000_NS6detail17trampoline_kernelINS0_14default_configENS1_20scan_config_selectorIfEEZZNS1_9scan_implILNS1_25lookback_scan_determinismE0ELb0ELb0ES3_PKfPffZZZN2at6native31launch_logcumsumexp_cuda_kernelERKNSB_10TensorBaseESF_lENKUlvE_clEvENKUlvE0_clEvEUlffE_fEEDaPvRmT3_T4_T5_mT6_P12ihipStream_tbENKUlT_T0_E_clISt17integral_constantIbLb1EESW_EEDaSR_SS_EUlSR_E_NS1_11comp_targetILNS1_3genE8ELNS1_11target_archE1030ELNS1_3gpuE2ELNS1_3repE0EEENS1_30default_config_static_selectorELNS0_4arch9wavefront6targetE1EEEvT1_.num_named_barrier, 0
	.set _ZN7rocprim17ROCPRIM_400000_NS6detail17trampoline_kernelINS0_14default_configENS1_20scan_config_selectorIfEEZZNS1_9scan_implILNS1_25lookback_scan_determinismE0ELb0ELb0ES3_PKfPffZZZN2at6native31launch_logcumsumexp_cuda_kernelERKNSB_10TensorBaseESF_lENKUlvE_clEvENKUlvE0_clEvEUlffE_fEEDaPvRmT3_T4_T5_mT6_P12ihipStream_tbENKUlT_T0_E_clISt17integral_constantIbLb1EESW_EEDaSR_SS_EUlSR_E_NS1_11comp_targetILNS1_3genE8ELNS1_11target_archE1030ELNS1_3gpuE2ELNS1_3repE0EEENS1_30default_config_static_selectorELNS0_4arch9wavefront6targetE1EEEvT1_.private_seg_size, 0
	.set _ZN7rocprim17ROCPRIM_400000_NS6detail17trampoline_kernelINS0_14default_configENS1_20scan_config_selectorIfEEZZNS1_9scan_implILNS1_25lookback_scan_determinismE0ELb0ELb0ES3_PKfPffZZZN2at6native31launch_logcumsumexp_cuda_kernelERKNSB_10TensorBaseESF_lENKUlvE_clEvENKUlvE0_clEvEUlffE_fEEDaPvRmT3_T4_T5_mT6_P12ihipStream_tbENKUlT_T0_E_clISt17integral_constantIbLb1EESW_EEDaSR_SS_EUlSR_E_NS1_11comp_targetILNS1_3genE8ELNS1_11target_archE1030ELNS1_3gpuE2ELNS1_3repE0EEENS1_30default_config_static_selectorELNS0_4arch9wavefront6targetE1EEEvT1_.uses_vcc, 0
	.set _ZN7rocprim17ROCPRIM_400000_NS6detail17trampoline_kernelINS0_14default_configENS1_20scan_config_selectorIfEEZZNS1_9scan_implILNS1_25lookback_scan_determinismE0ELb0ELb0ES3_PKfPffZZZN2at6native31launch_logcumsumexp_cuda_kernelERKNSB_10TensorBaseESF_lENKUlvE_clEvENKUlvE0_clEvEUlffE_fEEDaPvRmT3_T4_T5_mT6_P12ihipStream_tbENKUlT_T0_E_clISt17integral_constantIbLb1EESW_EEDaSR_SS_EUlSR_E_NS1_11comp_targetILNS1_3genE8ELNS1_11target_archE1030ELNS1_3gpuE2ELNS1_3repE0EEENS1_30default_config_static_selectorELNS0_4arch9wavefront6targetE1EEEvT1_.uses_flat_scratch, 0
	.set _ZN7rocprim17ROCPRIM_400000_NS6detail17trampoline_kernelINS0_14default_configENS1_20scan_config_selectorIfEEZZNS1_9scan_implILNS1_25lookback_scan_determinismE0ELb0ELb0ES3_PKfPffZZZN2at6native31launch_logcumsumexp_cuda_kernelERKNSB_10TensorBaseESF_lENKUlvE_clEvENKUlvE0_clEvEUlffE_fEEDaPvRmT3_T4_T5_mT6_P12ihipStream_tbENKUlT_T0_E_clISt17integral_constantIbLb1EESW_EEDaSR_SS_EUlSR_E_NS1_11comp_targetILNS1_3genE8ELNS1_11target_archE1030ELNS1_3gpuE2ELNS1_3repE0EEENS1_30default_config_static_selectorELNS0_4arch9wavefront6targetE1EEEvT1_.has_dyn_sized_stack, 0
	.set _ZN7rocprim17ROCPRIM_400000_NS6detail17trampoline_kernelINS0_14default_configENS1_20scan_config_selectorIfEEZZNS1_9scan_implILNS1_25lookback_scan_determinismE0ELb0ELb0ES3_PKfPffZZZN2at6native31launch_logcumsumexp_cuda_kernelERKNSB_10TensorBaseESF_lENKUlvE_clEvENKUlvE0_clEvEUlffE_fEEDaPvRmT3_T4_T5_mT6_P12ihipStream_tbENKUlT_T0_E_clISt17integral_constantIbLb1EESW_EEDaSR_SS_EUlSR_E_NS1_11comp_targetILNS1_3genE8ELNS1_11target_archE1030ELNS1_3gpuE2ELNS1_3repE0EEENS1_30default_config_static_selectorELNS0_4arch9wavefront6targetE1EEEvT1_.has_recursion, 0
	.set _ZN7rocprim17ROCPRIM_400000_NS6detail17trampoline_kernelINS0_14default_configENS1_20scan_config_selectorIfEEZZNS1_9scan_implILNS1_25lookback_scan_determinismE0ELb0ELb0ES3_PKfPffZZZN2at6native31launch_logcumsumexp_cuda_kernelERKNSB_10TensorBaseESF_lENKUlvE_clEvENKUlvE0_clEvEUlffE_fEEDaPvRmT3_T4_T5_mT6_P12ihipStream_tbENKUlT_T0_E_clISt17integral_constantIbLb1EESW_EEDaSR_SS_EUlSR_E_NS1_11comp_targetILNS1_3genE8ELNS1_11target_archE1030ELNS1_3gpuE2ELNS1_3repE0EEENS1_30default_config_static_selectorELNS0_4arch9wavefront6targetE1EEEvT1_.has_indirect_call, 0
	.section	.AMDGPU.csdata,"",@progbits
; Kernel info:
; codeLenInByte = 0
; TotalNumSgprs: 6
; NumVgprs: 0
; NumAgprs: 0
; TotalNumVgprs: 0
; ScratchSize: 0
; MemoryBound: 0
; FloatMode: 240
; IeeeMode: 1
; LDSByteSize: 0 bytes/workgroup (compile time only)
; SGPRBlocks: 0
; VGPRBlocks: 0
; NumSGPRsForWavesPerEU: 6
; NumVGPRsForWavesPerEU: 1
; AccumOffset: 4
; Occupancy: 8
; WaveLimiterHint : 0
; COMPUTE_PGM_RSRC2:SCRATCH_EN: 0
; COMPUTE_PGM_RSRC2:USER_SGPR: 2
; COMPUTE_PGM_RSRC2:TRAP_HANDLER: 0
; COMPUTE_PGM_RSRC2:TGID_X_EN: 1
; COMPUTE_PGM_RSRC2:TGID_Y_EN: 0
; COMPUTE_PGM_RSRC2:TGID_Z_EN: 0
; COMPUTE_PGM_RSRC2:TIDIG_COMP_CNT: 0
; COMPUTE_PGM_RSRC3_GFX90A:ACCUM_OFFSET: 0
; COMPUTE_PGM_RSRC3_GFX90A:TG_SPLIT: 0
	.section	.text._ZN7rocprim17ROCPRIM_400000_NS6detail17trampoline_kernelINS0_14default_configENS1_20scan_config_selectorIfEEZZNS1_9scan_implILNS1_25lookback_scan_determinismE0ELb0ELb0ES3_PKfPffZZZN2at6native31launch_logcumsumexp_cuda_kernelERKNSB_10TensorBaseESF_lENKUlvE_clEvENKUlvE0_clEvEUlffE_fEEDaPvRmT3_T4_T5_mT6_P12ihipStream_tbENKUlT_T0_E_clISt17integral_constantIbLb1EESW_EEDaSR_SS_EUlSR_E0_NS1_11comp_targetILNS1_3genE0ELNS1_11target_archE4294967295ELNS1_3gpuE0ELNS1_3repE0EEENS1_30default_config_static_selectorELNS0_4arch9wavefront6targetE1EEEvT1_,"axG",@progbits,_ZN7rocprim17ROCPRIM_400000_NS6detail17trampoline_kernelINS0_14default_configENS1_20scan_config_selectorIfEEZZNS1_9scan_implILNS1_25lookback_scan_determinismE0ELb0ELb0ES3_PKfPffZZZN2at6native31launch_logcumsumexp_cuda_kernelERKNSB_10TensorBaseESF_lENKUlvE_clEvENKUlvE0_clEvEUlffE_fEEDaPvRmT3_T4_T5_mT6_P12ihipStream_tbENKUlT_T0_E_clISt17integral_constantIbLb1EESW_EEDaSR_SS_EUlSR_E0_NS1_11comp_targetILNS1_3genE0ELNS1_11target_archE4294967295ELNS1_3gpuE0ELNS1_3repE0EEENS1_30default_config_static_selectorELNS0_4arch9wavefront6targetE1EEEvT1_,comdat
	.globl	_ZN7rocprim17ROCPRIM_400000_NS6detail17trampoline_kernelINS0_14default_configENS1_20scan_config_selectorIfEEZZNS1_9scan_implILNS1_25lookback_scan_determinismE0ELb0ELb0ES3_PKfPffZZZN2at6native31launch_logcumsumexp_cuda_kernelERKNSB_10TensorBaseESF_lENKUlvE_clEvENKUlvE0_clEvEUlffE_fEEDaPvRmT3_T4_T5_mT6_P12ihipStream_tbENKUlT_T0_E_clISt17integral_constantIbLb1EESW_EEDaSR_SS_EUlSR_E0_NS1_11comp_targetILNS1_3genE0ELNS1_11target_archE4294967295ELNS1_3gpuE0ELNS1_3repE0EEENS1_30default_config_static_selectorELNS0_4arch9wavefront6targetE1EEEvT1_ ; -- Begin function _ZN7rocprim17ROCPRIM_400000_NS6detail17trampoline_kernelINS0_14default_configENS1_20scan_config_selectorIfEEZZNS1_9scan_implILNS1_25lookback_scan_determinismE0ELb0ELb0ES3_PKfPffZZZN2at6native31launch_logcumsumexp_cuda_kernelERKNSB_10TensorBaseESF_lENKUlvE_clEvENKUlvE0_clEvEUlffE_fEEDaPvRmT3_T4_T5_mT6_P12ihipStream_tbENKUlT_T0_E_clISt17integral_constantIbLb1EESW_EEDaSR_SS_EUlSR_E0_NS1_11comp_targetILNS1_3genE0ELNS1_11target_archE4294967295ELNS1_3gpuE0ELNS1_3repE0EEENS1_30default_config_static_selectorELNS0_4arch9wavefront6targetE1EEEvT1_
	.p2align	8
	.type	_ZN7rocprim17ROCPRIM_400000_NS6detail17trampoline_kernelINS0_14default_configENS1_20scan_config_selectorIfEEZZNS1_9scan_implILNS1_25lookback_scan_determinismE0ELb0ELb0ES3_PKfPffZZZN2at6native31launch_logcumsumexp_cuda_kernelERKNSB_10TensorBaseESF_lENKUlvE_clEvENKUlvE0_clEvEUlffE_fEEDaPvRmT3_T4_T5_mT6_P12ihipStream_tbENKUlT_T0_E_clISt17integral_constantIbLb1EESW_EEDaSR_SS_EUlSR_E0_NS1_11comp_targetILNS1_3genE0ELNS1_11target_archE4294967295ELNS1_3gpuE0ELNS1_3repE0EEENS1_30default_config_static_selectorELNS0_4arch9wavefront6targetE1EEEvT1_,@function
_ZN7rocprim17ROCPRIM_400000_NS6detail17trampoline_kernelINS0_14default_configENS1_20scan_config_selectorIfEEZZNS1_9scan_implILNS1_25lookback_scan_determinismE0ELb0ELb0ES3_PKfPffZZZN2at6native31launch_logcumsumexp_cuda_kernelERKNSB_10TensorBaseESF_lENKUlvE_clEvENKUlvE0_clEvEUlffE_fEEDaPvRmT3_T4_T5_mT6_P12ihipStream_tbENKUlT_T0_E_clISt17integral_constantIbLb1EESW_EEDaSR_SS_EUlSR_E0_NS1_11comp_targetILNS1_3genE0ELNS1_11target_archE4294967295ELNS1_3gpuE0ELNS1_3repE0EEENS1_30default_config_static_selectorELNS0_4arch9wavefront6targetE1EEEvT1_: ; @_ZN7rocprim17ROCPRIM_400000_NS6detail17trampoline_kernelINS0_14default_configENS1_20scan_config_selectorIfEEZZNS1_9scan_implILNS1_25lookback_scan_determinismE0ELb0ELb0ES3_PKfPffZZZN2at6native31launch_logcumsumexp_cuda_kernelERKNSB_10TensorBaseESF_lENKUlvE_clEvENKUlvE0_clEvEUlffE_fEEDaPvRmT3_T4_T5_mT6_P12ihipStream_tbENKUlT_T0_E_clISt17integral_constantIbLb1EESW_EEDaSR_SS_EUlSR_E0_NS1_11comp_targetILNS1_3genE0ELNS1_11target_archE4294967295ELNS1_3gpuE0ELNS1_3repE0EEENS1_30default_config_static_selectorELNS0_4arch9wavefront6targetE1EEEvT1_
; %bb.0:
	s_load_dwordx4 s[28:31], s[0:1], 0x0
	v_lshlrev_b32_e32 v14, 2, v0
	s_waitcnt lgkmcnt(0)
	s_load_dword s31, s[28:29], 0x0
	v_cmp_gt_u32_e32 vcc, s30, v0
	s_waitcnt lgkmcnt(0)
	v_mov_b32_e32 v1, s31
	s_and_saveexec_b64 s[2:3], vcc
	s_cbranch_execz .LBB124_2
; %bb.1:
	global_load_dword v1, v14, s[28:29]
.LBB124_2:
	s_or_b64 exec, exec, s[2:3]
	v_or_b32_e32 v2, 0x100, v0
	v_cmp_gt_u32_e64 s[26:27], s30, v2
	v_mov_b32_e32 v2, s31
	s_and_saveexec_b64 s[2:3], s[26:27]
	s_cbranch_execz .LBB124_4
; %bb.3:
	global_load_dword v2, v14, s[28:29] offset:1024
.LBB124_4:
	s_or_b64 exec, exec, s[2:3]
	v_or_b32_e32 v3, 0x200, v0
	v_cmp_gt_u32_e64 s[2:3], s30, v3
	v_mov_b32_e32 v3, s31
	s_and_saveexec_b64 s[4:5], s[2:3]
	s_cbranch_execz .LBB124_6
; %bb.5:
	global_load_dword v3, v14, s[28:29] offset:2048
.LBB124_6:
	;; [unrolled: 9-line block ×3, first 2 shown]
	s_or_b64 exec, exec, s[6:7]
	v_or_b32_e32 v6, 0x400, v0
	v_cmp_gt_u32_e64 s[6:7], s30, v6
	v_mov_b32_e32 v5, s31
	s_and_saveexec_b64 s[8:9], s[6:7]
	s_cbranch_execz .LBB124_10
; %bb.9:
	v_lshlrev_b32_e32 v5, 2, v6
	global_load_dword v5, v5, s[28:29]
.LBB124_10:
	s_or_b64 exec, exec, s[8:9]
	v_or_b32_e32 v7, 0x500, v0
	v_cmp_gt_u32_e64 s[8:9], s30, v7
	v_mov_b32_e32 v6, s31
	s_and_saveexec_b64 s[10:11], s[8:9]
	s_cbranch_execz .LBB124_12
; %bb.11:
	v_lshlrev_b32_e32 v6, 2, v7
	global_load_dword v6, v6, s[28:29]
.LBB124_12:
	;; [unrolled: 10-line block ×10, first 2 shown]
	s_or_b64 exec, exec, s[30:31]
	s_waitcnt vmcnt(0)
	ds_write2st64_b32 v14, v1, v2 offset1:4
	ds_write2st64_b32 v14, v3, v4 offset0:8 offset1:12
	ds_write2st64_b32 v14, v5, v6 offset0:16 offset1:20
	;; [unrolled: 1-line block ×6, first 2 shown]
	v_mad_u32_u24 v1, v0, 52, v14
	s_waitcnt lgkmcnt(0)
	s_barrier
	ds_read2_b64 v[2:5], v1 offset1:1
	ds_read2_b64 v[10:13], v1 offset0:2 offset1:3
	ds_read2_b64 v[6:9], v1 offset0:4 offset1:5
	ds_read_b64 v[16:17], v1 offset:48
	s_movk_i32 s33, 0x1f8
	s_waitcnt lgkmcnt(3)
	v_max_f32_e32 v24, v3, v3
	v_max_f32_e32 v32, v2, v2
	v_min_f32_e32 v31, v32, v24
	v_cmp_u_f32_e64 s[56:57], v2, v2
	v_cmp_u_f32_e64 s[28:29], v3, v3
	v_max_f32_e32 v33, v32, v24
	v_cndmask_b32_e64 v1, v31, v2, s[56:57]
	v_cndmask_b32_e64 v15, v1, v3, s[28:29]
	;; [unrolled: 1-line block ×4, first 2 shown]
	v_cmp_neq_f32_e64 s[30:31], v15, v1
	v_cmp_class_f32_e64 s[34:35], v15, s33
	s_or_b64 s[30:31], s[30:31], s[34:35]
	v_mov_b32_e32 v35, v2
	s_waitcnt lgkmcnt(0)
	s_barrier
	s_and_saveexec_b64 s[34:35], s[30:31]
	s_cbranch_execz .LBB124_30
; %bb.29:
	v_sub_f32_e32 v15, v15, v1
	s_mov_b32 s30, 0x3fb8aa3b
	v_mul_f32_e32 v18, 0x3fb8aa3b, v15
	v_fma_f32 v19, v15, s30, -v18
	v_rndne_f32_e32 v20, v18
	v_fmamk_f32 v19, v15, 0x32a5705f, v19
	v_sub_f32_e32 v18, v18, v20
	v_add_f32_e32 v18, v18, v19
	v_exp_f32_e32 v18, v18
	v_cvt_i32_f32_e32 v19, v20
	s_mov_b32 s30, 0xc2ce8ed0
	v_cmp_ngt_f32_e64 s[30:31], s30, v15
	v_mov_b32_e32 v25, 0x7f800000
	v_ldexp_f32 v18, v18, v19
	v_cndmask_b32_e64 v18, 0, v18, s[30:31]
	s_mov_b32 s30, 0x42b17218
	v_cmp_nlt_f32_e64 s[30:31], s30, v15
	s_mov_b32 s36, 0x7f800000
	s_nop 0
	v_cndmask_b32_e64 v15, v25, v18, s[30:31]
	v_add_f32_e32 v20, 1.0, v15
	v_add_f32_e32 v18, -1.0, v20
	v_sub_f32_e32 v19, v18, v20
	v_add_f32_e32 v19, 1.0, v19
	v_sub_f32_e32 v18, v15, v18
	v_add_f32_e32 v21, v18, v19
	v_frexp_mant_f32_e32 v22, v20
	s_mov_b32 s30, 0x3f2aaaab
	v_cvt_f64_f32_e32 v[18:19], v20
	v_frexp_exp_i32_f64_e32 v18, v[18:19]
	v_cmp_gt_f32_e64 s[30:31], s30, v22
	s_nop 1
	v_subbrev_co_u32_e64 v28, s[30:31], 0, v18, s[30:31]
	v_sub_u32_e32 v18, 0, v28
	v_ldexp_f32 v19, v20, v18
	v_add_f32_e32 v20, -1.0, v19
	v_add_f32_e32 v22, 1.0, v19
	v_ldexp_f32 v18, v21, v18
	v_add_f32_e32 v21, 1.0, v20
	v_add_f32_e32 v23, -1.0, v22
	v_sub_f32_e32 v21, v19, v21
	v_sub_f32_e32 v19, v19, v23
	v_add_f32_e32 v21, v18, v21
	v_add_f32_e32 v18, v18, v19
	v_add_f32_e32 v29, v22, v18
	v_rcp_f32_e32 v34, v29
	v_sub_f32_e32 v19, v22, v29
	v_add_f32_e32 v30, v18, v19
	v_add_f32_e32 v19, v20, v21
	v_mul_f32_e32 v36, v19, v34
	v_sub_f32_e32 v18, v20, v19
	v_mul_f32_e32 v20, v29, v36
	v_fma_f32 v22, v36, v29, -v20
	v_fmac_f32_e32 v22, v36, v30
	v_add_f32_e32 v35, v21, v18
	v_add_f32_e32 v18, v20, v22
	v_sub_f32_e32 v21, v19, v18
	v_pk_add_f32 v[26:27], v[18:19], v[20:21] neg_lo:[0,1] neg_hi:[0,1]
	v_mov_b32_e32 v23, v18
	v_pk_add_f32 v[18:19], v[26:27], v[22:23] neg_lo:[0,1] neg_hi:[0,1]
	s_mov_b32 s30, 0x3f317218
	v_add_f32_e32 v19, v35, v19
	v_add_f32_e32 v18, v18, v19
	v_add_f32_e32 v19, v21, v18
	v_mul_f32_e32 v35, v34, v19
	v_mul_f32_e32 v20, v29, v35
	v_fma_f32 v22, v35, v29, -v20
	v_fmac_f32_e32 v22, v35, v30
	v_sub_f32_e32 v21, v21, v19
	v_add_f32_e32 v29, v18, v21
	v_add_f32_e32 v18, v20, v22
	v_sub_f32_e32 v21, v19, v18
	v_pk_add_f32 v[26:27], v[18:19], v[20:21] neg_lo:[0,1] neg_hi:[0,1]
	v_mov_b32_e32 v23, v18
	v_pk_add_f32 v[18:19], v[26:27], v[22:23] neg_lo:[0,1] neg_hi:[0,1]
	v_cvt_f32_i32_e32 v20, v28
	v_add_f32_e32 v19, v29, v19
	v_add_f32_e32 v18, v18, v19
	;; [unrolled: 1-line block ×4, first 2 shown]
	v_sub_f32_e32 v19, v21, v36
	v_mul_f32_e32 v18, v34, v18
	v_sub_f32_e32 v19, v35, v19
	v_add_f32_e32 v18, v19, v18
	v_add_f32_e32 v22, v21, v18
	v_mul_f32_e32 v26, v22, v22
	v_mov_b32_e32 v19, 0x3ecc95a3
	v_sub_f32_e32 v21, v22, v21
	v_fmac_f32_e32 v19, 0x3e9b6dac, v26
	v_sub_f32_e32 v18, v18, v21
	v_fmaak_f32 v19, v26, v19, 0x3f2aaada
	v_ldexp_f32 v27, v18, 1
	v_mul_f32_e32 v21, v22, v26
	v_mov_b32_e32 v18, 0x3f317218
	v_pk_mul_f32 v[18:19], v[20:21], v[18:19]
	v_ldexp_f32 v23, v22, 1
	v_fma_f32 v21, v20, s30, -v18
	v_fmamk_f32 v22, v20, 0xb102e308, v21
	v_pk_add_f32 v[20:21], v[18:19], v[22:23]
	v_mov_b32_e32 v26, v18
	v_sub_f32_e32 v23, v21, v23
	v_sub_f32_e32 v23, v19, v23
	v_add_f32_e32 v27, v27, v23
	v_pk_add_f32 v[18:19], v[20:21], v[18:19] neg_lo:[0,1] neg_hi:[0,1]
	v_pk_add_f32 v[28:29], v[20:21], v[26:27]
	v_mov_b32_e32 v23, v20
	v_mov_b32_e32 v19, v29
	v_pk_add_f32 v[34:35], v[22:23], v[18:19] neg_lo:[0,1] neg_hi:[0,1]
	v_pk_add_f32 v[18:19], v[22:23], v[18:19]
	v_mov_b32_e32 v26, v27
	v_pk_add_f32 v[22:23], v[18:19], v[20:21] op_sel:[1,0] op_sel_hi:[0,1] neg_lo:[0,1] neg_hi:[0,1]
	v_pk_add_f32 v[36:37], v[28:29], v[22:23] op_sel_hi:[1,0] neg_lo:[0,1] neg_hi:[0,1]
	v_mov_b32_e32 v28, v29
	v_mov_b32_e32 v29, v19
	v_pk_mov_b32 v[22:23], v[20:21], v[22:23] op_sel:[1,0]
	v_mov_b32_e32 v27, v20
	v_pk_add_f32 v[22:23], v[28:29], v[22:23] neg_lo:[0,1] neg_hi:[0,1]
	v_mov_b32_e32 v36, v34
	v_pk_add_f32 v[20:21], v[26:27], v[22:23] neg_lo:[0,1] neg_hi:[0,1]
	v_mov_b32_e32 v35, v19
	v_pk_add_f32 v[22:23], v[36:37], v[20:21]
	v_cmp_neq_f32_e64 s[30:31], s36, v15
	v_pk_add_f32 v[26:27], v[22:23], v[22:23] op_sel:[0,1] op_sel_hi:[1,0]
	s_nop 0
	v_pk_add_f32 v[18:19], v[18:19], v[26:27] op_sel:[1,0] op_sel_hi:[0,1]
	v_mov_b32_e32 v23, v18
	v_pk_add_f32 v[28:29], v[22:23], v[34:35] neg_lo:[0,1] neg_hi:[0,1]
	v_mov_b32_e32 v21, v26
	v_sub_f32_e32 v19, v22, v28
	v_pk_add_f32 v[20:21], v[20:21], v[28:29] neg_lo:[0,1] neg_hi:[0,1]
	v_sub_f32_e32 v19, v34, v19
	v_add_f32_e32 v19, v20, v19
	v_add_f32_e32 v19, v19, v21
	;; [unrolled: 1-line block ×3, first 2 shown]
	v_cndmask_b32_e64 v18, v25, v18, s[30:31]
	s_mov_b32 s30, 0x33800000
	v_cmp_lt_f32_e64 s[30:31], |v15|, s30
	s_nop 1
	v_cndmask_b32_e64 v15, v18, v15, s[30:31]
	v_add_f32_e32 v35, v1, v15
.LBB124_30:
	s_or_b64 exec, exec, s[34:35]
	v_max_f32_e32 v15, v35, v35
	v_max_f32_e32 v1, v4, v4
	v_min_f32_e32 v18, v15, v1
	v_cmp_u_f32_e64 s[34:35], v35, v35
	v_max_f32_e32 v15, v15, v1
	v_cmp_u_f32_e64 s[30:31], v4, v4
	v_cndmask_b32_e64 v18, v18, v35, s[34:35]
	v_cndmask_b32_e64 v15, v15, v35, s[34:35]
	v_cndmask_b32_e64 v18, v18, v4, s[30:31]
	v_cndmask_b32_e64 v15, v15, v4, s[30:31]
	v_cmp_neq_f32_e64 s[34:35], v18, v15
	v_cmp_class_f32_e64 s[36:37], v18, s33
	s_or_b64 s[34:35], s[34:35], s[36:37]
	s_and_saveexec_b64 s[36:37], s[34:35]
	s_cbranch_execz .LBB124_32
; %bb.31:
	v_sub_f32_e32 v18, v18, v15
	s_mov_b32 s33, 0x3fb8aa3b
	v_mul_f32_e32 v19, 0x3fb8aa3b, v18
	v_fma_f32 v20, v18, s33, -v19
	v_rndne_f32_e32 v21, v19
	v_fmamk_f32 v20, v18, 0x32a5705f, v20
	v_sub_f32_e32 v19, v19, v21
	v_add_f32_e32 v19, v19, v20
	v_exp_f32_e32 v19, v19
	v_cvt_i32_f32_e32 v20, v21
	s_mov_b32 s33, 0xc2ce8ed0
	v_cmp_ngt_f32_e64 s[34:35], s33, v18
	s_mov_b32 s33, 0x42b17218
	v_ldexp_f32 v19, v19, v20
	v_cndmask_b32_e64 v19, 0, v19, s[34:35]
	v_mov_b32_e32 v25, 0x7f800000
	v_cmp_nlt_f32_e64 s[34:35], s33, v18
	s_mov_b32 s33, 0x3f2aaaab
	s_mov_b32 s38, 0x7f800000
	v_cndmask_b32_e64 v30, v25, v19, s[34:35]
	v_add_f32_e32 v20, 1.0, v30
	v_add_f32_e32 v18, -1.0, v20
	v_sub_f32_e32 v19, v18, v20
	v_add_f32_e32 v19, 1.0, v19
	v_sub_f32_e32 v18, v30, v18
	v_add_f32_e32 v21, v18, v19
	v_frexp_mant_f32_e32 v22, v20
	v_cvt_f64_f32_e32 v[18:19], v20
	v_frexp_exp_i32_f64_e32 v18, v[18:19]
	v_cmp_gt_f32_e64 s[34:35], s33, v22
	s_mov_b32 s33, 0x3f317218
	s_nop 0
	v_subbrev_co_u32_e64 v28, s[34:35], 0, v18, s[34:35]
	v_sub_u32_e32 v18, 0, v28
	v_ldexp_f32 v19, v20, v18
	v_add_f32_e32 v20, -1.0, v19
	v_add_f32_e32 v22, 1.0, v19
	v_ldexp_f32 v18, v21, v18
	v_add_f32_e32 v21, 1.0, v20
	v_add_f32_e32 v23, -1.0, v22
	v_sub_f32_e32 v21, v19, v21
	v_sub_f32_e32 v19, v19, v23
	v_add_f32_e32 v21, v18, v21
	v_add_f32_e32 v18, v18, v19
	;; [unrolled: 1-line block ×3, first 2 shown]
	v_rcp_f32_e32 v35, v29
	v_sub_f32_e32 v19, v22, v29
	v_add_f32_e32 v34, v18, v19
	v_add_f32_e32 v19, v20, v21
	v_mul_f32_e32 v37, v19, v35
	v_sub_f32_e32 v18, v20, v19
	v_mul_f32_e32 v20, v29, v37
	v_fma_f32 v22, v37, v29, -v20
	v_fmac_f32_e32 v22, v37, v34
	v_add_f32_e32 v36, v21, v18
	v_add_f32_e32 v18, v20, v22
	v_sub_f32_e32 v21, v19, v18
	v_pk_add_f32 v[26:27], v[18:19], v[20:21] neg_lo:[0,1] neg_hi:[0,1]
	v_mov_b32_e32 v23, v18
	v_pk_add_f32 v[18:19], v[26:27], v[22:23] neg_lo:[0,1] neg_hi:[0,1]
	v_cmp_neq_f32_e64 s[34:35], s38, v30
	v_add_f32_e32 v19, v36, v19
	v_add_f32_e32 v18, v18, v19
	;; [unrolled: 1-line block ×3, first 2 shown]
	v_mul_f32_e32 v36, v35, v19
	v_mul_f32_e32 v20, v29, v36
	v_fma_f32 v22, v36, v29, -v20
	v_fmac_f32_e32 v22, v36, v34
	v_sub_f32_e32 v21, v21, v19
	v_add_f32_e32 v29, v18, v21
	v_add_f32_e32 v18, v20, v22
	v_sub_f32_e32 v21, v19, v18
	v_pk_add_f32 v[26:27], v[18:19], v[20:21] neg_lo:[0,1] neg_hi:[0,1]
	v_mov_b32_e32 v23, v18
	v_pk_add_f32 v[18:19], v[26:27], v[22:23] neg_lo:[0,1] neg_hi:[0,1]
	v_cvt_f32_i32_e32 v20, v28
	v_add_f32_e32 v19, v29, v19
	v_add_f32_e32 v18, v18, v19
	;; [unrolled: 1-line block ×4, first 2 shown]
	v_sub_f32_e32 v19, v21, v37
	v_mul_f32_e32 v18, v35, v18
	v_sub_f32_e32 v19, v36, v19
	v_add_f32_e32 v18, v19, v18
	v_add_f32_e32 v22, v21, v18
	v_mul_f32_e32 v26, v22, v22
	v_mov_b32_e32 v19, 0x3ecc95a3
	v_sub_f32_e32 v21, v22, v21
	v_fmac_f32_e32 v19, 0x3e9b6dac, v26
	v_sub_f32_e32 v18, v18, v21
	v_fmaak_f32 v19, v26, v19, 0x3f2aaada
	v_ldexp_f32 v27, v18, 1
	v_mul_f32_e32 v21, v22, v26
	v_mov_b32_e32 v18, 0x3f317218
	v_pk_mul_f32 v[18:19], v[20:21], v[18:19]
	v_ldexp_f32 v23, v22, 1
	v_fma_f32 v21, v20, s33, -v18
	v_fmamk_f32 v22, v20, 0xb102e308, v21
	v_pk_add_f32 v[20:21], v[18:19], v[22:23]
	v_mov_b32_e32 v26, v18
	v_sub_f32_e32 v23, v21, v23
	v_sub_f32_e32 v23, v19, v23
	v_add_f32_e32 v27, v27, v23
	v_pk_add_f32 v[18:19], v[20:21], v[18:19] neg_lo:[0,1] neg_hi:[0,1]
	v_pk_add_f32 v[28:29], v[20:21], v[26:27]
	v_mov_b32_e32 v23, v20
	v_mov_b32_e32 v19, v29
	v_pk_add_f32 v[34:35], v[22:23], v[18:19] neg_lo:[0,1] neg_hi:[0,1]
	v_pk_add_f32 v[18:19], v[22:23], v[18:19]
	v_mov_b32_e32 v26, v27
	v_pk_add_f32 v[22:23], v[18:19], v[20:21] op_sel:[1,0] op_sel_hi:[0,1] neg_lo:[0,1] neg_hi:[0,1]
	v_pk_add_f32 v[36:37], v[28:29], v[22:23] op_sel_hi:[1,0] neg_lo:[0,1] neg_hi:[0,1]
	v_mov_b32_e32 v28, v29
	v_mov_b32_e32 v29, v19
	v_pk_mov_b32 v[22:23], v[20:21], v[22:23] op_sel:[1,0]
	v_mov_b32_e32 v27, v20
	v_pk_add_f32 v[22:23], v[28:29], v[22:23] neg_lo:[0,1] neg_hi:[0,1]
	v_mov_b32_e32 v36, v34
	v_pk_add_f32 v[20:21], v[26:27], v[22:23] neg_lo:[0,1] neg_hi:[0,1]
	v_mov_b32_e32 v35, v19
	v_pk_add_f32 v[22:23], v[36:37], v[20:21]
	s_mov_b32 s33, 0x33800000
	v_pk_add_f32 v[26:27], v[22:23], v[22:23] op_sel:[0,1] op_sel_hi:[1,0]
	s_nop 0
	v_pk_add_f32 v[18:19], v[18:19], v[26:27] op_sel:[1,0] op_sel_hi:[0,1]
	v_mov_b32_e32 v23, v18
	v_pk_add_f32 v[28:29], v[22:23], v[34:35] neg_lo:[0,1] neg_hi:[0,1]
	v_mov_b32_e32 v21, v26
	v_sub_f32_e32 v19, v22, v28
	v_pk_add_f32 v[20:21], v[20:21], v[28:29] neg_lo:[0,1] neg_hi:[0,1]
	v_sub_f32_e32 v19, v34, v19
	v_add_f32_e32 v19, v20, v19
	v_add_f32_e32 v19, v19, v21
	;; [unrolled: 1-line block ×3, first 2 shown]
	v_cndmask_b32_e64 v18, v25, v18, s[34:35]
	v_cmp_lt_f32_e64 s[34:35], |v30|, s33
	s_nop 1
	v_cndmask_b32_e64 v18, v18, v30, s[34:35]
	v_add_f32_e32 v35, v15, v18
.LBB124_32:
	s_or_b64 exec, exec, s[36:37]
	v_max_f32_e32 v18, v35, v35
	v_max_f32_e32 v15, v5, v5
	v_min_f32_e32 v19, v18, v15
	v_cmp_u_f32_e64 s[36:37], v35, v35
	v_max_f32_e32 v18, v18, v15
	v_cmp_u_f32_e64 s[34:35], v5, v5
	v_cndmask_b32_e64 v19, v19, v35, s[36:37]
	v_cndmask_b32_e64 v18, v18, v35, s[36:37]
	;; [unrolled: 1-line block ×4, first 2 shown]
	s_movk_i32 s33, 0x1f8
	v_cmp_neq_f32_e64 s[36:37], v19, v18
	v_cmp_class_f32_e64 s[38:39], v19, s33
	s_or_b64 s[36:37], s[36:37], s[38:39]
	s_and_saveexec_b64 s[38:39], s[36:37]
	s_cbranch_execz .LBB124_34
; %bb.33:
	v_sub_f32_e32 v19, v19, v18
	s_mov_b32 s36, 0x3fb8aa3b
	v_mul_f32_e32 v20, 0x3fb8aa3b, v19
	v_fma_f32 v21, v19, s36, -v20
	v_rndne_f32_e32 v22, v20
	v_fmamk_f32 v21, v19, 0x32a5705f, v21
	v_sub_f32_e32 v20, v20, v22
	v_add_f32_e32 v20, v20, v21
	v_exp_f32_e32 v20, v20
	v_cvt_i32_f32_e32 v21, v22
	s_mov_b32 s36, 0xc2ce8ed0
	v_cmp_ngt_f32_e64 s[36:37], s36, v19
	v_mov_b32_e32 v25, 0x7f800000
	v_ldexp_f32 v20, v20, v21
	v_cndmask_b32_e64 v20, 0, v20, s[36:37]
	s_mov_b32 s36, 0x42b17218
	v_cmp_nlt_f32_e64 s[36:37], s36, v19
	s_mov_b32 s40, 0x7f800000
	s_nop 0
	v_cndmask_b32_e64 v19, v25, v20, s[36:37]
	v_add_f32_e32 v22, 1.0, v19
	v_add_f32_e32 v20, -1.0, v22
	v_sub_f32_e32 v21, v20, v22
	v_add_f32_e32 v21, 1.0, v21
	v_sub_f32_e32 v20, v19, v20
	v_add_f32_e32 v23, v20, v21
	v_frexp_mant_f32_e32 v26, v22
	s_mov_b32 s36, 0x3f2aaaab
	v_cvt_f64_f32_e32 v[20:21], v22
	v_frexp_exp_i32_f64_e32 v20, v[20:21]
	v_cmp_gt_f32_e64 s[36:37], s36, v26
	s_nop 1
	v_subbrev_co_u32_e64 v30, s[36:37], 0, v20, s[36:37]
	v_sub_u32_e32 v20, 0, v30
	v_ldexp_f32 v21, v22, v20
	v_add_f32_e32 v22, -1.0, v21
	v_add_f32_e32 v26, 1.0, v21
	v_ldexp_f32 v20, v23, v20
	v_add_f32_e32 v23, 1.0, v22
	v_add_f32_e32 v27, -1.0, v26
	v_sub_f32_e32 v23, v21, v23
	v_sub_f32_e32 v21, v21, v27
	v_add_f32_e32 v23, v20, v23
	v_add_f32_e32 v20, v20, v21
	;; [unrolled: 1-line block ×3, first 2 shown]
	v_rcp_f32_e32 v36, v34
	v_sub_f32_e32 v21, v26, v34
	v_add_f32_e32 v35, v20, v21
	v_add_f32_e32 v21, v22, v23
	v_mul_f32_e32 v38, v21, v36
	v_sub_f32_e32 v20, v22, v21
	v_mul_f32_e32 v22, v34, v38
	v_fma_f32 v26, v38, v34, -v22
	v_fmac_f32_e32 v26, v38, v35
	v_add_f32_e32 v37, v23, v20
	v_add_f32_e32 v20, v22, v26
	v_sub_f32_e32 v23, v21, v20
	v_pk_add_f32 v[28:29], v[20:21], v[22:23] neg_lo:[0,1] neg_hi:[0,1]
	v_mov_b32_e32 v27, v20
	v_pk_add_f32 v[20:21], v[28:29], v[26:27] neg_lo:[0,1] neg_hi:[0,1]
	s_mov_b32 s36, 0x3f317218
	v_add_f32_e32 v21, v37, v21
	v_add_f32_e32 v20, v20, v21
	v_add_f32_e32 v21, v23, v20
	v_mul_f32_e32 v37, v36, v21
	v_mul_f32_e32 v22, v34, v37
	v_fma_f32 v26, v37, v34, -v22
	v_fmac_f32_e32 v26, v37, v35
	v_sub_f32_e32 v23, v23, v21
	v_add_f32_e32 v34, v20, v23
	v_add_f32_e32 v20, v22, v26
	v_sub_f32_e32 v23, v21, v20
	v_pk_add_f32 v[28:29], v[20:21], v[22:23] neg_lo:[0,1] neg_hi:[0,1]
	v_mov_b32_e32 v27, v20
	v_pk_add_f32 v[20:21], v[28:29], v[26:27] neg_lo:[0,1] neg_hi:[0,1]
	v_cvt_f32_i32_e32 v22, v30
	v_add_f32_e32 v21, v34, v21
	v_add_f32_e32 v20, v20, v21
	;; [unrolled: 1-line block ×4, first 2 shown]
	v_sub_f32_e32 v21, v23, v38
	v_mul_f32_e32 v20, v36, v20
	v_sub_f32_e32 v21, v37, v21
	v_add_f32_e32 v20, v21, v20
	v_add_f32_e32 v26, v23, v20
	v_mul_f32_e32 v28, v26, v26
	v_mov_b32_e32 v21, 0x3ecc95a3
	v_sub_f32_e32 v23, v26, v23
	v_fmac_f32_e32 v21, 0x3e9b6dac, v28
	v_sub_f32_e32 v20, v20, v23
	v_fmaak_f32 v21, v28, v21, 0x3f2aaada
	v_ldexp_f32 v29, v20, 1
	v_mul_f32_e32 v23, v26, v28
	v_mov_b32_e32 v20, 0x3f317218
	v_pk_mul_f32 v[20:21], v[22:23], v[20:21]
	v_ldexp_f32 v27, v26, 1
	v_fma_f32 v23, v22, s36, -v20
	v_fmamk_f32 v26, v22, 0xb102e308, v23
	v_pk_add_f32 v[22:23], v[20:21], v[26:27]
	v_mov_b32_e32 v28, v20
	v_sub_f32_e32 v27, v23, v27
	v_sub_f32_e32 v27, v21, v27
	v_add_f32_e32 v29, v29, v27
	v_pk_add_f32 v[20:21], v[22:23], v[20:21] neg_lo:[0,1] neg_hi:[0,1]
	v_pk_add_f32 v[34:35], v[22:23], v[28:29]
	v_mov_b32_e32 v27, v22
	v_mov_b32_e32 v21, v35
	v_pk_add_f32 v[36:37], v[26:27], v[20:21] neg_lo:[0,1] neg_hi:[0,1]
	v_pk_add_f32 v[20:21], v[26:27], v[20:21]
	v_mov_b32_e32 v28, v29
	v_pk_add_f32 v[26:27], v[20:21], v[22:23] op_sel:[1,0] op_sel_hi:[0,1] neg_lo:[0,1] neg_hi:[0,1]
	v_pk_add_f32 v[38:39], v[34:35], v[26:27] op_sel_hi:[1,0] neg_lo:[0,1] neg_hi:[0,1]
	v_mov_b32_e32 v34, v35
	v_mov_b32_e32 v35, v21
	v_pk_mov_b32 v[26:27], v[22:23], v[26:27] op_sel:[1,0]
	v_mov_b32_e32 v29, v22
	v_pk_add_f32 v[26:27], v[34:35], v[26:27] neg_lo:[0,1] neg_hi:[0,1]
	v_mov_b32_e32 v38, v36
	v_pk_add_f32 v[22:23], v[28:29], v[26:27] neg_lo:[0,1] neg_hi:[0,1]
	v_mov_b32_e32 v37, v21
	v_pk_add_f32 v[26:27], v[38:39], v[22:23]
	v_cmp_neq_f32_e64 s[36:37], s40, v19
	v_pk_add_f32 v[28:29], v[26:27], v[26:27] op_sel:[0,1] op_sel_hi:[1,0]
	s_nop 0
	v_pk_add_f32 v[20:21], v[20:21], v[28:29] op_sel:[1,0] op_sel_hi:[0,1]
	v_mov_b32_e32 v27, v20
	v_pk_add_f32 v[34:35], v[26:27], v[36:37] neg_lo:[0,1] neg_hi:[0,1]
	v_mov_b32_e32 v23, v28
	v_sub_f32_e32 v21, v26, v34
	v_pk_add_f32 v[22:23], v[22:23], v[34:35] neg_lo:[0,1] neg_hi:[0,1]
	v_sub_f32_e32 v21, v36, v21
	v_add_f32_e32 v21, v22, v21
	v_add_f32_e32 v21, v21, v23
	;; [unrolled: 1-line block ×3, first 2 shown]
	v_cndmask_b32_e64 v20, v25, v20, s[36:37]
	s_mov_b32 s36, 0x33800000
	v_cmp_lt_f32_e64 s[36:37], |v19|, s36
	s_nop 1
	v_cndmask_b32_e64 v19, v20, v19, s[36:37]
	v_add_f32_e32 v35, v18, v19
.LBB124_34:
	s_or_b64 exec, exec, s[38:39]
	v_max_f32_e32 v18, v35, v35
	v_max_f32_e32 v20, v10, v10
	v_min_f32_e32 v19, v18, v20
	v_cmp_u_f32_e64 s[38:39], v35, v35
	v_max_f32_e32 v18, v18, v20
	v_cmp_u_f32_e64 s[36:37], v10, v10
	v_cndmask_b32_e64 v19, v19, v35, s[38:39]
	v_cndmask_b32_e64 v18, v18, v35, s[38:39]
	;; [unrolled: 1-line block ×4, first 2 shown]
	v_cmp_neq_f32_e64 s[38:39], v19, v18
	v_cmp_class_f32_e64 s[40:41], v19, s33
	s_or_b64 s[38:39], s[38:39], s[40:41]
	s_and_saveexec_b64 s[40:41], s[38:39]
	s_cbranch_execz .LBB124_36
; %bb.35:
	v_sub_f32_e32 v19, v19, v18
	s_mov_b32 s33, 0x3fb8aa3b
	v_mul_f32_e32 v21, 0x3fb8aa3b, v19
	v_fma_f32 v22, v19, s33, -v21
	v_rndne_f32_e32 v23, v21
	v_fmamk_f32 v22, v19, 0x32a5705f, v22
	v_sub_f32_e32 v21, v21, v23
	v_add_f32_e32 v21, v21, v22
	v_exp_f32_e32 v21, v21
	v_cvt_i32_f32_e32 v22, v23
	s_mov_b32 s33, 0xc2ce8ed0
	v_cmp_ngt_f32_e64 s[38:39], s33, v19
	s_mov_b32 s33, 0x42b17218
	v_ldexp_f32 v21, v21, v22
	v_cndmask_b32_e64 v21, 0, v21, s[38:39]
	v_mov_b32_e32 v25, 0x7f800000
	v_cmp_nlt_f32_e64 s[38:39], s33, v19
	s_mov_b32 s33, 0x3f2aaaab
	s_mov_b32 s42, 0x7f800000
	v_cndmask_b32_e64 v19, v25, v21, s[38:39]
	v_add_f32_e32 v21, 1.0, v19
	v_add_f32_e32 v22, -1.0, v21
	v_sub_f32_e32 v23, v22, v21
	v_add_f32_e32 v23, 1.0, v23
	v_sub_f32_e32 v22, v19, v22
	v_add_f32_e32 v26, v22, v23
	v_frexp_mant_f32_e32 v27, v21
	v_cvt_f64_f32_e32 v[22:23], v21
	v_frexp_exp_i32_f64_e32 v22, v[22:23]
	v_cmp_gt_f32_e64 s[38:39], s33, v27
	s_mov_b32 s33, 0x3f317218
	s_nop 0
	v_subbrev_co_u32_e64 v30, s[38:39], 0, v22, s[38:39]
	v_sub_u32_e32 v22, 0, v30
	v_ldexp_f32 v21, v21, v22
	v_ldexp_f32 v22, v26, v22
	v_add_f32_e32 v26, -1.0, v21
	v_add_f32_e32 v23, 1.0, v26
	v_sub_f32_e32 v23, v21, v23
	v_add_f32_e32 v27, v22, v23
	v_add_f32_e32 v23, 1.0, v21
	v_add_f32_e32 v28, -1.0, v23
	v_sub_f32_e32 v21, v21, v28
	v_add_f32_e32 v21, v22, v21
	v_add_f32_e32 v36, v23, v21
	v_rcp_f32_e32 v37, v36
	v_sub_f32_e32 v22, v23, v36
	v_add_f32_e32 v23, v26, v27
	v_add_f32_e32 v21, v21, v22
	v_mul_f32_e32 v39, v23, v37
	v_sub_f32_e32 v22, v26, v23
	v_mul_f32_e32 v26, v36, v39
	v_fma_f32 v28, v39, v36, -v26
	v_fmac_f32_e32 v28, v39, v21
	v_add_f32_e32 v38, v27, v22
	v_add_f32_e32 v22, v26, v28
	v_sub_f32_e32 v27, v23, v22
	v_pk_add_f32 v[34:35], v[22:23], v[26:27] neg_lo:[0,1] neg_hi:[0,1]
	v_mov_b32_e32 v29, v22
	v_pk_add_f32 v[22:23], v[34:35], v[28:29] neg_lo:[0,1] neg_hi:[0,1]
	v_cmp_neq_f32_e64 s[38:39], s42, v19
	v_add_f32_e32 v23, v38, v23
	v_add_f32_e32 v22, v22, v23
	;; [unrolled: 1-line block ×3, first 2 shown]
	v_mul_f32_e32 v38, v37, v23
	v_mul_f32_e32 v26, v36, v38
	v_fma_f32 v28, v38, v36, -v26
	v_fmac_f32_e32 v28, v38, v21
	v_sub_f32_e32 v21, v27, v23
	v_add_f32_e32 v21, v22, v21
	v_add_f32_e32 v22, v26, v28
	v_sub_f32_e32 v27, v23, v22
	v_pk_add_f32 v[34:35], v[22:23], v[26:27] neg_lo:[0,1] neg_hi:[0,1]
	v_mov_b32_e32 v29, v22
	v_pk_add_f32 v[22:23], v[34:35], v[28:29] neg_lo:[0,1] neg_hi:[0,1]
	v_cvt_f32_i32_e32 v26, v30
	v_add_f32_e32 v21, v21, v23
	v_add_f32_e32 v21, v22, v21
	;; [unrolled: 1-line block ×4, first 2 shown]
	v_sub_f32_e32 v23, v22, v39
	v_mul_f32_e32 v21, v37, v21
	v_sub_f32_e32 v23, v38, v23
	v_add_f32_e32 v21, v23, v21
	v_add_f32_e32 v27, v22, v21
	v_mul_f32_e32 v28, v27, v27
	v_mov_b32_e32 v23, 0x3ecc95a3
	v_fmac_f32_e32 v23, 0x3e9b6dac, v28
	v_sub_f32_e32 v22, v27, v22
	v_fmaak_f32 v23, v28, v23, 0x3f2aaada
	v_sub_f32_e32 v21, v21, v22
	v_ldexp_f32 v29, v27, 1
	v_mul_f32_e32 v27, v27, v28
	v_mov_b32_e32 v22, 0x3f317218
	v_pk_mul_f32 v[22:23], v[26:27], v[22:23]
	v_ldexp_f32 v21, v21, 1
	v_fma_f32 v27, v26, s33, -v22
	v_fmamk_f32 v28, v26, 0xb102e308, v27
	v_pk_add_f32 v[26:27], v[22:23], v[28:29]
	v_mov_b32_e32 v34, v22
	v_sub_f32_e32 v29, v27, v29
	v_sub_f32_e32 v29, v23, v29
	v_add_f32_e32 v35, v21, v29
	v_pk_add_f32 v[22:23], v[26:27], v[22:23] neg_lo:[0,1] neg_hi:[0,1]
	v_pk_add_f32 v[36:37], v[26:27], v[34:35]
	v_mov_b32_e32 v29, v26
	v_mov_b32_e32 v23, v37
	v_pk_add_f32 v[38:39], v[28:29], v[22:23] neg_lo:[0,1] neg_hi:[0,1]
	v_pk_add_f32 v[22:23], v[28:29], v[22:23]
	v_mov_b32_e32 v34, v35
	v_pk_add_f32 v[28:29], v[22:23], v[26:27] op_sel:[1,0] op_sel_hi:[0,1] neg_lo:[0,1] neg_hi:[0,1]
	v_pk_add_f32 v[40:41], v[36:37], v[28:29] op_sel_hi:[1,0] neg_lo:[0,1] neg_hi:[0,1]
	v_mov_b32_e32 v36, v37
	v_mov_b32_e32 v37, v23
	v_pk_mov_b32 v[28:29], v[26:27], v[28:29] op_sel:[1,0]
	v_mov_b32_e32 v35, v26
	v_pk_add_f32 v[28:29], v[36:37], v[28:29] neg_lo:[0,1] neg_hi:[0,1]
	v_mov_b32_e32 v40, v38
	v_pk_add_f32 v[26:27], v[34:35], v[28:29] neg_lo:[0,1] neg_hi:[0,1]
	v_mov_b32_e32 v39, v23
	v_pk_add_f32 v[28:29], v[40:41], v[26:27]
	s_mov_b32 s33, 0x33800000
	v_pk_add_f32 v[34:35], v[28:29], v[28:29] op_sel:[0,1] op_sel_hi:[1,0]
	s_nop 0
	v_pk_add_f32 v[22:23], v[22:23], v[34:35] op_sel:[1,0] op_sel_hi:[0,1]
	v_mov_b32_e32 v29, v22
	v_pk_add_f32 v[36:37], v[28:29], v[38:39] neg_lo:[0,1] neg_hi:[0,1]
	v_mov_b32_e32 v27, v34
	v_sub_f32_e32 v21, v28, v36
	v_pk_add_f32 v[26:27], v[26:27], v[36:37] neg_lo:[0,1] neg_hi:[0,1]
	v_sub_f32_e32 v21, v38, v21
	v_add_f32_e32 v21, v26, v21
	v_add_f32_e32 v21, v21, v27
	;; [unrolled: 1-line block ×3, first 2 shown]
	v_cndmask_b32_e64 v21, v25, v21, s[38:39]
	v_cmp_lt_f32_e64 s[38:39], |v19|, s33
	s_nop 1
	v_cndmask_b32_e64 v19, v21, v19, s[38:39]
	v_add_f32_e32 v35, v18, v19
.LBB124_36:
	s_or_b64 exec, exec, s[40:41]
	v_max_f32_e32 v18, v35, v35
	v_max_f32_e32 v21, v11, v11
	v_min_f32_e32 v19, v18, v21
	v_cmp_u_f32_e64 s[40:41], v35, v35
	v_max_f32_e32 v18, v18, v21
	v_cmp_u_f32_e64 s[38:39], v11, v11
	v_cndmask_b32_e64 v19, v19, v35, s[40:41]
	v_cndmask_b32_e64 v18, v18, v35, s[40:41]
	;; [unrolled: 1-line block ×4, first 2 shown]
	s_movk_i32 s33, 0x1f8
	v_cmp_neq_f32_e64 s[40:41], v19, v18
	v_cmp_class_f32_e64 s[42:43], v19, s33
	s_or_b64 s[40:41], s[40:41], s[42:43]
	s_and_saveexec_b64 s[42:43], s[40:41]
	s_cbranch_execz .LBB124_38
; %bb.37:
	v_sub_f32_e32 v19, v19, v18
	s_mov_b32 s40, 0x3fb8aa3b
	v_mul_f32_e32 v22, 0x3fb8aa3b, v19
	v_fma_f32 v23, v19, s40, -v22
	v_rndne_f32_e32 v25, v22
	v_fmamk_f32 v23, v19, 0x32a5705f, v23
	v_sub_f32_e32 v22, v22, v25
	v_add_f32_e32 v22, v22, v23
	v_exp_f32_e32 v22, v22
	v_cvt_i32_f32_e32 v23, v25
	s_mov_b32 s40, 0xc2ce8ed0
	v_cmp_ngt_f32_e64 s[40:41], s40, v19
	v_mov_b32_e32 v25, 0x7f800000
	v_ldexp_f32 v22, v22, v23
	v_cndmask_b32_e64 v22, 0, v22, s[40:41]
	s_mov_b32 s40, 0x42b17218
	v_cmp_nlt_f32_e64 s[40:41], s40, v19
	s_mov_b32 s44, 0x7f800000
	s_nop 0
	v_cndmask_b32_e64 v19, v25, v22, s[40:41]
	v_add_f32_e32 v26, 1.0, v19
	v_add_f32_e32 v22, -1.0, v26
	v_sub_f32_e32 v23, v22, v26
	v_add_f32_e32 v23, 1.0, v23
	v_sub_f32_e32 v22, v19, v22
	v_add_f32_e32 v27, v22, v23
	v_frexp_mant_f32_e32 v28, v26
	s_mov_b32 s40, 0x3f2aaaab
	v_cvt_f64_f32_e32 v[22:23], v26
	v_frexp_exp_i32_f64_e32 v22, v[22:23]
	v_cmp_gt_f32_e64 s[40:41], s40, v28
	s_nop 1
	v_subbrev_co_u32_e64 v30, s[40:41], 0, v22, s[40:41]
	v_sub_u32_e32 v22, 0, v30
	v_ldexp_f32 v23, v26, v22
	v_add_f32_e32 v26, -1.0, v23
	v_add_f32_e32 v28, 1.0, v23
	v_ldexp_f32 v22, v27, v22
	v_add_f32_e32 v27, 1.0, v26
	v_add_f32_e32 v29, -1.0, v28
	v_sub_f32_e32 v27, v23, v27
	v_sub_f32_e32 v23, v23, v29
	v_add_f32_e32 v27, v22, v27
	v_add_f32_e32 v22, v22, v23
	;; [unrolled: 1-line block ×3, first 2 shown]
	v_rcp_f32_e32 v38, v36
	v_sub_f32_e32 v23, v28, v36
	v_add_f32_e32 v37, v22, v23
	v_add_f32_e32 v23, v26, v27
	v_mul_f32_e32 v40, v23, v38
	v_sub_f32_e32 v22, v26, v23
	v_mul_f32_e32 v26, v36, v40
	v_fma_f32 v28, v40, v36, -v26
	v_fmac_f32_e32 v28, v40, v37
	v_add_f32_e32 v39, v27, v22
	v_add_f32_e32 v22, v26, v28
	v_sub_f32_e32 v27, v23, v22
	v_pk_add_f32 v[34:35], v[22:23], v[26:27] neg_lo:[0,1] neg_hi:[0,1]
	v_mov_b32_e32 v29, v22
	v_pk_add_f32 v[22:23], v[34:35], v[28:29] neg_lo:[0,1] neg_hi:[0,1]
	s_mov_b32 s40, 0x3f317218
	v_add_f32_e32 v23, v39, v23
	v_add_f32_e32 v22, v22, v23
	;; [unrolled: 1-line block ×3, first 2 shown]
	v_mul_f32_e32 v39, v38, v23
	v_mul_f32_e32 v26, v36, v39
	v_fma_f32 v28, v39, v36, -v26
	v_fmac_f32_e32 v28, v39, v37
	v_sub_f32_e32 v27, v27, v23
	v_add_f32_e32 v36, v22, v27
	v_add_f32_e32 v22, v26, v28
	v_sub_f32_e32 v27, v23, v22
	v_pk_add_f32 v[34:35], v[22:23], v[26:27] neg_lo:[0,1] neg_hi:[0,1]
	v_mov_b32_e32 v29, v22
	v_pk_add_f32 v[22:23], v[34:35], v[28:29] neg_lo:[0,1] neg_hi:[0,1]
	v_cvt_f32_i32_e32 v26, v30
	v_add_f32_e32 v23, v36, v23
	v_add_f32_e32 v22, v22, v23
	;; [unrolled: 1-line block ×4, first 2 shown]
	v_sub_f32_e32 v23, v27, v40
	v_mul_f32_e32 v22, v38, v22
	v_sub_f32_e32 v23, v39, v23
	v_add_f32_e32 v22, v23, v22
	v_add_f32_e32 v28, v27, v22
	v_mul_f32_e32 v34, v28, v28
	v_mov_b32_e32 v23, 0x3ecc95a3
	v_sub_f32_e32 v27, v28, v27
	v_fmac_f32_e32 v23, 0x3e9b6dac, v34
	v_sub_f32_e32 v22, v22, v27
	v_fmaak_f32 v23, v34, v23, 0x3f2aaada
	v_ldexp_f32 v30, v22, 1
	v_mul_f32_e32 v27, v28, v34
	v_mov_b32_e32 v22, 0x3f317218
	v_pk_mul_f32 v[22:23], v[26:27], v[22:23]
	v_ldexp_f32 v29, v28, 1
	v_fma_f32 v27, v26, s40, -v22
	v_fmamk_f32 v28, v26, 0xb102e308, v27
	v_pk_add_f32 v[26:27], v[22:23], v[28:29]
	v_mov_b32_e32 v34, v22
	v_sub_f32_e32 v29, v27, v29
	v_sub_f32_e32 v29, v23, v29
	v_add_f32_e32 v35, v30, v29
	v_pk_add_f32 v[22:23], v[26:27], v[22:23] neg_lo:[0,1] neg_hi:[0,1]
	v_pk_add_f32 v[36:37], v[26:27], v[34:35]
	v_mov_b32_e32 v29, v26
	v_mov_b32_e32 v23, v37
	v_pk_add_f32 v[38:39], v[28:29], v[22:23] neg_lo:[0,1] neg_hi:[0,1]
	v_pk_add_f32 v[22:23], v[28:29], v[22:23]
	v_mov_b32_e32 v34, v35
	v_pk_add_f32 v[28:29], v[22:23], v[26:27] op_sel:[1,0] op_sel_hi:[0,1] neg_lo:[0,1] neg_hi:[0,1]
	v_pk_add_f32 v[40:41], v[36:37], v[28:29] op_sel_hi:[1,0] neg_lo:[0,1] neg_hi:[0,1]
	v_mov_b32_e32 v36, v37
	v_mov_b32_e32 v37, v23
	v_pk_mov_b32 v[28:29], v[26:27], v[28:29] op_sel:[1,0]
	v_mov_b32_e32 v35, v26
	v_pk_add_f32 v[28:29], v[36:37], v[28:29] neg_lo:[0,1] neg_hi:[0,1]
	v_mov_b32_e32 v40, v38
	v_pk_add_f32 v[26:27], v[34:35], v[28:29] neg_lo:[0,1] neg_hi:[0,1]
	v_mov_b32_e32 v39, v23
	v_pk_add_f32 v[28:29], v[40:41], v[26:27]
	v_cmp_neq_f32_e64 s[40:41], s44, v19
	v_pk_add_f32 v[34:35], v[28:29], v[28:29] op_sel:[0,1] op_sel_hi:[1,0]
	s_nop 0
	v_pk_add_f32 v[22:23], v[22:23], v[34:35] op_sel:[1,0] op_sel_hi:[0,1]
	v_mov_b32_e32 v29, v22
	v_pk_add_f32 v[36:37], v[28:29], v[38:39] neg_lo:[0,1] neg_hi:[0,1]
	v_mov_b32_e32 v27, v34
	v_sub_f32_e32 v23, v28, v36
	v_pk_add_f32 v[26:27], v[26:27], v[36:37] neg_lo:[0,1] neg_hi:[0,1]
	v_sub_f32_e32 v23, v38, v23
	v_add_f32_e32 v23, v26, v23
	v_add_f32_e32 v23, v23, v27
	;; [unrolled: 1-line block ×3, first 2 shown]
	v_cndmask_b32_e64 v22, v25, v22, s[40:41]
	s_mov_b32 s40, 0x33800000
	v_cmp_lt_f32_e64 s[40:41], |v19|, s40
	s_nop 1
	v_cndmask_b32_e64 v19, v22, v19, s[40:41]
	v_add_f32_e32 v35, v18, v19
.LBB124_38:
	s_or_b64 exec, exec, s[42:43]
	v_max_f32_e32 v18, v35, v35
	v_max_f32_e32 v22, v12, v12
	v_min_f32_e32 v19, v18, v22
	v_cmp_u_f32_e64 s[42:43], v35, v35
	v_max_f32_e32 v18, v18, v22
	v_cmp_u_f32_e64 s[40:41], v12, v12
	v_cndmask_b32_e64 v19, v19, v35, s[42:43]
	v_cndmask_b32_e64 v18, v18, v35, s[42:43]
	;; [unrolled: 1-line block ×4, first 2 shown]
	v_cmp_neq_f32_e64 s[42:43], v19, v18
	v_cmp_class_f32_e64 s[44:45], v19, s33
	s_or_b64 s[42:43], s[42:43], s[44:45]
	s_and_saveexec_b64 s[44:45], s[42:43]
	s_cbranch_execz .LBB124_40
; %bb.39:
	v_sub_f32_e32 v19, v19, v18
	s_mov_b32 s33, 0x3fb8aa3b
	v_mul_f32_e32 v23, 0x3fb8aa3b, v19
	v_fma_f32 v25, v19, s33, -v23
	v_rndne_f32_e32 v26, v23
	v_fmamk_f32 v25, v19, 0x32a5705f, v25
	v_sub_f32_e32 v23, v23, v26
	v_add_f32_e32 v23, v23, v25
	v_exp_f32_e32 v23, v23
	v_cvt_i32_f32_e32 v25, v26
	s_mov_b32 s33, 0xc2ce8ed0
	v_cmp_ngt_f32_e64 s[42:43], s33, v19
	s_mov_b32 s33, 0x42b17218
	v_ldexp_f32 v23, v23, v25
	v_cndmask_b32_e64 v23, 0, v23, s[42:43]
	v_mov_b32_e32 v25, 0x7f800000
	v_cmp_nlt_f32_e64 s[42:43], s33, v19
	s_mov_b32 s33, 0x3f2aaaab
	s_mov_b32 s46, 0x7f800000
	v_cndmask_b32_e64 v19, v25, v23, s[42:43]
	v_add_f32_e32 v23, 1.0, v19
	v_add_f32_e32 v26, -1.0, v23
	v_sub_f32_e32 v27, v26, v23
	v_add_f32_e32 v27, 1.0, v27
	v_sub_f32_e32 v26, v19, v26
	v_add_f32_e32 v28, v26, v27
	v_frexp_mant_f32_e32 v29, v23
	v_cvt_f64_f32_e32 v[26:27], v23
	v_frexp_exp_i32_f64_e32 v26, v[26:27]
	v_cmp_gt_f32_e64 s[42:43], s33, v29
	s_mov_b32 s33, 0x3f317218
	s_nop 0
	v_subbrev_co_u32_e64 v30, s[42:43], 0, v26, s[42:43]
	v_sub_u32_e32 v26, 0, v30
	v_ldexp_f32 v23, v23, v26
	v_ldexp_f32 v26, v28, v26
	v_add_f32_e32 v28, -1.0, v23
	v_add_f32_e32 v27, 1.0, v28
	v_sub_f32_e32 v27, v23, v27
	v_add_f32_e32 v29, v26, v27
	v_add_f32_e32 v27, 1.0, v23
	v_add_f32_e32 v34, -1.0, v27
	v_sub_f32_e32 v23, v23, v34
	v_add_f32_e32 v23, v26, v23
	v_add_f32_e32 v38, v27, v23
	v_rcp_f32_e32 v39, v38
	v_sub_f32_e32 v26, v27, v38
	v_add_f32_e32 v27, v28, v29
	v_add_f32_e32 v23, v23, v26
	v_mul_f32_e32 v41, v27, v39
	v_sub_f32_e32 v26, v28, v27
	v_mul_f32_e32 v28, v38, v41
	v_fma_f32 v34, v41, v38, -v28
	v_fmac_f32_e32 v34, v41, v23
	v_add_f32_e32 v40, v29, v26
	v_add_f32_e32 v26, v28, v34
	v_sub_f32_e32 v29, v27, v26
	v_pk_add_f32 v[36:37], v[26:27], v[28:29] neg_lo:[0,1] neg_hi:[0,1]
	v_mov_b32_e32 v35, v26
	v_pk_add_f32 v[26:27], v[36:37], v[34:35] neg_lo:[0,1] neg_hi:[0,1]
	v_cmp_neq_f32_e64 s[42:43], s46, v19
	v_add_f32_e32 v27, v40, v27
	v_add_f32_e32 v26, v26, v27
	v_add_f32_e32 v27, v29, v26
	v_mul_f32_e32 v40, v39, v27
	v_mul_f32_e32 v28, v38, v40
	v_fma_f32 v34, v40, v38, -v28
	v_fmac_f32_e32 v34, v40, v23
	v_sub_f32_e32 v23, v29, v27
	v_add_f32_e32 v23, v26, v23
	v_add_f32_e32 v26, v28, v34
	v_sub_f32_e32 v29, v27, v26
	v_pk_add_f32 v[36:37], v[26:27], v[28:29] neg_lo:[0,1] neg_hi:[0,1]
	v_mov_b32_e32 v35, v26
	v_pk_add_f32 v[26:27], v[36:37], v[34:35] neg_lo:[0,1] neg_hi:[0,1]
	v_cvt_f32_i32_e32 v28, v30
	v_add_f32_e32 v23, v23, v27
	v_add_f32_e32 v23, v26, v23
	;; [unrolled: 1-line block ×4, first 2 shown]
	v_sub_f32_e32 v27, v26, v41
	v_mul_f32_e32 v23, v39, v23
	v_sub_f32_e32 v27, v40, v27
	v_add_f32_e32 v23, v27, v23
	v_add_f32_e32 v29, v26, v23
	v_mul_f32_e32 v34, v29, v29
	v_mov_b32_e32 v27, 0x3ecc95a3
	v_fmac_f32_e32 v27, 0x3e9b6dac, v34
	v_sub_f32_e32 v26, v29, v26
	v_fmaak_f32 v27, v34, v27, 0x3f2aaada
	v_sub_f32_e32 v23, v23, v26
	v_ldexp_f32 v35, v29, 1
	v_mul_f32_e32 v29, v29, v34
	v_mov_b32_e32 v26, 0x3f317218
	v_pk_mul_f32 v[26:27], v[28:29], v[26:27]
	v_ldexp_f32 v23, v23, 1
	v_fma_f32 v29, v28, s33, -v26
	v_fmamk_f32 v34, v28, 0xb102e308, v29
	v_pk_add_f32 v[28:29], v[26:27], v[34:35]
	v_mov_b32_e32 v36, v26
	v_sub_f32_e32 v30, v29, v35
	v_sub_f32_e32 v30, v27, v30
	v_add_f32_e32 v37, v23, v30
	v_pk_add_f32 v[26:27], v[28:29], v[26:27] neg_lo:[0,1] neg_hi:[0,1]
	v_pk_add_f32 v[38:39], v[28:29], v[36:37]
	v_mov_b32_e32 v35, v28
	v_mov_b32_e32 v27, v39
	v_pk_add_f32 v[40:41], v[34:35], v[26:27] neg_lo:[0,1] neg_hi:[0,1]
	v_pk_add_f32 v[26:27], v[34:35], v[26:27]
	v_mov_b32_e32 v36, v37
	v_pk_add_f32 v[34:35], v[26:27], v[28:29] op_sel:[1,0] op_sel_hi:[0,1] neg_lo:[0,1] neg_hi:[0,1]
	v_pk_add_f32 v[42:43], v[38:39], v[34:35] op_sel_hi:[1,0] neg_lo:[0,1] neg_hi:[0,1]
	v_mov_b32_e32 v38, v39
	v_mov_b32_e32 v39, v27
	v_pk_mov_b32 v[34:35], v[28:29], v[34:35] op_sel:[1,0]
	v_mov_b32_e32 v37, v28
	v_pk_add_f32 v[34:35], v[38:39], v[34:35] neg_lo:[0,1] neg_hi:[0,1]
	v_mov_b32_e32 v42, v40
	v_pk_add_f32 v[28:29], v[36:37], v[34:35] neg_lo:[0,1] neg_hi:[0,1]
	v_mov_b32_e32 v41, v27
	v_pk_add_f32 v[34:35], v[42:43], v[28:29]
	s_mov_b32 s33, 0x33800000
	v_pk_add_f32 v[36:37], v[34:35], v[34:35] op_sel:[0,1] op_sel_hi:[1,0]
	s_nop 0
	v_pk_add_f32 v[26:27], v[26:27], v[36:37] op_sel:[1,0] op_sel_hi:[0,1]
	v_mov_b32_e32 v35, v26
	v_pk_add_f32 v[38:39], v[34:35], v[40:41] neg_lo:[0,1] neg_hi:[0,1]
	v_mov_b32_e32 v29, v36
	v_sub_f32_e32 v23, v34, v38
	v_pk_add_f32 v[28:29], v[28:29], v[38:39] neg_lo:[0,1] neg_hi:[0,1]
	v_sub_f32_e32 v23, v40, v23
	v_add_f32_e32 v23, v28, v23
	v_add_f32_e32 v23, v23, v29
	;; [unrolled: 1-line block ×3, first 2 shown]
	v_cndmask_b32_e64 v23, v25, v23, s[42:43]
	v_cmp_lt_f32_e64 s[42:43], |v19|, s33
	s_nop 1
	v_cndmask_b32_e64 v19, v23, v19, s[42:43]
	v_add_f32_e32 v35, v18, v19
.LBB124_40:
	s_or_b64 exec, exec, s[44:45]
	v_max_f32_e32 v18, v35, v35
	v_max_f32_e32 v23, v13, v13
	v_min_f32_e32 v19, v18, v23
	v_cmp_u_f32_e64 s[44:45], v35, v35
	v_max_f32_e32 v18, v18, v23
	v_cmp_u_f32_e64 s[42:43], v13, v13
	v_cndmask_b32_e64 v19, v19, v35, s[44:45]
	v_cndmask_b32_e64 v18, v18, v35, s[44:45]
	v_cndmask_b32_e64 v19, v19, v13, s[42:43]
	v_cndmask_b32_e64 v18, v18, v13, s[42:43]
	s_movk_i32 s33, 0x1f8
	v_cmp_neq_f32_e64 s[44:45], v19, v18
	v_cmp_class_f32_e64 s[46:47], v19, s33
	s_or_b64 s[44:45], s[44:45], s[46:47]
	s_and_saveexec_b64 s[46:47], s[44:45]
	s_cbranch_execz .LBB124_42
; %bb.41:
	v_sub_f32_e32 v19, v19, v18
	s_mov_b32 s44, 0x3fb8aa3b
	v_mul_f32_e32 v25, 0x3fb8aa3b, v19
	v_fma_f32 v26, v19, s44, -v25
	v_rndne_f32_e32 v27, v25
	v_fmamk_f32 v26, v19, 0x32a5705f, v26
	v_sub_f32_e32 v25, v25, v27
	v_add_f32_e32 v25, v25, v26
	v_exp_f32_e32 v25, v25
	v_cvt_i32_f32_e32 v26, v27
	s_mov_b32 s44, 0xc2ce8ed0
	v_cmp_ngt_f32_e64 s[44:45], s44, v19
	v_mov_b32_e32 v30, 0x7f800000
	v_ldexp_f32 v25, v25, v26
	v_cndmask_b32_e64 v25, 0, v25, s[44:45]
	s_mov_b32 s44, 0x42b17218
	v_cmp_nlt_f32_e64 s[44:45], s44, v19
	s_mov_b32 s48, 0x7f800000
	s_nop 0
	v_cndmask_b32_e64 v19, v30, v25, s[44:45]
	v_add_f32_e32 v25, 1.0, v19
	v_add_f32_e32 v26, -1.0, v25
	v_sub_f32_e32 v27, v26, v25
	v_add_f32_e32 v27, 1.0, v27
	v_sub_f32_e32 v26, v19, v26
	v_add_f32_e32 v28, v26, v27
	v_frexp_mant_f32_e32 v29, v25
	s_mov_b32 s44, 0x3f2aaaab
	v_cvt_f64_f32_e32 v[26:27], v25
	v_frexp_exp_i32_f64_e32 v26, v[26:27]
	v_cmp_gt_f32_e64 s[44:45], s44, v29
	s_nop 1
	v_subbrev_co_u32_e64 v38, s[44:45], 0, v26, s[44:45]
	v_sub_u32_e32 v26, 0, v38
	v_ldexp_f32 v25, v25, v26
	v_ldexp_f32 v26, v28, v26
	v_add_f32_e32 v28, -1.0, v25
	v_add_f32_e32 v27, 1.0, v28
	v_sub_f32_e32 v27, v25, v27
	v_add_f32_e32 v29, v26, v27
	v_add_f32_e32 v27, 1.0, v25
	v_add_f32_e32 v34, -1.0, v27
	v_sub_f32_e32 v25, v25, v34
	v_add_f32_e32 v25, v26, v25
	v_add_f32_e32 v39, v27, v25
	v_rcp_f32_e32 v40, v39
	v_sub_f32_e32 v26, v27, v39
	v_add_f32_e32 v27, v28, v29
	v_add_f32_e32 v25, v25, v26
	v_mul_f32_e32 v42, v27, v40
	v_sub_f32_e32 v26, v28, v27
	v_mul_f32_e32 v28, v39, v42
	v_fma_f32 v34, v42, v39, -v28
	v_fmac_f32_e32 v34, v42, v25
	v_add_f32_e32 v41, v29, v26
	v_add_f32_e32 v26, v28, v34
	v_sub_f32_e32 v29, v27, v26
	v_pk_add_f32 v[36:37], v[26:27], v[28:29] neg_lo:[0,1] neg_hi:[0,1]
	v_mov_b32_e32 v35, v26
	v_pk_add_f32 v[26:27], v[36:37], v[34:35] neg_lo:[0,1] neg_hi:[0,1]
	s_mov_b32 s44, 0x3f317218
	v_add_f32_e32 v27, v41, v27
	v_add_f32_e32 v26, v26, v27
	;; [unrolled: 1-line block ×3, first 2 shown]
	v_mul_f32_e32 v41, v40, v27
	v_mul_f32_e32 v28, v39, v41
	v_fma_f32 v34, v41, v39, -v28
	v_fmac_f32_e32 v34, v41, v25
	v_sub_f32_e32 v25, v29, v27
	v_add_f32_e32 v25, v26, v25
	v_add_f32_e32 v26, v28, v34
	v_sub_f32_e32 v29, v27, v26
	v_pk_add_f32 v[36:37], v[26:27], v[28:29] neg_lo:[0,1] neg_hi:[0,1]
	v_mov_b32_e32 v35, v26
	v_pk_add_f32 v[26:27], v[36:37], v[34:35] neg_lo:[0,1] neg_hi:[0,1]
	v_cvt_f32_i32_e32 v28, v38
	v_add_f32_e32 v25, v25, v27
	v_add_f32_e32 v25, v26, v25
	;; [unrolled: 1-line block ×4, first 2 shown]
	v_sub_f32_e32 v27, v26, v42
	v_mul_f32_e32 v25, v40, v25
	v_sub_f32_e32 v27, v41, v27
	v_add_f32_e32 v25, v27, v25
	v_add_f32_e32 v29, v26, v25
	v_mul_f32_e32 v34, v29, v29
	v_mov_b32_e32 v27, 0x3ecc95a3
	v_fmac_f32_e32 v27, 0x3e9b6dac, v34
	v_sub_f32_e32 v26, v29, v26
	v_fmaak_f32 v27, v34, v27, 0x3f2aaada
	v_sub_f32_e32 v25, v25, v26
	v_ldexp_f32 v35, v29, 1
	v_mul_f32_e32 v29, v29, v34
	v_mov_b32_e32 v26, 0x3f317218
	v_pk_mul_f32 v[26:27], v[28:29], v[26:27]
	v_ldexp_f32 v25, v25, 1
	v_fma_f32 v29, v28, s44, -v26
	v_fmamk_f32 v34, v28, 0xb102e308, v29
	v_pk_add_f32 v[28:29], v[26:27], v[34:35]
	v_mov_b32_e32 v36, v26
	v_sub_f32_e32 v35, v29, v35
	v_sub_f32_e32 v35, v27, v35
	v_add_f32_e32 v37, v25, v35
	v_pk_add_f32 v[26:27], v[28:29], v[26:27] neg_lo:[0,1] neg_hi:[0,1]
	v_pk_add_f32 v[38:39], v[28:29], v[36:37]
	v_mov_b32_e32 v35, v28
	v_mov_b32_e32 v27, v39
	v_pk_add_f32 v[40:41], v[34:35], v[26:27] neg_lo:[0,1] neg_hi:[0,1]
	v_pk_add_f32 v[26:27], v[34:35], v[26:27]
	v_mov_b32_e32 v36, v37
	v_pk_add_f32 v[34:35], v[26:27], v[28:29] op_sel:[1,0] op_sel_hi:[0,1] neg_lo:[0,1] neg_hi:[0,1]
	v_pk_add_f32 v[42:43], v[38:39], v[34:35] op_sel_hi:[1,0] neg_lo:[0,1] neg_hi:[0,1]
	v_mov_b32_e32 v38, v39
	v_mov_b32_e32 v39, v27
	v_pk_mov_b32 v[34:35], v[28:29], v[34:35] op_sel:[1,0]
	v_mov_b32_e32 v37, v28
	v_pk_add_f32 v[34:35], v[38:39], v[34:35] neg_lo:[0,1] neg_hi:[0,1]
	v_mov_b32_e32 v42, v40
	v_pk_add_f32 v[28:29], v[36:37], v[34:35] neg_lo:[0,1] neg_hi:[0,1]
	v_mov_b32_e32 v41, v27
	v_pk_add_f32 v[34:35], v[42:43], v[28:29]
	v_cmp_neq_f32_e64 s[44:45], s48, v19
	v_pk_add_f32 v[36:37], v[34:35], v[34:35] op_sel:[0,1] op_sel_hi:[1,0]
	s_nop 0
	v_pk_add_f32 v[26:27], v[26:27], v[36:37] op_sel:[1,0] op_sel_hi:[0,1]
	v_mov_b32_e32 v35, v26
	v_pk_add_f32 v[38:39], v[34:35], v[40:41] neg_lo:[0,1] neg_hi:[0,1]
	v_mov_b32_e32 v29, v36
	v_sub_f32_e32 v25, v34, v38
	v_pk_add_f32 v[28:29], v[28:29], v[38:39] neg_lo:[0,1] neg_hi:[0,1]
	v_sub_f32_e32 v25, v40, v25
	v_add_f32_e32 v25, v28, v25
	v_add_f32_e32 v25, v25, v29
	;; [unrolled: 1-line block ×3, first 2 shown]
	v_cndmask_b32_e64 v25, v30, v25, s[44:45]
	s_mov_b32 s44, 0x33800000
	v_cmp_lt_f32_e64 s[44:45], |v19|, s44
	s_nop 1
	v_cndmask_b32_e64 v19, v25, v19, s[44:45]
	v_add_f32_e32 v35, v18, v19
.LBB124_42:
	s_or_b64 exec, exec, s[46:47]
	v_max_f32_e32 v18, v35, v35
	v_max_f32_e32 v25, v6, v6
	v_min_f32_e32 v19, v18, v25
	v_cmp_u_f32_e64 s[46:47], v35, v35
	v_max_f32_e32 v18, v18, v25
	v_cmp_u_f32_e64 s[44:45], v6, v6
	v_cndmask_b32_e64 v19, v19, v35, s[46:47]
	v_cndmask_b32_e64 v18, v18, v35, s[46:47]
	v_cndmask_b32_e64 v19, v19, v6, s[44:45]
	v_cndmask_b32_e64 v18, v18, v6, s[44:45]
	v_cmp_neq_f32_e64 s[46:47], v19, v18
	v_cmp_class_f32_e64 s[48:49], v19, s33
	s_or_b64 s[46:47], s[46:47], s[48:49]
	s_and_saveexec_b64 s[48:49], s[46:47]
	s_cbranch_execz .LBB124_44
; %bb.43:
	v_sub_f32_e32 v19, v19, v18
	s_mov_b32 s33, 0x3fb8aa3b
	v_mul_f32_e32 v26, 0x3fb8aa3b, v19
	v_fma_f32 v27, v19, s33, -v26
	v_rndne_f32_e32 v28, v26
	v_fmamk_f32 v27, v19, 0x32a5705f, v27
	v_sub_f32_e32 v26, v26, v28
	v_add_f32_e32 v26, v26, v27
	v_exp_f32_e32 v26, v26
	v_cvt_i32_f32_e32 v27, v28
	s_mov_b32 s33, 0xc2ce8ed0
	v_cmp_ngt_f32_e64 s[46:47], s33, v19
	s_mov_b32 s33, 0x42b17218
	v_ldexp_f32 v26, v26, v27
	v_cndmask_b32_e64 v26, 0, v26, s[46:47]
	v_mov_b32_e32 v30, 0x7f800000
	v_cmp_nlt_f32_e64 s[46:47], s33, v19
	s_mov_b32 s33, 0x3f2aaaab
	s_mov_b32 s50, 0x7f800000
	v_cndmask_b32_e64 v19, v30, v26, s[46:47]
	v_add_f32_e32 v28, 1.0, v19
	v_add_f32_e32 v26, -1.0, v28
	v_sub_f32_e32 v27, v26, v28
	v_add_f32_e32 v27, 1.0, v27
	v_sub_f32_e32 v26, v19, v26
	v_add_f32_e32 v29, v26, v27
	v_frexp_mant_f32_e32 v34, v28
	v_cvt_f64_f32_e32 v[26:27], v28
	v_frexp_exp_i32_f64_e32 v26, v[26:27]
	v_cmp_gt_f32_e64 s[46:47], s33, v34
	s_mov_b32 s33, 0x3f317218
	s_nop 0
	v_subbrev_co_u32_e64 v38, s[46:47], 0, v26, s[46:47]
	v_sub_u32_e32 v26, 0, v38
	v_ldexp_f32 v27, v28, v26
	v_add_f32_e32 v28, -1.0, v27
	v_add_f32_e32 v34, 1.0, v27
	v_ldexp_f32 v26, v29, v26
	v_add_f32_e32 v29, 1.0, v28
	v_add_f32_e32 v35, -1.0, v34
	v_sub_f32_e32 v29, v27, v29
	v_sub_f32_e32 v27, v27, v35
	v_add_f32_e32 v29, v26, v29
	v_add_f32_e32 v26, v26, v27
	;; [unrolled: 1-line block ×3, first 2 shown]
	v_rcp_f32_e32 v41, v39
	v_sub_f32_e32 v27, v34, v39
	v_add_f32_e32 v40, v26, v27
	v_add_f32_e32 v27, v28, v29
	v_mul_f32_e32 v43, v27, v41
	v_sub_f32_e32 v26, v28, v27
	v_mul_f32_e32 v28, v39, v43
	v_fma_f32 v34, v43, v39, -v28
	v_fmac_f32_e32 v34, v43, v40
	v_add_f32_e32 v42, v29, v26
	v_add_f32_e32 v26, v28, v34
	v_sub_f32_e32 v29, v27, v26
	v_pk_add_f32 v[36:37], v[26:27], v[28:29] neg_lo:[0,1] neg_hi:[0,1]
	v_mov_b32_e32 v35, v26
	v_pk_add_f32 v[26:27], v[36:37], v[34:35] neg_lo:[0,1] neg_hi:[0,1]
	v_cmp_neq_f32_e64 s[46:47], s50, v19
	v_add_f32_e32 v27, v42, v27
	v_add_f32_e32 v26, v26, v27
	;; [unrolled: 1-line block ×3, first 2 shown]
	v_mul_f32_e32 v42, v41, v27
	v_mul_f32_e32 v28, v39, v42
	v_fma_f32 v34, v42, v39, -v28
	v_fmac_f32_e32 v34, v42, v40
	v_sub_f32_e32 v29, v29, v27
	v_add_f32_e32 v39, v26, v29
	v_add_f32_e32 v26, v28, v34
	v_sub_f32_e32 v29, v27, v26
	v_pk_add_f32 v[36:37], v[26:27], v[28:29] neg_lo:[0,1] neg_hi:[0,1]
	v_mov_b32_e32 v35, v26
	v_pk_add_f32 v[26:27], v[36:37], v[34:35] neg_lo:[0,1] neg_hi:[0,1]
	v_cvt_f32_i32_e32 v28, v38
	v_add_f32_e32 v27, v39, v27
	v_add_f32_e32 v26, v26, v27
	;; [unrolled: 1-line block ×4, first 2 shown]
	v_sub_f32_e32 v27, v29, v43
	v_mul_f32_e32 v26, v41, v26
	v_sub_f32_e32 v27, v42, v27
	v_add_f32_e32 v26, v27, v26
	v_add_f32_e32 v34, v29, v26
	v_mul_f32_e32 v36, v34, v34
	v_mov_b32_e32 v27, 0x3ecc95a3
	v_sub_f32_e32 v29, v34, v29
	v_fmac_f32_e32 v27, 0x3e9b6dac, v36
	v_sub_f32_e32 v26, v26, v29
	v_fmaak_f32 v27, v36, v27, 0x3f2aaada
	v_ldexp_f32 v37, v26, 1
	v_mul_f32_e32 v29, v34, v36
	v_mov_b32_e32 v26, 0x3f317218
	v_pk_mul_f32 v[26:27], v[28:29], v[26:27]
	v_ldexp_f32 v35, v34, 1
	v_fma_f32 v29, v28, s33, -v26
	v_fmamk_f32 v34, v28, 0xb102e308, v29
	v_pk_add_f32 v[28:29], v[26:27], v[34:35]
	v_mov_b32_e32 v36, v26
	v_sub_f32_e32 v35, v29, v35
	v_sub_f32_e32 v35, v27, v35
	v_add_f32_e32 v37, v37, v35
	v_pk_add_f32 v[26:27], v[28:29], v[26:27] neg_lo:[0,1] neg_hi:[0,1]
	v_pk_add_f32 v[38:39], v[28:29], v[36:37]
	v_mov_b32_e32 v35, v28
	v_mov_b32_e32 v27, v39
	v_pk_add_f32 v[40:41], v[34:35], v[26:27] neg_lo:[0,1] neg_hi:[0,1]
	v_pk_add_f32 v[26:27], v[34:35], v[26:27]
	v_mov_b32_e32 v36, v37
	v_pk_add_f32 v[34:35], v[26:27], v[28:29] op_sel:[1,0] op_sel_hi:[0,1] neg_lo:[0,1] neg_hi:[0,1]
	v_pk_add_f32 v[42:43], v[38:39], v[34:35] op_sel_hi:[1,0] neg_lo:[0,1] neg_hi:[0,1]
	v_mov_b32_e32 v38, v39
	v_mov_b32_e32 v39, v27
	v_pk_mov_b32 v[34:35], v[28:29], v[34:35] op_sel:[1,0]
	v_mov_b32_e32 v37, v28
	v_pk_add_f32 v[34:35], v[38:39], v[34:35] neg_lo:[0,1] neg_hi:[0,1]
	v_mov_b32_e32 v42, v40
	v_pk_add_f32 v[28:29], v[36:37], v[34:35] neg_lo:[0,1] neg_hi:[0,1]
	v_mov_b32_e32 v41, v27
	v_pk_add_f32 v[34:35], v[42:43], v[28:29]
	s_mov_b32 s33, 0x33800000
	v_pk_add_f32 v[36:37], v[34:35], v[34:35] op_sel:[0,1] op_sel_hi:[1,0]
	s_nop 0
	v_pk_add_f32 v[26:27], v[26:27], v[36:37] op_sel:[1,0] op_sel_hi:[0,1]
	v_mov_b32_e32 v35, v26
	v_pk_add_f32 v[38:39], v[34:35], v[40:41] neg_lo:[0,1] neg_hi:[0,1]
	v_mov_b32_e32 v29, v36
	v_sub_f32_e32 v27, v34, v38
	v_pk_add_f32 v[28:29], v[28:29], v[38:39] neg_lo:[0,1] neg_hi:[0,1]
	v_sub_f32_e32 v27, v40, v27
	v_add_f32_e32 v27, v28, v27
	v_add_f32_e32 v27, v27, v29
	;; [unrolled: 1-line block ×3, first 2 shown]
	v_cndmask_b32_e64 v26, v30, v26, s[46:47]
	v_cmp_lt_f32_e64 s[46:47], |v19|, s33
	s_nop 1
	v_cndmask_b32_e64 v19, v26, v19, s[46:47]
	v_add_f32_e32 v35, v18, v19
.LBB124_44:
	s_or_b64 exec, exec, s[48:49]
	v_max_f32_e32 v18, v35, v35
	v_max_f32_e32 v26, v7, v7
	v_min_f32_e32 v19, v18, v26
	v_cmp_u_f32_e64 s[48:49], v35, v35
	v_max_f32_e32 v18, v18, v26
	v_cmp_u_f32_e64 s[46:47], v7, v7
	v_cndmask_b32_e64 v19, v19, v35, s[48:49]
	v_cndmask_b32_e64 v18, v18, v35, s[48:49]
	;; [unrolled: 1-line block ×4, first 2 shown]
	s_movk_i32 s33, 0x1f8
	v_cmp_neq_f32_e64 s[48:49], v19, v18
	v_cmp_class_f32_e64 s[50:51], v19, s33
	s_or_b64 s[48:49], s[48:49], s[50:51]
	s_and_saveexec_b64 s[50:51], s[48:49]
	s_cbranch_execz .LBB124_46
; %bb.45:
	v_sub_f32_e32 v19, v19, v18
	s_mov_b32 s48, 0x3fb8aa3b
	v_mul_f32_e32 v27, 0x3fb8aa3b, v19
	v_fma_f32 v28, v19, s48, -v27
	v_rndne_f32_e32 v29, v27
	v_fmamk_f32 v28, v19, 0x32a5705f, v28
	v_sub_f32_e32 v27, v27, v29
	v_add_f32_e32 v27, v27, v28
	v_exp_f32_e32 v27, v27
	v_cvt_i32_f32_e32 v28, v29
	s_mov_b32 s48, 0xc2ce8ed0
	v_cmp_ngt_f32_e64 s[48:49], s48, v19
	v_mov_b32_e32 v30, 0x7f800000
	v_ldexp_f32 v27, v27, v28
	v_cndmask_b32_e64 v27, 0, v27, s[48:49]
	s_mov_b32 s48, 0x42b17218
	v_cmp_nlt_f32_e64 s[48:49], s48, v19
	s_mov_b32 s52, 0x7f800000
	s_nop 0
	v_cndmask_b32_e64 v19, v30, v27, s[48:49]
	v_add_f32_e32 v27, 1.0, v19
	v_add_f32_e32 v28, -1.0, v27
	v_sub_f32_e32 v29, v28, v27
	v_add_f32_e32 v29, 1.0, v29
	v_sub_f32_e32 v28, v19, v28
	v_add_f32_e32 v34, v28, v29
	v_frexp_mant_f32_e32 v35, v27
	s_mov_b32 s48, 0x3f2aaaab
	v_cvt_f64_f32_e32 v[28:29], v27
	v_frexp_exp_i32_f64_e32 v28, v[28:29]
	v_cmp_gt_f32_e64 s[48:49], s48, v35
	s_nop 1
	v_subbrev_co_u32_e64 v40, s[48:49], 0, v28, s[48:49]
	v_sub_u32_e32 v28, 0, v40
	v_ldexp_f32 v27, v27, v28
	v_ldexp_f32 v28, v34, v28
	v_add_f32_e32 v34, -1.0, v27
	v_add_f32_e32 v29, 1.0, v34
	v_sub_f32_e32 v29, v27, v29
	v_add_f32_e32 v35, v28, v29
	v_add_f32_e32 v29, 1.0, v27
	v_add_f32_e32 v36, -1.0, v29
	v_sub_f32_e32 v27, v27, v36
	v_add_f32_e32 v27, v28, v27
	v_add_f32_e32 v41, v29, v27
	v_rcp_f32_e32 v42, v41
	v_sub_f32_e32 v28, v29, v41
	v_add_f32_e32 v29, v34, v35
	v_add_f32_e32 v27, v27, v28
	v_mul_f32_e32 v44, v29, v42
	v_sub_f32_e32 v28, v34, v29
	v_mul_f32_e32 v34, v41, v44
	v_fma_f32 v36, v44, v41, -v34
	v_fmac_f32_e32 v36, v44, v27
	v_add_f32_e32 v43, v35, v28
	v_add_f32_e32 v28, v34, v36
	v_sub_f32_e32 v35, v29, v28
	v_pk_add_f32 v[38:39], v[28:29], v[34:35] neg_lo:[0,1] neg_hi:[0,1]
	v_mov_b32_e32 v37, v28
	v_pk_add_f32 v[28:29], v[38:39], v[36:37] neg_lo:[0,1] neg_hi:[0,1]
	s_mov_b32 s48, 0x3f317218
	v_add_f32_e32 v29, v43, v29
	v_add_f32_e32 v28, v28, v29
	;; [unrolled: 1-line block ×3, first 2 shown]
	v_mul_f32_e32 v43, v42, v29
	v_mul_f32_e32 v34, v41, v43
	v_fma_f32 v36, v43, v41, -v34
	v_fmac_f32_e32 v36, v43, v27
	v_sub_f32_e32 v27, v35, v29
	v_add_f32_e32 v27, v28, v27
	v_add_f32_e32 v28, v34, v36
	v_sub_f32_e32 v35, v29, v28
	v_pk_add_f32 v[38:39], v[28:29], v[34:35] neg_lo:[0,1] neg_hi:[0,1]
	v_mov_b32_e32 v37, v28
	v_pk_add_f32 v[28:29], v[38:39], v[36:37] neg_lo:[0,1] neg_hi:[0,1]
	v_cvt_f32_i32_e32 v34, v40
	v_add_f32_e32 v27, v27, v29
	v_add_f32_e32 v27, v28, v27
	;; [unrolled: 1-line block ×4, first 2 shown]
	v_sub_f32_e32 v29, v28, v44
	v_mul_f32_e32 v27, v42, v27
	v_sub_f32_e32 v29, v43, v29
	v_add_f32_e32 v27, v29, v27
	v_add_f32_e32 v35, v28, v27
	v_mul_f32_e32 v36, v35, v35
	v_mov_b32_e32 v29, 0x3ecc95a3
	v_fmac_f32_e32 v29, 0x3e9b6dac, v36
	v_sub_f32_e32 v28, v35, v28
	v_fmaak_f32 v29, v36, v29, 0x3f2aaada
	v_sub_f32_e32 v27, v27, v28
	v_ldexp_f32 v37, v35, 1
	v_mul_f32_e32 v35, v35, v36
	v_mov_b32_e32 v28, 0x3f317218
	v_pk_mul_f32 v[28:29], v[34:35], v[28:29]
	v_ldexp_f32 v27, v27, 1
	v_fma_f32 v35, v34, s48, -v28
	v_fmamk_f32 v36, v34, 0xb102e308, v35
	v_pk_add_f32 v[34:35], v[28:29], v[36:37]
	v_mov_b32_e32 v38, v28
	v_sub_f32_e32 v37, v35, v37
	v_sub_f32_e32 v37, v29, v37
	v_add_f32_e32 v39, v27, v37
	v_pk_add_f32 v[28:29], v[34:35], v[28:29] neg_lo:[0,1] neg_hi:[0,1]
	v_pk_add_f32 v[40:41], v[34:35], v[38:39]
	v_mov_b32_e32 v37, v34
	v_mov_b32_e32 v29, v41
	v_pk_add_f32 v[42:43], v[36:37], v[28:29] neg_lo:[0,1] neg_hi:[0,1]
	v_pk_add_f32 v[28:29], v[36:37], v[28:29]
	v_mov_b32_e32 v38, v39
	v_pk_add_f32 v[36:37], v[28:29], v[34:35] op_sel:[1,0] op_sel_hi:[0,1] neg_lo:[0,1] neg_hi:[0,1]
	v_pk_add_f32 v[44:45], v[40:41], v[36:37] op_sel_hi:[1,0] neg_lo:[0,1] neg_hi:[0,1]
	v_mov_b32_e32 v40, v41
	v_mov_b32_e32 v41, v29
	v_pk_mov_b32 v[36:37], v[34:35], v[36:37] op_sel:[1,0]
	v_mov_b32_e32 v39, v34
	v_pk_add_f32 v[36:37], v[40:41], v[36:37] neg_lo:[0,1] neg_hi:[0,1]
	v_mov_b32_e32 v44, v42
	v_pk_add_f32 v[34:35], v[38:39], v[36:37] neg_lo:[0,1] neg_hi:[0,1]
	v_mov_b32_e32 v43, v29
	v_pk_add_f32 v[36:37], v[44:45], v[34:35]
	v_cmp_neq_f32_e64 s[48:49], s52, v19
	v_pk_add_f32 v[38:39], v[36:37], v[36:37] op_sel:[0,1] op_sel_hi:[1,0]
	s_nop 0
	v_pk_add_f32 v[28:29], v[28:29], v[38:39] op_sel:[1,0] op_sel_hi:[0,1]
	v_mov_b32_e32 v37, v28
	v_pk_add_f32 v[40:41], v[36:37], v[42:43] neg_lo:[0,1] neg_hi:[0,1]
	v_mov_b32_e32 v35, v38
	v_sub_f32_e32 v27, v36, v40
	v_pk_add_f32 v[34:35], v[34:35], v[40:41] neg_lo:[0,1] neg_hi:[0,1]
	v_sub_f32_e32 v27, v42, v27
	v_add_f32_e32 v27, v34, v27
	v_add_f32_e32 v27, v27, v35
	;; [unrolled: 1-line block ×3, first 2 shown]
	v_cndmask_b32_e64 v27, v30, v27, s[48:49]
	s_mov_b32 s48, 0x33800000
	v_cmp_lt_f32_e64 s[48:49], |v19|, s48
	s_nop 1
	v_cndmask_b32_e64 v19, v27, v19, s[48:49]
	v_add_f32_e32 v35, v18, v19
.LBB124_46:
	s_or_b64 exec, exec, s[50:51]
	v_max_f32_e32 v18, v35, v35
	v_max_f32_e32 v27, v8, v8
	v_min_f32_e32 v19, v18, v27
	v_cmp_u_f32_e64 s[50:51], v35, v35
	v_max_f32_e32 v18, v18, v27
	v_cmp_u_f32_e64 s[48:49], v8, v8
	v_cndmask_b32_e64 v19, v19, v35, s[50:51]
	v_cndmask_b32_e64 v18, v18, v35, s[50:51]
	;; [unrolled: 1-line block ×4, first 2 shown]
	v_cmp_neq_f32_e64 s[50:51], v19, v18
	v_cmp_class_f32_e64 s[52:53], v19, s33
	s_or_b64 s[50:51], s[50:51], s[52:53]
	s_and_saveexec_b64 s[52:53], s[50:51]
	s_cbranch_execz .LBB124_48
; %bb.47:
	v_sub_f32_e32 v19, v19, v18
	s_mov_b32 s33, 0x3fb8aa3b
	v_mul_f32_e32 v28, 0x3fb8aa3b, v19
	v_fma_f32 v29, v19, s33, -v28
	v_rndne_f32_e32 v30, v28
	v_fmamk_f32 v29, v19, 0x32a5705f, v29
	v_sub_f32_e32 v28, v28, v30
	v_add_f32_e32 v28, v28, v29
	v_exp_f32_e32 v28, v28
	v_cvt_i32_f32_e32 v29, v30
	s_mov_b32 s33, 0xc2ce8ed0
	v_cmp_ngt_f32_e64 s[50:51], s33, v19
	s_mov_b32 s33, 0x42b17218
	v_ldexp_f32 v28, v28, v29
	v_cndmask_b32_e64 v28, 0, v28, s[50:51]
	v_mov_b32_e32 v30, 0x7f800000
	v_cmp_nlt_f32_e64 s[50:51], s33, v19
	s_mov_b32 s33, 0x3f2aaaab
	s_mov_b32 s54, 0x7f800000
	v_cndmask_b32_e64 v19, v30, v28, s[50:51]
	v_add_f32_e32 v34, 1.0, v19
	v_add_f32_e32 v28, -1.0, v34
	v_sub_f32_e32 v29, v28, v34
	v_add_f32_e32 v29, 1.0, v29
	v_sub_f32_e32 v28, v19, v28
	v_add_f32_e32 v35, v28, v29
	v_frexp_mant_f32_e32 v36, v34
	v_cvt_f64_f32_e32 v[28:29], v34
	v_frexp_exp_i32_f64_e32 v28, v[28:29]
	v_cmp_gt_f32_e64 s[50:51], s33, v36
	s_mov_b32 s33, 0x3f317218
	s_nop 0
	v_subbrev_co_u32_e64 v40, s[50:51], 0, v28, s[50:51]
	v_sub_u32_e32 v28, 0, v40
	v_ldexp_f32 v29, v34, v28
	v_add_f32_e32 v34, -1.0, v29
	v_add_f32_e32 v36, 1.0, v29
	v_ldexp_f32 v28, v35, v28
	v_add_f32_e32 v35, 1.0, v34
	v_add_f32_e32 v37, -1.0, v36
	v_sub_f32_e32 v35, v29, v35
	v_sub_f32_e32 v29, v29, v37
	v_add_f32_e32 v35, v28, v35
	v_add_f32_e32 v28, v28, v29
	;; [unrolled: 1-line block ×3, first 2 shown]
	v_rcp_f32_e32 v43, v41
	v_sub_f32_e32 v29, v36, v41
	v_add_f32_e32 v42, v28, v29
	v_add_f32_e32 v29, v34, v35
	v_mul_f32_e32 v45, v29, v43
	v_sub_f32_e32 v28, v34, v29
	v_mul_f32_e32 v34, v41, v45
	v_fma_f32 v36, v45, v41, -v34
	v_fmac_f32_e32 v36, v45, v42
	v_add_f32_e32 v44, v35, v28
	v_add_f32_e32 v28, v34, v36
	v_sub_f32_e32 v35, v29, v28
	v_pk_add_f32 v[38:39], v[28:29], v[34:35] neg_lo:[0,1] neg_hi:[0,1]
	v_mov_b32_e32 v37, v28
	v_pk_add_f32 v[28:29], v[38:39], v[36:37] neg_lo:[0,1] neg_hi:[0,1]
	v_cmp_neq_f32_e64 s[50:51], s54, v19
	v_add_f32_e32 v29, v44, v29
	v_add_f32_e32 v28, v28, v29
	v_add_f32_e32 v29, v35, v28
	v_mul_f32_e32 v44, v43, v29
	v_mul_f32_e32 v34, v41, v44
	v_fma_f32 v36, v44, v41, -v34
	v_fmac_f32_e32 v36, v44, v42
	v_sub_f32_e32 v35, v35, v29
	v_add_f32_e32 v41, v28, v35
	v_add_f32_e32 v28, v34, v36
	v_sub_f32_e32 v35, v29, v28
	v_pk_add_f32 v[38:39], v[28:29], v[34:35] neg_lo:[0,1] neg_hi:[0,1]
	v_mov_b32_e32 v37, v28
	v_pk_add_f32 v[28:29], v[38:39], v[36:37] neg_lo:[0,1] neg_hi:[0,1]
	v_cvt_f32_i32_e32 v34, v40
	v_add_f32_e32 v29, v41, v29
	v_add_f32_e32 v28, v28, v29
	;; [unrolled: 1-line block ×4, first 2 shown]
	v_sub_f32_e32 v29, v35, v45
	v_mul_f32_e32 v28, v43, v28
	v_sub_f32_e32 v29, v44, v29
	v_add_f32_e32 v28, v29, v28
	v_add_f32_e32 v36, v35, v28
	v_mul_f32_e32 v38, v36, v36
	v_mov_b32_e32 v29, 0x3ecc95a3
	v_sub_f32_e32 v35, v36, v35
	v_fmac_f32_e32 v29, 0x3e9b6dac, v38
	v_sub_f32_e32 v28, v28, v35
	v_fmaak_f32 v29, v38, v29, 0x3f2aaada
	v_ldexp_f32 v39, v28, 1
	v_mul_f32_e32 v35, v36, v38
	v_mov_b32_e32 v28, 0x3f317218
	v_pk_mul_f32 v[28:29], v[34:35], v[28:29]
	v_ldexp_f32 v37, v36, 1
	v_fma_f32 v35, v34, s33, -v28
	v_fmamk_f32 v36, v34, 0xb102e308, v35
	v_pk_add_f32 v[34:35], v[28:29], v[36:37]
	v_mov_b32_e32 v38, v28
	v_sub_f32_e32 v37, v35, v37
	v_sub_f32_e32 v37, v29, v37
	v_add_f32_e32 v39, v39, v37
	v_pk_add_f32 v[28:29], v[34:35], v[28:29] neg_lo:[0,1] neg_hi:[0,1]
	v_pk_add_f32 v[40:41], v[34:35], v[38:39]
	v_mov_b32_e32 v37, v34
	v_mov_b32_e32 v29, v41
	v_pk_add_f32 v[42:43], v[36:37], v[28:29] neg_lo:[0,1] neg_hi:[0,1]
	v_pk_add_f32 v[28:29], v[36:37], v[28:29]
	v_mov_b32_e32 v38, v39
	v_pk_add_f32 v[36:37], v[28:29], v[34:35] op_sel:[1,0] op_sel_hi:[0,1] neg_lo:[0,1] neg_hi:[0,1]
	v_pk_add_f32 v[44:45], v[40:41], v[36:37] op_sel_hi:[1,0] neg_lo:[0,1] neg_hi:[0,1]
	v_mov_b32_e32 v40, v41
	v_mov_b32_e32 v41, v29
	v_pk_mov_b32 v[36:37], v[34:35], v[36:37] op_sel:[1,0]
	v_mov_b32_e32 v39, v34
	v_pk_add_f32 v[36:37], v[40:41], v[36:37] neg_lo:[0,1] neg_hi:[0,1]
	v_mov_b32_e32 v44, v42
	v_pk_add_f32 v[34:35], v[38:39], v[36:37] neg_lo:[0,1] neg_hi:[0,1]
	v_mov_b32_e32 v43, v29
	v_pk_add_f32 v[36:37], v[44:45], v[34:35]
	s_mov_b32 s33, 0x33800000
	v_pk_add_f32 v[38:39], v[36:37], v[36:37] op_sel:[0,1] op_sel_hi:[1,0]
	s_nop 0
	v_pk_add_f32 v[28:29], v[28:29], v[38:39] op_sel:[1,0] op_sel_hi:[0,1]
	v_mov_b32_e32 v37, v28
	v_pk_add_f32 v[40:41], v[36:37], v[42:43] neg_lo:[0,1] neg_hi:[0,1]
	v_mov_b32_e32 v35, v38
	v_sub_f32_e32 v29, v36, v40
	v_pk_add_f32 v[34:35], v[34:35], v[40:41] neg_lo:[0,1] neg_hi:[0,1]
	v_sub_f32_e32 v29, v42, v29
	v_add_f32_e32 v29, v34, v29
	v_add_f32_e32 v29, v29, v35
	;; [unrolled: 1-line block ×3, first 2 shown]
	v_cndmask_b32_e64 v28, v30, v28, s[50:51]
	v_cmp_lt_f32_e64 s[50:51], |v19|, s33
	s_nop 1
	v_cndmask_b32_e64 v19, v28, v19, s[50:51]
	v_add_f32_e32 v35, v18, v19
.LBB124_48:
	s_or_b64 exec, exec, s[52:53]
	v_max_f32_e32 v18, v35, v35
	v_max_f32_e32 v28, v9, v9
	v_min_f32_e32 v19, v18, v28
	v_cmp_u_f32_e64 s[52:53], v35, v35
	v_max_f32_e32 v18, v18, v28
	v_cmp_u_f32_e64 s[50:51], v9, v9
	v_cndmask_b32_e64 v19, v19, v35, s[52:53]
	v_cndmask_b32_e64 v18, v18, v35, s[52:53]
	;; [unrolled: 1-line block ×4, first 2 shown]
	s_movk_i32 s33, 0x1f8
	v_cmp_neq_f32_e64 s[52:53], v19, v18
	v_cmp_class_f32_e64 s[54:55], v19, s33
	s_or_b64 s[52:53], s[52:53], s[54:55]
	s_and_saveexec_b64 s[54:55], s[52:53]
	s_cbranch_execz .LBB124_50
; %bb.49:
	v_sub_f32_e32 v19, v19, v18
	s_mov_b32 s52, 0x3fb8aa3b
	v_mul_f32_e32 v29, 0x3fb8aa3b, v19
	v_fma_f32 v30, v19, s52, -v29
	v_rndne_f32_e32 v34, v29
	v_fmamk_f32 v30, v19, 0x32a5705f, v30
	v_sub_f32_e32 v29, v29, v34
	v_add_f32_e32 v29, v29, v30
	v_exp_f32_e32 v29, v29
	v_cvt_i32_f32_e32 v30, v34
	s_mov_b32 s52, 0xc2ce8ed0
	v_cmp_ngt_f32_e64 s[52:53], s52, v19
	s_mov_b32 s58, 0x7f800000
	v_ldexp_f32 v29, v29, v30
	v_cndmask_b32_e64 v29, 0, v29, s[52:53]
	s_mov_b32 s52, 0x42b17218
	v_mov_b32_e32 v30, 0x7f800000
	v_cmp_nlt_f32_e64 s[52:53], s52, v19
	s_nop 1
	v_cndmask_b32_e64 v19, v30, v29, s[52:53]
	v_add_f32_e32 v29, 1.0, v19
	v_add_f32_e32 v34, -1.0, v29
	v_sub_f32_e32 v35, v34, v29
	v_add_f32_e32 v35, 1.0, v35
	v_sub_f32_e32 v34, v19, v34
	v_add_f32_e32 v36, v34, v35
	v_frexp_mant_f32_e32 v37, v29
	s_mov_b32 s52, 0x3f2aaaab
	v_cvt_f64_f32_e32 v[34:35], v29
	v_frexp_exp_i32_f64_e32 v34, v[34:35]
	v_cmp_gt_f32_e64 s[52:53], s52, v37
	s_nop 1
	v_subbrev_co_u32_e64 v42, s[52:53], 0, v34, s[52:53]
	v_sub_u32_e32 v34, 0, v42
	v_ldexp_f32 v29, v29, v34
	v_ldexp_f32 v34, v36, v34
	v_add_f32_e32 v36, -1.0, v29
	v_add_f32_e32 v35, 1.0, v36
	v_sub_f32_e32 v35, v29, v35
	v_add_f32_e32 v37, v34, v35
	v_add_f32_e32 v35, 1.0, v29
	v_add_f32_e32 v38, -1.0, v35
	v_sub_f32_e32 v29, v29, v38
	v_add_f32_e32 v29, v34, v29
	v_add_f32_e32 v43, v35, v29
	v_rcp_f32_e32 v44, v43
	v_sub_f32_e32 v34, v35, v43
	v_add_f32_e32 v35, v36, v37
	v_add_f32_e32 v29, v29, v34
	v_mul_f32_e32 v46, v35, v44
	v_sub_f32_e32 v34, v36, v35
	v_mul_f32_e32 v36, v43, v46
	v_fma_f32 v38, v46, v43, -v36
	v_fmac_f32_e32 v38, v46, v29
	v_add_f32_e32 v45, v37, v34
	v_add_f32_e32 v34, v36, v38
	v_sub_f32_e32 v37, v35, v34
	v_pk_add_f32 v[40:41], v[34:35], v[36:37] neg_lo:[0,1] neg_hi:[0,1]
	v_mov_b32_e32 v39, v34
	v_pk_add_f32 v[34:35], v[40:41], v[38:39] neg_lo:[0,1] neg_hi:[0,1]
	s_mov_b32 s52, 0x3f317218
	v_add_f32_e32 v35, v45, v35
	v_add_f32_e32 v34, v34, v35
	;; [unrolled: 1-line block ×3, first 2 shown]
	v_mul_f32_e32 v45, v44, v35
	v_mul_f32_e32 v36, v43, v45
	v_fma_f32 v38, v45, v43, -v36
	v_fmac_f32_e32 v38, v45, v29
	v_sub_f32_e32 v29, v37, v35
	v_add_f32_e32 v29, v34, v29
	v_add_f32_e32 v34, v36, v38
	v_sub_f32_e32 v37, v35, v34
	v_pk_add_f32 v[40:41], v[34:35], v[36:37] neg_lo:[0,1] neg_hi:[0,1]
	v_mov_b32_e32 v39, v34
	v_pk_add_f32 v[34:35], v[40:41], v[38:39] neg_lo:[0,1] neg_hi:[0,1]
	v_cvt_f32_i32_e32 v36, v42
	v_add_f32_e32 v29, v29, v35
	v_add_f32_e32 v29, v34, v29
	;; [unrolled: 1-line block ×4, first 2 shown]
	v_sub_f32_e32 v35, v34, v46
	v_mul_f32_e32 v29, v44, v29
	v_sub_f32_e32 v35, v45, v35
	v_add_f32_e32 v29, v35, v29
	v_add_f32_e32 v37, v34, v29
	v_mul_f32_e32 v38, v37, v37
	v_mov_b32_e32 v35, 0x3ecc95a3
	v_fmac_f32_e32 v35, 0x3e9b6dac, v38
	v_sub_f32_e32 v34, v37, v34
	v_fmaak_f32 v35, v38, v35, 0x3f2aaada
	v_sub_f32_e32 v29, v29, v34
	v_ldexp_f32 v39, v37, 1
	v_mul_f32_e32 v37, v37, v38
	v_mov_b32_e32 v34, 0x3f317218
	v_pk_mul_f32 v[34:35], v[36:37], v[34:35]
	v_ldexp_f32 v29, v29, 1
	v_fma_f32 v37, v36, s52, -v34
	v_fmamk_f32 v38, v36, 0xb102e308, v37
	v_pk_add_f32 v[36:37], v[34:35], v[38:39]
	v_mov_b32_e32 v40, v34
	v_sub_f32_e32 v39, v37, v39
	v_sub_f32_e32 v39, v35, v39
	v_add_f32_e32 v41, v29, v39
	v_pk_add_f32 v[34:35], v[36:37], v[34:35] neg_lo:[0,1] neg_hi:[0,1]
	v_pk_add_f32 v[42:43], v[36:37], v[40:41]
	v_mov_b32_e32 v39, v36
	v_mov_b32_e32 v35, v43
	v_pk_add_f32 v[44:45], v[38:39], v[34:35] neg_lo:[0,1] neg_hi:[0,1]
	v_pk_add_f32 v[34:35], v[38:39], v[34:35]
	v_mov_b32_e32 v40, v41
	v_pk_add_f32 v[38:39], v[34:35], v[36:37] op_sel:[1,0] op_sel_hi:[0,1] neg_lo:[0,1] neg_hi:[0,1]
	v_pk_add_f32 v[46:47], v[42:43], v[38:39] op_sel_hi:[1,0] neg_lo:[0,1] neg_hi:[0,1]
	v_mov_b32_e32 v42, v43
	v_mov_b32_e32 v43, v35
	v_pk_mov_b32 v[38:39], v[36:37], v[38:39] op_sel:[1,0]
	v_mov_b32_e32 v41, v36
	v_pk_add_f32 v[38:39], v[42:43], v[38:39] neg_lo:[0,1] neg_hi:[0,1]
	v_mov_b32_e32 v46, v44
	v_pk_add_f32 v[36:37], v[40:41], v[38:39] neg_lo:[0,1] neg_hi:[0,1]
	v_mov_b32_e32 v45, v35
	v_pk_add_f32 v[38:39], v[46:47], v[36:37]
	v_cmp_neq_f32_e64 s[52:53], s58, v19
	v_pk_add_f32 v[40:41], v[38:39], v[38:39] op_sel:[0,1] op_sel_hi:[1,0]
	s_nop 0
	v_pk_add_f32 v[34:35], v[34:35], v[40:41] op_sel:[1,0] op_sel_hi:[0,1]
	v_mov_b32_e32 v39, v34
	v_pk_add_f32 v[42:43], v[38:39], v[44:45] neg_lo:[0,1] neg_hi:[0,1]
	v_mov_b32_e32 v37, v40
	v_sub_f32_e32 v29, v38, v42
	v_pk_add_f32 v[36:37], v[36:37], v[42:43] neg_lo:[0,1] neg_hi:[0,1]
	v_sub_f32_e32 v29, v44, v29
	v_add_f32_e32 v29, v36, v29
	v_add_f32_e32 v29, v29, v37
	;; [unrolled: 1-line block ×3, first 2 shown]
	v_cndmask_b32_e64 v29, v30, v29, s[52:53]
	s_mov_b32 s52, 0x33800000
	v_cmp_lt_f32_e64 s[52:53], |v19|, s52
	s_nop 1
	v_cndmask_b32_e64 v19, v29, v19, s[52:53]
	v_add_f32_e32 v35, v18, v19
.LBB124_50:
	s_or_b64 exec, exec, s[54:55]
	v_max_f32_e32 v18, v35, v35
	v_max_f32_e32 v29, v16, v16
	v_min_f32_e32 v19, v18, v29
	v_cmp_u_f32_e64 s[54:55], v35, v35
	v_max_f32_e32 v18, v18, v29
	v_cmp_u_f32_e64 s[52:53], v16, v16
	v_cndmask_b32_e64 v19, v19, v35, s[54:55]
	v_cndmask_b32_e64 v18, v18, v35, s[54:55]
	;; [unrolled: 1-line block ×4, first 2 shown]
	v_cmp_neq_f32_e64 s[54:55], v19, v18
	v_cmp_class_f32_e64 s[58:59], v19, s33
	s_or_b64 s[54:55], s[54:55], s[58:59]
	s_and_saveexec_b64 s[58:59], s[54:55]
	s_cbranch_execz .LBB124_52
; %bb.51:
	v_sub_f32_e32 v19, v19, v18
	s_mov_b32 s33, 0x3fb8aa3b
	v_mul_f32_e32 v30, 0x3fb8aa3b, v19
	v_fma_f32 v34, v19, s33, -v30
	v_rndne_f32_e32 v35, v30
	v_fmamk_f32 v34, v19, 0x32a5705f, v34
	v_sub_f32_e32 v30, v30, v35
	v_add_f32_e32 v30, v30, v34
	v_exp_f32_e32 v30, v30
	v_cvt_i32_f32_e32 v34, v35
	s_mov_b32 s33, 0xc2ce8ed0
	v_cmp_ngt_f32_e64 s[54:55], s33, v19
	s_mov_b32 s33, 0x42b17218
	v_ldexp_f32 v30, v30, v34
	v_cndmask_b32_e64 v30, 0, v30, s[54:55]
	v_mov_b32_e32 v48, 0x7f800000
	v_cmp_nlt_f32_e64 s[54:55], s33, v19
	s_mov_b32 s33, 0x3f2aaaab
	s_mov_b32 s60, 0x7f800000
	v_cndmask_b32_e64 v19, v48, v30, s[54:55]
	v_add_f32_e32 v30, 1.0, v19
	v_add_f32_e32 v34, -1.0, v30
	v_sub_f32_e32 v35, v34, v30
	v_add_f32_e32 v35, 1.0, v35
	v_sub_f32_e32 v34, v19, v34
	v_add_f32_e32 v36, v34, v35
	v_frexp_mant_f32_e32 v37, v30
	v_cvt_f64_f32_e32 v[34:35], v30
	v_frexp_exp_i32_f64_e32 v34, v[34:35]
	v_cmp_gt_f32_e64 s[54:55], s33, v37
	s_mov_b32 s33, 0x3f317218
	s_nop 0
	v_subbrev_co_u32_e64 v42, s[54:55], 0, v34, s[54:55]
	v_sub_u32_e32 v34, 0, v42
	v_ldexp_f32 v30, v30, v34
	v_ldexp_f32 v34, v36, v34
	v_add_f32_e32 v36, -1.0, v30
	v_add_f32_e32 v35, 1.0, v36
	v_sub_f32_e32 v35, v30, v35
	v_add_f32_e32 v37, v34, v35
	v_add_f32_e32 v35, 1.0, v30
	v_add_f32_e32 v38, -1.0, v35
	v_sub_f32_e32 v30, v30, v38
	v_add_f32_e32 v30, v34, v30
	v_add_f32_e32 v43, v35, v30
	v_rcp_f32_e32 v44, v43
	v_sub_f32_e32 v34, v35, v43
	v_add_f32_e32 v35, v36, v37
	v_add_f32_e32 v30, v30, v34
	v_mul_f32_e32 v46, v35, v44
	v_sub_f32_e32 v34, v36, v35
	v_mul_f32_e32 v36, v43, v46
	v_fma_f32 v38, v46, v43, -v36
	v_fmac_f32_e32 v38, v46, v30
	v_add_f32_e32 v45, v37, v34
	v_add_f32_e32 v34, v36, v38
	v_sub_f32_e32 v37, v35, v34
	v_pk_add_f32 v[40:41], v[34:35], v[36:37] neg_lo:[0,1] neg_hi:[0,1]
	v_mov_b32_e32 v39, v34
	v_pk_add_f32 v[34:35], v[40:41], v[38:39] neg_lo:[0,1] neg_hi:[0,1]
	v_cmp_neq_f32_e64 s[54:55], s60, v19
	v_add_f32_e32 v35, v45, v35
	v_add_f32_e32 v34, v34, v35
	;; [unrolled: 1-line block ×3, first 2 shown]
	v_mul_f32_e32 v45, v44, v35
	v_mul_f32_e32 v36, v43, v45
	v_fma_f32 v38, v45, v43, -v36
	v_fmac_f32_e32 v38, v45, v30
	v_sub_f32_e32 v30, v37, v35
	v_add_f32_e32 v30, v34, v30
	v_add_f32_e32 v34, v36, v38
	v_sub_f32_e32 v37, v35, v34
	v_pk_add_f32 v[40:41], v[34:35], v[36:37] neg_lo:[0,1] neg_hi:[0,1]
	v_mov_b32_e32 v39, v34
	v_pk_add_f32 v[34:35], v[40:41], v[38:39] neg_lo:[0,1] neg_hi:[0,1]
	v_cvt_f32_i32_e32 v36, v42
	v_add_f32_e32 v30, v30, v35
	v_add_f32_e32 v30, v34, v30
	;; [unrolled: 1-line block ×4, first 2 shown]
	v_sub_f32_e32 v35, v34, v46
	v_mul_f32_e32 v30, v44, v30
	v_sub_f32_e32 v35, v45, v35
	v_add_f32_e32 v30, v35, v30
	v_add_f32_e32 v37, v34, v30
	v_mul_f32_e32 v38, v37, v37
	v_mov_b32_e32 v35, 0x3ecc95a3
	v_fmac_f32_e32 v35, 0x3e9b6dac, v38
	v_sub_f32_e32 v34, v37, v34
	v_fmaak_f32 v35, v38, v35, 0x3f2aaada
	v_sub_f32_e32 v30, v30, v34
	v_ldexp_f32 v39, v37, 1
	v_mul_f32_e32 v37, v37, v38
	v_mov_b32_e32 v34, 0x3f317218
	v_pk_mul_f32 v[34:35], v[36:37], v[34:35]
	v_ldexp_f32 v30, v30, 1
	v_fma_f32 v37, v36, s33, -v34
	v_fmamk_f32 v38, v36, 0xb102e308, v37
	v_pk_add_f32 v[36:37], v[34:35], v[38:39]
	v_mov_b32_e32 v40, v34
	v_sub_f32_e32 v39, v37, v39
	v_sub_f32_e32 v39, v35, v39
	v_add_f32_e32 v41, v30, v39
	v_pk_add_f32 v[34:35], v[36:37], v[34:35] neg_lo:[0,1] neg_hi:[0,1]
	v_pk_add_f32 v[42:43], v[36:37], v[40:41]
	v_mov_b32_e32 v39, v36
	v_mov_b32_e32 v35, v43
	v_pk_add_f32 v[44:45], v[38:39], v[34:35] neg_lo:[0,1] neg_hi:[0,1]
	v_pk_add_f32 v[34:35], v[38:39], v[34:35]
	v_mov_b32_e32 v40, v41
	v_pk_add_f32 v[38:39], v[34:35], v[36:37] op_sel:[1,0] op_sel_hi:[0,1] neg_lo:[0,1] neg_hi:[0,1]
	v_pk_add_f32 v[46:47], v[42:43], v[38:39] op_sel_hi:[1,0] neg_lo:[0,1] neg_hi:[0,1]
	v_mov_b32_e32 v42, v43
	v_mov_b32_e32 v43, v35
	v_pk_mov_b32 v[38:39], v[36:37], v[38:39] op_sel:[1,0]
	v_mov_b32_e32 v41, v36
	v_pk_add_f32 v[38:39], v[42:43], v[38:39] neg_lo:[0,1] neg_hi:[0,1]
	v_mov_b32_e32 v46, v44
	v_pk_add_f32 v[36:37], v[40:41], v[38:39] neg_lo:[0,1] neg_hi:[0,1]
	v_mov_b32_e32 v45, v35
	v_pk_add_f32 v[38:39], v[46:47], v[36:37]
	s_mov_b32 s33, 0x33800000
	v_pk_add_f32 v[40:41], v[38:39], v[38:39] op_sel:[0,1] op_sel_hi:[1,0]
	s_nop 0
	v_pk_add_f32 v[34:35], v[34:35], v[40:41] op_sel:[1,0] op_sel_hi:[0,1]
	v_mov_b32_e32 v39, v34
	v_pk_add_f32 v[42:43], v[38:39], v[44:45] neg_lo:[0,1] neg_hi:[0,1]
	v_mov_b32_e32 v37, v40
	v_sub_f32_e32 v30, v38, v42
	v_pk_add_f32 v[36:37], v[36:37], v[42:43] neg_lo:[0,1] neg_hi:[0,1]
	v_sub_f32_e32 v30, v44, v30
	v_add_f32_e32 v30, v36, v30
	v_add_f32_e32 v30, v30, v37
	;; [unrolled: 1-line block ×3, first 2 shown]
	v_cndmask_b32_e64 v30, v48, v30, s[54:55]
	v_cmp_lt_f32_e64 s[54:55], |v19|, s33
	s_nop 1
	v_cndmask_b32_e64 v19, v30, v19, s[54:55]
	v_add_f32_e32 v35, v18, v19
.LBB124_52:
	s_or_b64 exec, exec, s[58:59]
	v_max_f32_e32 v18, v35, v35
	v_max_f32_e32 v30, v17, v17
	v_min_f32_e32 v19, v18, v30
	v_cmp_u_f32_e64 s[58:59], v35, v35
	v_max_f32_e32 v18, v18, v30
	v_cmp_u_f32_e64 s[54:55], v17, v17
	v_cndmask_b32_e64 v19, v19, v35, s[58:59]
	v_cndmask_b32_e64 v18, v18, v35, s[58:59]
	;; [unrolled: 1-line block ×4, first 2 shown]
	s_movk_i32 s33, 0x1f8
	v_cmp_neq_f32_e64 s[58:59], v19, v18
	v_cmp_class_f32_e64 s[60:61], v19, s33
	s_or_b64 s[58:59], s[58:59], s[60:61]
	s_and_saveexec_b64 s[60:61], s[58:59]
	s_cbranch_execz .LBB124_54
; %bb.53:
	v_sub_f32_e32 v19, v19, v18
	s_mov_b32 s33, 0x3fb8aa3b
	v_mul_f32_e32 v34, 0x3fb8aa3b, v19
	v_fma_f32 v35, v19, s33, -v34
	v_rndne_f32_e32 v36, v34
	v_fmamk_f32 v35, v19, 0x32a5705f, v35
	v_sub_f32_e32 v34, v34, v36
	v_add_f32_e32 v34, v34, v35
	v_exp_f32_e32 v34, v34
	v_cvt_i32_f32_e32 v35, v36
	s_mov_b32 s33, 0xc2ce8ed0
	v_cmp_ngt_f32_e64 s[58:59], s33, v19
	s_mov_b32 s33, 0x42b17218
	v_ldexp_f32 v34, v34, v35
	v_cndmask_b32_e64 v34, 0, v34, s[58:59]
	v_mov_b32_e32 v48, 0x7f800000
	v_cmp_nlt_f32_e64 s[58:59], s33, v19
	s_mov_b32 s33, 0x3f2aaaab
	s_mov_b32 s62, 0x7f800000
	v_cndmask_b32_e64 v19, v48, v34, s[58:59]
	v_add_f32_e32 v36, 1.0, v19
	v_add_f32_e32 v34, -1.0, v36
	v_sub_f32_e32 v35, v34, v36
	v_add_f32_e32 v35, 1.0, v35
	v_sub_f32_e32 v34, v19, v34
	v_add_f32_e32 v37, v34, v35
	v_frexp_mant_f32_e32 v38, v36
	v_cvt_f64_f32_e32 v[34:35], v36
	v_frexp_exp_i32_f64_e32 v34, v[34:35]
	v_cmp_gt_f32_e64 s[58:59], s33, v38
	s_mov_b32 s33, 0x3f317218
	s_nop 0
	v_subbrev_co_u32_e64 v42, s[58:59], 0, v34, s[58:59]
	v_sub_u32_e32 v34, 0, v42
	v_ldexp_f32 v35, v36, v34
	v_add_f32_e32 v36, -1.0, v35
	v_add_f32_e32 v38, 1.0, v35
	v_ldexp_f32 v34, v37, v34
	v_add_f32_e32 v37, 1.0, v36
	v_add_f32_e32 v39, -1.0, v38
	v_sub_f32_e32 v37, v35, v37
	v_sub_f32_e32 v35, v35, v39
	v_add_f32_e32 v37, v34, v37
	v_add_f32_e32 v34, v34, v35
	;; [unrolled: 1-line block ×3, first 2 shown]
	v_rcp_f32_e32 v45, v43
	v_sub_f32_e32 v35, v38, v43
	v_add_f32_e32 v44, v34, v35
	v_add_f32_e32 v35, v36, v37
	v_mul_f32_e32 v47, v35, v45
	v_sub_f32_e32 v34, v36, v35
	v_mul_f32_e32 v36, v43, v47
	v_fma_f32 v38, v47, v43, -v36
	v_fmac_f32_e32 v38, v47, v44
	v_add_f32_e32 v46, v37, v34
	v_add_f32_e32 v34, v36, v38
	v_sub_f32_e32 v37, v35, v34
	v_pk_add_f32 v[40:41], v[34:35], v[36:37] neg_lo:[0,1] neg_hi:[0,1]
	v_mov_b32_e32 v39, v34
	v_pk_add_f32 v[34:35], v[40:41], v[38:39] neg_lo:[0,1] neg_hi:[0,1]
	v_cmp_neq_f32_e64 s[58:59], s62, v19
	v_add_f32_e32 v35, v46, v35
	v_add_f32_e32 v34, v34, v35
	;; [unrolled: 1-line block ×3, first 2 shown]
	v_mul_f32_e32 v46, v45, v35
	v_mul_f32_e32 v36, v43, v46
	v_fma_f32 v38, v46, v43, -v36
	v_fmac_f32_e32 v38, v46, v44
	v_sub_f32_e32 v37, v37, v35
	v_add_f32_e32 v43, v34, v37
	v_add_f32_e32 v34, v36, v38
	v_sub_f32_e32 v37, v35, v34
	v_pk_add_f32 v[40:41], v[34:35], v[36:37] neg_lo:[0,1] neg_hi:[0,1]
	v_mov_b32_e32 v39, v34
	v_pk_add_f32 v[34:35], v[40:41], v[38:39] neg_lo:[0,1] neg_hi:[0,1]
	v_cvt_f32_i32_e32 v36, v42
	v_add_f32_e32 v35, v43, v35
	v_add_f32_e32 v34, v34, v35
	;; [unrolled: 1-line block ×4, first 2 shown]
	v_sub_f32_e32 v35, v37, v47
	v_mul_f32_e32 v34, v45, v34
	v_sub_f32_e32 v35, v46, v35
	v_add_f32_e32 v34, v35, v34
	v_add_f32_e32 v38, v37, v34
	v_mul_f32_e32 v40, v38, v38
	v_mov_b32_e32 v35, 0x3ecc95a3
	v_sub_f32_e32 v37, v38, v37
	v_fmac_f32_e32 v35, 0x3e9b6dac, v40
	v_sub_f32_e32 v34, v34, v37
	v_fmaak_f32 v35, v40, v35, 0x3f2aaada
	v_ldexp_f32 v41, v34, 1
	v_mul_f32_e32 v37, v38, v40
	v_mov_b32_e32 v34, 0x3f317218
	v_pk_mul_f32 v[34:35], v[36:37], v[34:35]
	v_ldexp_f32 v39, v38, 1
	v_fma_f32 v37, v36, s33, -v34
	v_fmamk_f32 v38, v36, 0xb102e308, v37
	v_pk_add_f32 v[36:37], v[34:35], v[38:39]
	v_mov_b32_e32 v40, v34
	v_sub_f32_e32 v39, v37, v39
	v_sub_f32_e32 v39, v35, v39
	v_add_f32_e32 v41, v41, v39
	v_pk_add_f32 v[34:35], v[36:37], v[34:35] neg_lo:[0,1] neg_hi:[0,1]
	v_pk_add_f32 v[42:43], v[36:37], v[40:41]
	v_mov_b32_e32 v39, v36
	v_mov_b32_e32 v35, v43
	v_pk_add_f32 v[44:45], v[38:39], v[34:35] neg_lo:[0,1] neg_hi:[0,1]
	v_pk_add_f32 v[34:35], v[38:39], v[34:35]
	v_mov_b32_e32 v40, v41
	v_pk_add_f32 v[38:39], v[34:35], v[36:37] op_sel:[1,0] op_sel_hi:[0,1] neg_lo:[0,1] neg_hi:[0,1]
	v_pk_add_f32 v[46:47], v[42:43], v[38:39] op_sel_hi:[1,0] neg_lo:[0,1] neg_hi:[0,1]
	v_mov_b32_e32 v42, v43
	v_mov_b32_e32 v43, v35
	v_pk_mov_b32 v[38:39], v[36:37], v[38:39] op_sel:[1,0]
	v_mov_b32_e32 v41, v36
	v_pk_add_f32 v[38:39], v[42:43], v[38:39] neg_lo:[0,1] neg_hi:[0,1]
	v_mov_b32_e32 v46, v44
	v_pk_add_f32 v[36:37], v[40:41], v[38:39] neg_lo:[0,1] neg_hi:[0,1]
	v_mov_b32_e32 v45, v35
	v_pk_add_f32 v[38:39], v[46:47], v[36:37]
	s_mov_b32 s33, 0x33800000
	v_pk_add_f32 v[40:41], v[38:39], v[38:39] op_sel:[0,1] op_sel_hi:[1,0]
	s_nop 0
	v_pk_add_f32 v[34:35], v[34:35], v[40:41] op_sel:[1,0] op_sel_hi:[0,1]
	v_mov_b32_e32 v39, v34
	v_pk_add_f32 v[42:43], v[38:39], v[44:45] neg_lo:[0,1] neg_hi:[0,1]
	v_mov_b32_e32 v37, v40
	v_sub_f32_e32 v35, v38, v42
	v_pk_add_f32 v[36:37], v[36:37], v[42:43] neg_lo:[0,1] neg_hi:[0,1]
	v_sub_f32_e32 v35, v44, v35
	v_add_f32_e32 v35, v36, v35
	v_add_f32_e32 v35, v35, v37
	;; [unrolled: 1-line block ×3, first 2 shown]
	v_cndmask_b32_e64 v34, v48, v34, s[58:59]
	v_cmp_lt_f32_e64 s[58:59], |v19|, s33
	s_nop 1
	v_cndmask_b32_e64 v19, v34, v19, s[58:59]
	v_add_f32_e32 v35, v18, v19
.LBB124_54:
	s_or_b64 exec, exec, s[60:61]
	v_lshrrev_b32_e32 v18, 3, v0
	v_and_b32_e32 v18, 28, v18
	v_lshl_add_u32 v18, v0, 2, v18
	v_cmp_gt_u32_e64 s[58:59], 64, v0
	ds_write_b32 v18, v35
	s_waitcnt lgkmcnt(0)
	s_barrier
	s_and_saveexec_b64 s[64:65], s[58:59]
	s_cbranch_execz .LBB124_94
; %bb.55:
	v_lshrrev_b32_e32 v18, 1, v0
	v_and_b32_e32 v18, 0x7c, v18
	v_lshlrev_b32_e32 v19, 4, v0
	v_add_u32_e32 v34, v18, v19
	ds_read2_b32 v[18:19], v34 offset1:1
	s_movk_i32 s33, 0x1f8
	s_waitcnt lgkmcnt(0)
	v_max_f32_e32 v38, v19, v19
	v_max_f32_e32 v36, v18, v18
	v_min_f32_e32 v37, v36, v38
	v_cmp_u_f32_e64 s[58:59], v18, v18
	v_max_f32_e32 v38, v36, v38
	v_cmp_u_f32_e64 s[60:61], v19, v19
	v_cndmask_b32_e64 v37, v37, v18, s[58:59]
	v_cndmask_b32_e64 v38, v38, v18, s[58:59]
	;; [unrolled: 1-line block ×4, first 2 shown]
	v_cmp_neq_f32_e64 s[60:61], v37, v19
	v_cmp_class_f32_e64 s[62:63], v37, s33
	s_or_b64 s[60:61], s[60:61], s[62:63]
	v_mov_b32_e32 v38, v18
	s_and_saveexec_b64 s[62:63], s[60:61]
	s_cbranch_execz .LBB124_57
; %bb.56:
	v_sub_f32_e32 v37, v37, v19
	s_mov_b32 s60, 0x3fb8aa3b
	v_mul_f32_e32 v38, 0x3fb8aa3b, v37
	v_fma_f32 v39, v37, s60, -v38
	v_rndne_f32_e32 v40, v38
	v_fmamk_f32 v39, v37, 0x32a5705f, v39
	v_sub_f32_e32 v38, v38, v40
	v_add_f32_e32 v38, v38, v39
	v_exp_f32_e32 v38, v38
	v_cvt_i32_f32_e32 v39, v40
	s_mov_b32 s60, 0xc2ce8ed0
	v_cmp_ngt_f32_e64 s[60:61], s60, v37
	v_mov_b32_e32 v52, 0x7f800000
	v_ldexp_f32 v38, v38, v39
	v_cndmask_b32_e64 v38, 0, v38, s[60:61]
	s_mov_b32 s60, 0x42b17218
	v_cmp_nlt_f32_e64 s[60:61], s60, v37
	s_mov_b32 s66, 0x7f800000
	s_nop 0
	v_cndmask_b32_e64 v37, v52, v38, s[60:61]
	v_add_f32_e32 v40, 1.0, v37
	v_add_f32_e32 v38, -1.0, v40
	v_sub_f32_e32 v39, v38, v40
	v_add_f32_e32 v39, 1.0, v39
	v_sub_f32_e32 v38, v37, v38
	v_add_f32_e32 v41, v38, v39
	v_frexp_mant_f32_e32 v42, v40
	s_mov_b32 s60, 0x3f2aaaab
	v_cvt_f64_f32_e32 v[38:39], v40
	v_frexp_exp_i32_f64_e32 v38, v[38:39]
	v_cmp_gt_f32_e64 s[60:61], s60, v42
	s_nop 1
	v_subbrev_co_u32_e64 v46, s[60:61], 0, v38, s[60:61]
	v_sub_u32_e32 v38, 0, v46
	v_ldexp_f32 v39, v40, v38
	v_add_f32_e32 v40, -1.0, v39
	v_add_f32_e32 v42, 1.0, v39
	v_ldexp_f32 v38, v41, v38
	v_add_f32_e32 v41, 1.0, v40
	v_add_f32_e32 v43, -1.0, v42
	v_sub_f32_e32 v41, v39, v41
	v_sub_f32_e32 v39, v39, v43
	v_add_f32_e32 v41, v38, v41
	v_add_f32_e32 v38, v38, v39
	;; [unrolled: 1-line block ×3, first 2 shown]
	v_rcp_f32_e32 v49, v47
	v_sub_f32_e32 v39, v42, v47
	v_add_f32_e32 v48, v38, v39
	v_add_f32_e32 v39, v40, v41
	v_mul_f32_e32 v51, v39, v49
	v_sub_f32_e32 v38, v40, v39
	v_mul_f32_e32 v40, v47, v51
	v_fma_f32 v42, v51, v47, -v40
	v_fmac_f32_e32 v42, v51, v48
	v_add_f32_e32 v50, v41, v38
	v_add_f32_e32 v38, v40, v42
	v_sub_f32_e32 v41, v39, v38
	v_pk_add_f32 v[44:45], v[38:39], v[40:41] neg_lo:[0,1] neg_hi:[0,1]
	v_mov_b32_e32 v43, v38
	v_pk_add_f32 v[38:39], v[44:45], v[42:43] neg_lo:[0,1] neg_hi:[0,1]
	s_mov_b32 s60, 0x3f317218
	v_add_f32_e32 v39, v50, v39
	v_add_f32_e32 v38, v38, v39
	v_add_f32_e32 v39, v41, v38
	v_mul_f32_e32 v50, v49, v39
	v_mul_f32_e32 v40, v47, v50
	v_fma_f32 v42, v50, v47, -v40
	v_fmac_f32_e32 v42, v50, v48
	v_sub_f32_e32 v41, v41, v39
	v_add_f32_e32 v47, v38, v41
	v_add_f32_e32 v38, v40, v42
	v_sub_f32_e32 v41, v39, v38
	v_pk_add_f32 v[44:45], v[38:39], v[40:41] neg_lo:[0,1] neg_hi:[0,1]
	v_mov_b32_e32 v43, v38
	v_pk_add_f32 v[38:39], v[44:45], v[42:43] neg_lo:[0,1] neg_hi:[0,1]
	v_cvt_f32_i32_e32 v40, v46
	v_add_f32_e32 v39, v47, v39
	v_add_f32_e32 v38, v38, v39
	v_add_f32_e32 v38, v41, v38
	v_add_f32_e32 v41, v51, v50
	v_sub_f32_e32 v39, v41, v51
	v_mul_f32_e32 v38, v49, v38
	v_sub_f32_e32 v39, v50, v39
	v_add_f32_e32 v38, v39, v38
	v_add_f32_e32 v42, v41, v38
	v_mul_f32_e32 v44, v42, v42
	v_mov_b32_e32 v39, 0x3ecc95a3
	v_sub_f32_e32 v41, v42, v41
	v_fmac_f32_e32 v39, 0x3e9b6dac, v44
	v_sub_f32_e32 v38, v38, v41
	v_fmaak_f32 v39, v44, v39, 0x3f2aaada
	v_ldexp_f32 v45, v38, 1
	v_mul_f32_e32 v41, v42, v44
	v_mov_b32_e32 v38, 0x3f317218
	v_pk_mul_f32 v[38:39], v[40:41], v[38:39]
	v_ldexp_f32 v43, v42, 1
	v_fma_f32 v41, v40, s60, -v38
	v_fmamk_f32 v42, v40, 0xb102e308, v41
	v_pk_add_f32 v[40:41], v[38:39], v[42:43]
	v_mov_b32_e32 v44, v38
	v_sub_f32_e32 v43, v41, v43
	v_sub_f32_e32 v43, v39, v43
	v_add_f32_e32 v45, v45, v43
	v_pk_add_f32 v[38:39], v[40:41], v[38:39] neg_lo:[0,1] neg_hi:[0,1]
	v_pk_add_f32 v[46:47], v[40:41], v[44:45]
	v_mov_b32_e32 v43, v40
	v_mov_b32_e32 v39, v47
	v_pk_add_f32 v[48:49], v[42:43], v[38:39] neg_lo:[0,1] neg_hi:[0,1]
	v_pk_add_f32 v[38:39], v[42:43], v[38:39]
	v_mov_b32_e32 v44, v45
	v_pk_add_f32 v[42:43], v[38:39], v[40:41] op_sel:[1,0] op_sel_hi:[0,1] neg_lo:[0,1] neg_hi:[0,1]
	v_pk_add_f32 v[50:51], v[46:47], v[42:43] op_sel_hi:[1,0] neg_lo:[0,1] neg_hi:[0,1]
	v_mov_b32_e32 v46, v47
	v_mov_b32_e32 v47, v39
	v_pk_mov_b32 v[42:43], v[40:41], v[42:43] op_sel:[1,0]
	v_mov_b32_e32 v45, v40
	v_pk_add_f32 v[42:43], v[46:47], v[42:43] neg_lo:[0,1] neg_hi:[0,1]
	v_mov_b32_e32 v50, v48
	v_pk_add_f32 v[40:41], v[44:45], v[42:43] neg_lo:[0,1] neg_hi:[0,1]
	v_mov_b32_e32 v49, v39
	v_pk_add_f32 v[42:43], v[50:51], v[40:41]
	v_cmp_neq_f32_e64 s[60:61], s66, v37
	v_pk_add_f32 v[44:45], v[42:43], v[42:43] op_sel:[0,1] op_sel_hi:[1,0]
	s_nop 0
	v_pk_add_f32 v[38:39], v[38:39], v[44:45] op_sel:[1,0] op_sel_hi:[0,1]
	v_mov_b32_e32 v43, v38
	v_pk_add_f32 v[46:47], v[42:43], v[48:49] neg_lo:[0,1] neg_hi:[0,1]
	v_mov_b32_e32 v41, v44
	v_sub_f32_e32 v39, v42, v46
	v_pk_add_f32 v[40:41], v[40:41], v[46:47] neg_lo:[0,1] neg_hi:[0,1]
	v_sub_f32_e32 v39, v48, v39
	v_add_f32_e32 v39, v40, v39
	v_add_f32_e32 v39, v39, v41
	;; [unrolled: 1-line block ×3, first 2 shown]
	v_cndmask_b32_e64 v38, v52, v38, s[60:61]
	s_mov_b32 s60, 0x33800000
	v_cmp_lt_f32_e64 s[60:61], |v37|, s60
	s_nop 1
	v_cndmask_b32_e64 v37, v38, v37, s[60:61]
	v_add_f32_e32 v38, v19, v37
.LBB124_57:
	s_or_b64 exec, exec, s[62:63]
	ds_read_b32 v19, v34 offset:8
	v_max_f32_e32 v37, v38, v38
	v_cmp_u_f32_e64 s[60:61], v38, v38
	s_waitcnt lgkmcnt(0)
	v_max_f32_e32 v39, v19, v19
	v_min_f32_e32 v40, v37, v39
	v_max_f32_e32 v39, v37, v39
	v_cndmask_b32_e64 v37, v40, v38, s[60:61]
	v_cmp_u_f32_e64 s[62:63], v19, v19
	v_cndmask_b32_e64 v39, v39, v38, s[60:61]
	s_nop 0
	v_cndmask_b32_e64 v37, v37, v19, s[62:63]
	v_cndmask_b32_e64 v19, v39, v19, s[62:63]
	v_cmp_neq_f32_e64 s[60:61], v37, v19
	v_cmp_class_f32_e64 s[62:63], v37, s33
	s_or_b64 s[60:61], s[60:61], s[62:63]
	s_and_saveexec_b64 s[62:63], s[60:61]
	s_cbranch_execz .LBB124_59
; %bb.58:
	v_sub_f32_e32 v37, v37, v19
	s_mov_b32 s33, 0x3fb8aa3b
	v_mul_f32_e32 v38, 0x3fb8aa3b, v37
	v_fma_f32 v39, v37, s33, -v38
	v_rndne_f32_e32 v40, v38
	v_fmamk_f32 v39, v37, 0x32a5705f, v39
	v_sub_f32_e32 v38, v38, v40
	v_add_f32_e32 v38, v38, v39
	v_exp_f32_e32 v38, v38
	v_cvt_i32_f32_e32 v39, v40
	s_mov_b32 s33, 0xc2ce8ed0
	v_cmp_ngt_f32_e64 s[60:61], s33, v37
	s_mov_b32 s33, 0x42b17218
	v_ldexp_f32 v38, v38, v39
	v_cndmask_b32_e64 v38, 0, v38, s[60:61]
	v_mov_b32_e32 v52, 0x7f800000
	v_cmp_nlt_f32_e64 s[60:61], s33, v37
	s_mov_b32 s33, 0x3f2aaaab
	s_mov_b32 s66, 0x7f800000
	v_cndmask_b32_e64 v37, v52, v38, s[60:61]
	v_add_f32_e32 v40, 1.0, v37
	v_add_f32_e32 v38, -1.0, v40
	v_sub_f32_e32 v39, v38, v40
	v_add_f32_e32 v39, 1.0, v39
	v_sub_f32_e32 v38, v37, v38
	v_add_f32_e32 v41, v38, v39
	v_frexp_mant_f32_e32 v42, v40
	v_cvt_f64_f32_e32 v[38:39], v40
	v_frexp_exp_i32_f64_e32 v38, v[38:39]
	v_cmp_gt_f32_e64 s[60:61], s33, v42
	s_mov_b32 s33, 0x3f317218
	s_nop 0
	v_subbrev_co_u32_e64 v46, s[60:61], 0, v38, s[60:61]
	v_sub_u32_e32 v38, 0, v46
	v_ldexp_f32 v39, v40, v38
	v_add_f32_e32 v40, -1.0, v39
	v_add_f32_e32 v42, 1.0, v39
	v_ldexp_f32 v38, v41, v38
	v_add_f32_e32 v41, 1.0, v40
	v_add_f32_e32 v43, -1.0, v42
	v_sub_f32_e32 v41, v39, v41
	v_sub_f32_e32 v39, v39, v43
	v_add_f32_e32 v41, v38, v41
	v_add_f32_e32 v38, v38, v39
	;; [unrolled: 1-line block ×3, first 2 shown]
	v_rcp_f32_e32 v49, v47
	v_sub_f32_e32 v39, v42, v47
	v_add_f32_e32 v48, v38, v39
	v_add_f32_e32 v39, v40, v41
	v_mul_f32_e32 v51, v39, v49
	v_sub_f32_e32 v38, v40, v39
	v_mul_f32_e32 v40, v47, v51
	v_fma_f32 v42, v51, v47, -v40
	v_fmac_f32_e32 v42, v51, v48
	v_add_f32_e32 v50, v41, v38
	v_add_f32_e32 v38, v40, v42
	v_sub_f32_e32 v41, v39, v38
	v_pk_add_f32 v[44:45], v[38:39], v[40:41] neg_lo:[0,1] neg_hi:[0,1]
	v_mov_b32_e32 v43, v38
	v_pk_add_f32 v[38:39], v[44:45], v[42:43] neg_lo:[0,1] neg_hi:[0,1]
	v_cmp_neq_f32_e64 s[60:61], s66, v37
	v_add_f32_e32 v39, v50, v39
	v_add_f32_e32 v38, v38, v39
	;; [unrolled: 1-line block ×3, first 2 shown]
	v_mul_f32_e32 v50, v49, v39
	v_mul_f32_e32 v40, v47, v50
	v_fma_f32 v42, v50, v47, -v40
	v_fmac_f32_e32 v42, v50, v48
	v_sub_f32_e32 v41, v41, v39
	v_add_f32_e32 v47, v38, v41
	v_add_f32_e32 v38, v40, v42
	v_sub_f32_e32 v41, v39, v38
	v_pk_add_f32 v[44:45], v[38:39], v[40:41] neg_lo:[0,1] neg_hi:[0,1]
	v_mov_b32_e32 v43, v38
	v_pk_add_f32 v[38:39], v[44:45], v[42:43] neg_lo:[0,1] neg_hi:[0,1]
	v_cvt_f32_i32_e32 v40, v46
	v_add_f32_e32 v39, v47, v39
	v_add_f32_e32 v38, v38, v39
	v_add_f32_e32 v38, v41, v38
	v_add_f32_e32 v41, v51, v50
	v_sub_f32_e32 v39, v41, v51
	v_mul_f32_e32 v38, v49, v38
	v_sub_f32_e32 v39, v50, v39
	v_add_f32_e32 v38, v39, v38
	v_add_f32_e32 v42, v41, v38
	v_mul_f32_e32 v44, v42, v42
	v_mov_b32_e32 v39, 0x3ecc95a3
	v_sub_f32_e32 v41, v42, v41
	v_fmac_f32_e32 v39, 0x3e9b6dac, v44
	v_sub_f32_e32 v38, v38, v41
	v_fmaak_f32 v39, v44, v39, 0x3f2aaada
	v_ldexp_f32 v45, v38, 1
	v_mul_f32_e32 v41, v42, v44
	v_mov_b32_e32 v38, 0x3f317218
	v_pk_mul_f32 v[38:39], v[40:41], v[38:39]
	v_ldexp_f32 v43, v42, 1
	v_fma_f32 v41, v40, s33, -v38
	v_fmamk_f32 v42, v40, 0xb102e308, v41
	v_pk_add_f32 v[40:41], v[38:39], v[42:43]
	v_mov_b32_e32 v44, v38
	v_sub_f32_e32 v43, v41, v43
	v_sub_f32_e32 v43, v39, v43
	v_add_f32_e32 v45, v45, v43
	v_pk_add_f32 v[38:39], v[40:41], v[38:39] neg_lo:[0,1] neg_hi:[0,1]
	v_pk_add_f32 v[46:47], v[40:41], v[44:45]
	v_mov_b32_e32 v43, v40
	v_mov_b32_e32 v39, v47
	v_pk_add_f32 v[48:49], v[42:43], v[38:39] neg_lo:[0,1] neg_hi:[0,1]
	v_pk_add_f32 v[38:39], v[42:43], v[38:39]
	v_mov_b32_e32 v44, v45
	v_pk_add_f32 v[42:43], v[38:39], v[40:41] op_sel:[1,0] op_sel_hi:[0,1] neg_lo:[0,1] neg_hi:[0,1]
	v_pk_add_f32 v[50:51], v[46:47], v[42:43] op_sel_hi:[1,0] neg_lo:[0,1] neg_hi:[0,1]
	v_mov_b32_e32 v46, v47
	v_mov_b32_e32 v47, v39
	v_pk_mov_b32 v[42:43], v[40:41], v[42:43] op_sel:[1,0]
	v_mov_b32_e32 v45, v40
	v_pk_add_f32 v[42:43], v[46:47], v[42:43] neg_lo:[0,1] neg_hi:[0,1]
	v_mov_b32_e32 v50, v48
	v_pk_add_f32 v[40:41], v[44:45], v[42:43] neg_lo:[0,1] neg_hi:[0,1]
	v_mov_b32_e32 v49, v39
	v_pk_add_f32 v[42:43], v[50:51], v[40:41]
	s_mov_b32 s33, 0x33800000
	v_pk_add_f32 v[44:45], v[42:43], v[42:43] op_sel:[0,1] op_sel_hi:[1,0]
	s_nop 0
	v_pk_add_f32 v[38:39], v[38:39], v[44:45] op_sel:[1,0] op_sel_hi:[0,1]
	v_mov_b32_e32 v43, v38
	v_pk_add_f32 v[46:47], v[42:43], v[48:49] neg_lo:[0,1] neg_hi:[0,1]
	v_mov_b32_e32 v41, v44
	v_sub_f32_e32 v39, v42, v46
	v_pk_add_f32 v[40:41], v[40:41], v[46:47] neg_lo:[0,1] neg_hi:[0,1]
	v_sub_f32_e32 v39, v48, v39
	v_add_f32_e32 v39, v40, v39
	v_add_f32_e32 v39, v39, v41
	;; [unrolled: 1-line block ×3, first 2 shown]
	v_cndmask_b32_e64 v38, v52, v38, s[60:61]
	v_cmp_lt_f32_e64 s[60:61], |v37|, s33
	s_nop 1
	v_cndmask_b32_e64 v37, v38, v37, s[60:61]
	v_add_f32_e32 v38, v19, v37
.LBB124_59:
	s_or_b64 exec, exec, s[62:63]
	ds_read_b32 v19, v34 offset:12
	v_max_f32_e32 v37, v38, v38
	v_cmp_u_f32_e64 s[60:61], v38, v38
	s_movk_i32 s33, 0x1f8
	s_waitcnt lgkmcnt(0)
	v_max_f32_e32 v39, v19, v19
	v_min_f32_e32 v40, v37, v39
	v_max_f32_e32 v39, v37, v39
	v_cndmask_b32_e64 v37, v40, v38, s[60:61]
	v_cmp_u_f32_e64 s[62:63], v19, v19
	v_cndmask_b32_e64 v39, v39, v38, s[60:61]
	s_nop 0
	v_cndmask_b32_e64 v37, v37, v19, s[62:63]
	v_cndmask_b32_e64 v19, v39, v19, s[62:63]
	v_cmp_neq_f32_e64 s[60:61], v37, v19
	v_cmp_class_f32_e64 s[62:63], v37, s33
	s_or_b64 s[60:61], s[60:61], s[62:63]
	s_and_saveexec_b64 s[62:63], s[60:61]
	s_cbranch_execz .LBB124_61
; %bb.60:
	v_sub_f32_e32 v37, v37, v19
	s_mov_b32 s33, 0x3fb8aa3b
	v_mul_f32_e32 v38, 0x3fb8aa3b, v37
	v_fma_f32 v39, v37, s33, -v38
	v_rndne_f32_e32 v40, v38
	v_fmamk_f32 v39, v37, 0x32a5705f, v39
	v_sub_f32_e32 v38, v38, v40
	v_add_f32_e32 v38, v38, v39
	v_exp_f32_e32 v38, v38
	v_cvt_i32_f32_e32 v39, v40
	s_mov_b32 s33, 0xc2ce8ed0
	v_cmp_ngt_f32_e64 s[60:61], s33, v37
	s_mov_b32 s33, 0x42b17218
	v_ldexp_f32 v38, v38, v39
	v_cndmask_b32_e64 v38, 0, v38, s[60:61]
	v_mov_b32_e32 v52, 0x7f800000
	v_cmp_nlt_f32_e64 s[60:61], s33, v37
	s_mov_b32 s33, 0x3f2aaaab
	s_mov_b32 s66, 0x7f800000
	v_cndmask_b32_e64 v37, v52, v38, s[60:61]
	v_add_f32_e32 v40, 1.0, v37
	v_add_f32_e32 v38, -1.0, v40
	v_sub_f32_e32 v39, v38, v40
	v_add_f32_e32 v39, 1.0, v39
	v_sub_f32_e32 v38, v37, v38
	v_add_f32_e32 v41, v38, v39
	v_frexp_mant_f32_e32 v42, v40
	v_cvt_f64_f32_e32 v[38:39], v40
	v_frexp_exp_i32_f64_e32 v38, v[38:39]
	v_cmp_gt_f32_e64 s[60:61], s33, v42
	s_mov_b32 s33, 0x3f317218
	s_nop 0
	v_subbrev_co_u32_e64 v46, s[60:61], 0, v38, s[60:61]
	v_sub_u32_e32 v38, 0, v46
	v_ldexp_f32 v39, v40, v38
	v_add_f32_e32 v40, -1.0, v39
	v_add_f32_e32 v42, 1.0, v39
	v_ldexp_f32 v38, v41, v38
	v_add_f32_e32 v41, 1.0, v40
	v_add_f32_e32 v43, -1.0, v42
	v_sub_f32_e32 v41, v39, v41
	v_sub_f32_e32 v39, v39, v43
	v_add_f32_e32 v41, v38, v41
	v_add_f32_e32 v38, v38, v39
	;; [unrolled: 1-line block ×3, first 2 shown]
	v_rcp_f32_e32 v49, v47
	v_sub_f32_e32 v39, v42, v47
	v_add_f32_e32 v48, v38, v39
	v_add_f32_e32 v39, v40, v41
	v_mul_f32_e32 v51, v39, v49
	v_sub_f32_e32 v38, v40, v39
	v_mul_f32_e32 v40, v47, v51
	v_fma_f32 v42, v51, v47, -v40
	v_fmac_f32_e32 v42, v51, v48
	v_add_f32_e32 v50, v41, v38
	v_add_f32_e32 v38, v40, v42
	v_sub_f32_e32 v41, v39, v38
	v_pk_add_f32 v[44:45], v[38:39], v[40:41] neg_lo:[0,1] neg_hi:[0,1]
	v_mov_b32_e32 v43, v38
	v_pk_add_f32 v[38:39], v[44:45], v[42:43] neg_lo:[0,1] neg_hi:[0,1]
	v_cmp_neq_f32_e64 s[60:61], s66, v37
	v_add_f32_e32 v39, v50, v39
	v_add_f32_e32 v38, v38, v39
	;; [unrolled: 1-line block ×3, first 2 shown]
	v_mul_f32_e32 v50, v49, v39
	v_mul_f32_e32 v40, v47, v50
	v_fma_f32 v42, v50, v47, -v40
	v_fmac_f32_e32 v42, v50, v48
	v_sub_f32_e32 v41, v41, v39
	v_add_f32_e32 v47, v38, v41
	v_add_f32_e32 v38, v40, v42
	v_sub_f32_e32 v41, v39, v38
	v_pk_add_f32 v[44:45], v[38:39], v[40:41] neg_lo:[0,1] neg_hi:[0,1]
	v_mov_b32_e32 v43, v38
	v_pk_add_f32 v[38:39], v[44:45], v[42:43] neg_lo:[0,1] neg_hi:[0,1]
	v_cvt_f32_i32_e32 v40, v46
	v_add_f32_e32 v39, v47, v39
	v_add_f32_e32 v38, v38, v39
	v_add_f32_e32 v38, v41, v38
	v_add_f32_e32 v41, v51, v50
	v_sub_f32_e32 v39, v41, v51
	v_mul_f32_e32 v38, v49, v38
	v_sub_f32_e32 v39, v50, v39
	v_add_f32_e32 v38, v39, v38
	v_add_f32_e32 v42, v41, v38
	v_mul_f32_e32 v44, v42, v42
	v_mov_b32_e32 v39, 0x3ecc95a3
	v_sub_f32_e32 v41, v42, v41
	v_fmac_f32_e32 v39, 0x3e9b6dac, v44
	v_sub_f32_e32 v38, v38, v41
	v_fmaak_f32 v39, v44, v39, 0x3f2aaada
	v_ldexp_f32 v45, v38, 1
	v_mul_f32_e32 v41, v42, v44
	v_mov_b32_e32 v38, 0x3f317218
	v_pk_mul_f32 v[38:39], v[40:41], v[38:39]
	v_ldexp_f32 v43, v42, 1
	v_fma_f32 v41, v40, s33, -v38
	v_fmamk_f32 v42, v40, 0xb102e308, v41
	v_pk_add_f32 v[40:41], v[38:39], v[42:43]
	v_mov_b32_e32 v44, v38
	v_sub_f32_e32 v43, v41, v43
	v_sub_f32_e32 v43, v39, v43
	v_add_f32_e32 v45, v45, v43
	v_pk_add_f32 v[38:39], v[40:41], v[38:39] neg_lo:[0,1] neg_hi:[0,1]
	v_pk_add_f32 v[46:47], v[40:41], v[44:45]
	v_mov_b32_e32 v43, v40
	v_mov_b32_e32 v39, v47
	v_pk_add_f32 v[48:49], v[42:43], v[38:39] neg_lo:[0,1] neg_hi:[0,1]
	v_pk_add_f32 v[38:39], v[42:43], v[38:39]
	v_mov_b32_e32 v44, v45
	v_pk_add_f32 v[42:43], v[38:39], v[40:41] op_sel:[1,0] op_sel_hi:[0,1] neg_lo:[0,1] neg_hi:[0,1]
	v_pk_add_f32 v[50:51], v[46:47], v[42:43] op_sel_hi:[1,0] neg_lo:[0,1] neg_hi:[0,1]
	v_mov_b32_e32 v46, v47
	v_mov_b32_e32 v47, v39
	v_pk_mov_b32 v[42:43], v[40:41], v[42:43] op_sel:[1,0]
	v_mov_b32_e32 v45, v40
	v_pk_add_f32 v[42:43], v[46:47], v[42:43] neg_lo:[0,1] neg_hi:[0,1]
	v_mov_b32_e32 v50, v48
	v_pk_add_f32 v[40:41], v[44:45], v[42:43] neg_lo:[0,1] neg_hi:[0,1]
	v_mov_b32_e32 v49, v39
	v_pk_add_f32 v[42:43], v[50:51], v[40:41]
	s_mov_b32 s33, 0x33800000
	v_pk_add_f32 v[44:45], v[42:43], v[42:43] op_sel:[0,1] op_sel_hi:[1,0]
	s_nop 0
	v_pk_add_f32 v[38:39], v[38:39], v[44:45] op_sel:[1,0] op_sel_hi:[0,1]
	v_mov_b32_e32 v43, v38
	v_pk_add_f32 v[46:47], v[42:43], v[48:49] neg_lo:[0,1] neg_hi:[0,1]
	v_mov_b32_e32 v41, v44
	v_sub_f32_e32 v39, v42, v46
	v_pk_add_f32 v[40:41], v[40:41], v[46:47] neg_lo:[0,1] neg_hi:[0,1]
	v_sub_f32_e32 v39, v48, v39
	v_add_f32_e32 v39, v40, v39
	v_add_f32_e32 v39, v39, v41
	;; [unrolled: 1-line block ×3, first 2 shown]
	v_cndmask_b32_e64 v38, v52, v38, s[60:61]
	v_cmp_lt_f32_e64 s[60:61], |v37|, s33
	s_nop 1
	v_cndmask_b32_e64 v37, v38, v37, s[60:61]
	v_add_f32_e32 v38, v19, v37
.LBB124_61:
	s_or_b64 exec, exec, s[62:63]
	v_mbcnt_lo_u32_b32 v19, -1, 0
	v_mbcnt_hi_u32_b32 v19, -1, v19
	v_and_b32_e32 v37, 15, v19
	v_mov_b32_dpp v39, v38 row_shr:1 row_mask:0xf bank_mask:0xf
	v_cmp_ne_u32_e64 s[60:61], 0, v37
	s_and_saveexec_b64 s[62:63], s[60:61]
	s_xor_b64 s[66:67], exec, s[62:63]
	s_cbranch_execz .LBB124_65
; %bb.62:
	v_max_f32_e32 v41, v38, v38
	v_max_f32_e32 v42, v39, v39
	v_min_f32_e32 v40, v42, v41
	v_cmp_u_f32_e64 s[60:61], v39, v39
	v_max_f32_e32 v41, v42, v41
	v_cmp_u_f32_e64 s[62:63], v38, v38
	v_cndmask_b32_e64 v40, v40, v39, s[60:61]
	v_cndmask_b32_e64 v41, v41, v39, s[60:61]
	;; [unrolled: 1-line block ×4, first 2 shown]
	s_movk_i32 s33, 0x1f8
	v_cmp_neq_f32_e64 s[60:61], v40, v38
	v_cmp_class_f32_e64 s[62:63], v40, s33
	s_or_b64 s[60:61], s[60:61], s[62:63]
	s_and_saveexec_b64 s[62:63], s[60:61]
	s_cbranch_execz .LBB124_64
; %bb.63:
	v_sub_f32_e32 v39, v40, v38
	s_mov_b32 s33, 0x3fb8aa3b
	v_mul_f32_e32 v40, 0x3fb8aa3b, v39
	v_fma_f32 v41, v39, s33, -v40
	v_rndne_f32_e32 v42, v40
	v_fmamk_f32 v41, v39, 0x32a5705f, v41
	v_sub_f32_e32 v40, v40, v42
	v_add_f32_e32 v40, v40, v41
	v_exp_f32_e32 v40, v40
	v_cvt_i32_f32_e32 v41, v42
	s_mov_b32 s33, 0xc2ce8ed0
	v_cmp_ngt_f32_e64 s[60:61], s33, v39
	s_mov_b32 s33, 0x42b17218
	v_ldexp_f32 v40, v40, v41
	v_cndmask_b32_e64 v40, 0, v40, s[60:61]
	v_mov_b32_e32 v54, 0x7f800000
	v_cmp_nlt_f32_e64 s[60:61], s33, v39
	s_mov_b32 s33, 0x3f2aaaab
	s_mov_b32 s68, 0x7f800000
	v_cndmask_b32_e64 v39, v54, v40, s[60:61]
	v_add_f32_e32 v42, 1.0, v39
	v_add_f32_e32 v40, -1.0, v42
	v_sub_f32_e32 v41, v40, v42
	v_add_f32_e32 v41, 1.0, v41
	v_sub_f32_e32 v40, v39, v40
	v_add_f32_e32 v43, v40, v41
	v_frexp_mant_f32_e32 v44, v42
	v_cvt_f64_f32_e32 v[40:41], v42
	v_frexp_exp_i32_f64_e32 v40, v[40:41]
	v_cmp_gt_f32_e64 s[60:61], s33, v44
	s_mov_b32 s33, 0x3f317218
	s_nop 0
	v_subbrev_co_u32_e64 v48, s[60:61], 0, v40, s[60:61]
	v_sub_u32_e32 v40, 0, v48
	v_ldexp_f32 v41, v42, v40
	v_add_f32_e32 v42, -1.0, v41
	v_add_f32_e32 v44, 1.0, v41
	v_ldexp_f32 v40, v43, v40
	v_add_f32_e32 v43, 1.0, v42
	v_add_f32_e32 v45, -1.0, v44
	v_sub_f32_e32 v43, v41, v43
	v_sub_f32_e32 v41, v41, v45
	v_add_f32_e32 v43, v40, v43
	v_add_f32_e32 v40, v40, v41
	;; [unrolled: 1-line block ×3, first 2 shown]
	v_rcp_f32_e32 v51, v49
	v_sub_f32_e32 v41, v44, v49
	v_add_f32_e32 v50, v40, v41
	v_add_f32_e32 v41, v42, v43
	v_mul_f32_e32 v53, v41, v51
	v_sub_f32_e32 v40, v42, v41
	v_mul_f32_e32 v42, v49, v53
	v_fma_f32 v44, v53, v49, -v42
	v_fmac_f32_e32 v44, v53, v50
	v_add_f32_e32 v52, v43, v40
	v_add_f32_e32 v40, v42, v44
	v_sub_f32_e32 v43, v41, v40
	v_pk_add_f32 v[46:47], v[40:41], v[42:43] neg_lo:[0,1] neg_hi:[0,1]
	v_mov_b32_e32 v45, v40
	v_pk_add_f32 v[40:41], v[46:47], v[44:45] neg_lo:[0,1] neg_hi:[0,1]
	v_cmp_neq_f32_e64 s[60:61], s68, v39
	v_add_f32_e32 v41, v52, v41
	v_add_f32_e32 v40, v40, v41
	;; [unrolled: 1-line block ×3, first 2 shown]
	v_mul_f32_e32 v52, v51, v41
	v_mul_f32_e32 v42, v49, v52
	v_fma_f32 v44, v52, v49, -v42
	v_fmac_f32_e32 v44, v52, v50
	v_sub_f32_e32 v43, v43, v41
	v_add_f32_e32 v49, v40, v43
	v_add_f32_e32 v40, v42, v44
	v_sub_f32_e32 v43, v41, v40
	v_pk_add_f32 v[46:47], v[40:41], v[42:43] neg_lo:[0,1] neg_hi:[0,1]
	v_mov_b32_e32 v45, v40
	v_pk_add_f32 v[40:41], v[46:47], v[44:45] neg_lo:[0,1] neg_hi:[0,1]
	v_cvt_f32_i32_e32 v42, v48
	v_add_f32_e32 v41, v49, v41
	v_add_f32_e32 v40, v40, v41
	;; [unrolled: 1-line block ×4, first 2 shown]
	v_sub_f32_e32 v41, v43, v53
	v_mul_f32_e32 v40, v51, v40
	v_sub_f32_e32 v41, v52, v41
	v_add_f32_e32 v40, v41, v40
	v_add_f32_e32 v44, v43, v40
	v_mul_f32_e32 v46, v44, v44
	v_mov_b32_e32 v41, 0x3ecc95a3
	v_sub_f32_e32 v43, v44, v43
	v_fmac_f32_e32 v41, 0x3e9b6dac, v46
	v_sub_f32_e32 v40, v40, v43
	v_fmaak_f32 v41, v46, v41, 0x3f2aaada
	v_ldexp_f32 v47, v40, 1
	v_mul_f32_e32 v43, v44, v46
	v_mov_b32_e32 v40, 0x3f317218
	v_pk_mul_f32 v[40:41], v[42:43], v[40:41]
	v_ldexp_f32 v45, v44, 1
	v_fma_f32 v43, v42, s33, -v40
	v_fmamk_f32 v44, v42, 0xb102e308, v43
	v_pk_add_f32 v[42:43], v[40:41], v[44:45]
	v_mov_b32_e32 v46, v40
	v_sub_f32_e32 v45, v43, v45
	v_sub_f32_e32 v45, v41, v45
	v_add_f32_e32 v47, v47, v45
	v_pk_add_f32 v[40:41], v[42:43], v[40:41] neg_lo:[0,1] neg_hi:[0,1]
	v_pk_add_f32 v[48:49], v[42:43], v[46:47]
	v_mov_b32_e32 v45, v42
	v_mov_b32_e32 v41, v49
	v_pk_add_f32 v[50:51], v[44:45], v[40:41] neg_lo:[0,1] neg_hi:[0,1]
	v_pk_add_f32 v[40:41], v[44:45], v[40:41]
	v_mov_b32_e32 v46, v47
	v_pk_add_f32 v[44:45], v[40:41], v[42:43] op_sel:[1,0] op_sel_hi:[0,1] neg_lo:[0,1] neg_hi:[0,1]
	v_pk_add_f32 v[52:53], v[48:49], v[44:45] op_sel_hi:[1,0] neg_lo:[0,1] neg_hi:[0,1]
	v_mov_b32_e32 v48, v49
	v_mov_b32_e32 v49, v41
	v_pk_mov_b32 v[44:45], v[42:43], v[44:45] op_sel:[1,0]
	v_mov_b32_e32 v47, v42
	v_pk_add_f32 v[44:45], v[48:49], v[44:45] neg_lo:[0,1] neg_hi:[0,1]
	v_mov_b32_e32 v52, v50
	v_pk_add_f32 v[42:43], v[46:47], v[44:45] neg_lo:[0,1] neg_hi:[0,1]
	v_mov_b32_e32 v51, v41
	v_pk_add_f32 v[44:45], v[52:53], v[42:43]
	s_mov_b32 s33, 0x33800000
	v_pk_add_f32 v[46:47], v[44:45], v[44:45] op_sel:[0,1] op_sel_hi:[1,0]
	s_nop 0
	v_pk_add_f32 v[40:41], v[40:41], v[46:47] op_sel:[1,0] op_sel_hi:[0,1]
	v_mov_b32_e32 v45, v40
	v_pk_add_f32 v[48:49], v[44:45], v[50:51] neg_lo:[0,1] neg_hi:[0,1]
	v_mov_b32_e32 v43, v46
	v_sub_f32_e32 v41, v44, v48
	v_pk_add_f32 v[42:43], v[42:43], v[48:49] neg_lo:[0,1] neg_hi:[0,1]
	v_sub_f32_e32 v41, v50, v41
	v_add_f32_e32 v41, v42, v41
	v_add_f32_e32 v41, v41, v43
	;; [unrolled: 1-line block ×3, first 2 shown]
	v_cndmask_b32_e64 v40, v54, v40, s[60:61]
	v_cmp_lt_f32_e64 s[60:61], |v39|, s33
	s_nop 1
	v_cndmask_b32_e64 v39, v40, v39, s[60:61]
	v_add_f32_e32 v39, v38, v39
.LBB124_64:
	s_or_b64 exec, exec, s[62:63]
	v_mov_b32_e32 v38, v39
.LBB124_65:
	s_or_b64 exec, exec, s[66:67]
	s_nop 0
	v_mov_b32_dpp v39, v38 row_shr:2 row_mask:0xf bank_mask:0xf
	v_cmp_lt_u32_e64 s[60:61], 1, v37
	s_and_saveexec_b64 s[66:67], s[60:61]
	s_cbranch_execz .LBB124_69
; %bb.66:
	v_max_f32_e32 v41, v38, v38
	v_max_f32_e32 v42, v39, v39
	v_min_f32_e32 v40, v42, v41
	v_cmp_u_f32_e64 s[60:61], v39, v39
	v_max_f32_e32 v41, v42, v41
	v_cmp_u_f32_e64 s[62:63], v38, v38
	v_cndmask_b32_e64 v40, v40, v39, s[60:61]
	v_cndmask_b32_e64 v41, v41, v39, s[60:61]
	;; [unrolled: 1-line block ×4, first 2 shown]
	s_movk_i32 s33, 0x1f8
	v_cmp_neq_f32_e64 s[60:61], v40, v38
	v_cmp_class_f32_e64 s[62:63], v40, s33
	s_or_b64 s[60:61], s[60:61], s[62:63]
	s_and_saveexec_b64 s[62:63], s[60:61]
	s_cbranch_execz .LBB124_68
; %bb.67:
	v_sub_f32_e32 v39, v40, v38
	s_mov_b32 s33, 0x3fb8aa3b
	v_mul_f32_e32 v40, 0x3fb8aa3b, v39
	v_fma_f32 v41, v39, s33, -v40
	v_rndne_f32_e32 v42, v40
	v_fmamk_f32 v41, v39, 0x32a5705f, v41
	v_sub_f32_e32 v40, v40, v42
	v_add_f32_e32 v40, v40, v41
	v_exp_f32_e32 v40, v40
	v_cvt_i32_f32_e32 v41, v42
	s_mov_b32 s33, 0xc2ce8ed0
	v_cmp_ngt_f32_e64 s[60:61], s33, v39
	s_mov_b32 s33, 0x42b17218
	v_ldexp_f32 v40, v40, v41
	v_cndmask_b32_e64 v40, 0, v40, s[60:61]
	v_mov_b32_e32 v54, 0x7f800000
	v_cmp_nlt_f32_e64 s[60:61], s33, v39
	s_mov_b32 s33, 0x3f2aaaab
	s_mov_b32 s68, 0x7f800000
	v_cndmask_b32_e64 v39, v54, v40, s[60:61]
	v_add_f32_e32 v42, 1.0, v39
	v_add_f32_e32 v40, -1.0, v42
	v_sub_f32_e32 v41, v40, v42
	v_add_f32_e32 v41, 1.0, v41
	v_sub_f32_e32 v40, v39, v40
	v_add_f32_e32 v43, v40, v41
	v_frexp_mant_f32_e32 v44, v42
	v_cvt_f64_f32_e32 v[40:41], v42
	v_frexp_exp_i32_f64_e32 v40, v[40:41]
	v_cmp_gt_f32_e64 s[60:61], s33, v44
	s_mov_b32 s33, 0x3f317218
	s_nop 0
	v_subbrev_co_u32_e64 v48, s[60:61], 0, v40, s[60:61]
	v_sub_u32_e32 v40, 0, v48
	v_ldexp_f32 v41, v42, v40
	v_add_f32_e32 v42, -1.0, v41
	v_add_f32_e32 v44, 1.0, v41
	v_ldexp_f32 v40, v43, v40
	v_add_f32_e32 v43, 1.0, v42
	v_add_f32_e32 v45, -1.0, v44
	v_sub_f32_e32 v43, v41, v43
	v_sub_f32_e32 v41, v41, v45
	v_add_f32_e32 v43, v40, v43
	v_add_f32_e32 v40, v40, v41
	;; [unrolled: 1-line block ×3, first 2 shown]
	v_rcp_f32_e32 v51, v49
	v_sub_f32_e32 v41, v44, v49
	v_add_f32_e32 v50, v40, v41
	v_add_f32_e32 v41, v42, v43
	v_mul_f32_e32 v53, v41, v51
	v_sub_f32_e32 v40, v42, v41
	v_mul_f32_e32 v42, v49, v53
	v_fma_f32 v44, v53, v49, -v42
	v_fmac_f32_e32 v44, v53, v50
	v_add_f32_e32 v52, v43, v40
	v_add_f32_e32 v40, v42, v44
	v_sub_f32_e32 v43, v41, v40
	v_pk_add_f32 v[46:47], v[40:41], v[42:43] neg_lo:[0,1] neg_hi:[0,1]
	v_mov_b32_e32 v45, v40
	v_pk_add_f32 v[40:41], v[46:47], v[44:45] neg_lo:[0,1] neg_hi:[0,1]
	v_cmp_neq_f32_e64 s[60:61], s68, v39
	v_add_f32_e32 v41, v52, v41
	v_add_f32_e32 v40, v40, v41
	;; [unrolled: 1-line block ×3, first 2 shown]
	v_mul_f32_e32 v52, v51, v41
	v_mul_f32_e32 v42, v49, v52
	v_fma_f32 v44, v52, v49, -v42
	v_fmac_f32_e32 v44, v52, v50
	v_sub_f32_e32 v43, v43, v41
	v_add_f32_e32 v49, v40, v43
	v_add_f32_e32 v40, v42, v44
	v_sub_f32_e32 v43, v41, v40
	v_pk_add_f32 v[46:47], v[40:41], v[42:43] neg_lo:[0,1] neg_hi:[0,1]
	v_mov_b32_e32 v45, v40
	v_pk_add_f32 v[40:41], v[46:47], v[44:45] neg_lo:[0,1] neg_hi:[0,1]
	v_cvt_f32_i32_e32 v42, v48
	v_add_f32_e32 v41, v49, v41
	v_add_f32_e32 v40, v40, v41
	;; [unrolled: 1-line block ×4, first 2 shown]
	v_sub_f32_e32 v41, v43, v53
	v_mul_f32_e32 v40, v51, v40
	v_sub_f32_e32 v41, v52, v41
	v_add_f32_e32 v40, v41, v40
	v_add_f32_e32 v44, v43, v40
	v_mul_f32_e32 v46, v44, v44
	v_mov_b32_e32 v41, 0x3ecc95a3
	v_sub_f32_e32 v43, v44, v43
	v_fmac_f32_e32 v41, 0x3e9b6dac, v46
	v_sub_f32_e32 v40, v40, v43
	v_fmaak_f32 v41, v46, v41, 0x3f2aaada
	v_ldexp_f32 v47, v40, 1
	v_mul_f32_e32 v43, v44, v46
	v_mov_b32_e32 v40, 0x3f317218
	v_pk_mul_f32 v[40:41], v[42:43], v[40:41]
	v_ldexp_f32 v45, v44, 1
	v_fma_f32 v43, v42, s33, -v40
	v_fmamk_f32 v44, v42, 0xb102e308, v43
	v_pk_add_f32 v[42:43], v[40:41], v[44:45]
	v_mov_b32_e32 v46, v40
	v_sub_f32_e32 v45, v43, v45
	v_sub_f32_e32 v45, v41, v45
	v_add_f32_e32 v47, v47, v45
	v_pk_add_f32 v[40:41], v[42:43], v[40:41] neg_lo:[0,1] neg_hi:[0,1]
	v_pk_add_f32 v[48:49], v[42:43], v[46:47]
	v_mov_b32_e32 v45, v42
	v_mov_b32_e32 v41, v49
	v_pk_add_f32 v[50:51], v[44:45], v[40:41] neg_lo:[0,1] neg_hi:[0,1]
	v_pk_add_f32 v[40:41], v[44:45], v[40:41]
	v_mov_b32_e32 v46, v47
	v_pk_add_f32 v[44:45], v[40:41], v[42:43] op_sel:[1,0] op_sel_hi:[0,1] neg_lo:[0,1] neg_hi:[0,1]
	v_pk_add_f32 v[52:53], v[48:49], v[44:45] op_sel_hi:[1,0] neg_lo:[0,1] neg_hi:[0,1]
	v_mov_b32_e32 v48, v49
	v_mov_b32_e32 v49, v41
	v_pk_mov_b32 v[44:45], v[42:43], v[44:45] op_sel:[1,0]
	v_mov_b32_e32 v47, v42
	v_pk_add_f32 v[44:45], v[48:49], v[44:45] neg_lo:[0,1] neg_hi:[0,1]
	v_mov_b32_e32 v52, v50
	v_pk_add_f32 v[42:43], v[46:47], v[44:45] neg_lo:[0,1] neg_hi:[0,1]
	v_mov_b32_e32 v51, v41
	v_pk_add_f32 v[44:45], v[52:53], v[42:43]
	s_mov_b32 s33, 0x33800000
	v_pk_add_f32 v[46:47], v[44:45], v[44:45] op_sel:[0,1] op_sel_hi:[1,0]
	s_nop 0
	v_pk_add_f32 v[40:41], v[40:41], v[46:47] op_sel:[1,0] op_sel_hi:[0,1]
	v_mov_b32_e32 v45, v40
	v_pk_add_f32 v[48:49], v[44:45], v[50:51] neg_lo:[0,1] neg_hi:[0,1]
	v_mov_b32_e32 v43, v46
	v_sub_f32_e32 v41, v44, v48
	v_pk_add_f32 v[42:43], v[42:43], v[48:49] neg_lo:[0,1] neg_hi:[0,1]
	v_sub_f32_e32 v41, v50, v41
	v_add_f32_e32 v41, v42, v41
	v_add_f32_e32 v41, v41, v43
	;; [unrolled: 1-line block ×3, first 2 shown]
	v_cndmask_b32_e64 v40, v54, v40, s[60:61]
	v_cmp_lt_f32_e64 s[60:61], |v39|, s33
	s_nop 1
	v_cndmask_b32_e64 v39, v40, v39, s[60:61]
	v_add_f32_e32 v39, v38, v39
.LBB124_68:
	s_or_b64 exec, exec, s[62:63]
	v_mov_b32_e32 v38, v39
.LBB124_69:
	s_or_b64 exec, exec, s[66:67]
	s_nop 0
	v_mov_b32_dpp v39, v38 row_shr:4 row_mask:0xf bank_mask:0xf
	v_cmp_lt_u32_e64 s[60:61], 3, v37
	s_and_saveexec_b64 s[66:67], s[60:61]
	s_cbranch_execz .LBB124_73
; %bb.70:
	v_max_f32_e32 v41, v38, v38
	v_max_f32_e32 v42, v39, v39
	v_min_f32_e32 v40, v42, v41
	v_cmp_u_f32_e64 s[60:61], v39, v39
	v_max_f32_e32 v41, v42, v41
	v_cmp_u_f32_e64 s[62:63], v38, v38
	v_cndmask_b32_e64 v40, v40, v39, s[60:61]
	v_cndmask_b32_e64 v41, v41, v39, s[60:61]
	;; [unrolled: 1-line block ×4, first 2 shown]
	s_movk_i32 s33, 0x1f8
	v_cmp_neq_f32_e64 s[60:61], v40, v38
	v_cmp_class_f32_e64 s[62:63], v40, s33
	s_or_b64 s[60:61], s[60:61], s[62:63]
	s_and_saveexec_b64 s[62:63], s[60:61]
	s_cbranch_execz .LBB124_72
; %bb.71:
	v_sub_f32_e32 v39, v40, v38
	s_mov_b32 s33, 0x3fb8aa3b
	v_mul_f32_e32 v40, 0x3fb8aa3b, v39
	v_fma_f32 v41, v39, s33, -v40
	v_rndne_f32_e32 v42, v40
	v_fmamk_f32 v41, v39, 0x32a5705f, v41
	v_sub_f32_e32 v40, v40, v42
	v_add_f32_e32 v40, v40, v41
	v_exp_f32_e32 v40, v40
	v_cvt_i32_f32_e32 v41, v42
	s_mov_b32 s33, 0xc2ce8ed0
	v_cmp_ngt_f32_e64 s[60:61], s33, v39
	s_mov_b32 s33, 0x42b17218
	v_ldexp_f32 v40, v40, v41
	v_cndmask_b32_e64 v40, 0, v40, s[60:61]
	v_mov_b32_e32 v54, 0x7f800000
	v_cmp_nlt_f32_e64 s[60:61], s33, v39
	s_mov_b32 s33, 0x3f2aaaab
	s_mov_b32 s68, 0x7f800000
	v_cndmask_b32_e64 v39, v54, v40, s[60:61]
	v_add_f32_e32 v42, 1.0, v39
	v_add_f32_e32 v40, -1.0, v42
	v_sub_f32_e32 v41, v40, v42
	v_add_f32_e32 v41, 1.0, v41
	v_sub_f32_e32 v40, v39, v40
	v_add_f32_e32 v43, v40, v41
	v_frexp_mant_f32_e32 v44, v42
	v_cvt_f64_f32_e32 v[40:41], v42
	v_frexp_exp_i32_f64_e32 v40, v[40:41]
	v_cmp_gt_f32_e64 s[60:61], s33, v44
	s_mov_b32 s33, 0x3f317218
	s_nop 0
	v_subbrev_co_u32_e64 v48, s[60:61], 0, v40, s[60:61]
	v_sub_u32_e32 v40, 0, v48
	v_ldexp_f32 v41, v42, v40
	v_add_f32_e32 v42, -1.0, v41
	v_add_f32_e32 v44, 1.0, v41
	v_ldexp_f32 v40, v43, v40
	v_add_f32_e32 v43, 1.0, v42
	v_add_f32_e32 v45, -1.0, v44
	v_sub_f32_e32 v43, v41, v43
	v_sub_f32_e32 v41, v41, v45
	v_add_f32_e32 v43, v40, v43
	v_add_f32_e32 v40, v40, v41
	;; [unrolled: 1-line block ×3, first 2 shown]
	v_rcp_f32_e32 v51, v49
	v_sub_f32_e32 v41, v44, v49
	v_add_f32_e32 v50, v40, v41
	v_add_f32_e32 v41, v42, v43
	v_mul_f32_e32 v53, v41, v51
	v_sub_f32_e32 v40, v42, v41
	v_mul_f32_e32 v42, v49, v53
	v_fma_f32 v44, v53, v49, -v42
	v_fmac_f32_e32 v44, v53, v50
	v_add_f32_e32 v52, v43, v40
	v_add_f32_e32 v40, v42, v44
	v_sub_f32_e32 v43, v41, v40
	v_pk_add_f32 v[46:47], v[40:41], v[42:43] neg_lo:[0,1] neg_hi:[0,1]
	v_mov_b32_e32 v45, v40
	v_pk_add_f32 v[40:41], v[46:47], v[44:45] neg_lo:[0,1] neg_hi:[0,1]
	v_cmp_neq_f32_e64 s[60:61], s68, v39
	v_add_f32_e32 v41, v52, v41
	v_add_f32_e32 v40, v40, v41
	;; [unrolled: 1-line block ×3, first 2 shown]
	v_mul_f32_e32 v52, v51, v41
	v_mul_f32_e32 v42, v49, v52
	v_fma_f32 v44, v52, v49, -v42
	v_fmac_f32_e32 v44, v52, v50
	v_sub_f32_e32 v43, v43, v41
	v_add_f32_e32 v49, v40, v43
	v_add_f32_e32 v40, v42, v44
	v_sub_f32_e32 v43, v41, v40
	v_pk_add_f32 v[46:47], v[40:41], v[42:43] neg_lo:[0,1] neg_hi:[0,1]
	v_mov_b32_e32 v45, v40
	v_pk_add_f32 v[40:41], v[46:47], v[44:45] neg_lo:[0,1] neg_hi:[0,1]
	v_cvt_f32_i32_e32 v42, v48
	v_add_f32_e32 v41, v49, v41
	v_add_f32_e32 v40, v40, v41
	v_add_f32_e32 v40, v43, v40
	v_add_f32_e32 v43, v53, v52
	v_sub_f32_e32 v41, v43, v53
	v_mul_f32_e32 v40, v51, v40
	v_sub_f32_e32 v41, v52, v41
	v_add_f32_e32 v40, v41, v40
	v_add_f32_e32 v44, v43, v40
	v_mul_f32_e32 v46, v44, v44
	v_mov_b32_e32 v41, 0x3ecc95a3
	v_sub_f32_e32 v43, v44, v43
	v_fmac_f32_e32 v41, 0x3e9b6dac, v46
	v_sub_f32_e32 v40, v40, v43
	v_fmaak_f32 v41, v46, v41, 0x3f2aaada
	v_ldexp_f32 v47, v40, 1
	v_mul_f32_e32 v43, v44, v46
	v_mov_b32_e32 v40, 0x3f317218
	v_pk_mul_f32 v[40:41], v[42:43], v[40:41]
	v_ldexp_f32 v45, v44, 1
	v_fma_f32 v43, v42, s33, -v40
	v_fmamk_f32 v44, v42, 0xb102e308, v43
	v_pk_add_f32 v[42:43], v[40:41], v[44:45]
	v_mov_b32_e32 v46, v40
	v_sub_f32_e32 v45, v43, v45
	v_sub_f32_e32 v45, v41, v45
	v_add_f32_e32 v47, v47, v45
	v_pk_add_f32 v[40:41], v[42:43], v[40:41] neg_lo:[0,1] neg_hi:[0,1]
	v_pk_add_f32 v[48:49], v[42:43], v[46:47]
	v_mov_b32_e32 v45, v42
	v_mov_b32_e32 v41, v49
	v_pk_add_f32 v[50:51], v[44:45], v[40:41] neg_lo:[0,1] neg_hi:[0,1]
	v_pk_add_f32 v[40:41], v[44:45], v[40:41]
	v_mov_b32_e32 v46, v47
	v_pk_add_f32 v[44:45], v[40:41], v[42:43] op_sel:[1,0] op_sel_hi:[0,1] neg_lo:[0,1] neg_hi:[0,1]
	v_pk_add_f32 v[52:53], v[48:49], v[44:45] op_sel_hi:[1,0] neg_lo:[0,1] neg_hi:[0,1]
	v_mov_b32_e32 v48, v49
	v_mov_b32_e32 v49, v41
	v_pk_mov_b32 v[44:45], v[42:43], v[44:45] op_sel:[1,0]
	v_mov_b32_e32 v47, v42
	v_pk_add_f32 v[44:45], v[48:49], v[44:45] neg_lo:[0,1] neg_hi:[0,1]
	v_mov_b32_e32 v52, v50
	v_pk_add_f32 v[42:43], v[46:47], v[44:45] neg_lo:[0,1] neg_hi:[0,1]
	v_mov_b32_e32 v51, v41
	v_pk_add_f32 v[44:45], v[52:53], v[42:43]
	s_mov_b32 s33, 0x33800000
	v_pk_add_f32 v[46:47], v[44:45], v[44:45] op_sel:[0,1] op_sel_hi:[1,0]
	s_nop 0
	v_pk_add_f32 v[40:41], v[40:41], v[46:47] op_sel:[1,0] op_sel_hi:[0,1]
	v_mov_b32_e32 v45, v40
	v_pk_add_f32 v[48:49], v[44:45], v[50:51] neg_lo:[0,1] neg_hi:[0,1]
	v_mov_b32_e32 v43, v46
	v_sub_f32_e32 v41, v44, v48
	v_pk_add_f32 v[42:43], v[42:43], v[48:49] neg_lo:[0,1] neg_hi:[0,1]
	v_sub_f32_e32 v41, v50, v41
	v_add_f32_e32 v41, v42, v41
	v_add_f32_e32 v41, v41, v43
	;; [unrolled: 1-line block ×3, first 2 shown]
	v_cndmask_b32_e64 v40, v54, v40, s[60:61]
	v_cmp_lt_f32_e64 s[60:61], |v39|, s33
	s_nop 1
	v_cndmask_b32_e64 v39, v40, v39, s[60:61]
	v_add_f32_e32 v39, v38, v39
.LBB124_72:
	s_or_b64 exec, exec, s[62:63]
	v_mov_b32_e32 v38, v39
.LBB124_73:
	s_or_b64 exec, exec, s[66:67]
	s_nop 0
	v_mov_b32_dpp v39, v38 row_shr:8 row_mask:0xf bank_mask:0xf
	v_cmp_lt_u32_e64 s[60:61], 7, v37
	s_and_saveexec_b64 s[66:67], s[60:61]
	s_cbranch_execz .LBB124_77
; %bb.74:
	v_max_f32_e32 v37, v38, v38
	v_max_f32_e32 v41, v39, v39
	v_min_f32_e32 v40, v41, v37
	v_cmp_u_f32_e64 s[60:61], v39, v39
	v_max_f32_e32 v37, v41, v37
	v_cmp_u_f32_e64 s[62:63], v38, v38
	v_cndmask_b32_e64 v40, v40, v39, s[60:61]
	v_cndmask_b32_e64 v37, v37, v39, s[60:61]
	;; [unrolled: 1-line block ×4, first 2 shown]
	s_movk_i32 s33, 0x1f8
	v_cmp_neq_f32_e64 s[60:61], v40, v37
	v_cmp_class_f32_e64 s[62:63], v40, s33
	s_or_b64 s[60:61], s[60:61], s[62:63]
	s_and_saveexec_b64 s[62:63], s[60:61]
	s_cbranch_execz .LBB124_76
; %bb.75:
	v_sub_f32_e32 v38, v40, v37
	s_mov_b32 s33, 0x3fb8aa3b
	v_mul_f32_e32 v39, 0x3fb8aa3b, v38
	v_fma_f32 v40, v38, s33, -v39
	v_rndne_f32_e32 v41, v39
	v_fmamk_f32 v40, v38, 0x32a5705f, v40
	v_sub_f32_e32 v39, v39, v41
	v_add_f32_e32 v39, v39, v40
	v_exp_f32_e32 v39, v39
	v_cvt_i32_f32_e32 v40, v41
	s_mov_b32 s33, 0xc2ce8ed0
	v_cmp_ngt_f32_e64 s[60:61], s33, v38
	s_mov_b32 s33, 0x42b17218
	v_ldexp_f32 v39, v39, v40
	v_cndmask_b32_e64 v39, 0, v39, s[60:61]
	v_mov_b32_e32 v52, 0x7f800000
	v_cmp_nlt_f32_e64 s[60:61], s33, v38
	s_mov_b32 s33, 0x3f2aaaab
	s_mov_b32 s68, 0x7f800000
	v_cndmask_b32_e64 v53, v52, v39, s[60:61]
	v_add_f32_e32 v40, 1.0, v53
	v_add_f32_e32 v38, -1.0, v40
	v_sub_f32_e32 v39, v38, v40
	v_add_f32_e32 v39, 1.0, v39
	v_sub_f32_e32 v38, v53, v38
	v_add_f32_e32 v41, v38, v39
	v_frexp_mant_f32_e32 v42, v40
	v_cvt_f64_f32_e32 v[38:39], v40
	v_frexp_exp_i32_f64_e32 v38, v[38:39]
	v_cmp_gt_f32_e64 s[60:61], s33, v42
	s_mov_b32 s33, 0x3f317218
	s_nop 0
	v_subbrev_co_u32_e64 v46, s[60:61], 0, v38, s[60:61]
	v_sub_u32_e32 v38, 0, v46
	v_ldexp_f32 v39, v40, v38
	v_add_f32_e32 v40, -1.0, v39
	v_add_f32_e32 v42, 1.0, v39
	v_ldexp_f32 v38, v41, v38
	v_add_f32_e32 v41, 1.0, v40
	v_add_f32_e32 v43, -1.0, v42
	v_sub_f32_e32 v41, v39, v41
	v_sub_f32_e32 v39, v39, v43
	v_add_f32_e32 v41, v38, v41
	v_add_f32_e32 v38, v38, v39
	;; [unrolled: 1-line block ×3, first 2 shown]
	v_rcp_f32_e32 v49, v47
	v_sub_f32_e32 v39, v42, v47
	v_add_f32_e32 v48, v38, v39
	v_add_f32_e32 v39, v40, v41
	v_mul_f32_e32 v51, v39, v49
	v_sub_f32_e32 v38, v40, v39
	v_mul_f32_e32 v40, v47, v51
	v_fma_f32 v42, v51, v47, -v40
	v_fmac_f32_e32 v42, v51, v48
	v_add_f32_e32 v50, v41, v38
	v_add_f32_e32 v38, v40, v42
	v_sub_f32_e32 v41, v39, v38
	v_pk_add_f32 v[44:45], v[38:39], v[40:41] neg_lo:[0,1] neg_hi:[0,1]
	v_mov_b32_e32 v43, v38
	v_pk_add_f32 v[38:39], v[44:45], v[42:43] neg_lo:[0,1] neg_hi:[0,1]
	v_cmp_neq_f32_e64 s[60:61], s68, v53
	v_add_f32_e32 v39, v50, v39
	v_add_f32_e32 v38, v38, v39
	;; [unrolled: 1-line block ×3, first 2 shown]
	v_mul_f32_e32 v50, v49, v39
	v_mul_f32_e32 v40, v47, v50
	v_fma_f32 v42, v50, v47, -v40
	v_fmac_f32_e32 v42, v50, v48
	v_sub_f32_e32 v41, v41, v39
	v_add_f32_e32 v47, v38, v41
	v_add_f32_e32 v38, v40, v42
	v_sub_f32_e32 v41, v39, v38
	v_pk_add_f32 v[44:45], v[38:39], v[40:41] neg_lo:[0,1] neg_hi:[0,1]
	v_mov_b32_e32 v43, v38
	v_pk_add_f32 v[38:39], v[44:45], v[42:43] neg_lo:[0,1] neg_hi:[0,1]
	v_cvt_f32_i32_e32 v40, v46
	v_add_f32_e32 v39, v47, v39
	v_add_f32_e32 v38, v38, v39
	;; [unrolled: 1-line block ×4, first 2 shown]
	v_sub_f32_e32 v39, v41, v51
	v_mul_f32_e32 v38, v49, v38
	v_sub_f32_e32 v39, v50, v39
	v_add_f32_e32 v38, v39, v38
	v_add_f32_e32 v42, v41, v38
	v_mul_f32_e32 v44, v42, v42
	v_mov_b32_e32 v39, 0x3ecc95a3
	v_sub_f32_e32 v41, v42, v41
	v_fmac_f32_e32 v39, 0x3e9b6dac, v44
	v_sub_f32_e32 v38, v38, v41
	v_fmaak_f32 v39, v44, v39, 0x3f2aaada
	v_ldexp_f32 v45, v38, 1
	v_mul_f32_e32 v41, v42, v44
	v_mov_b32_e32 v38, 0x3f317218
	v_pk_mul_f32 v[38:39], v[40:41], v[38:39]
	v_ldexp_f32 v43, v42, 1
	v_fma_f32 v41, v40, s33, -v38
	v_fmamk_f32 v42, v40, 0xb102e308, v41
	v_pk_add_f32 v[40:41], v[38:39], v[42:43]
	v_mov_b32_e32 v44, v38
	v_sub_f32_e32 v43, v41, v43
	v_sub_f32_e32 v43, v39, v43
	v_add_f32_e32 v45, v45, v43
	v_pk_add_f32 v[38:39], v[40:41], v[38:39] neg_lo:[0,1] neg_hi:[0,1]
	v_pk_add_f32 v[46:47], v[40:41], v[44:45]
	v_mov_b32_e32 v43, v40
	v_mov_b32_e32 v39, v47
	v_pk_add_f32 v[48:49], v[42:43], v[38:39] neg_lo:[0,1] neg_hi:[0,1]
	v_pk_add_f32 v[38:39], v[42:43], v[38:39]
	v_mov_b32_e32 v44, v45
	v_pk_add_f32 v[42:43], v[38:39], v[40:41] op_sel:[1,0] op_sel_hi:[0,1] neg_lo:[0,1] neg_hi:[0,1]
	v_pk_add_f32 v[50:51], v[46:47], v[42:43] op_sel_hi:[1,0] neg_lo:[0,1] neg_hi:[0,1]
	v_mov_b32_e32 v46, v47
	v_mov_b32_e32 v47, v39
	v_pk_mov_b32 v[42:43], v[40:41], v[42:43] op_sel:[1,0]
	v_mov_b32_e32 v45, v40
	v_pk_add_f32 v[42:43], v[46:47], v[42:43] neg_lo:[0,1] neg_hi:[0,1]
	v_mov_b32_e32 v50, v48
	v_pk_add_f32 v[40:41], v[44:45], v[42:43] neg_lo:[0,1] neg_hi:[0,1]
	v_mov_b32_e32 v49, v39
	v_pk_add_f32 v[42:43], v[50:51], v[40:41]
	s_mov_b32 s33, 0x33800000
	v_pk_add_f32 v[44:45], v[42:43], v[42:43] op_sel:[0,1] op_sel_hi:[1,0]
	s_nop 0
	v_pk_add_f32 v[38:39], v[38:39], v[44:45] op_sel:[1,0] op_sel_hi:[0,1]
	v_mov_b32_e32 v43, v38
	v_pk_add_f32 v[46:47], v[42:43], v[48:49] neg_lo:[0,1] neg_hi:[0,1]
	v_mov_b32_e32 v41, v44
	v_sub_f32_e32 v39, v42, v46
	v_pk_add_f32 v[40:41], v[40:41], v[46:47] neg_lo:[0,1] neg_hi:[0,1]
	v_sub_f32_e32 v39, v48, v39
	v_add_f32_e32 v39, v40, v39
	v_add_f32_e32 v39, v39, v41
	;; [unrolled: 1-line block ×3, first 2 shown]
	v_cndmask_b32_e64 v38, v52, v38, s[60:61]
	v_cmp_lt_f32_e64 s[60:61], |v53|, s33
	s_nop 1
	v_cndmask_b32_e64 v38, v38, v53, s[60:61]
	v_add_f32_e32 v39, v37, v38
.LBB124_76:
	s_or_b64 exec, exec, s[62:63]
	v_mov_b32_e32 v38, v39
.LBB124_77:
	s_or_b64 exec, exec, s[66:67]
	v_and_b32_e32 v37, 16, v19
	v_mov_b32_dpp v39, v38 row_bcast:15 row_mask:0xf bank_mask:0xf
	v_cmp_ne_u32_e64 s[60:61], 0, v37
	s_and_saveexec_b64 s[66:67], s[60:61]
	s_cbranch_execz .LBB124_81
; %bb.78:
	v_max_f32_e32 v37, v38, v38
	v_max_f32_e32 v41, v39, v39
	v_min_f32_e32 v40, v41, v37
	v_cmp_u_f32_e64 s[60:61], v39, v39
	v_max_f32_e32 v37, v41, v37
	v_cmp_u_f32_e64 s[62:63], v38, v38
	v_cndmask_b32_e64 v40, v40, v39, s[60:61]
	v_cndmask_b32_e64 v37, v37, v39, s[60:61]
	;; [unrolled: 1-line block ×4, first 2 shown]
	s_movk_i32 s33, 0x1f8
	v_cmp_neq_f32_e64 s[60:61], v40, v37
	v_cmp_class_f32_e64 s[62:63], v40, s33
	s_or_b64 s[60:61], s[60:61], s[62:63]
	s_and_saveexec_b64 s[62:63], s[60:61]
	s_cbranch_execz .LBB124_80
; %bb.79:
	v_sub_f32_e32 v38, v40, v37
	s_mov_b32 s33, 0x3fb8aa3b
	v_mul_f32_e32 v39, 0x3fb8aa3b, v38
	v_fma_f32 v40, v38, s33, -v39
	v_rndne_f32_e32 v41, v39
	v_fmamk_f32 v40, v38, 0x32a5705f, v40
	v_sub_f32_e32 v39, v39, v41
	v_add_f32_e32 v39, v39, v40
	v_exp_f32_e32 v39, v39
	v_cvt_i32_f32_e32 v40, v41
	s_mov_b32 s33, 0xc2ce8ed0
	v_cmp_ngt_f32_e64 s[60:61], s33, v38
	s_mov_b32 s33, 0x42b17218
	v_ldexp_f32 v39, v39, v40
	v_cndmask_b32_e64 v39, 0, v39, s[60:61]
	v_mov_b32_e32 v52, 0x7f800000
	v_cmp_nlt_f32_e64 s[60:61], s33, v38
	s_mov_b32 s33, 0x3f2aaaab
	s_mov_b32 s68, 0x7f800000
	v_cndmask_b32_e64 v53, v52, v39, s[60:61]
	v_add_f32_e32 v40, 1.0, v53
	v_add_f32_e32 v38, -1.0, v40
	v_sub_f32_e32 v39, v38, v40
	v_add_f32_e32 v39, 1.0, v39
	v_sub_f32_e32 v38, v53, v38
	v_add_f32_e32 v41, v38, v39
	v_frexp_mant_f32_e32 v42, v40
	v_cvt_f64_f32_e32 v[38:39], v40
	v_frexp_exp_i32_f64_e32 v38, v[38:39]
	v_cmp_gt_f32_e64 s[60:61], s33, v42
	s_mov_b32 s33, 0x3f317218
	s_nop 0
	v_subbrev_co_u32_e64 v46, s[60:61], 0, v38, s[60:61]
	v_sub_u32_e32 v38, 0, v46
	v_ldexp_f32 v39, v40, v38
	v_add_f32_e32 v40, -1.0, v39
	v_add_f32_e32 v42, 1.0, v39
	v_ldexp_f32 v38, v41, v38
	v_add_f32_e32 v41, 1.0, v40
	v_add_f32_e32 v43, -1.0, v42
	v_sub_f32_e32 v41, v39, v41
	v_sub_f32_e32 v39, v39, v43
	v_add_f32_e32 v41, v38, v41
	v_add_f32_e32 v38, v38, v39
	;; [unrolled: 1-line block ×3, first 2 shown]
	v_rcp_f32_e32 v49, v47
	v_sub_f32_e32 v39, v42, v47
	v_add_f32_e32 v48, v38, v39
	v_add_f32_e32 v39, v40, v41
	v_mul_f32_e32 v51, v39, v49
	v_sub_f32_e32 v38, v40, v39
	v_mul_f32_e32 v40, v47, v51
	v_fma_f32 v42, v51, v47, -v40
	v_fmac_f32_e32 v42, v51, v48
	v_add_f32_e32 v50, v41, v38
	v_add_f32_e32 v38, v40, v42
	v_sub_f32_e32 v41, v39, v38
	v_pk_add_f32 v[44:45], v[38:39], v[40:41] neg_lo:[0,1] neg_hi:[0,1]
	v_mov_b32_e32 v43, v38
	v_pk_add_f32 v[38:39], v[44:45], v[42:43] neg_lo:[0,1] neg_hi:[0,1]
	v_cmp_neq_f32_e64 s[60:61], s68, v53
	v_add_f32_e32 v39, v50, v39
	v_add_f32_e32 v38, v38, v39
	v_add_f32_e32 v39, v41, v38
	v_mul_f32_e32 v50, v49, v39
	v_mul_f32_e32 v40, v47, v50
	v_fma_f32 v42, v50, v47, -v40
	v_fmac_f32_e32 v42, v50, v48
	v_sub_f32_e32 v41, v41, v39
	v_add_f32_e32 v47, v38, v41
	v_add_f32_e32 v38, v40, v42
	v_sub_f32_e32 v41, v39, v38
	v_pk_add_f32 v[44:45], v[38:39], v[40:41] neg_lo:[0,1] neg_hi:[0,1]
	v_mov_b32_e32 v43, v38
	v_pk_add_f32 v[38:39], v[44:45], v[42:43] neg_lo:[0,1] neg_hi:[0,1]
	v_cvt_f32_i32_e32 v40, v46
	v_add_f32_e32 v39, v47, v39
	v_add_f32_e32 v38, v38, v39
	;; [unrolled: 1-line block ×4, first 2 shown]
	v_sub_f32_e32 v39, v41, v51
	v_mul_f32_e32 v38, v49, v38
	v_sub_f32_e32 v39, v50, v39
	v_add_f32_e32 v38, v39, v38
	v_add_f32_e32 v42, v41, v38
	v_mul_f32_e32 v44, v42, v42
	v_mov_b32_e32 v39, 0x3ecc95a3
	v_sub_f32_e32 v41, v42, v41
	v_fmac_f32_e32 v39, 0x3e9b6dac, v44
	v_sub_f32_e32 v38, v38, v41
	v_fmaak_f32 v39, v44, v39, 0x3f2aaada
	v_ldexp_f32 v45, v38, 1
	v_mul_f32_e32 v41, v42, v44
	v_mov_b32_e32 v38, 0x3f317218
	v_pk_mul_f32 v[38:39], v[40:41], v[38:39]
	v_ldexp_f32 v43, v42, 1
	v_fma_f32 v41, v40, s33, -v38
	v_fmamk_f32 v42, v40, 0xb102e308, v41
	v_pk_add_f32 v[40:41], v[38:39], v[42:43]
	v_mov_b32_e32 v44, v38
	v_sub_f32_e32 v43, v41, v43
	v_sub_f32_e32 v43, v39, v43
	v_add_f32_e32 v45, v45, v43
	v_pk_add_f32 v[38:39], v[40:41], v[38:39] neg_lo:[0,1] neg_hi:[0,1]
	v_pk_add_f32 v[46:47], v[40:41], v[44:45]
	v_mov_b32_e32 v43, v40
	v_mov_b32_e32 v39, v47
	v_pk_add_f32 v[48:49], v[42:43], v[38:39] neg_lo:[0,1] neg_hi:[0,1]
	v_pk_add_f32 v[38:39], v[42:43], v[38:39]
	v_mov_b32_e32 v44, v45
	v_pk_add_f32 v[42:43], v[38:39], v[40:41] op_sel:[1,0] op_sel_hi:[0,1] neg_lo:[0,1] neg_hi:[0,1]
	v_pk_add_f32 v[50:51], v[46:47], v[42:43] op_sel_hi:[1,0] neg_lo:[0,1] neg_hi:[0,1]
	v_mov_b32_e32 v46, v47
	v_mov_b32_e32 v47, v39
	v_pk_mov_b32 v[42:43], v[40:41], v[42:43] op_sel:[1,0]
	v_mov_b32_e32 v45, v40
	v_pk_add_f32 v[42:43], v[46:47], v[42:43] neg_lo:[0,1] neg_hi:[0,1]
	v_mov_b32_e32 v50, v48
	v_pk_add_f32 v[40:41], v[44:45], v[42:43] neg_lo:[0,1] neg_hi:[0,1]
	v_mov_b32_e32 v49, v39
	v_pk_add_f32 v[42:43], v[50:51], v[40:41]
	s_mov_b32 s33, 0x33800000
	v_pk_add_f32 v[44:45], v[42:43], v[42:43] op_sel:[0,1] op_sel_hi:[1,0]
	s_nop 0
	v_pk_add_f32 v[38:39], v[38:39], v[44:45] op_sel:[1,0] op_sel_hi:[0,1]
	v_mov_b32_e32 v43, v38
	v_pk_add_f32 v[46:47], v[42:43], v[48:49] neg_lo:[0,1] neg_hi:[0,1]
	v_mov_b32_e32 v41, v44
	v_sub_f32_e32 v39, v42, v46
	v_pk_add_f32 v[40:41], v[40:41], v[46:47] neg_lo:[0,1] neg_hi:[0,1]
	v_sub_f32_e32 v39, v48, v39
	v_add_f32_e32 v39, v40, v39
	v_add_f32_e32 v39, v39, v41
	;; [unrolled: 1-line block ×3, first 2 shown]
	v_cndmask_b32_e64 v38, v52, v38, s[60:61]
	v_cmp_lt_f32_e64 s[60:61], |v53|, s33
	s_nop 1
	v_cndmask_b32_e64 v38, v38, v53, s[60:61]
	v_add_f32_e32 v39, v37, v38
.LBB124_80:
	s_or_b64 exec, exec, s[62:63]
	v_mov_b32_e32 v38, v39
.LBB124_81:
	s_or_b64 exec, exec, s[66:67]
	s_nop 0
	v_mov_b32_dpp v39, v38 row_bcast:31 row_mask:0xf bank_mask:0xf
	v_cmp_lt_u32_e64 s[60:61], 31, v19
	s_and_saveexec_b64 s[66:67], s[60:61]
	s_cbranch_execz .LBB124_85
; %bb.82:
	v_max_f32_e32 v37, v38, v38
	v_max_f32_e32 v41, v39, v39
	v_min_f32_e32 v40, v41, v37
	v_cmp_u_f32_e64 s[60:61], v39, v39
	v_max_f32_e32 v37, v41, v37
	v_cmp_u_f32_e64 s[62:63], v38, v38
	v_cndmask_b32_e64 v40, v40, v39, s[60:61]
	v_cndmask_b32_e64 v37, v37, v39, s[60:61]
	;; [unrolled: 1-line block ×4, first 2 shown]
	s_movk_i32 s33, 0x1f8
	v_cmp_neq_f32_e64 s[60:61], v40, v37
	v_cmp_class_f32_e64 s[62:63], v40, s33
	s_or_b64 s[60:61], s[60:61], s[62:63]
	s_and_saveexec_b64 s[62:63], s[60:61]
	s_cbranch_execz .LBB124_84
; %bb.83:
	v_sub_f32_e32 v38, v40, v37
	s_mov_b32 s33, 0x3fb8aa3b
	v_mul_f32_e32 v39, 0x3fb8aa3b, v38
	v_fma_f32 v40, v38, s33, -v39
	v_rndne_f32_e32 v41, v39
	v_fmamk_f32 v40, v38, 0x32a5705f, v40
	v_sub_f32_e32 v39, v39, v41
	v_add_f32_e32 v39, v39, v40
	v_exp_f32_e32 v39, v39
	v_cvt_i32_f32_e32 v40, v41
	s_mov_b32 s33, 0xc2ce8ed0
	v_cmp_ngt_f32_e64 s[60:61], s33, v38
	s_mov_b32 s33, 0x42b17218
	v_ldexp_f32 v39, v39, v40
	v_cndmask_b32_e64 v39, 0, v39, s[60:61]
	v_mov_b32_e32 v52, 0x7f800000
	v_cmp_nlt_f32_e64 s[60:61], s33, v38
	s_mov_b32 s33, 0x3f2aaaab
	s_mov_b32 s68, 0x7f800000
	v_cndmask_b32_e64 v53, v52, v39, s[60:61]
	v_add_f32_e32 v40, 1.0, v53
	v_add_f32_e32 v38, -1.0, v40
	v_sub_f32_e32 v39, v38, v40
	v_add_f32_e32 v39, 1.0, v39
	v_sub_f32_e32 v38, v53, v38
	v_add_f32_e32 v41, v38, v39
	v_frexp_mant_f32_e32 v42, v40
	v_cvt_f64_f32_e32 v[38:39], v40
	v_frexp_exp_i32_f64_e32 v38, v[38:39]
	v_cmp_gt_f32_e64 s[60:61], s33, v42
	s_mov_b32 s33, 0x3f317218
	s_nop 0
	v_subbrev_co_u32_e64 v46, s[60:61], 0, v38, s[60:61]
	v_sub_u32_e32 v38, 0, v46
	v_ldexp_f32 v39, v40, v38
	v_add_f32_e32 v40, -1.0, v39
	v_add_f32_e32 v42, 1.0, v39
	v_ldexp_f32 v38, v41, v38
	v_add_f32_e32 v41, 1.0, v40
	v_add_f32_e32 v43, -1.0, v42
	v_sub_f32_e32 v41, v39, v41
	v_sub_f32_e32 v39, v39, v43
	v_add_f32_e32 v41, v38, v41
	v_add_f32_e32 v38, v38, v39
	;; [unrolled: 1-line block ×3, first 2 shown]
	v_rcp_f32_e32 v49, v47
	v_sub_f32_e32 v39, v42, v47
	v_add_f32_e32 v48, v38, v39
	v_add_f32_e32 v39, v40, v41
	v_mul_f32_e32 v51, v39, v49
	v_sub_f32_e32 v38, v40, v39
	v_mul_f32_e32 v40, v47, v51
	v_fma_f32 v42, v51, v47, -v40
	v_fmac_f32_e32 v42, v51, v48
	v_add_f32_e32 v50, v41, v38
	v_add_f32_e32 v38, v40, v42
	v_sub_f32_e32 v41, v39, v38
	v_pk_add_f32 v[44:45], v[38:39], v[40:41] neg_lo:[0,1] neg_hi:[0,1]
	v_mov_b32_e32 v43, v38
	v_pk_add_f32 v[38:39], v[44:45], v[42:43] neg_lo:[0,1] neg_hi:[0,1]
	v_cmp_neq_f32_e64 s[60:61], s68, v53
	v_add_f32_e32 v39, v50, v39
	v_add_f32_e32 v38, v38, v39
	;; [unrolled: 1-line block ×3, first 2 shown]
	v_mul_f32_e32 v50, v49, v39
	v_mul_f32_e32 v40, v47, v50
	v_fma_f32 v42, v50, v47, -v40
	v_fmac_f32_e32 v42, v50, v48
	v_sub_f32_e32 v41, v41, v39
	v_add_f32_e32 v47, v38, v41
	v_add_f32_e32 v38, v40, v42
	v_sub_f32_e32 v41, v39, v38
	v_pk_add_f32 v[44:45], v[38:39], v[40:41] neg_lo:[0,1] neg_hi:[0,1]
	v_mov_b32_e32 v43, v38
	v_pk_add_f32 v[38:39], v[44:45], v[42:43] neg_lo:[0,1] neg_hi:[0,1]
	v_cvt_f32_i32_e32 v40, v46
	v_add_f32_e32 v39, v47, v39
	v_add_f32_e32 v38, v38, v39
	;; [unrolled: 1-line block ×4, first 2 shown]
	v_sub_f32_e32 v39, v41, v51
	v_mul_f32_e32 v38, v49, v38
	v_sub_f32_e32 v39, v50, v39
	v_add_f32_e32 v38, v39, v38
	v_add_f32_e32 v42, v41, v38
	v_mul_f32_e32 v44, v42, v42
	v_mov_b32_e32 v39, 0x3ecc95a3
	v_sub_f32_e32 v41, v42, v41
	v_fmac_f32_e32 v39, 0x3e9b6dac, v44
	v_sub_f32_e32 v38, v38, v41
	v_fmaak_f32 v39, v44, v39, 0x3f2aaada
	v_ldexp_f32 v45, v38, 1
	v_mul_f32_e32 v41, v42, v44
	v_mov_b32_e32 v38, 0x3f317218
	v_pk_mul_f32 v[38:39], v[40:41], v[38:39]
	v_ldexp_f32 v43, v42, 1
	v_fma_f32 v41, v40, s33, -v38
	v_fmamk_f32 v42, v40, 0xb102e308, v41
	v_pk_add_f32 v[40:41], v[38:39], v[42:43]
	v_mov_b32_e32 v44, v38
	v_sub_f32_e32 v43, v41, v43
	v_sub_f32_e32 v43, v39, v43
	v_add_f32_e32 v45, v45, v43
	v_pk_add_f32 v[38:39], v[40:41], v[38:39] neg_lo:[0,1] neg_hi:[0,1]
	v_pk_add_f32 v[46:47], v[40:41], v[44:45]
	v_mov_b32_e32 v43, v40
	v_mov_b32_e32 v39, v47
	v_pk_add_f32 v[48:49], v[42:43], v[38:39] neg_lo:[0,1] neg_hi:[0,1]
	v_pk_add_f32 v[38:39], v[42:43], v[38:39]
	v_mov_b32_e32 v44, v45
	v_pk_add_f32 v[42:43], v[38:39], v[40:41] op_sel:[1,0] op_sel_hi:[0,1] neg_lo:[0,1] neg_hi:[0,1]
	v_pk_add_f32 v[50:51], v[46:47], v[42:43] op_sel_hi:[1,0] neg_lo:[0,1] neg_hi:[0,1]
	v_mov_b32_e32 v46, v47
	v_mov_b32_e32 v47, v39
	v_pk_mov_b32 v[42:43], v[40:41], v[42:43] op_sel:[1,0]
	v_mov_b32_e32 v45, v40
	v_pk_add_f32 v[42:43], v[46:47], v[42:43] neg_lo:[0,1] neg_hi:[0,1]
	v_mov_b32_e32 v50, v48
	v_pk_add_f32 v[40:41], v[44:45], v[42:43] neg_lo:[0,1] neg_hi:[0,1]
	v_mov_b32_e32 v49, v39
	v_pk_add_f32 v[42:43], v[50:51], v[40:41]
	s_mov_b32 s33, 0x33800000
	v_pk_add_f32 v[44:45], v[42:43], v[42:43] op_sel:[0,1] op_sel_hi:[1,0]
	s_nop 0
	v_pk_add_f32 v[38:39], v[38:39], v[44:45] op_sel:[1,0] op_sel_hi:[0,1]
	v_mov_b32_e32 v43, v38
	v_pk_add_f32 v[46:47], v[42:43], v[48:49] neg_lo:[0,1] neg_hi:[0,1]
	v_mov_b32_e32 v41, v44
	v_sub_f32_e32 v39, v42, v46
	v_pk_add_f32 v[40:41], v[40:41], v[46:47] neg_lo:[0,1] neg_hi:[0,1]
	v_sub_f32_e32 v39, v48, v39
	v_add_f32_e32 v39, v40, v39
	v_add_f32_e32 v39, v39, v41
	;; [unrolled: 1-line block ×3, first 2 shown]
	v_cndmask_b32_e64 v38, v52, v38, s[60:61]
	v_cmp_lt_f32_e64 s[60:61], |v53|, s33
	s_nop 1
	v_cndmask_b32_e64 v38, v38, v53, s[60:61]
	v_add_f32_e32 v39, v37, v38
.LBB124_84:
	s_or_b64 exec, exec, s[62:63]
	v_mov_b32_e32 v38, v39
.LBB124_85:
	s_or_b64 exec, exec, s[66:67]
	v_add_u32_e32 v37, -1, v19
	v_and_b32_e32 v39, 64, v19
	v_cmp_lt_i32_e64 s[60:61], v37, v39
	s_movk_i32 s33, 0x1f8
	s_nop 0
	v_cndmask_b32_e64 v19, v37, v19, s[60:61]
	v_lshlrev_b32_e32 v19, 2, v19
	ds_bpermute_b32 v19, v19, v38
	s_waitcnt lgkmcnt(0)
	v_max_f32_e32 v37, v19, v19
	v_min_f32_e32 v38, v37, v36
	v_max_f32_e32 v37, v37, v36
	v_cmp_u_f32_e64 s[60:61], v19, v19
	s_nop 1
	v_cndmask_b32_e64 v36, v38, v19, s[60:61]
	v_cndmask_b32_e64 v37, v37, v19, s[60:61]
	;; [unrolled: 1-line block ×4, first 2 shown]
	v_cmp_neq_f32_e64 s[58:59], v36, v18
	v_cmp_class_f32_e64 s[60:61], v36, s33
	s_or_b64 s[58:59], s[58:59], s[60:61]
	s_and_saveexec_b64 s[60:61], s[58:59]
	s_cbranch_execz .LBB124_87
; %bb.86:
	v_sub_f32_e32 v19, v36, v18
	s_mov_b32 s58, 0x3fb8aa3b
	v_mul_f32_e32 v36, 0x3fb8aa3b, v19
	v_fma_f32 v37, v19, s58, -v36
	v_rndne_f32_e32 v38, v36
	v_fmamk_f32 v37, v19, 0x32a5705f, v37
	v_sub_f32_e32 v36, v36, v38
	v_add_f32_e32 v36, v36, v37
	v_exp_f32_e32 v36, v36
	v_cvt_i32_f32_e32 v37, v38
	s_mov_b32 s58, 0xc2ce8ed0
	v_cmp_ngt_f32_e64 s[58:59], s58, v19
	v_mov_b32_e32 v50, 0x7f800000
	v_ldexp_f32 v36, v36, v37
	v_cndmask_b32_e64 v36, 0, v36, s[58:59]
	s_mov_b32 s58, 0x42b17218
	v_cmp_nlt_f32_e64 s[58:59], s58, v19
	s_mov_b32 s62, 0x7f800000
	s_nop 0
	v_cndmask_b32_e64 v19, v50, v36, s[58:59]
	v_add_f32_e32 v38, 1.0, v19
	v_add_f32_e32 v36, -1.0, v38
	v_sub_f32_e32 v37, v36, v38
	v_add_f32_e32 v37, 1.0, v37
	v_sub_f32_e32 v36, v19, v36
	v_add_f32_e32 v39, v36, v37
	v_frexp_mant_f32_e32 v40, v38
	s_mov_b32 s58, 0x3f2aaaab
	v_cvt_f64_f32_e32 v[36:37], v38
	v_frexp_exp_i32_f64_e32 v36, v[36:37]
	v_cmp_gt_f32_e64 s[58:59], s58, v40
	s_nop 1
	v_subbrev_co_u32_e64 v44, s[58:59], 0, v36, s[58:59]
	v_sub_u32_e32 v36, 0, v44
	v_ldexp_f32 v37, v38, v36
	v_add_f32_e32 v38, -1.0, v37
	v_add_f32_e32 v40, 1.0, v37
	v_ldexp_f32 v36, v39, v36
	v_add_f32_e32 v39, 1.0, v38
	v_add_f32_e32 v41, -1.0, v40
	v_sub_f32_e32 v39, v37, v39
	v_sub_f32_e32 v37, v37, v41
	v_add_f32_e32 v39, v36, v39
	v_add_f32_e32 v36, v36, v37
	;; [unrolled: 1-line block ×3, first 2 shown]
	v_rcp_f32_e32 v47, v45
	v_sub_f32_e32 v37, v40, v45
	v_add_f32_e32 v46, v36, v37
	v_add_f32_e32 v37, v38, v39
	v_mul_f32_e32 v49, v37, v47
	v_sub_f32_e32 v36, v38, v37
	v_mul_f32_e32 v38, v45, v49
	v_fma_f32 v40, v49, v45, -v38
	v_fmac_f32_e32 v40, v49, v46
	v_add_f32_e32 v48, v39, v36
	v_add_f32_e32 v36, v38, v40
	v_sub_f32_e32 v39, v37, v36
	v_pk_add_f32 v[42:43], v[36:37], v[38:39] neg_lo:[0,1] neg_hi:[0,1]
	v_mov_b32_e32 v41, v36
	v_pk_add_f32 v[36:37], v[42:43], v[40:41] neg_lo:[0,1] neg_hi:[0,1]
	s_mov_b32 s58, 0x3f317218
	v_add_f32_e32 v37, v48, v37
	v_add_f32_e32 v36, v36, v37
	;; [unrolled: 1-line block ×3, first 2 shown]
	v_mul_f32_e32 v48, v47, v37
	v_mul_f32_e32 v38, v45, v48
	v_fma_f32 v40, v48, v45, -v38
	v_fmac_f32_e32 v40, v48, v46
	v_sub_f32_e32 v39, v39, v37
	v_add_f32_e32 v45, v36, v39
	v_add_f32_e32 v36, v38, v40
	v_sub_f32_e32 v39, v37, v36
	v_pk_add_f32 v[42:43], v[36:37], v[38:39] neg_lo:[0,1] neg_hi:[0,1]
	v_mov_b32_e32 v41, v36
	v_pk_add_f32 v[36:37], v[42:43], v[40:41] neg_lo:[0,1] neg_hi:[0,1]
	v_cvt_f32_i32_e32 v38, v44
	v_add_f32_e32 v37, v45, v37
	v_add_f32_e32 v36, v36, v37
	;; [unrolled: 1-line block ×4, first 2 shown]
	v_sub_f32_e32 v37, v39, v49
	v_mul_f32_e32 v36, v47, v36
	v_sub_f32_e32 v37, v48, v37
	v_add_f32_e32 v36, v37, v36
	v_add_f32_e32 v40, v39, v36
	v_mul_f32_e32 v42, v40, v40
	v_mov_b32_e32 v37, 0x3ecc95a3
	v_sub_f32_e32 v39, v40, v39
	v_fmac_f32_e32 v37, 0x3e9b6dac, v42
	v_sub_f32_e32 v36, v36, v39
	v_fmaak_f32 v37, v42, v37, 0x3f2aaada
	v_ldexp_f32 v43, v36, 1
	v_mul_f32_e32 v39, v40, v42
	v_mov_b32_e32 v36, 0x3f317218
	v_pk_mul_f32 v[36:37], v[38:39], v[36:37]
	v_ldexp_f32 v41, v40, 1
	v_fma_f32 v39, v38, s58, -v36
	v_fmamk_f32 v40, v38, 0xb102e308, v39
	v_pk_add_f32 v[38:39], v[36:37], v[40:41]
	v_mov_b32_e32 v42, v36
	v_sub_f32_e32 v41, v39, v41
	v_sub_f32_e32 v41, v37, v41
	v_add_f32_e32 v43, v43, v41
	v_pk_add_f32 v[36:37], v[38:39], v[36:37] neg_lo:[0,1] neg_hi:[0,1]
	v_pk_add_f32 v[44:45], v[38:39], v[42:43]
	v_mov_b32_e32 v41, v38
	v_mov_b32_e32 v37, v45
	v_pk_add_f32 v[46:47], v[40:41], v[36:37] neg_lo:[0,1] neg_hi:[0,1]
	v_pk_add_f32 v[36:37], v[40:41], v[36:37]
	v_mov_b32_e32 v42, v43
	v_pk_add_f32 v[40:41], v[36:37], v[38:39] op_sel:[1,0] op_sel_hi:[0,1] neg_lo:[0,1] neg_hi:[0,1]
	v_pk_add_f32 v[48:49], v[44:45], v[40:41] op_sel_hi:[1,0] neg_lo:[0,1] neg_hi:[0,1]
	v_mov_b32_e32 v44, v45
	v_mov_b32_e32 v45, v37
	v_pk_mov_b32 v[40:41], v[38:39], v[40:41] op_sel:[1,0]
	v_mov_b32_e32 v43, v38
	v_pk_add_f32 v[40:41], v[44:45], v[40:41] neg_lo:[0,1] neg_hi:[0,1]
	v_mov_b32_e32 v48, v46
	v_pk_add_f32 v[38:39], v[42:43], v[40:41] neg_lo:[0,1] neg_hi:[0,1]
	v_mov_b32_e32 v47, v37
	v_pk_add_f32 v[40:41], v[48:49], v[38:39]
	v_cmp_neq_f32_e64 s[58:59], s62, v19
	v_pk_add_f32 v[42:43], v[40:41], v[40:41] op_sel:[0,1] op_sel_hi:[1,0]
	s_nop 0
	v_pk_add_f32 v[36:37], v[36:37], v[42:43] op_sel:[1,0] op_sel_hi:[0,1]
	v_mov_b32_e32 v41, v36
	v_pk_add_f32 v[44:45], v[40:41], v[46:47] neg_lo:[0,1] neg_hi:[0,1]
	v_mov_b32_e32 v39, v42
	v_sub_f32_e32 v37, v40, v44
	v_pk_add_f32 v[38:39], v[38:39], v[44:45] neg_lo:[0,1] neg_hi:[0,1]
	v_sub_f32_e32 v37, v46, v37
	v_add_f32_e32 v37, v38, v37
	v_add_f32_e32 v37, v37, v39
	;; [unrolled: 1-line block ×3, first 2 shown]
	v_cndmask_b32_e64 v36, v50, v36, s[58:59]
	s_mov_b32 s58, 0x33800000
	v_cmp_lt_f32_e64 s[58:59], |v19|, s58
	s_nop 1
	v_cndmask_b32_e64 v19, v36, v19, s[58:59]
	v_add_f32_e32 v19, v18, v19
.LBB124_87:
	s_or_b64 exec, exec, s[60:61]
	v_cmp_eq_u32_e64 s[58:59], 0, v0
	; wave barrier
	s_nop 1
	v_cndmask_b32_e64 v19, v19, v35, s[58:59]
	ds_write_b32 v34, v19
	; wave barrier
	ds_read_b32 v18, v34 offset:4
	v_max_f32_e32 v36, v19, v19
	v_cmp_u_f32_e64 s[58:59], v19, v19
	s_waitcnt lgkmcnt(0)
	v_max_f32_e32 v37, v18, v18
	v_min_f32_e32 v35, v36, v37
	v_max_f32_e32 v36, v36, v37
	v_cndmask_b32_e64 v35, v35, v19, s[58:59]
	v_cmp_u_f32_e64 s[60:61], v18, v18
	v_cndmask_b32_e64 v36, v36, v19, s[58:59]
	s_nop 0
	v_cndmask_b32_e64 v35, v35, v18, s[60:61]
	v_cndmask_b32_e64 v18, v36, v18, s[60:61]
	v_cmp_neq_f32_e64 s[58:59], v35, v18
	v_cmp_class_f32_e64 s[60:61], v35, s33
	s_or_b64 s[58:59], s[58:59], s[60:61]
	s_and_saveexec_b64 s[60:61], s[58:59]
	s_cbranch_execz .LBB124_89
; %bb.88:
	v_sub_f32_e32 v19, v35, v18
	s_mov_b32 s33, 0x3fb8aa3b
	v_mul_f32_e32 v35, 0x3fb8aa3b, v19
	v_fma_f32 v36, v19, s33, -v35
	v_rndne_f32_e32 v37, v35
	v_fmamk_f32 v36, v19, 0x32a5705f, v36
	v_sub_f32_e32 v35, v35, v37
	v_add_f32_e32 v35, v35, v36
	v_exp_f32_e32 v35, v35
	v_cvt_i32_f32_e32 v36, v37
	s_mov_b32 s33, 0xc2ce8ed0
	v_cmp_ngt_f32_e64 s[58:59], s33, v19
	s_mov_b32 s33, 0x42b17218
	v_ldexp_f32 v35, v35, v36
	v_cndmask_b32_e64 v35, 0, v35, s[58:59]
	v_mov_b32_e32 v50, 0x7f800000
	v_cmp_nlt_f32_e64 s[58:59], s33, v19
	s_mov_b32 s33, 0x3f2aaaab
	s_mov_b32 s62, 0x7f800000
	v_cndmask_b32_e64 v19, v50, v35, s[58:59]
	v_add_f32_e32 v35, 1.0, v19
	v_add_f32_e32 v36, -1.0, v35
	v_sub_f32_e32 v37, v36, v35
	v_add_f32_e32 v37, 1.0, v37
	v_sub_f32_e32 v36, v19, v36
	v_add_f32_e32 v38, v36, v37
	v_frexp_mant_f32_e32 v39, v35
	v_cvt_f64_f32_e32 v[36:37], v35
	v_frexp_exp_i32_f64_e32 v36, v[36:37]
	v_cmp_gt_f32_e64 s[58:59], s33, v39
	s_mov_b32 s33, 0x3f317218
	s_nop 0
	v_subbrev_co_u32_e64 v44, s[58:59], 0, v36, s[58:59]
	v_sub_u32_e32 v36, 0, v44
	v_ldexp_f32 v35, v35, v36
	v_ldexp_f32 v36, v38, v36
	v_add_f32_e32 v38, -1.0, v35
	v_add_f32_e32 v37, 1.0, v38
	v_sub_f32_e32 v37, v35, v37
	v_add_f32_e32 v39, v36, v37
	v_add_f32_e32 v37, 1.0, v35
	v_add_f32_e32 v40, -1.0, v37
	v_sub_f32_e32 v35, v35, v40
	v_add_f32_e32 v35, v36, v35
	v_add_f32_e32 v45, v37, v35
	v_rcp_f32_e32 v46, v45
	v_sub_f32_e32 v36, v37, v45
	v_add_f32_e32 v37, v38, v39
	v_add_f32_e32 v35, v35, v36
	v_mul_f32_e32 v48, v37, v46
	v_sub_f32_e32 v36, v38, v37
	v_mul_f32_e32 v38, v45, v48
	v_fma_f32 v40, v48, v45, -v38
	v_fmac_f32_e32 v40, v48, v35
	v_add_f32_e32 v47, v39, v36
	v_add_f32_e32 v36, v38, v40
	v_sub_f32_e32 v39, v37, v36
	v_pk_add_f32 v[42:43], v[36:37], v[38:39] neg_lo:[0,1] neg_hi:[0,1]
	v_mov_b32_e32 v41, v36
	v_pk_add_f32 v[36:37], v[42:43], v[40:41] neg_lo:[0,1] neg_hi:[0,1]
	v_cmp_neq_f32_e64 s[58:59], s62, v19
	v_add_f32_e32 v37, v47, v37
	v_add_f32_e32 v36, v36, v37
	;; [unrolled: 1-line block ×3, first 2 shown]
	v_mul_f32_e32 v47, v46, v37
	v_mul_f32_e32 v38, v45, v47
	v_fma_f32 v40, v47, v45, -v38
	v_fmac_f32_e32 v40, v47, v35
	v_sub_f32_e32 v35, v39, v37
	v_add_f32_e32 v35, v36, v35
	v_add_f32_e32 v36, v38, v40
	v_sub_f32_e32 v39, v37, v36
	v_pk_add_f32 v[42:43], v[36:37], v[38:39] neg_lo:[0,1] neg_hi:[0,1]
	v_mov_b32_e32 v41, v36
	v_pk_add_f32 v[36:37], v[42:43], v[40:41] neg_lo:[0,1] neg_hi:[0,1]
	v_cvt_f32_i32_e32 v38, v44
	v_add_f32_e32 v35, v35, v37
	v_add_f32_e32 v35, v36, v35
	;; [unrolled: 1-line block ×4, first 2 shown]
	v_sub_f32_e32 v37, v36, v48
	v_mul_f32_e32 v35, v46, v35
	v_sub_f32_e32 v37, v47, v37
	v_add_f32_e32 v35, v37, v35
	v_add_f32_e32 v39, v36, v35
	v_mul_f32_e32 v40, v39, v39
	v_mov_b32_e32 v37, 0x3ecc95a3
	v_fmac_f32_e32 v37, 0x3e9b6dac, v40
	v_sub_f32_e32 v36, v39, v36
	v_fmaak_f32 v37, v40, v37, 0x3f2aaada
	v_sub_f32_e32 v35, v35, v36
	v_ldexp_f32 v41, v39, 1
	v_mul_f32_e32 v39, v39, v40
	v_mov_b32_e32 v36, 0x3f317218
	v_pk_mul_f32 v[36:37], v[38:39], v[36:37]
	v_ldexp_f32 v35, v35, 1
	v_fma_f32 v39, v38, s33, -v36
	v_fmamk_f32 v40, v38, 0xb102e308, v39
	v_pk_add_f32 v[38:39], v[36:37], v[40:41]
	v_mov_b32_e32 v42, v36
	v_sub_f32_e32 v41, v39, v41
	v_sub_f32_e32 v41, v37, v41
	v_add_f32_e32 v43, v35, v41
	v_pk_add_f32 v[36:37], v[38:39], v[36:37] neg_lo:[0,1] neg_hi:[0,1]
	v_pk_add_f32 v[44:45], v[38:39], v[42:43]
	v_mov_b32_e32 v41, v38
	v_mov_b32_e32 v37, v45
	v_pk_add_f32 v[46:47], v[40:41], v[36:37] neg_lo:[0,1] neg_hi:[0,1]
	v_pk_add_f32 v[36:37], v[40:41], v[36:37]
	v_mov_b32_e32 v42, v43
	v_pk_add_f32 v[40:41], v[36:37], v[38:39] op_sel:[1,0] op_sel_hi:[0,1] neg_lo:[0,1] neg_hi:[0,1]
	v_pk_add_f32 v[48:49], v[44:45], v[40:41] op_sel_hi:[1,0] neg_lo:[0,1] neg_hi:[0,1]
	v_mov_b32_e32 v44, v45
	v_mov_b32_e32 v45, v37
	v_pk_mov_b32 v[40:41], v[38:39], v[40:41] op_sel:[1,0]
	v_mov_b32_e32 v43, v38
	v_pk_add_f32 v[40:41], v[44:45], v[40:41] neg_lo:[0,1] neg_hi:[0,1]
	v_mov_b32_e32 v48, v46
	v_pk_add_f32 v[38:39], v[42:43], v[40:41] neg_lo:[0,1] neg_hi:[0,1]
	v_mov_b32_e32 v47, v37
	v_pk_add_f32 v[40:41], v[48:49], v[38:39]
	s_mov_b32 s33, 0x33800000
	v_pk_add_f32 v[42:43], v[40:41], v[40:41] op_sel:[0,1] op_sel_hi:[1,0]
	s_nop 0
	v_pk_add_f32 v[36:37], v[36:37], v[42:43] op_sel:[1,0] op_sel_hi:[0,1]
	v_mov_b32_e32 v41, v36
	v_pk_add_f32 v[44:45], v[40:41], v[46:47] neg_lo:[0,1] neg_hi:[0,1]
	v_mov_b32_e32 v39, v42
	v_sub_f32_e32 v35, v40, v44
	v_pk_add_f32 v[38:39], v[38:39], v[44:45] neg_lo:[0,1] neg_hi:[0,1]
	v_sub_f32_e32 v35, v46, v35
	v_add_f32_e32 v35, v38, v35
	v_add_f32_e32 v35, v35, v39
	;; [unrolled: 1-line block ×3, first 2 shown]
	v_cndmask_b32_e64 v35, v50, v35, s[58:59]
	v_cmp_lt_f32_e64 s[58:59], |v19|, s33
	s_nop 1
	v_cndmask_b32_e64 v19, v35, v19, s[58:59]
	v_add_f32_e32 v19, v18, v19
.LBB124_89:
	s_or_b64 exec, exec, s[60:61]
	ds_read_b32 v18, v34 offset:8
	v_max_f32_e32 v36, v19, v19
	v_cmp_u_f32_e64 s[58:59], v19, v19
	s_movk_i32 s33, 0x1f8
	ds_write_b32 v34, v19 offset:4
	s_waitcnt lgkmcnt(1)
	v_max_f32_e32 v37, v18, v18
	v_min_f32_e32 v35, v36, v37
	v_max_f32_e32 v36, v36, v37
	v_cndmask_b32_e64 v35, v35, v19, s[58:59]
	v_cmp_u_f32_e64 s[60:61], v18, v18
	v_cndmask_b32_e64 v36, v36, v19, s[58:59]
	s_nop 0
	v_cndmask_b32_e64 v35, v35, v18, s[60:61]
	v_cndmask_b32_e64 v18, v36, v18, s[60:61]
	v_cmp_neq_f32_e64 s[58:59], v35, v18
	v_cmp_class_f32_e64 s[60:61], v35, s33
	s_or_b64 s[58:59], s[58:59], s[60:61]
	s_and_saveexec_b64 s[60:61], s[58:59]
	s_cbranch_execz .LBB124_91
; %bb.90:
	v_sub_f32_e32 v19, v35, v18
	s_mov_b32 s58, 0x3fb8aa3b
	v_mul_f32_e32 v35, 0x3fb8aa3b, v19
	v_fma_f32 v36, v19, s58, -v35
	v_rndne_f32_e32 v37, v35
	v_fmamk_f32 v36, v19, 0x32a5705f, v36
	v_sub_f32_e32 v35, v35, v37
	v_add_f32_e32 v35, v35, v36
	v_exp_f32_e32 v35, v35
	v_cvt_i32_f32_e32 v36, v37
	s_mov_b32 s58, 0xc2ce8ed0
	v_cmp_ngt_f32_e64 s[58:59], s58, v19
	v_mov_b32_e32 v50, 0x7f800000
	v_ldexp_f32 v35, v35, v36
	v_cndmask_b32_e64 v35, 0, v35, s[58:59]
	s_mov_b32 s58, 0x42b17218
	v_cmp_nlt_f32_e64 s[58:59], s58, v19
	s_mov_b32 s62, 0x7f800000
	s_nop 0
	v_cndmask_b32_e64 v19, v50, v35, s[58:59]
	v_add_f32_e32 v35, 1.0, v19
	v_add_f32_e32 v36, -1.0, v35
	v_sub_f32_e32 v37, v36, v35
	v_add_f32_e32 v37, 1.0, v37
	v_sub_f32_e32 v36, v19, v36
	v_add_f32_e32 v38, v36, v37
	v_frexp_mant_f32_e32 v39, v35
	s_mov_b32 s58, 0x3f2aaaab
	v_cvt_f64_f32_e32 v[36:37], v35
	v_frexp_exp_i32_f64_e32 v36, v[36:37]
	v_cmp_gt_f32_e64 s[58:59], s58, v39
	s_nop 1
	v_subbrev_co_u32_e64 v44, s[58:59], 0, v36, s[58:59]
	v_sub_u32_e32 v36, 0, v44
	v_ldexp_f32 v35, v35, v36
	v_ldexp_f32 v36, v38, v36
	v_add_f32_e32 v38, -1.0, v35
	v_add_f32_e32 v37, 1.0, v38
	v_sub_f32_e32 v37, v35, v37
	v_add_f32_e32 v39, v36, v37
	v_add_f32_e32 v37, 1.0, v35
	v_add_f32_e32 v40, -1.0, v37
	v_sub_f32_e32 v35, v35, v40
	v_add_f32_e32 v35, v36, v35
	v_add_f32_e32 v45, v37, v35
	v_rcp_f32_e32 v46, v45
	v_sub_f32_e32 v36, v37, v45
	v_add_f32_e32 v37, v38, v39
	v_add_f32_e32 v35, v35, v36
	v_mul_f32_e32 v48, v37, v46
	v_sub_f32_e32 v36, v38, v37
	v_mul_f32_e32 v38, v45, v48
	v_fma_f32 v40, v48, v45, -v38
	v_fmac_f32_e32 v40, v48, v35
	v_add_f32_e32 v47, v39, v36
	v_add_f32_e32 v36, v38, v40
	v_sub_f32_e32 v39, v37, v36
	v_pk_add_f32 v[42:43], v[36:37], v[38:39] neg_lo:[0,1] neg_hi:[0,1]
	v_mov_b32_e32 v41, v36
	v_pk_add_f32 v[36:37], v[42:43], v[40:41] neg_lo:[0,1] neg_hi:[0,1]
	s_mov_b32 s58, 0x3f317218
	v_add_f32_e32 v37, v47, v37
	v_add_f32_e32 v36, v36, v37
	;; [unrolled: 1-line block ×3, first 2 shown]
	v_mul_f32_e32 v47, v46, v37
	v_mul_f32_e32 v38, v45, v47
	v_fma_f32 v40, v47, v45, -v38
	v_fmac_f32_e32 v40, v47, v35
	v_sub_f32_e32 v35, v39, v37
	v_add_f32_e32 v35, v36, v35
	v_add_f32_e32 v36, v38, v40
	v_sub_f32_e32 v39, v37, v36
	v_pk_add_f32 v[42:43], v[36:37], v[38:39] neg_lo:[0,1] neg_hi:[0,1]
	v_mov_b32_e32 v41, v36
	v_pk_add_f32 v[36:37], v[42:43], v[40:41] neg_lo:[0,1] neg_hi:[0,1]
	v_cvt_f32_i32_e32 v38, v44
	v_add_f32_e32 v35, v35, v37
	v_add_f32_e32 v35, v36, v35
	;; [unrolled: 1-line block ×4, first 2 shown]
	v_sub_f32_e32 v37, v36, v48
	v_mul_f32_e32 v35, v46, v35
	v_sub_f32_e32 v37, v47, v37
	v_add_f32_e32 v35, v37, v35
	v_add_f32_e32 v39, v36, v35
	v_mul_f32_e32 v40, v39, v39
	v_mov_b32_e32 v37, 0x3ecc95a3
	v_fmac_f32_e32 v37, 0x3e9b6dac, v40
	v_sub_f32_e32 v36, v39, v36
	v_fmaak_f32 v37, v40, v37, 0x3f2aaada
	v_sub_f32_e32 v35, v35, v36
	v_ldexp_f32 v41, v39, 1
	v_mul_f32_e32 v39, v39, v40
	v_mov_b32_e32 v36, 0x3f317218
	v_pk_mul_f32 v[36:37], v[38:39], v[36:37]
	v_ldexp_f32 v35, v35, 1
	v_fma_f32 v39, v38, s58, -v36
	v_fmamk_f32 v40, v38, 0xb102e308, v39
	v_pk_add_f32 v[38:39], v[36:37], v[40:41]
	v_mov_b32_e32 v42, v36
	v_sub_f32_e32 v41, v39, v41
	v_sub_f32_e32 v41, v37, v41
	v_add_f32_e32 v43, v35, v41
	v_pk_add_f32 v[36:37], v[38:39], v[36:37] neg_lo:[0,1] neg_hi:[0,1]
	v_pk_add_f32 v[44:45], v[38:39], v[42:43]
	v_mov_b32_e32 v41, v38
	v_mov_b32_e32 v37, v45
	v_pk_add_f32 v[46:47], v[40:41], v[36:37] neg_lo:[0,1] neg_hi:[0,1]
	v_pk_add_f32 v[36:37], v[40:41], v[36:37]
	v_mov_b32_e32 v42, v43
	v_pk_add_f32 v[40:41], v[36:37], v[38:39] op_sel:[1,0] op_sel_hi:[0,1] neg_lo:[0,1] neg_hi:[0,1]
	v_pk_add_f32 v[48:49], v[44:45], v[40:41] op_sel_hi:[1,0] neg_lo:[0,1] neg_hi:[0,1]
	v_mov_b32_e32 v44, v45
	v_mov_b32_e32 v45, v37
	v_pk_mov_b32 v[40:41], v[38:39], v[40:41] op_sel:[1,0]
	v_mov_b32_e32 v43, v38
	v_pk_add_f32 v[40:41], v[44:45], v[40:41] neg_lo:[0,1] neg_hi:[0,1]
	v_mov_b32_e32 v48, v46
	v_pk_add_f32 v[38:39], v[42:43], v[40:41] neg_lo:[0,1] neg_hi:[0,1]
	v_mov_b32_e32 v47, v37
	v_pk_add_f32 v[40:41], v[48:49], v[38:39]
	v_cmp_neq_f32_e64 s[58:59], s62, v19
	v_pk_add_f32 v[42:43], v[40:41], v[40:41] op_sel:[0,1] op_sel_hi:[1,0]
	s_nop 0
	v_pk_add_f32 v[36:37], v[36:37], v[42:43] op_sel:[1,0] op_sel_hi:[0,1]
	v_mov_b32_e32 v41, v36
	v_pk_add_f32 v[44:45], v[40:41], v[46:47] neg_lo:[0,1] neg_hi:[0,1]
	v_mov_b32_e32 v39, v42
	v_sub_f32_e32 v35, v40, v44
	v_pk_add_f32 v[38:39], v[38:39], v[44:45] neg_lo:[0,1] neg_hi:[0,1]
	v_sub_f32_e32 v35, v46, v35
	v_add_f32_e32 v35, v38, v35
	v_add_f32_e32 v35, v35, v39
	;; [unrolled: 1-line block ×3, first 2 shown]
	v_cndmask_b32_e64 v35, v50, v35, s[58:59]
	s_mov_b32 s58, 0x33800000
	v_cmp_lt_f32_e64 s[58:59], |v19|, s58
	s_nop 1
	v_cndmask_b32_e64 v19, v35, v19, s[58:59]
	v_add_f32_e32 v19, v18, v19
.LBB124_91:
	s_or_b64 exec, exec, s[60:61]
	ds_read_b32 v18, v34 offset:12
	v_max_f32_e32 v36, v19, v19
	v_cmp_u_f32_e64 s[58:59], v19, v19
	ds_write_b32 v34, v19 offset:8
	s_waitcnt lgkmcnt(1)
	v_max_f32_e32 v37, v18, v18
	v_min_f32_e32 v35, v36, v37
	v_max_f32_e32 v36, v36, v37
	v_cndmask_b32_e64 v35, v35, v19, s[58:59]
	v_cmp_u_f32_e64 s[60:61], v18, v18
	v_cndmask_b32_e64 v36, v36, v19, s[58:59]
	s_nop 0
	v_cndmask_b32_e64 v35, v35, v18, s[60:61]
	v_cndmask_b32_e64 v18, v36, v18, s[60:61]
	v_cmp_neq_f32_e64 s[58:59], v35, v18
	v_cmp_class_f32_e64 s[60:61], v35, s33
	s_or_b64 s[58:59], s[58:59], s[60:61]
	s_and_saveexec_b64 s[60:61], s[58:59]
	s_cbranch_execz .LBB124_93
; %bb.92:
	v_sub_f32_e32 v19, v35, v18
	s_mov_b32 s33, 0x3fb8aa3b
	v_mul_f32_e32 v35, 0x3fb8aa3b, v19
	v_fma_f32 v36, v19, s33, -v35
	v_rndne_f32_e32 v37, v35
	v_fmamk_f32 v36, v19, 0x32a5705f, v36
	v_sub_f32_e32 v35, v35, v37
	v_add_f32_e32 v35, v35, v36
	v_exp_f32_e32 v35, v35
	v_cvt_i32_f32_e32 v36, v37
	s_mov_b32 s33, 0xc2ce8ed0
	v_cmp_ngt_f32_e64 s[58:59], s33, v19
	s_mov_b32 s33, 0x42b17218
	v_ldexp_f32 v35, v35, v36
	v_cndmask_b32_e64 v35, 0, v35, s[58:59]
	v_mov_b32_e32 v50, 0x7f800000
	v_cmp_nlt_f32_e64 s[58:59], s33, v19
	s_mov_b32 s33, 0x3f2aaaab
	s_mov_b32 s62, 0x7f800000
	v_cndmask_b32_e64 v19, v50, v35, s[58:59]
	v_add_f32_e32 v35, 1.0, v19
	v_add_f32_e32 v36, -1.0, v35
	v_sub_f32_e32 v37, v36, v35
	v_add_f32_e32 v37, 1.0, v37
	v_sub_f32_e32 v36, v19, v36
	v_add_f32_e32 v38, v36, v37
	v_frexp_mant_f32_e32 v39, v35
	v_cvt_f64_f32_e32 v[36:37], v35
	v_frexp_exp_i32_f64_e32 v36, v[36:37]
	v_cmp_gt_f32_e64 s[58:59], s33, v39
	s_mov_b32 s33, 0x3f317218
	s_nop 0
	v_subbrev_co_u32_e64 v44, s[58:59], 0, v36, s[58:59]
	v_sub_u32_e32 v36, 0, v44
	v_ldexp_f32 v35, v35, v36
	v_ldexp_f32 v36, v38, v36
	v_add_f32_e32 v38, -1.0, v35
	v_add_f32_e32 v37, 1.0, v38
	v_sub_f32_e32 v37, v35, v37
	v_add_f32_e32 v39, v36, v37
	v_add_f32_e32 v37, 1.0, v35
	v_add_f32_e32 v40, -1.0, v37
	v_sub_f32_e32 v35, v35, v40
	v_add_f32_e32 v35, v36, v35
	v_add_f32_e32 v45, v37, v35
	v_rcp_f32_e32 v46, v45
	v_sub_f32_e32 v36, v37, v45
	v_add_f32_e32 v37, v38, v39
	v_add_f32_e32 v35, v35, v36
	v_mul_f32_e32 v48, v37, v46
	v_sub_f32_e32 v36, v38, v37
	v_mul_f32_e32 v38, v45, v48
	v_fma_f32 v40, v48, v45, -v38
	v_fmac_f32_e32 v40, v48, v35
	v_add_f32_e32 v47, v39, v36
	v_add_f32_e32 v36, v38, v40
	v_sub_f32_e32 v39, v37, v36
	v_pk_add_f32 v[42:43], v[36:37], v[38:39] neg_lo:[0,1] neg_hi:[0,1]
	v_mov_b32_e32 v41, v36
	v_pk_add_f32 v[36:37], v[42:43], v[40:41] neg_lo:[0,1] neg_hi:[0,1]
	v_cmp_neq_f32_e64 s[58:59], s62, v19
	v_add_f32_e32 v37, v47, v37
	v_add_f32_e32 v36, v36, v37
	v_add_f32_e32 v37, v39, v36
	v_mul_f32_e32 v47, v46, v37
	v_mul_f32_e32 v38, v45, v47
	v_fma_f32 v40, v47, v45, -v38
	v_fmac_f32_e32 v40, v47, v35
	v_sub_f32_e32 v35, v39, v37
	v_add_f32_e32 v35, v36, v35
	v_add_f32_e32 v36, v38, v40
	v_sub_f32_e32 v39, v37, v36
	v_pk_add_f32 v[42:43], v[36:37], v[38:39] neg_lo:[0,1] neg_hi:[0,1]
	v_mov_b32_e32 v41, v36
	v_pk_add_f32 v[36:37], v[42:43], v[40:41] neg_lo:[0,1] neg_hi:[0,1]
	v_cvt_f32_i32_e32 v38, v44
	v_add_f32_e32 v35, v35, v37
	v_add_f32_e32 v35, v36, v35
	;; [unrolled: 1-line block ×4, first 2 shown]
	v_sub_f32_e32 v37, v36, v48
	v_mul_f32_e32 v35, v46, v35
	v_sub_f32_e32 v37, v47, v37
	v_add_f32_e32 v35, v37, v35
	v_add_f32_e32 v39, v36, v35
	v_mul_f32_e32 v40, v39, v39
	v_mov_b32_e32 v37, 0x3ecc95a3
	v_fmac_f32_e32 v37, 0x3e9b6dac, v40
	v_sub_f32_e32 v36, v39, v36
	v_fmaak_f32 v37, v40, v37, 0x3f2aaada
	v_sub_f32_e32 v35, v35, v36
	v_ldexp_f32 v41, v39, 1
	v_mul_f32_e32 v39, v39, v40
	v_mov_b32_e32 v36, 0x3f317218
	v_pk_mul_f32 v[36:37], v[38:39], v[36:37]
	v_ldexp_f32 v35, v35, 1
	v_fma_f32 v39, v38, s33, -v36
	v_fmamk_f32 v40, v38, 0xb102e308, v39
	v_pk_add_f32 v[38:39], v[36:37], v[40:41]
	v_mov_b32_e32 v42, v36
	v_sub_f32_e32 v41, v39, v41
	v_sub_f32_e32 v41, v37, v41
	v_add_f32_e32 v43, v35, v41
	v_pk_add_f32 v[36:37], v[38:39], v[36:37] neg_lo:[0,1] neg_hi:[0,1]
	v_pk_add_f32 v[44:45], v[38:39], v[42:43]
	v_mov_b32_e32 v41, v38
	v_mov_b32_e32 v37, v45
	v_pk_add_f32 v[46:47], v[40:41], v[36:37] neg_lo:[0,1] neg_hi:[0,1]
	v_pk_add_f32 v[36:37], v[40:41], v[36:37]
	v_mov_b32_e32 v42, v43
	v_pk_add_f32 v[40:41], v[36:37], v[38:39] op_sel:[1,0] op_sel_hi:[0,1] neg_lo:[0,1] neg_hi:[0,1]
	v_pk_add_f32 v[48:49], v[44:45], v[40:41] op_sel_hi:[1,0] neg_lo:[0,1] neg_hi:[0,1]
	v_mov_b32_e32 v44, v45
	v_mov_b32_e32 v45, v37
	v_pk_mov_b32 v[40:41], v[38:39], v[40:41] op_sel:[1,0]
	v_mov_b32_e32 v43, v38
	v_pk_add_f32 v[40:41], v[44:45], v[40:41] neg_lo:[0,1] neg_hi:[0,1]
	v_mov_b32_e32 v48, v46
	v_pk_add_f32 v[38:39], v[42:43], v[40:41] neg_lo:[0,1] neg_hi:[0,1]
	v_mov_b32_e32 v47, v37
	v_pk_add_f32 v[40:41], v[48:49], v[38:39]
	s_mov_b32 s33, 0x33800000
	v_pk_add_f32 v[42:43], v[40:41], v[40:41] op_sel:[0,1] op_sel_hi:[1,0]
	s_nop 0
	v_pk_add_f32 v[36:37], v[36:37], v[42:43] op_sel:[1,0] op_sel_hi:[0,1]
	v_mov_b32_e32 v41, v36
	v_pk_add_f32 v[44:45], v[40:41], v[46:47] neg_lo:[0,1] neg_hi:[0,1]
	v_mov_b32_e32 v39, v42
	v_sub_f32_e32 v35, v40, v44
	v_pk_add_f32 v[38:39], v[38:39], v[44:45] neg_lo:[0,1] neg_hi:[0,1]
	v_sub_f32_e32 v35, v46, v35
	v_add_f32_e32 v35, v38, v35
	v_add_f32_e32 v35, v35, v39
	;; [unrolled: 1-line block ×3, first 2 shown]
	v_cndmask_b32_e64 v35, v50, v35, s[58:59]
	v_cmp_lt_f32_e64 s[58:59], |v19|, s33
	s_nop 1
	v_cndmask_b32_e64 v19, v35, v19, s[58:59]
	v_add_f32_e32 v19, v18, v19
.LBB124_93:
	s_or_b64 exec, exec, s[60:61]
	ds_write_b32 v34, v19 offset:12
.LBB124_94:
	s_or_b64 exec, exec, s[64:65]
	s_load_dwordx2 s[58:59], s[0:1], 0x18
	v_mul_u32_u24_e32 v18, 52, v0
	v_cmp_ne_u32_e64 s[0:1], 0, v0
	s_waitcnt lgkmcnt(0)
	s_barrier
	s_and_saveexec_b64 s[60:61], s[0:1]
	s_cbranch_execz .LBB124_98
; %bb.95:
	v_add_u32_e32 v0, -1, v0
	v_lshrrev_b32_e32 v19, 3, v0
	v_and_b32_e32 v19, 0x1ffffffc, v19
	v_lshl_add_u32 v0, v0, 2, v19
	ds_read_b32 v19, v0
	s_movk_i32 s33, 0x1f8
	s_waitcnt lgkmcnt(0)
	v_max_f32_e32 v0, v19, v19
	v_min_f32_e32 v31, v0, v32
	v_max_f32_e32 v0, v0, v32
	v_cmp_u_f32_e64 s[0:1], v19, v19
	s_nop 1
	v_cndmask_b32_e64 v31, v31, v19, s[0:1]
	v_cndmask_b32_e64 v0, v0, v19, s[0:1]
	;; [unrolled: 1-line block ×4, first 2 shown]
	v_cmp_neq_f32_e64 s[0:1], v31, v0
	v_cmp_class_f32_e64 s[56:57], v31, s33
	s_or_b64 s[0:1], s[0:1], s[56:57]
	s_and_saveexec_b64 s[56:57], s[0:1]
	s_cbranch_execz .LBB124_97
; %bb.96:
	v_sub_f32_e32 v2, v31, v0
	s_mov_b32 s0, 0x3fb8aa3b
	v_mul_f32_e32 v19, 0x3fb8aa3b, v2
	v_fma_f32 v31, v2, s0, -v19
	v_rndne_f32_e32 v32, v19
	v_fmamk_f32 v31, v2, 0x32a5705f, v31
	v_sub_f32_e32 v19, v19, v32
	v_add_f32_e32 v19, v19, v31
	v_exp_f32_e32 v19, v19
	v_cvt_i32_f32_e32 v31, v32
	s_mov_b32 s0, 0xc2ce8ed0
	v_cmp_ngt_f32_e64 s[0:1], s0, v2
	s_mov_b32 s33, 0x7f800000
	v_ldexp_f32 v19, v19, v31
	v_cndmask_b32_e64 v19, 0, v19, s[0:1]
	s_mov_b32 s0, 0x42b17218
	v_mov_b32_e32 v31, 0x7f800000
	v_cmp_nlt_f32_e64 s[0:1], s0, v2
	s_nop 1
	v_cndmask_b32_e64 v2, v31, v19, s[0:1]
	v_add_f32_e32 v19, 1.0, v2
	v_add_f32_e32 v32, -1.0, v19
	v_sub_f32_e32 v33, v32, v19
	v_add_f32_e32 v33, 1.0, v33
	v_sub_f32_e32 v32, v2, v32
	v_add_f32_e32 v34, v32, v33
	v_frexp_mant_f32_e32 v35, v19
	s_mov_b32 s0, 0x3f2aaaab
	v_cvt_f64_f32_e32 v[32:33], v19
	v_frexp_exp_i32_f64_e32 v32, v[32:33]
	v_cmp_gt_f32_e64 s[0:1], s0, v35
	s_nop 1
	v_subbrev_co_u32_e64 v40, s[0:1], 0, v32, s[0:1]
	v_sub_u32_e32 v32, 0, v40
	v_ldexp_f32 v19, v19, v32
	v_ldexp_f32 v32, v34, v32
	v_add_f32_e32 v34, -1.0, v19
	v_add_f32_e32 v33, 1.0, v34
	v_sub_f32_e32 v33, v19, v33
	v_add_f32_e32 v35, v32, v33
	v_add_f32_e32 v33, 1.0, v19
	v_add_f32_e32 v36, -1.0, v33
	v_sub_f32_e32 v19, v19, v36
	v_add_f32_e32 v19, v32, v19
	v_add_f32_e32 v41, v33, v19
	v_rcp_f32_e32 v42, v41
	v_sub_f32_e32 v32, v33, v41
	v_add_f32_e32 v33, v34, v35
	v_add_f32_e32 v19, v19, v32
	v_mul_f32_e32 v44, v33, v42
	v_sub_f32_e32 v32, v34, v33
	v_mul_f32_e32 v34, v41, v44
	v_fma_f32 v36, v44, v41, -v34
	v_fmac_f32_e32 v36, v44, v19
	v_add_f32_e32 v43, v35, v32
	v_add_f32_e32 v32, v34, v36
	v_sub_f32_e32 v35, v33, v32
	v_pk_add_f32 v[38:39], v[32:33], v[34:35] neg_lo:[0,1] neg_hi:[0,1]
	v_mov_b32_e32 v37, v32
	v_pk_add_f32 v[32:33], v[38:39], v[36:37] neg_lo:[0,1] neg_hi:[0,1]
	s_mov_b32 s0, 0x3f317218
	v_add_f32_e32 v33, v43, v33
	v_add_f32_e32 v32, v32, v33
	;; [unrolled: 1-line block ×3, first 2 shown]
	v_mul_f32_e32 v43, v42, v33
	v_mul_f32_e32 v34, v41, v43
	v_fma_f32 v36, v43, v41, -v34
	v_fmac_f32_e32 v36, v43, v19
	v_sub_f32_e32 v19, v35, v33
	v_add_f32_e32 v19, v32, v19
	v_add_f32_e32 v32, v34, v36
	v_sub_f32_e32 v35, v33, v32
	v_pk_add_f32 v[38:39], v[32:33], v[34:35] neg_lo:[0,1] neg_hi:[0,1]
	v_mov_b32_e32 v37, v32
	v_pk_add_f32 v[32:33], v[38:39], v[36:37] neg_lo:[0,1] neg_hi:[0,1]
	v_cvt_f32_i32_e32 v34, v40
	v_add_f32_e32 v19, v19, v33
	v_add_f32_e32 v19, v32, v19
	;; [unrolled: 1-line block ×4, first 2 shown]
	v_sub_f32_e32 v33, v32, v44
	v_mul_f32_e32 v19, v42, v19
	v_sub_f32_e32 v33, v43, v33
	v_add_f32_e32 v19, v33, v19
	v_add_f32_e32 v35, v32, v19
	v_mul_f32_e32 v36, v35, v35
	v_mov_b32_e32 v33, 0x3ecc95a3
	v_fmac_f32_e32 v33, 0x3e9b6dac, v36
	v_sub_f32_e32 v32, v35, v32
	v_fmaak_f32 v33, v36, v33, 0x3f2aaada
	v_sub_f32_e32 v19, v19, v32
	v_ldexp_f32 v37, v35, 1
	v_mul_f32_e32 v35, v35, v36
	v_mov_b32_e32 v32, 0x3f317218
	v_pk_mul_f32 v[32:33], v[34:35], v[32:33]
	v_ldexp_f32 v19, v19, 1
	v_fma_f32 v35, v34, s0, -v32
	v_fmamk_f32 v36, v34, 0xb102e308, v35
	v_pk_add_f32 v[34:35], v[32:33], v[36:37]
	v_mov_b32_e32 v38, v32
	v_sub_f32_e32 v37, v35, v37
	v_sub_f32_e32 v37, v33, v37
	v_add_f32_e32 v39, v19, v37
	v_pk_add_f32 v[32:33], v[34:35], v[32:33] neg_lo:[0,1] neg_hi:[0,1]
	v_pk_add_f32 v[40:41], v[34:35], v[38:39]
	v_mov_b32_e32 v37, v34
	v_mov_b32_e32 v33, v41
	v_pk_add_f32 v[42:43], v[36:37], v[32:33] neg_lo:[0,1] neg_hi:[0,1]
	v_pk_add_f32 v[32:33], v[36:37], v[32:33]
	v_mov_b32_e32 v38, v39
	v_pk_add_f32 v[36:37], v[32:33], v[34:35] op_sel:[1,0] op_sel_hi:[0,1] neg_lo:[0,1] neg_hi:[0,1]
	v_pk_add_f32 v[44:45], v[40:41], v[36:37] op_sel_hi:[1,0] neg_lo:[0,1] neg_hi:[0,1]
	v_mov_b32_e32 v40, v41
	v_mov_b32_e32 v41, v33
	v_pk_mov_b32 v[36:37], v[34:35], v[36:37] op_sel:[1,0]
	v_mov_b32_e32 v39, v34
	v_pk_add_f32 v[36:37], v[40:41], v[36:37] neg_lo:[0,1] neg_hi:[0,1]
	v_mov_b32_e32 v44, v42
	v_pk_add_f32 v[34:35], v[38:39], v[36:37] neg_lo:[0,1] neg_hi:[0,1]
	v_mov_b32_e32 v43, v33
	v_pk_add_f32 v[36:37], v[44:45], v[34:35]
	v_cmp_neq_f32_e64 s[0:1], s33, v2
	v_pk_add_f32 v[38:39], v[36:37], v[36:37] op_sel:[0,1] op_sel_hi:[1,0]
	s_nop 0
	v_pk_add_f32 v[32:33], v[32:33], v[38:39] op_sel:[1,0] op_sel_hi:[0,1]
	v_mov_b32_e32 v37, v32
	v_pk_add_f32 v[40:41], v[36:37], v[42:43] neg_lo:[0,1] neg_hi:[0,1]
	v_mov_b32_e32 v35, v38
	v_sub_f32_e32 v19, v36, v40
	v_pk_add_f32 v[34:35], v[34:35], v[40:41] neg_lo:[0,1] neg_hi:[0,1]
	v_sub_f32_e32 v19, v42, v19
	v_add_f32_e32 v19, v34, v19
	v_add_f32_e32 v19, v19, v35
	;; [unrolled: 1-line block ×3, first 2 shown]
	v_cndmask_b32_e64 v19, v31, v19, s[0:1]
	s_mov_b32 s0, 0x33800000
	v_cmp_lt_f32_e64 s[0:1], |v2|, s0
	s_nop 1
	v_cndmask_b32_e64 v2, v19, v2, s[0:1]
	v_add_f32_e32 v19, v0, v2
.LBB124_97:
	s_or_b64 exec, exec, s[56:57]
	v_max_f32_e32 v0, v19, v19
	v_min_f32_e32 v31, v0, v24
	v_max_f32_e32 v33, v0, v24
	v_mov_b32_e32 v2, v19
	;;#ASMSTART
	;;#ASMEND
.LBB124_98:
	s_or_b64 exec, exec, s[60:61]
	v_cmp_u_f32_e64 s[0:1], v2, v2
	s_movk_i32 s33, 0x1f8
	s_nop 0
	v_cndmask_b32_e64 v0, v31, v2, s[0:1]
	v_cndmask_b32_e64 v19, v0, v3, s[28:29]
	;; [unrolled: 1-line block ×4, first 2 shown]
	v_cmp_neq_f32_e64 s[0:1], v19, v0
	v_cmp_class_f32_e64 s[28:29], v19, s33
	s_or_b64 s[0:1], s[0:1], s[28:29]
	v_mov_b32_e32 v3, v2
	s_and_saveexec_b64 s[28:29], s[0:1]
	s_cbranch_execz .LBB124_100
; %bb.99:
	v_sub_f32_e32 v3, v19, v0
	s_mov_b32 s0, 0x3fb8aa3b
	v_mul_f32_e32 v19, 0x3fb8aa3b, v3
	v_fma_f32 v24, v3, s0, -v19
	v_rndne_f32_e32 v31, v19
	v_fmamk_f32 v24, v3, 0x32a5705f, v24
	v_sub_f32_e32 v19, v19, v31
	v_add_f32_e32 v19, v19, v24
	v_exp_f32_e32 v19, v19
	v_cvt_i32_f32_e32 v24, v31
	s_mov_b32 s0, 0xc2ce8ed0
	v_cmp_ngt_f32_e64 s[0:1], s0, v3
	s_mov_b32 s56, 0x7f800000
	v_ldexp_f32 v19, v19, v24
	v_cndmask_b32_e64 v19, 0, v19, s[0:1]
	s_mov_b32 s0, 0x42b17218
	v_mov_b32_e32 v24, 0x7f800000
	v_cmp_nlt_f32_e64 s[0:1], s0, v3
	s_nop 1
	v_cndmask_b32_e64 v3, v24, v19, s[0:1]
	v_add_f32_e32 v19, 1.0, v3
	v_add_f32_e32 v31, -1.0, v19
	v_sub_f32_e32 v32, v31, v19
	v_add_f32_e32 v32, 1.0, v32
	v_sub_f32_e32 v31, v3, v31
	v_add_f32_e32 v31, v31, v32
	v_frexp_mant_f32_e32 v34, v19
	s_mov_b32 s0, 0x3f2aaaab
	v_cvt_f64_f32_e32 v[32:33], v19
	v_frexp_exp_i32_f64_e32 v32, v[32:33]
	v_cmp_gt_f32_e64 s[0:1], s0, v34
	s_nop 1
	v_subbrev_co_u32_e64 v40, s[0:1], 0, v32, s[0:1]
	v_sub_u32_e32 v32, 0, v40
	v_ldexp_f32 v19, v19, v32
	v_ldexp_f32 v31, v31, v32
	v_add_f32_e32 v32, -1.0, v19
	v_add_f32_e32 v33, 1.0, v32
	v_sub_f32_e32 v33, v19, v33
	v_add_f32_e32 v34, v31, v33
	v_add_f32_e32 v33, 1.0, v19
	v_add_f32_e32 v35, -1.0, v33
	v_sub_f32_e32 v19, v19, v35
	v_add_f32_e32 v19, v31, v19
	v_add_f32_e32 v31, v33, v19
	v_rcp_f32_e32 v41, v31
	v_sub_f32_e32 v33, v33, v31
	v_add_f32_e32 v19, v19, v33
	v_add_f32_e32 v33, v32, v34
	v_sub_f32_e32 v32, v32, v33
	v_mul_f32_e32 v43, v33, v41
	v_add_f32_e32 v42, v34, v32
	v_mul_f32_e32 v34, v31, v43
	v_fma_f32 v36, v43, v31, -v34
	v_fmac_f32_e32 v36, v43, v19
	v_add_f32_e32 v32, v34, v36
	v_sub_f32_e32 v35, v33, v32
	v_pk_add_f32 v[38:39], v[32:33], v[34:35] neg_lo:[0,1] neg_hi:[0,1]
	v_mov_b32_e32 v37, v32
	v_pk_add_f32 v[32:33], v[38:39], v[36:37] neg_lo:[0,1] neg_hi:[0,1]
	s_mov_b32 s0, 0x3f317218
	v_add_f32_e32 v33, v42, v33
	v_add_f32_e32 v32, v32, v33
	;; [unrolled: 1-line block ×3, first 2 shown]
	v_mul_f32_e32 v42, v41, v33
	v_mul_f32_e32 v34, v31, v42
	v_fma_f32 v36, v42, v31, -v34
	v_fmac_f32_e32 v36, v42, v19
	v_sub_f32_e32 v19, v35, v33
	v_add_f32_e32 v19, v32, v19
	v_add_f32_e32 v32, v34, v36
	v_sub_f32_e32 v35, v33, v32
	v_pk_add_f32 v[38:39], v[32:33], v[34:35] neg_lo:[0,1] neg_hi:[0,1]
	v_mov_b32_e32 v37, v32
	v_pk_add_f32 v[32:33], v[38:39], v[36:37] neg_lo:[0,1] neg_hi:[0,1]
	v_add_f32_e32 v31, v43, v42
	v_add_f32_e32 v19, v19, v33
	;; [unrolled: 1-line block ×4, first 2 shown]
	v_sub_f32_e32 v32, v31, v43
	v_mul_f32_e32 v19, v41, v19
	v_sub_f32_e32 v32, v42, v32
	v_add_f32_e32 v19, v32, v19
	v_add_f32_e32 v32, v31, v19
	v_cvt_f32_i32_e32 v34, v40
	v_mul_f32_e32 v35, v32, v32
	v_mov_b32_e32 v33, 0x3ecc95a3
	v_fmac_f32_e32 v33, 0x3e9b6dac, v35
	v_fmaak_f32 v33, v35, v33, 0x3f2aaada
	v_sub_f32_e32 v31, v32, v31
	v_ldexp_f32 v37, v32, 1
	v_mul_f32_e32 v35, v32, v35
	v_mov_b32_e32 v32, 0x3f317218
	v_pk_mul_f32 v[32:33], v[34:35], v[32:33]
	v_sub_f32_e32 v19, v19, v31
	v_fma_f32 v31, v34, s0, -v32
	v_fmamk_f32 v36, v34, 0xb102e308, v31
	v_pk_add_f32 v[34:35], v[32:33], v[36:37]
	v_ldexp_f32 v19, v19, 1
	v_sub_f32_e32 v31, v35, v37
	v_sub_f32_e32 v31, v33, v31
	v_add_f32_e32 v39, v19, v31
	v_mov_b32_e32 v38, v32
	v_pk_add_f32 v[32:33], v[34:35], v[32:33] neg_lo:[0,1] neg_hi:[0,1]
	v_pk_add_f32 v[40:41], v[34:35], v[38:39]
	v_mov_b32_e32 v37, v34
	v_mov_b32_e32 v33, v41
	v_pk_add_f32 v[42:43], v[36:37], v[32:33] neg_lo:[0,1] neg_hi:[0,1]
	v_pk_add_f32 v[32:33], v[36:37], v[32:33]
	v_mov_b32_e32 v38, v39
	v_pk_add_f32 v[36:37], v[32:33], v[34:35] op_sel:[1,0] op_sel_hi:[0,1] neg_lo:[0,1] neg_hi:[0,1]
	v_pk_add_f32 v[44:45], v[40:41], v[36:37] op_sel_hi:[1,0] neg_lo:[0,1] neg_hi:[0,1]
	v_mov_b32_e32 v40, v41
	v_mov_b32_e32 v41, v33
	v_pk_mov_b32 v[36:37], v[34:35], v[36:37] op_sel:[1,0]
	v_mov_b32_e32 v39, v34
	v_pk_add_f32 v[36:37], v[40:41], v[36:37] neg_lo:[0,1] neg_hi:[0,1]
	v_mov_b32_e32 v44, v42
	v_pk_add_f32 v[34:35], v[38:39], v[36:37] neg_lo:[0,1] neg_hi:[0,1]
	v_mov_b32_e32 v43, v33
	v_pk_add_f32 v[36:37], v[44:45], v[34:35]
	v_cmp_neq_f32_e64 s[0:1], s56, v3
	v_pk_add_f32 v[38:39], v[36:37], v[36:37] op_sel:[0,1] op_sel_hi:[1,0]
	s_nop 0
	v_pk_add_f32 v[32:33], v[32:33], v[38:39] op_sel:[1,0] op_sel_hi:[0,1]
	v_mov_b32_e32 v37, v32
	v_pk_add_f32 v[40:41], v[36:37], v[42:43] neg_lo:[0,1] neg_hi:[0,1]
	v_mov_b32_e32 v35, v38
	v_sub_f32_e32 v19, v36, v40
	v_pk_add_f32 v[34:35], v[34:35], v[40:41] neg_lo:[0,1] neg_hi:[0,1]
	v_sub_f32_e32 v19, v42, v19
	v_add_f32_e32 v19, v34, v19
	v_add_f32_e32 v19, v19, v35
	;; [unrolled: 1-line block ×3, first 2 shown]
	v_cndmask_b32_e64 v19, v24, v19, s[0:1]
	s_mov_b32 s0, 0x33800000
	v_cmp_lt_f32_e64 s[0:1], |v3|, s0
	s_nop 1
	v_cndmask_b32_e64 v3, v19, v3, s[0:1]
	v_add_f32_e32 v3, v0, v3
.LBB124_100:
	s_or_b64 exec, exec, s[28:29]
	v_max_f32_e32 v0, v3, v3
	v_min_f32_e32 v19, v0, v1
	v_cmp_u_f32_e64 s[0:1], v3, v3
	v_max_f32_e32 v0, v0, v1
	s_nop 0
	v_cndmask_b32_e64 v19, v19, v3, s[0:1]
	v_cndmask_b32_e64 v0, v0, v3, s[0:1]
	;; [unrolled: 1-line block ×4, first 2 shown]
	v_cmp_neq_f32_e64 s[0:1], v19, v1
	v_cmp_class_f32_e64 s[28:29], v19, s33
	s_or_b64 s[0:1], s[0:1], s[28:29]
	v_mov_b32_e32 v0, v3
	s_and_saveexec_b64 s[28:29], s[0:1]
	s_cbranch_execz .LBB124_102
; %bb.101:
	v_sub_f32_e32 v0, v19, v1
	s_mov_b32 s0, 0x3fb8aa3b
	v_mul_f32_e32 v4, 0x3fb8aa3b, v0
	v_fma_f32 v19, v0, s0, -v4
	v_rndne_f32_e32 v24, v4
	v_fmamk_f32 v19, v0, 0x32a5705f, v19
	v_sub_f32_e32 v4, v4, v24
	v_add_f32_e32 v4, v4, v19
	v_exp_f32_e32 v4, v4
	v_cvt_i32_f32_e32 v19, v24
	s_mov_b32 s0, 0xc2ce8ed0
	v_cmp_ngt_f32_e64 s[0:1], s0, v0
	s_mov_b32 s30, 0x7f800000
	v_ldexp_f32 v4, v4, v19
	v_cndmask_b32_e64 v4, 0, v4, s[0:1]
	s_mov_b32 s0, 0x42b17218
	v_mov_b32_e32 v19, 0x7f800000
	v_cmp_nlt_f32_e64 s[0:1], s0, v0
	s_nop 1
	v_cndmask_b32_e64 v0, v19, v4, s[0:1]
	v_add_f32_e32 v4, 1.0, v0
	v_add_f32_e32 v24, -1.0, v4
	v_sub_f32_e32 v31, v24, v4
	v_add_f32_e32 v31, 1.0, v31
	v_sub_f32_e32 v24, v0, v24
	v_add_f32_e32 v24, v24, v31
	v_frexp_mant_f32_e32 v31, v4
	s_mov_b32 s0, 0x3f2aaaab
	v_cvt_f64_f32_e32 v[32:33], v4
	v_frexp_exp_i32_f64_e32 v32, v[32:33]
	v_cmp_gt_f32_e64 s[0:1], s0, v31
	s_nop 1
	v_subbrev_co_u32_e64 v31, s[0:1], 0, v32, s[0:1]
	v_sub_u32_e32 v32, 0, v31
	v_ldexp_f32 v4, v4, v32
	v_ldexp_f32 v24, v24, v32
	v_add_f32_e32 v32, -1.0, v4
	v_add_f32_e32 v33, 1.0, v32
	v_sub_f32_e32 v33, v4, v33
	v_add_f32_e32 v34, v24, v33
	v_add_f32_e32 v33, 1.0, v4
	v_add_f32_e32 v35, -1.0, v33
	v_sub_f32_e32 v4, v4, v35
	v_add_f32_e32 v4, v24, v4
	v_add_f32_e32 v24, v33, v4
	v_rcp_f32_e32 v40, v24
	v_sub_f32_e32 v33, v33, v24
	v_add_f32_e32 v4, v4, v33
	v_add_f32_e32 v33, v32, v34
	v_sub_f32_e32 v32, v32, v33
	v_mul_f32_e32 v42, v33, v40
	v_add_f32_e32 v41, v34, v32
	v_mul_f32_e32 v34, v24, v42
	v_fma_f32 v36, v42, v24, -v34
	v_fmac_f32_e32 v36, v42, v4
	v_add_f32_e32 v32, v34, v36
	v_sub_f32_e32 v35, v33, v32
	v_pk_add_f32 v[38:39], v[32:33], v[34:35] neg_lo:[0,1] neg_hi:[0,1]
	v_mov_b32_e32 v37, v32
	v_pk_add_f32 v[32:33], v[38:39], v[36:37] neg_lo:[0,1] neg_hi:[0,1]
	s_mov_b32 s0, 0x3f317218
	v_add_f32_e32 v33, v41, v33
	v_add_f32_e32 v32, v32, v33
	;; [unrolled: 1-line block ×3, first 2 shown]
	v_mul_f32_e32 v41, v40, v33
	v_mul_f32_e32 v34, v24, v41
	v_fma_f32 v36, v41, v24, -v34
	v_fmac_f32_e32 v36, v41, v4
	v_sub_f32_e32 v4, v35, v33
	v_add_f32_e32 v4, v32, v4
	v_add_f32_e32 v32, v34, v36
	v_sub_f32_e32 v35, v33, v32
	v_pk_add_f32 v[38:39], v[32:33], v[34:35] neg_lo:[0,1] neg_hi:[0,1]
	v_mov_b32_e32 v37, v32
	v_pk_add_f32 v[32:33], v[38:39], v[36:37] neg_lo:[0,1] neg_hi:[0,1]
	v_add_f32_e32 v24, v42, v41
	v_add_f32_e32 v4, v4, v33
	;; [unrolled: 1-line block ×4, first 2 shown]
	v_sub_f32_e32 v32, v24, v42
	v_mul_f32_e32 v4, v40, v4
	v_sub_f32_e32 v32, v41, v32
	v_add_f32_e32 v4, v32, v4
	v_add_f32_e32 v32, v24, v4
	v_cvt_f32_i32_e32 v34, v31
	v_mul_f32_e32 v35, v32, v32
	v_mov_b32_e32 v33, 0x3ecc95a3
	v_fmac_f32_e32 v33, 0x3e9b6dac, v35
	v_fmaak_f32 v33, v35, v33, 0x3f2aaada
	v_sub_f32_e32 v24, v32, v24
	v_ldexp_f32 v37, v32, 1
	v_mul_f32_e32 v35, v32, v35
	v_mov_b32_e32 v32, 0x3f317218
	v_pk_mul_f32 v[32:33], v[34:35], v[32:33]
	v_sub_f32_e32 v4, v4, v24
	v_fma_f32 v24, v34, s0, -v32
	v_fmamk_f32 v36, v34, 0xb102e308, v24
	v_pk_add_f32 v[34:35], v[32:33], v[36:37]
	v_ldexp_f32 v4, v4, 1
	v_sub_f32_e32 v24, v35, v37
	v_sub_f32_e32 v24, v33, v24
	v_add_f32_e32 v39, v4, v24
	v_mov_b32_e32 v38, v32
	v_pk_add_f32 v[32:33], v[34:35], v[32:33] neg_lo:[0,1] neg_hi:[0,1]
	v_pk_add_f32 v[40:41], v[34:35], v[38:39]
	v_mov_b32_e32 v37, v34
	v_mov_b32_e32 v33, v41
	v_pk_add_f32 v[42:43], v[36:37], v[32:33] neg_lo:[0,1] neg_hi:[0,1]
	v_pk_add_f32 v[32:33], v[36:37], v[32:33]
	v_mov_b32_e32 v38, v39
	v_pk_add_f32 v[36:37], v[32:33], v[34:35] op_sel:[1,0] op_sel_hi:[0,1] neg_lo:[0,1] neg_hi:[0,1]
	v_pk_add_f32 v[44:45], v[40:41], v[36:37] op_sel_hi:[1,0] neg_lo:[0,1] neg_hi:[0,1]
	v_mov_b32_e32 v40, v41
	v_mov_b32_e32 v41, v33
	v_pk_mov_b32 v[36:37], v[34:35], v[36:37] op_sel:[1,0]
	v_mov_b32_e32 v39, v34
	v_pk_add_f32 v[36:37], v[40:41], v[36:37] neg_lo:[0,1] neg_hi:[0,1]
	v_mov_b32_e32 v44, v42
	v_pk_add_f32 v[34:35], v[38:39], v[36:37] neg_lo:[0,1] neg_hi:[0,1]
	v_mov_b32_e32 v43, v33
	v_pk_add_f32 v[36:37], v[44:45], v[34:35]
	v_cmp_neq_f32_e64 s[0:1], s30, v0
	v_pk_add_f32 v[38:39], v[36:37], v[36:37] op_sel:[0,1] op_sel_hi:[1,0]
	s_nop 0
	v_pk_add_f32 v[32:33], v[32:33], v[38:39] op_sel:[1,0] op_sel_hi:[0,1]
	v_mov_b32_e32 v37, v32
	v_pk_add_f32 v[40:41], v[36:37], v[42:43] neg_lo:[0,1] neg_hi:[0,1]
	v_mov_b32_e32 v35, v38
	v_sub_f32_e32 v4, v36, v40
	v_pk_add_f32 v[34:35], v[34:35], v[40:41] neg_lo:[0,1] neg_hi:[0,1]
	v_sub_f32_e32 v4, v42, v4
	v_add_f32_e32 v4, v34, v4
	v_add_f32_e32 v4, v4, v35
	;; [unrolled: 1-line block ×3, first 2 shown]
	v_cndmask_b32_e64 v4, v19, v4, s[0:1]
	s_mov_b32 s0, 0x33800000
	v_cmp_lt_f32_e64 s[0:1], |v0|, s0
	s_nop 1
	v_cndmask_b32_e64 v0, v4, v0, s[0:1]
	v_add_f32_e32 v0, v1, v0
.LBB124_102:
	s_or_b64 exec, exec, s[28:29]
	v_max_f32_e32 v1, v0, v0
	v_min_f32_e32 v4, v1, v15
	v_cmp_u_f32_e64 s[0:1], v0, v0
	v_max_f32_e32 v1, v1, v15
	s_movk_i32 s30, 0x1f8
	v_cndmask_b32_e64 v4, v4, v0, s[0:1]
	v_cndmask_b32_e64 v1, v1, v0, s[0:1]
	;; [unrolled: 1-line block ×4, first 2 shown]
	v_cmp_neq_f32_e64 s[0:1], v19, v4
	v_cmp_class_f32_e64 s[28:29], v19, s30
	s_or_b64 s[0:1], s[0:1], s[28:29]
	v_mov_b32_e32 v1, v0
	s_and_saveexec_b64 s[28:29], s[0:1]
	s_cbranch_execz .LBB124_104
; %bb.103:
	v_sub_f32_e32 v1, v19, v4
	s_mov_b32 s0, 0x3fb8aa3b
	v_mul_f32_e32 v5, 0x3fb8aa3b, v1
	v_fma_f32 v15, v1, s0, -v5
	v_rndne_f32_e32 v19, v5
	v_fmamk_f32 v15, v1, 0x32a5705f, v15
	v_sub_f32_e32 v5, v5, v19
	v_add_f32_e32 v5, v5, v15
	v_exp_f32_e32 v5, v5
	v_cvt_i32_f32_e32 v15, v19
	s_mov_b32 s0, 0xc2ce8ed0
	v_cmp_ngt_f32_e64 s[0:1], s0, v1
	s_mov_b32 s31, 0x7f800000
	v_ldexp_f32 v5, v5, v15
	v_cndmask_b32_e64 v5, 0, v5, s[0:1]
	s_mov_b32 s0, 0x42b17218
	v_mov_b32_e32 v15, 0x7f800000
	v_cmp_nlt_f32_e64 s[0:1], s0, v1
	s_nop 1
	v_cndmask_b32_e64 v1, v15, v5, s[0:1]
	v_add_f32_e32 v5, 1.0, v1
	v_add_f32_e32 v19, -1.0, v5
	v_sub_f32_e32 v24, v19, v5
	v_add_f32_e32 v24, 1.0, v24
	v_sub_f32_e32 v19, v1, v19
	v_add_f32_e32 v19, v19, v24
	v_frexp_mant_f32_e32 v24, v5
	s_mov_b32 s0, 0x3f2aaaab
	v_cvt_f64_f32_e32 v[32:33], v5
	v_frexp_exp_i32_f64_e32 v31, v[32:33]
	v_cmp_gt_f32_e64 s[0:1], s0, v24
	s_nop 1
	v_subbrev_co_u32_e64 v24, s[0:1], 0, v31, s[0:1]
	v_sub_u32_e32 v31, 0, v24
	v_ldexp_f32 v5, v5, v31
	v_ldexp_f32 v19, v19, v31
	v_add_f32_e32 v31, -1.0, v5
	v_add_f32_e32 v33, 1.0, v5
	v_add_f32_e32 v32, 1.0, v31
	v_add_f32_e32 v34, -1.0, v33
	v_sub_f32_e32 v32, v5, v32
	v_sub_f32_e32 v5, v5, v34
	v_add_f32_e32 v5, v19, v5
	v_add_f32_e32 v32, v19, v32
	;; [unrolled: 1-line block ×3, first 2 shown]
	v_rcp_f32_e32 v40, v19
	v_sub_f32_e32 v33, v33, v19
	v_add_f32_e32 v5, v5, v33
	v_add_f32_e32 v33, v31, v32
	v_mul_f32_e32 v41, v33, v40
	v_mul_f32_e32 v34, v19, v41
	v_fma_f32 v36, v41, v19, -v34
	v_sub_f32_e32 v31, v31, v33
	v_fmac_f32_e32 v36, v41, v5
	v_add_f32_e32 v31, v32, v31
	v_add_f32_e32 v32, v34, v36
	v_sub_f32_e32 v35, v33, v32
	v_pk_add_f32 v[38:39], v[32:33], v[34:35] neg_lo:[0,1] neg_hi:[0,1]
	v_mov_b32_e32 v37, v32
	v_pk_add_f32 v[32:33], v[38:39], v[36:37] neg_lo:[0,1] neg_hi:[0,1]
	s_mov_b32 s0, 0x3f317218
	v_add_f32_e32 v31, v31, v33
	v_add_f32_e32 v31, v32, v31
	;; [unrolled: 1-line block ×3, first 2 shown]
	v_mul_f32_e32 v42, v40, v33
	v_mul_f32_e32 v34, v19, v42
	v_fma_f32 v36, v42, v19, -v34
	v_fmac_f32_e32 v36, v42, v5
	v_add_f32_e32 v32, v34, v36
	v_sub_f32_e32 v5, v35, v33
	v_sub_f32_e32 v35, v33, v32
	v_pk_add_f32 v[38:39], v[32:33], v[34:35] neg_lo:[0,1] neg_hi:[0,1]
	v_mov_b32_e32 v37, v32
	v_add_f32_e32 v5, v31, v5
	v_pk_add_f32 v[32:33], v[38:39], v[36:37] neg_lo:[0,1] neg_hi:[0,1]
	v_add_f32_e32 v19, v41, v42
	v_add_f32_e32 v5, v5, v33
	;; [unrolled: 1-line block ×4, first 2 shown]
	v_sub_f32_e32 v31, v19, v41
	v_mul_f32_e32 v5, v40, v5
	v_sub_f32_e32 v31, v42, v31
	v_add_f32_e32 v5, v31, v5
	v_add_f32_e32 v31, v19, v5
	v_cvt_f32_i32_e32 v34, v24
	v_mul_f32_e32 v32, v31, v31
	v_mov_b32_e32 v33, 0x3ecc95a3
	v_fmac_f32_e32 v33, 0x3e9b6dac, v32
	v_fmaak_f32 v33, v32, v33, 0x3f2aaada
	v_mul_f32_e32 v35, v31, v32
	v_mov_b32_e32 v32, 0x3f317218
	v_sub_f32_e32 v19, v31, v19
	v_pk_mul_f32 v[32:33], v[34:35], v[32:33]
	v_sub_f32_e32 v5, v5, v19
	v_fma_f32 v19, v34, s0, -v32
	v_ldexp_f32 v37, v31, 1
	v_fmamk_f32 v36, v34, 0xb102e308, v19
	v_pk_add_f32 v[34:35], v[32:33], v[36:37]
	v_ldexp_f32 v5, v5, 1
	v_sub_f32_e32 v19, v35, v37
	v_sub_f32_e32 v19, v33, v19
	v_add_f32_e32 v39, v5, v19
	v_mov_b32_e32 v38, v32
	v_pk_add_f32 v[32:33], v[34:35], v[32:33] neg_lo:[0,1] neg_hi:[0,1]
	v_pk_add_f32 v[40:41], v[34:35], v[38:39]
	v_mov_b32_e32 v37, v34
	v_mov_b32_e32 v33, v41
	v_pk_add_f32 v[42:43], v[36:37], v[32:33] neg_lo:[0,1] neg_hi:[0,1]
	v_pk_add_f32 v[32:33], v[36:37], v[32:33]
	v_mov_b32_e32 v38, v39
	v_pk_add_f32 v[36:37], v[32:33], v[34:35] op_sel:[1,0] op_sel_hi:[0,1] neg_lo:[0,1] neg_hi:[0,1]
	v_pk_add_f32 v[44:45], v[40:41], v[36:37] op_sel_hi:[1,0] neg_lo:[0,1] neg_hi:[0,1]
	v_mov_b32_e32 v40, v41
	v_mov_b32_e32 v41, v33
	v_pk_mov_b32 v[36:37], v[34:35], v[36:37] op_sel:[1,0]
	v_mov_b32_e32 v39, v34
	v_pk_add_f32 v[36:37], v[40:41], v[36:37] neg_lo:[0,1] neg_hi:[0,1]
	v_mov_b32_e32 v44, v42
	v_pk_add_f32 v[34:35], v[38:39], v[36:37] neg_lo:[0,1] neg_hi:[0,1]
	v_mov_b32_e32 v43, v33
	v_pk_add_f32 v[36:37], v[44:45], v[34:35]
	v_cmp_neq_f32_e64 s[0:1], s31, v1
	v_pk_add_f32 v[38:39], v[36:37], v[36:37] op_sel:[0,1] op_sel_hi:[1,0]
	s_nop 0
	v_pk_add_f32 v[32:33], v[32:33], v[38:39] op_sel:[1,0] op_sel_hi:[0,1]
	v_mov_b32_e32 v37, v32
	v_pk_add_f32 v[40:41], v[36:37], v[42:43] neg_lo:[0,1] neg_hi:[0,1]
	v_mov_b32_e32 v35, v38
	v_sub_f32_e32 v5, v36, v40
	v_pk_add_f32 v[34:35], v[34:35], v[40:41] neg_lo:[0,1] neg_hi:[0,1]
	v_sub_f32_e32 v5, v42, v5
	v_add_f32_e32 v5, v34, v5
	v_add_f32_e32 v5, v5, v35
	;; [unrolled: 1-line block ×3, first 2 shown]
	v_cndmask_b32_e64 v5, v15, v5, s[0:1]
	s_mov_b32 s0, 0x33800000
	v_cmp_lt_f32_e64 s[0:1], |v1|, s0
	s_nop 1
	v_cndmask_b32_e64 v1, v5, v1, s[0:1]
	v_add_f32_e32 v1, v4, v1
.LBB124_104:
	s_or_b64 exec, exec, s[28:29]
	v_max_f32_e32 v4, v1, v1
	v_min_f32_e32 v5, v4, v20
	v_cmp_u_f32_e64 s[0:1], v1, v1
	v_max_f32_e32 v4, v4, v20
	s_nop 0
	v_cndmask_b32_e64 v5, v5, v1, s[0:1]
	v_cndmask_b32_e64 v4, v4, v1, s[0:1]
	;; [unrolled: 1-line block ×4, first 2 shown]
	v_cmp_neq_f32_e64 s[0:1], v15, v5
	v_cmp_class_f32_e64 s[28:29], v15, s30
	s_or_b64 s[0:1], s[0:1], s[28:29]
	v_mov_b32_e32 v4, v1
	s_and_saveexec_b64 s[28:29], s[0:1]
	s_cbranch_execz .LBB124_106
; %bb.105:
	v_sub_f32_e32 v4, v15, v5
	s_mov_b32 s0, 0x3fb8aa3b
	v_mul_f32_e32 v10, 0x3fb8aa3b, v4
	v_fma_f32 v15, v4, s0, -v10
	v_rndne_f32_e32 v19, v10
	v_fmamk_f32 v15, v4, 0x32a5705f, v15
	v_sub_f32_e32 v10, v10, v19
	v_add_f32_e32 v10, v10, v15
	v_exp_f32_e32 v10, v10
	v_cvt_i32_f32_e32 v15, v19
	s_mov_b32 s0, 0xc2ce8ed0
	v_cmp_ngt_f32_e64 s[0:1], s0, v4
	s_mov_b32 s30, 0x7f800000
	v_ldexp_f32 v10, v10, v15
	v_cndmask_b32_e64 v10, 0, v10, s[0:1]
	s_mov_b32 s0, 0x42b17218
	v_mov_b32_e32 v15, 0x7f800000
	v_cmp_nlt_f32_e64 s[0:1], s0, v4
	s_nop 1
	v_cndmask_b32_e64 v4, v15, v10, s[0:1]
	v_add_f32_e32 v10, 1.0, v4
	v_add_f32_e32 v19, -1.0, v10
	v_sub_f32_e32 v20, v19, v10
	v_add_f32_e32 v20, 1.0, v20
	v_sub_f32_e32 v19, v4, v19
	v_add_f32_e32 v19, v19, v20
	v_frexp_mant_f32_e32 v20, v10
	s_mov_b32 s0, 0x3f2aaaab
	v_cvt_f64_f32_e32 v[32:33], v10
	v_frexp_exp_i32_f64_e32 v24, v[32:33]
	v_cmp_gt_f32_e64 s[0:1], s0, v20
	s_nop 1
	v_subbrev_co_u32_e64 v20, s[0:1], 0, v24, s[0:1]
	v_sub_u32_e32 v24, 0, v20
	v_ldexp_f32 v10, v10, v24
	v_ldexp_f32 v19, v19, v24
	v_add_f32_e32 v24, -1.0, v10
	v_add_f32_e32 v32, 1.0, v10
	v_add_f32_e32 v31, 1.0, v24
	v_add_f32_e32 v33, -1.0, v32
	v_sub_f32_e32 v31, v10, v31
	v_sub_f32_e32 v10, v10, v33
	v_add_f32_e32 v10, v19, v10
	v_add_f32_e32 v31, v19, v31
	;; [unrolled: 1-line block ×3, first 2 shown]
	v_rcp_f32_e32 v40, v19
	v_add_f32_e32 v33, v24, v31
	v_sub_f32_e32 v24, v24, v33
	v_add_f32_e32 v24, v31, v24
	v_mul_f32_e32 v31, v33, v40
	v_sub_f32_e32 v32, v32, v19
	v_mul_f32_e32 v34, v19, v31
	v_add_f32_e32 v10, v10, v32
	v_fma_f32 v36, v31, v19, -v34
	v_fmac_f32_e32 v36, v31, v10
	v_add_f32_e32 v32, v34, v36
	v_sub_f32_e32 v35, v33, v32
	v_pk_add_f32 v[38:39], v[32:33], v[34:35] neg_lo:[0,1] neg_hi:[0,1]
	v_mov_b32_e32 v37, v32
	v_pk_add_f32 v[32:33], v[38:39], v[36:37] neg_lo:[0,1] neg_hi:[0,1]
	s_mov_b32 s0, 0x3f317218
	v_add_f32_e32 v24, v24, v33
	v_add_f32_e32 v24, v32, v24
	v_add_f32_e32 v33, v35, v24
	v_mul_f32_e32 v41, v40, v33
	v_mul_f32_e32 v34, v19, v41
	v_fma_f32 v36, v41, v19, -v34
	v_fmac_f32_e32 v36, v41, v10
	v_add_f32_e32 v32, v34, v36
	v_sub_f32_e32 v10, v35, v33
	v_sub_f32_e32 v35, v33, v32
	v_pk_add_f32 v[38:39], v[32:33], v[34:35] neg_lo:[0,1] neg_hi:[0,1]
	v_mov_b32_e32 v37, v32
	v_add_f32_e32 v10, v24, v10
	v_pk_add_f32 v[32:33], v[38:39], v[36:37] neg_lo:[0,1] neg_hi:[0,1]
	v_add_f32_e32 v19, v31, v41
	v_add_f32_e32 v10, v10, v33
	;; [unrolled: 1-line block ×4, first 2 shown]
	v_sub_f32_e32 v24, v19, v31
	v_mul_f32_e32 v10, v40, v10
	v_sub_f32_e32 v24, v41, v24
	v_add_f32_e32 v10, v24, v10
	v_add_f32_e32 v24, v19, v10
	v_cvt_f32_i32_e32 v34, v20
	v_mul_f32_e32 v31, v24, v24
	v_mov_b32_e32 v32, 0x3ecc95a3
	v_fmac_f32_e32 v32, 0x3e9b6dac, v31
	v_fmaak_f32 v33, v31, v32, 0x3f2aaada
	v_mul_f32_e32 v35, v24, v31
	v_mov_b32_e32 v32, 0x3f317218
	v_sub_f32_e32 v19, v24, v19
	v_pk_mul_f32 v[32:33], v[34:35], v[32:33]
	v_sub_f32_e32 v10, v10, v19
	v_fma_f32 v19, v34, s0, -v32
	v_ldexp_f32 v37, v24, 1
	v_fmamk_f32 v36, v34, 0xb102e308, v19
	v_pk_add_f32 v[34:35], v[32:33], v[36:37]
	v_ldexp_f32 v10, v10, 1
	v_sub_f32_e32 v19, v35, v37
	v_sub_f32_e32 v19, v33, v19
	v_add_f32_e32 v39, v10, v19
	v_mov_b32_e32 v38, v32
	v_pk_add_f32 v[32:33], v[34:35], v[32:33] neg_lo:[0,1] neg_hi:[0,1]
	v_pk_add_f32 v[40:41], v[34:35], v[38:39]
	v_mov_b32_e32 v37, v34
	v_mov_b32_e32 v33, v41
	v_pk_add_f32 v[42:43], v[36:37], v[32:33] neg_lo:[0,1] neg_hi:[0,1]
	v_pk_add_f32 v[32:33], v[36:37], v[32:33]
	v_mov_b32_e32 v38, v39
	v_pk_add_f32 v[36:37], v[32:33], v[34:35] op_sel:[1,0] op_sel_hi:[0,1] neg_lo:[0,1] neg_hi:[0,1]
	v_pk_add_f32 v[44:45], v[40:41], v[36:37] op_sel_hi:[1,0] neg_lo:[0,1] neg_hi:[0,1]
	v_mov_b32_e32 v40, v41
	v_mov_b32_e32 v41, v33
	v_pk_mov_b32 v[36:37], v[34:35], v[36:37] op_sel:[1,0]
	v_mov_b32_e32 v39, v34
	v_pk_add_f32 v[36:37], v[40:41], v[36:37] neg_lo:[0,1] neg_hi:[0,1]
	v_mov_b32_e32 v44, v42
	v_pk_add_f32 v[34:35], v[38:39], v[36:37] neg_lo:[0,1] neg_hi:[0,1]
	v_mov_b32_e32 v43, v33
	v_pk_add_f32 v[36:37], v[44:45], v[34:35]
	v_cmp_neq_f32_e64 s[0:1], s30, v4
	v_pk_add_f32 v[38:39], v[36:37], v[36:37] op_sel:[0,1] op_sel_hi:[1,0]
	s_nop 0
	v_pk_add_f32 v[32:33], v[32:33], v[38:39] op_sel:[1,0] op_sel_hi:[0,1]
	v_mov_b32_e32 v37, v32
	v_pk_add_f32 v[40:41], v[36:37], v[42:43] neg_lo:[0,1] neg_hi:[0,1]
	v_mov_b32_e32 v35, v38
	v_sub_f32_e32 v10, v36, v40
	v_pk_add_f32 v[34:35], v[34:35], v[40:41] neg_lo:[0,1] neg_hi:[0,1]
	v_sub_f32_e32 v10, v42, v10
	v_add_f32_e32 v10, v34, v10
	v_add_f32_e32 v10, v10, v35
	;; [unrolled: 1-line block ×3, first 2 shown]
	v_cndmask_b32_e64 v10, v15, v10, s[0:1]
	s_mov_b32 s0, 0x33800000
	v_cmp_lt_f32_e64 s[0:1], |v4|, s0
	s_nop 1
	v_cndmask_b32_e64 v4, v10, v4, s[0:1]
	v_add_f32_e32 v4, v5, v4
.LBB124_106:
	s_or_b64 exec, exec, s[28:29]
	v_max_f32_e32 v5, v4, v4
	v_min_f32_e32 v10, v5, v21
	v_cmp_u_f32_e64 s[0:1], v4, v4
	v_max_f32_e32 v5, v5, v21
	s_movk_i32 s30, 0x1f8
	v_cndmask_b32_e64 v10, v10, v4, s[0:1]
	v_cndmask_b32_e64 v5, v5, v4, s[0:1]
	;; [unrolled: 1-line block ×4, first 2 shown]
	v_cmp_neq_f32_e64 s[0:1], v15, v10
	v_cmp_class_f32_e64 s[28:29], v15, s30
	s_or_b64 s[0:1], s[0:1], s[28:29]
	v_mov_b32_e32 v5, v4
	s_and_saveexec_b64 s[28:29], s[0:1]
	s_cbranch_execz .LBB124_108
; %bb.107:
	v_sub_f32_e32 v5, v15, v10
	s_mov_b32 s0, 0x3fb8aa3b
	v_mul_f32_e32 v11, 0x3fb8aa3b, v5
	v_fma_f32 v15, v5, s0, -v11
	v_rndne_f32_e32 v19, v11
	v_fmamk_f32 v15, v5, 0x32a5705f, v15
	v_sub_f32_e32 v11, v11, v19
	v_add_f32_e32 v11, v11, v15
	v_exp_f32_e32 v11, v11
	v_cvt_i32_f32_e32 v15, v19
	s_mov_b32 s0, 0xc2ce8ed0
	v_cmp_ngt_f32_e64 s[0:1], s0, v5
	s_mov_b32 s31, 0x7f800000
	v_ldexp_f32 v11, v11, v15
	v_cndmask_b32_e64 v11, 0, v11, s[0:1]
	s_mov_b32 s0, 0x42b17218
	v_mov_b32_e32 v15, 0x7f800000
	v_cmp_nlt_f32_e64 s[0:1], s0, v5
	s_nop 1
	v_cndmask_b32_e64 v5, v15, v11, s[0:1]
	v_add_f32_e32 v11, 1.0, v5
	v_add_f32_e32 v19, -1.0, v11
	v_sub_f32_e32 v20, v19, v11
	v_add_f32_e32 v20, 1.0, v20
	v_sub_f32_e32 v19, v5, v19
	v_add_f32_e32 v19, v19, v20
	v_frexp_mant_f32_e32 v24, v11
	s_mov_b32 s0, 0x3f2aaaab
	v_cvt_f64_f32_e32 v[20:21], v11
	v_frexp_exp_i32_f64_e32 v20, v[20:21]
	v_cmp_gt_f32_e64 s[0:1], s0, v24
	s_nop 1
	v_subbrev_co_u32_e64 v24, s[0:1], 0, v20, s[0:1]
	v_sub_u32_e32 v20, 0, v24
	v_ldexp_f32 v11, v11, v20
	v_ldexp_f32 v19, v19, v20
	v_add_f32_e32 v20, -1.0, v11
	v_add_f32_e32 v21, 1.0, v20
	v_sub_f32_e32 v21, v11, v21
	v_add_f32_e32 v31, v19, v21
	v_add_f32_e32 v21, 1.0, v11
	v_add_f32_e32 v32, -1.0, v21
	v_sub_f32_e32 v11, v11, v32
	v_add_f32_e32 v11, v19, v11
	v_add_f32_e32 v19, v21, v11
	v_rcp_f32_e32 v38, v19
	v_sub_f32_e32 v21, v21, v19
	v_add_f32_e32 v11, v11, v21
	v_add_f32_e32 v21, v20, v31
	v_mul_f32_e32 v39, v21, v38
	v_mul_f32_e32 v32, v19, v39
	v_fma_f32 v34, v39, v19, -v32
	v_sub_f32_e32 v20, v20, v21
	v_fmac_f32_e32 v34, v39, v11
	v_add_f32_e32 v31, v31, v20
	v_add_f32_e32 v20, v32, v34
	v_sub_f32_e32 v33, v21, v20
	v_pk_add_f32 v[36:37], v[20:21], v[32:33] neg_lo:[0,1] neg_hi:[0,1]
	v_mov_b32_e32 v35, v20
	v_pk_add_f32 v[20:21], v[36:37], v[34:35] neg_lo:[0,1] neg_hi:[0,1]
	s_mov_b32 s0, 0x3f317218
	v_add_f32_e32 v21, v31, v21
	v_add_f32_e32 v20, v20, v21
	;; [unrolled: 1-line block ×3, first 2 shown]
	v_mul_f32_e32 v31, v38, v21
	v_mul_f32_e32 v32, v19, v31
	v_fma_f32 v34, v31, v19, -v32
	v_fmac_f32_e32 v34, v31, v11
	v_sub_f32_e32 v11, v33, v21
	v_add_f32_e32 v11, v20, v11
	v_add_f32_e32 v20, v32, v34
	v_sub_f32_e32 v33, v21, v20
	v_pk_add_f32 v[36:37], v[20:21], v[32:33] neg_lo:[0,1] neg_hi:[0,1]
	v_mov_b32_e32 v35, v20
	v_pk_add_f32 v[20:21], v[36:37], v[34:35] neg_lo:[0,1] neg_hi:[0,1]
	v_add_f32_e32 v19, v39, v31
	v_add_f32_e32 v11, v11, v21
	;; [unrolled: 1-line block ×4, first 2 shown]
	v_sub_f32_e32 v20, v19, v39
	v_mul_f32_e32 v11, v38, v11
	v_sub_f32_e32 v20, v31, v20
	v_add_f32_e32 v11, v20, v11
	v_add_f32_e32 v20, v19, v11
	v_cvt_f32_i32_e32 v32, v24
	v_mul_f32_e32 v31, v20, v20
	v_mov_b32_e32 v21, 0x3ecc95a3
	v_fmac_f32_e32 v21, 0x3e9b6dac, v31
	v_fmaak_f32 v21, v31, v21, 0x3f2aaada
	v_sub_f32_e32 v19, v20, v19
	v_ldexp_f32 v35, v20, 1
	v_mul_f32_e32 v33, v20, v31
	v_mov_b32_e32 v20, 0x3f317218
	v_pk_mul_f32 v[20:21], v[32:33], v[20:21]
	v_sub_f32_e32 v11, v11, v19
	v_fma_f32 v19, v32, s0, -v20
	v_fmamk_f32 v34, v32, 0xb102e308, v19
	v_pk_add_f32 v[32:33], v[20:21], v[34:35]
	v_ldexp_f32 v11, v11, 1
	v_sub_f32_e32 v19, v33, v35
	v_sub_f32_e32 v19, v21, v19
	v_add_f32_e32 v37, v11, v19
	v_mov_b32_e32 v36, v20
	v_pk_add_f32 v[20:21], v[32:33], v[20:21] neg_lo:[0,1] neg_hi:[0,1]
	v_pk_add_f32 v[38:39], v[32:33], v[36:37]
	v_mov_b32_e32 v35, v32
	v_mov_b32_e32 v21, v39
	v_pk_add_f32 v[40:41], v[34:35], v[20:21] neg_lo:[0,1] neg_hi:[0,1]
	v_pk_add_f32 v[20:21], v[34:35], v[20:21]
	v_mov_b32_e32 v36, v37
	v_pk_add_f32 v[34:35], v[20:21], v[32:33] op_sel:[1,0] op_sel_hi:[0,1] neg_lo:[0,1] neg_hi:[0,1]
	v_pk_add_f32 v[42:43], v[38:39], v[34:35] op_sel_hi:[1,0] neg_lo:[0,1] neg_hi:[0,1]
	v_mov_b32_e32 v38, v39
	v_mov_b32_e32 v39, v21
	v_pk_mov_b32 v[34:35], v[32:33], v[34:35] op_sel:[1,0]
	v_mov_b32_e32 v37, v32
	v_pk_add_f32 v[34:35], v[38:39], v[34:35] neg_lo:[0,1] neg_hi:[0,1]
	v_mov_b32_e32 v42, v40
	v_pk_add_f32 v[32:33], v[36:37], v[34:35] neg_lo:[0,1] neg_hi:[0,1]
	v_mov_b32_e32 v41, v21
	v_pk_add_f32 v[34:35], v[42:43], v[32:33]
	v_cmp_neq_f32_e64 s[0:1], s31, v5
	v_pk_add_f32 v[36:37], v[34:35], v[34:35] op_sel:[0,1] op_sel_hi:[1,0]
	s_nop 0
	v_pk_add_f32 v[20:21], v[20:21], v[36:37] op_sel:[1,0] op_sel_hi:[0,1]
	v_mov_b32_e32 v35, v20
	v_pk_add_f32 v[38:39], v[34:35], v[40:41] neg_lo:[0,1] neg_hi:[0,1]
	v_mov_b32_e32 v33, v36
	v_sub_f32_e32 v11, v34, v38
	v_pk_add_f32 v[32:33], v[32:33], v[38:39] neg_lo:[0,1] neg_hi:[0,1]
	v_sub_f32_e32 v11, v40, v11
	v_add_f32_e32 v11, v32, v11
	v_add_f32_e32 v11, v11, v33
	;; [unrolled: 1-line block ×3, first 2 shown]
	v_cndmask_b32_e64 v11, v15, v11, s[0:1]
	s_mov_b32 s0, 0x33800000
	v_cmp_lt_f32_e64 s[0:1], |v5|, s0
	s_nop 1
	v_cndmask_b32_e64 v5, v11, v5, s[0:1]
	v_add_f32_e32 v5, v10, v5
.LBB124_108:
	s_or_b64 exec, exec, s[28:29]
	v_max_f32_e32 v10, v5, v5
	v_min_f32_e32 v11, v10, v22
	v_cmp_u_f32_e64 s[0:1], v5, v5
	v_max_f32_e32 v10, v10, v22
	s_nop 0
	v_cndmask_b32_e64 v11, v11, v5, s[0:1]
	v_cndmask_b32_e64 v10, v10, v5, s[0:1]
	;; [unrolled: 1-line block ×4, first 2 shown]
	v_cmp_neq_f32_e64 s[0:1], v15, v11
	v_cmp_class_f32_e64 s[28:29], v15, s30
	s_or_b64 s[0:1], s[0:1], s[28:29]
	v_mov_b32_e32 v10, v5
	s_and_saveexec_b64 s[28:29], s[0:1]
	s_cbranch_execz .LBB124_110
; %bb.109:
	v_sub_f32_e32 v10, v15, v11
	s_mov_b32 s0, 0x3fb8aa3b
	v_mul_f32_e32 v12, 0x3fb8aa3b, v10
	v_fma_f32 v15, v10, s0, -v12
	v_rndne_f32_e32 v19, v12
	v_fmamk_f32 v15, v10, 0x32a5705f, v15
	v_sub_f32_e32 v12, v12, v19
	v_add_f32_e32 v12, v12, v15
	v_exp_f32_e32 v12, v12
	v_cvt_i32_f32_e32 v15, v19
	s_mov_b32 s0, 0xc2ce8ed0
	v_cmp_ngt_f32_e64 s[0:1], s0, v10
	s_mov_b32 s30, 0x7f800000
	v_ldexp_f32 v12, v12, v15
	v_cndmask_b32_e64 v12, 0, v12, s[0:1]
	s_mov_b32 s0, 0x42b17218
	v_mov_b32_e32 v15, 0x7f800000
	v_cmp_nlt_f32_e64 s[0:1], s0, v10
	s_nop 1
	v_cndmask_b32_e64 v10, v15, v12, s[0:1]
	v_add_f32_e32 v12, 1.0, v10
	v_add_f32_e32 v19, -1.0, v12
	v_sub_f32_e32 v20, v19, v12
	v_add_f32_e32 v20, 1.0, v20
	v_sub_f32_e32 v19, v10, v19
	v_add_f32_e32 v19, v19, v20
	v_frexp_mant_f32_e32 v22, v12
	s_mov_b32 s0, 0x3f2aaaab
	v_cvt_f64_f32_e32 v[20:21], v12
	v_frexp_exp_i32_f64_e32 v20, v[20:21]
	v_cmp_gt_f32_e64 s[0:1], s0, v22
	s_nop 1
	v_subbrev_co_u32_e64 v22, s[0:1], 0, v20, s[0:1]
	v_sub_u32_e32 v20, 0, v22
	v_ldexp_f32 v12, v12, v20
	v_ldexp_f32 v19, v19, v20
	v_add_f32_e32 v20, -1.0, v12
	v_add_f32_e32 v21, 1.0, v20
	v_sub_f32_e32 v21, v12, v21
	v_add_f32_e32 v24, v19, v21
	v_add_f32_e32 v21, 1.0, v12
	v_add_f32_e32 v31, -1.0, v21
	v_sub_f32_e32 v12, v12, v31
	v_add_f32_e32 v12, v19, v12
	v_add_f32_e32 v19, v21, v12
	v_rcp_f32_e32 v31, v19
	v_sub_f32_e32 v21, v21, v19
	v_add_f32_e32 v12, v12, v21
	v_add_f32_e32 v21, v20, v24
	v_mul_f32_e32 v38, v21, v31
	v_mul_f32_e32 v32, v19, v38
	v_fma_f32 v34, v38, v19, -v32
	v_sub_f32_e32 v20, v20, v21
	v_fmac_f32_e32 v34, v38, v12
	v_add_f32_e32 v24, v24, v20
	v_add_f32_e32 v20, v32, v34
	v_sub_f32_e32 v33, v21, v20
	v_pk_add_f32 v[36:37], v[20:21], v[32:33] neg_lo:[0,1] neg_hi:[0,1]
	v_mov_b32_e32 v35, v20
	v_pk_add_f32 v[20:21], v[36:37], v[34:35] neg_lo:[0,1] neg_hi:[0,1]
	s_mov_b32 s0, 0x3f317218
	v_add_f32_e32 v21, v24, v21
	v_add_f32_e32 v20, v20, v21
	;; [unrolled: 1-line block ×3, first 2 shown]
	v_mul_f32_e32 v24, v31, v21
	v_mul_f32_e32 v32, v19, v24
	v_fma_f32 v34, v24, v19, -v32
	v_fmac_f32_e32 v34, v24, v12
	v_sub_f32_e32 v12, v33, v21
	v_add_f32_e32 v12, v20, v12
	v_add_f32_e32 v20, v32, v34
	v_sub_f32_e32 v33, v21, v20
	v_pk_add_f32 v[36:37], v[20:21], v[32:33] neg_lo:[0,1] neg_hi:[0,1]
	v_mov_b32_e32 v35, v20
	v_pk_add_f32 v[20:21], v[36:37], v[34:35] neg_lo:[0,1] neg_hi:[0,1]
	v_add_f32_e32 v19, v38, v24
	v_add_f32_e32 v12, v12, v21
	;; [unrolled: 1-line block ×4, first 2 shown]
	v_sub_f32_e32 v20, v19, v38
	v_mul_f32_e32 v12, v31, v12
	v_sub_f32_e32 v20, v24, v20
	v_add_f32_e32 v12, v20, v12
	v_add_f32_e32 v20, v19, v12
	v_cvt_f32_i32_e32 v32, v22
	v_mul_f32_e32 v24, v20, v20
	v_mov_b32_e32 v21, 0x3ecc95a3
	v_fmac_f32_e32 v21, 0x3e9b6dac, v24
	v_fmaak_f32 v21, v24, v21, 0x3f2aaada
	v_sub_f32_e32 v19, v20, v19
	v_ldexp_f32 v35, v20, 1
	v_mul_f32_e32 v33, v20, v24
	v_mov_b32_e32 v20, 0x3f317218
	v_pk_mul_f32 v[20:21], v[32:33], v[20:21]
	v_sub_f32_e32 v12, v12, v19
	v_fma_f32 v19, v32, s0, -v20
	v_fmamk_f32 v34, v32, 0xb102e308, v19
	v_pk_add_f32 v[32:33], v[20:21], v[34:35]
	v_ldexp_f32 v12, v12, 1
	v_sub_f32_e32 v19, v33, v35
	v_sub_f32_e32 v19, v21, v19
	v_add_f32_e32 v37, v12, v19
	v_mov_b32_e32 v36, v20
	v_pk_add_f32 v[20:21], v[32:33], v[20:21] neg_lo:[0,1] neg_hi:[0,1]
	v_pk_add_f32 v[38:39], v[32:33], v[36:37]
	v_mov_b32_e32 v35, v32
	v_mov_b32_e32 v21, v39
	v_pk_add_f32 v[40:41], v[34:35], v[20:21] neg_lo:[0,1] neg_hi:[0,1]
	v_pk_add_f32 v[20:21], v[34:35], v[20:21]
	v_mov_b32_e32 v36, v37
	v_pk_add_f32 v[34:35], v[20:21], v[32:33] op_sel:[1,0] op_sel_hi:[0,1] neg_lo:[0,1] neg_hi:[0,1]
	v_pk_add_f32 v[42:43], v[38:39], v[34:35] op_sel_hi:[1,0] neg_lo:[0,1] neg_hi:[0,1]
	v_mov_b32_e32 v38, v39
	v_mov_b32_e32 v39, v21
	v_pk_mov_b32 v[34:35], v[32:33], v[34:35] op_sel:[1,0]
	v_mov_b32_e32 v37, v32
	v_pk_add_f32 v[34:35], v[38:39], v[34:35] neg_lo:[0,1] neg_hi:[0,1]
	v_mov_b32_e32 v42, v40
	v_pk_add_f32 v[32:33], v[36:37], v[34:35] neg_lo:[0,1] neg_hi:[0,1]
	v_mov_b32_e32 v41, v21
	v_pk_add_f32 v[34:35], v[42:43], v[32:33]
	v_cmp_neq_f32_e64 s[0:1], s30, v10
	v_pk_add_f32 v[36:37], v[34:35], v[34:35] op_sel:[0,1] op_sel_hi:[1,0]
	s_nop 0
	v_pk_add_f32 v[20:21], v[20:21], v[36:37] op_sel:[1,0] op_sel_hi:[0,1]
	v_mov_b32_e32 v35, v20
	v_pk_add_f32 v[38:39], v[34:35], v[40:41] neg_lo:[0,1] neg_hi:[0,1]
	v_mov_b32_e32 v33, v36
	v_sub_f32_e32 v12, v34, v38
	v_pk_add_f32 v[32:33], v[32:33], v[38:39] neg_lo:[0,1] neg_hi:[0,1]
	v_sub_f32_e32 v12, v40, v12
	v_add_f32_e32 v12, v32, v12
	v_add_f32_e32 v12, v12, v33
	;; [unrolled: 1-line block ×3, first 2 shown]
	v_cndmask_b32_e64 v12, v15, v12, s[0:1]
	s_mov_b32 s0, 0x33800000
	v_cmp_lt_f32_e64 s[0:1], |v10|, s0
	s_nop 1
	v_cndmask_b32_e64 v10, v12, v10, s[0:1]
	v_add_f32_e32 v10, v11, v10
.LBB124_110:
	s_or_b64 exec, exec, s[28:29]
	v_max_f32_e32 v11, v10, v10
	v_min_f32_e32 v12, v11, v23
	v_cmp_u_f32_e64 s[0:1], v10, v10
	v_max_f32_e32 v11, v11, v23
	s_movk_i32 s30, 0x1f8
	v_cndmask_b32_e64 v12, v12, v10, s[0:1]
	v_cndmask_b32_e64 v11, v11, v10, s[0:1]
	;; [unrolled: 1-line block ×4, first 2 shown]
	v_cmp_neq_f32_e64 s[0:1], v15, v12
	v_cmp_class_f32_e64 s[28:29], v15, s30
	s_or_b64 s[0:1], s[0:1], s[28:29]
	v_mov_b32_e32 v11, v10
	s_and_saveexec_b64 s[28:29], s[0:1]
	s_cbranch_execz .LBB124_112
; %bb.111:
	v_sub_f32_e32 v11, v15, v12
	s_mov_b32 s0, 0x3fb8aa3b
	v_mul_f32_e32 v13, 0x3fb8aa3b, v11
	v_fma_f32 v15, v11, s0, -v13
	v_rndne_f32_e32 v19, v13
	v_fmamk_f32 v15, v11, 0x32a5705f, v15
	v_sub_f32_e32 v13, v13, v19
	v_add_f32_e32 v13, v13, v15
	v_exp_f32_e32 v13, v13
	v_cvt_i32_f32_e32 v15, v19
	s_mov_b32 s0, 0xc2ce8ed0
	v_cmp_ngt_f32_e64 s[0:1], s0, v11
	s_mov_b32 s31, 0x7f800000
	v_ldexp_f32 v13, v13, v15
	v_cndmask_b32_e64 v13, 0, v13, s[0:1]
	s_mov_b32 s0, 0x42b17218
	v_mov_b32_e32 v15, 0x7f800000
	v_cmp_nlt_f32_e64 s[0:1], s0, v11
	s_nop 1
	v_cndmask_b32_e64 v11, v15, v13, s[0:1]
	v_add_f32_e32 v13, 1.0, v11
	v_add_f32_e32 v19, -1.0, v13
	v_sub_f32_e32 v20, v19, v13
	v_add_f32_e32 v20, 1.0, v20
	v_sub_f32_e32 v19, v11, v19
	v_add_f32_e32 v19, v19, v20
	v_frexp_mant_f32_e32 v22, v13
	s_mov_b32 s0, 0x3f2aaaab
	v_cvt_f64_f32_e32 v[20:21], v13
	v_frexp_exp_i32_f64_e32 v20, v[20:21]
	v_cmp_gt_f32_e64 s[0:1], s0, v22
	s_nop 1
	v_subbrev_co_u32_e64 v24, s[0:1], 0, v20, s[0:1]
	v_sub_u32_e32 v20, 0, v24
	v_ldexp_f32 v13, v13, v20
	v_ldexp_f32 v19, v19, v20
	v_add_f32_e32 v20, -1.0, v13
	v_add_f32_e32 v21, 1.0, v20
	v_sub_f32_e32 v21, v13, v21
	v_add_f32_e32 v22, v19, v21
	v_add_f32_e32 v21, 1.0, v13
	v_add_f32_e32 v23, -1.0, v21
	v_sub_f32_e32 v13, v13, v23
	v_add_f32_e32 v13, v19, v13
	v_add_f32_e32 v19, v21, v13
	v_rcp_f32_e32 v31, v19
	v_sub_f32_e32 v21, v21, v19
	v_add_f32_e32 v13, v13, v21
	v_add_f32_e32 v21, v20, v22
	v_sub_f32_e32 v20, v20, v21
	v_mul_f32_e32 v37, v21, v31
	v_add_f32_e32 v36, v22, v20
	v_mul_f32_e32 v22, v19, v37
	v_fma_f32 v32, v37, v19, -v22
	v_fmac_f32_e32 v32, v37, v13
	v_add_f32_e32 v20, v22, v32
	v_sub_f32_e32 v23, v21, v20
	v_pk_add_f32 v[34:35], v[20:21], v[22:23] neg_lo:[0,1] neg_hi:[0,1]
	v_mov_b32_e32 v33, v20
	v_pk_add_f32 v[20:21], v[34:35], v[32:33] neg_lo:[0,1] neg_hi:[0,1]
	s_mov_b32 s0, 0x3f317218
	v_add_f32_e32 v21, v36, v21
	v_add_f32_e32 v20, v20, v21
	;; [unrolled: 1-line block ×3, first 2 shown]
	v_mul_f32_e32 v36, v31, v21
	v_mul_f32_e32 v22, v19, v36
	v_fma_f32 v32, v36, v19, -v22
	v_fmac_f32_e32 v32, v36, v13
	v_sub_f32_e32 v13, v23, v21
	v_add_f32_e32 v13, v20, v13
	v_add_f32_e32 v20, v22, v32
	v_sub_f32_e32 v23, v21, v20
	v_pk_add_f32 v[34:35], v[20:21], v[22:23] neg_lo:[0,1] neg_hi:[0,1]
	v_mov_b32_e32 v33, v20
	v_pk_add_f32 v[20:21], v[34:35], v[32:33] neg_lo:[0,1] neg_hi:[0,1]
	v_add_f32_e32 v19, v37, v36
	v_add_f32_e32 v13, v13, v21
	;; [unrolled: 1-line block ×4, first 2 shown]
	v_sub_f32_e32 v20, v19, v37
	v_mul_f32_e32 v13, v31, v13
	v_sub_f32_e32 v20, v36, v20
	v_add_f32_e32 v13, v20, v13
	v_add_f32_e32 v20, v19, v13
	v_cvt_f32_i32_e32 v22, v24
	v_mul_f32_e32 v23, v20, v20
	v_mov_b32_e32 v21, 0x3ecc95a3
	v_fmac_f32_e32 v21, 0x3e9b6dac, v23
	v_fmaak_f32 v21, v23, v21, 0x3f2aaada
	v_sub_f32_e32 v19, v20, v19
	v_ldexp_f32 v33, v20, 1
	v_mul_f32_e32 v23, v20, v23
	v_mov_b32_e32 v20, 0x3f317218
	v_pk_mul_f32 v[20:21], v[22:23], v[20:21]
	v_sub_f32_e32 v13, v13, v19
	v_fma_f32 v19, v22, s0, -v20
	v_fmamk_f32 v32, v22, 0xb102e308, v19
	v_pk_add_f32 v[22:23], v[20:21], v[32:33]
	v_ldexp_f32 v13, v13, 1
	v_sub_f32_e32 v19, v23, v33
	v_sub_f32_e32 v19, v21, v19
	v_add_f32_e32 v35, v13, v19
	v_mov_b32_e32 v34, v20
	v_pk_add_f32 v[20:21], v[22:23], v[20:21] neg_lo:[0,1] neg_hi:[0,1]
	v_pk_add_f32 v[36:37], v[22:23], v[34:35]
	v_mov_b32_e32 v33, v22
	v_mov_b32_e32 v21, v37
	v_pk_add_f32 v[38:39], v[32:33], v[20:21] neg_lo:[0,1] neg_hi:[0,1]
	v_pk_add_f32 v[20:21], v[32:33], v[20:21]
	v_mov_b32_e32 v34, v35
	v_pk_add_f32 v[32:33], v[20:21], v[22:23] op_sel:[1,0] op_sel_hi:[0,1] neg_lo:[0,1] neg_hi:[0,1]
	v_pk_add_f32 v[40:41], v[36:37], v[32:33] op_sel_hi:[1,0] neg_lo:[0,1] neg_hi:[0,1]
	v_mov_b32_e32 v36, v37
	v_mov_b32_e32 v37, v21
	v_pk_mov_b32 v[32:33], v[22:23], v[32:33] op_sel:[1,0]
	v_mov_b32_e32 v35, v22
	v_pk_add_f32 v[32:33], v[36:37], v[32:33] neg_lo:[0,1] neg_hi:[0,1]
	v_mov_b32_e32 v40, v38
	v_pk_add_f32 v[22:23], v[34:35], v[32:33] neg_lo:[0,1] neg_hi:[0,1]
	v_mov_b32_e32 v39, v21
	v_pk_add_f32 v[32:33], v[40:41], v[22:23]
	v_cmp_neq_f32_e64 s[0:1], s31, v11
	v_pk_add_f32 v[34:35], v[32:33], v[32:33] op_sel:[0,1] op_sel_hi:[1,0]
	s_nop 0
	v_pk_add_f32 v[20:21], v[20:21], v[34:35] op_sel:[1,0] op_sel_hi:[0,1]
	v_mov_b32_e32 v33, v20
	v_pk_add_f32 v[36:37], v[32:33], v[38:39] neg_lo:[0,1] neg_hi:[0,1]
	v_mov_b32_e32 v23, v34
	v_sub_f32_e32 v13, v32, v36
	v_pk_add_f32 v[22:23], v[22:23], v[36:37] neg_lo:[0,1] neg_hi:[0,1]
	v_sub_f32_e32 v13, v38, v13
	v_add_f32_e32 v13, v22, v13
	v_add_f32_e32 v13, v13, v23
	;; [unrolled: 1-line block ×3, first 2 shown]
	v_cndmask_b32_e64 v13, v15, v13, s[0:1]
	s_mov_b32 s0, 0x33800000
	v_cmp_lt_f32_e64 s[0:1], |v11|, s0
	s_nop 1
	v_cndmask_b32_e64 v11, v13, v11, s[0:1]
	v_add_f32_e32 v11, v12, v11
.LBB124_112:
	s_or_b64 exec, exec, s[28:29]
	v_max_f32_e32 v12, v11, v11
	v_min_f32_e32 v13, v12, v25
	v_cmp_u_f32_e64 s[0:1], v11, v11
	v_max_f32_e32 v12, v12, v25
	s_nop 0
	v_cndmask_b32_e64 v13, v13, v11, s[0:1]
	v_cndmask_b32_e64 v12, v12, v11, s[0:1]
	;; [unrolled: 1-line block ×4, first 2 shown]
	v_cmp_neq_f32_e64 s[0:1], v13, v12
	v_cmp_class_f32_e64 s[28:29], v13, s30
	s_or_b64 s[0:1], s[0:1], s[28:29]
	v_mov_b32_e32 v6, v11
	s_and_saveexec_b64 s[28:29], s[0:1]
	s_cbranch_execz .LBB124_114
; %bb.113:
	v_sub_f32_e32 v6, v13, v12
	s_mov_b32 s0, 0x3fb8aa3b
	v_mul_f32_e32 v13, 0x3fb8aa3b, v6
	v_fma_f32 v15, v6, s0, -v13
	v_rndne_f32_e32 v19, v13
	v_fmamk_f32 v15, v6, 0x32a5705f, v15
	v_sub_f32_e32 v13, v13, v19
	v_add_f32_e32 v13, v13, v15
	v_exp_f32_e32 v13, v13
	v_cvt_i32_f32_e32 v15, v19
	s_mov_b32 s0, 0xc2ce8ed0
	v_cmp_ngt_f32_e64 s[0:1], s0, v6
	s_mov_b32 s30, 0x7f800000
	v_ldexp_f32 v13, v13, v15
	v_cndmask_b32_e64 v13, 0, v13, s[0:1]
	s_mov_b32 s0, 0x42b17218
	v_mov_b32_e32 v15, 0x7f800000
	v_cmp_nlt_f32_e64 s[0:1], s0, v6
	s_nop 1
	v_cndmask_b32_e64 v6, v15, v13, s[0:1]
	v_add_f32_e32 v13, 1.0, v6
	v_add_f32_e32 v19, -1.0, v13
	v_sub_f32_e32 v20, v19, v13
	v_add_f32_e32 v20, 1.0, v20
	v_sub_f32_e32 v19, v6, v19
	v_add_f32_e32 v19, v19, v20
	v_frexp_mant_f32_e32 v22, v13
	s_mov_b32 s0, 0x3f2aaaab
	v_cvt_f64_f32_e32 v[20:21], v13
	v_frexp_exp_i32_f64_e32 v20, v[20:21]
	v_cmp_gt_f32_e64 s[0:1], s0, v22
	s_nop 1
	v_subbrev_co_u32_e64 v31, s[0:1], 0, v20, s[0:1]
	v_sub_u32_e32 v20, 0, v31
	v_ldexp_f32 v13, v13, v20
	v_ldexp_f32 v19, v19, v20
	v_add_f32_e32 v20, -1.0, v13
	v_add_f32_e32 v21, 1.0, v20
	v_sub_f32_e32 v21, v13, v21
	v_add_f32_e32 v22, v19, v21
	v_add_f32_e32 v21, 1.0, v13
	v_add_f32_e32 v23, -1.0, v21
	v_sub_f32_e32 v13, v13, v23
	v_add_f32_e32 v13, v19, v13
	v_add_f32_e32 v19, v21, v13
	v_rcp_f32_e32 v34, v19
	v_sub_f32_e32 v21, v21, v19
	v_add_f32_e32 v13, v13, v21
	v_add_f32_e32 v21, v20, v22
	v_sub_f32_e32 v20, v20, v21
	v_mul_f32_e32 v36, v21, v34
	v_add_f32_e32 v35, v22, v20
	v_mul_f32_e32 v22, v19, v36
	v_fma_f32 v24, v36, v19, -v22
	v_fmac_f32_e32 v24, v36, v13
	v_add_f32_e32 v20, v22, v24
	v_sub_f32_e32 v23, v21, v20
	v_pk_add_f32 v[32:33], v[20:21], v[22:23] neg_lo:[0,1] neg_hi:[0,1]
	v_mov_b32_e32 v25, v20
	v_pk_add_f32 v[20:21], v[32:33], v[24:25] neg_lo:[0,1] neg_hi:[0,1]
	s_mov_b32 s0, 0x3f317218
	v_add_f32_e32 v21, v35, v21
	v_add_f32_e32 v20, v20, v21
	;; [unrolled: 1-line block ×3, first 2 shown]
	v_mul_f32_e32 v35, v34, v21
	v_mul_f32_e32 v22, v19, v35
	v_fma_f32 v24, v35, v19, -v22
	v_fmac_f32_e32 v24, v35, v13
	v_sub_f32_e32 v13, v23, v21
	v_add_f32_e32 v13, v20, v13
	v_add_f32_e32 v20, v22, v24
	v_sub_f32_e32 v23, v21, v20
	v_pk_add_f32 v[32:33], v[20:21], v[22:23] neg_lo:[0,1] neg_hi:[0,1]
	v_mov_b32_e32 v25, v20
	v_pk_add_f32 v[20:21], v[32:33], v[24:25] neg_lo:[0,1] neg_hi:[0,1]
	v_add_f32_e32 v19, v36, v35
	v_add_f32_e32 v13, v13, v21
	;; [unrolled: 1-line block ×4, first 2 shown]
	v_sub_f32_e32 v20, v19, v36
	v_mul_f32_e32 v13, v34, v13
	v_sub_f32_e32 v20, v35, v20
	v_add_f32_e32 v13, v20, v13
	v_add_f32_e32 v20, v19, v13
	v_cvt_f32_i32_e32 v22, v31
	v_mul_f32_e32 v23, v20, v20
	v_mov_b32_e32 v21, 0x3ecc95a3
	v_fmac_f32_e32 v21, 0x3e9b6dac, v23
	v_fmaak_f32 v21, v23, v21, 0x3f2aaada
	v_sub_f32_e32 v19, v20, v19
	v_ldexp_f32 v25, v20, 1
	v_mul_f32_e32 v23, v20, v23
	v_mov_b32_e32 v20, 0x3f317218
	v_pk_mul_f32 v[20:21], v[22:23], v[20:21]
	v_sub_f32_e32 v13, v13, v19
	v_fma_f32 v19, v22, s0, -v20
	v_fmamk_f32 v24, v22, 0xb102e308, v19
	v_pk_add_f32 v[22:23], v[20:21], v[24:25]
	v_ldexp_f32 v13, v13, 1
	v_sub_f32_e32 v19, v23, v25
	v_sub_f32_e32 v19, v21, v19
	v_add_f32_e32 v33, v13, v19
	v_mov_b32_e32 v32, v20
	v_pk_add_f32 v[20:21], v[22:23], v[20:21] neg_lo:[0,1] neg_hi:[0,1]
	v_pk_add_f32 v[34:35], v[22:23], v[32:33]
	v_mov_b32_e32 v25, v22
	v_mov_b32_e32 v21, v35
	v_pk_add_f32 v[36:37], v[24:25], v[20:21] neg_lo:[0,1] neg_hi:[0,1]
	v_pk_add_f32 v[20:21], v[24:25], v[20:21]
	v_mov_b32_e32 v32, v33
	v_pk_add_f32 v[24:25], v[20:21], v[22:23] op_sel:[1,0] op_sel_hi:[0,1] neg_lo:[0,1] neg_hi:[0,1]
	v_pk_add_f32 v[38:39], v[34:35], v[24:25] op_sel_hi:[1,0] neg_lo:[0,1] neg_hi:[0,1]
	v_mov_b32_e32 v34, v35
	v_mov_b32_e32 v35, v21
	v_pk_mov_b32 v[24:25], v[22:23], v[24:25] op_sel:[1,0]
	v_mov_b32_e32 v33, v22
	v_pk_add_f32 v[24:25], v[34:35], v[24:25] neg_lo:[0,1] neg_hi:[0,1]
	v_mov_b32_e32 v38, v36
	v_pk_add_f32 v[22:23], v[32:33], v[24:25] neg_lo:[0,1] neg_hi:[0,1]
	v_mov_b32_e32 v37, v21
	v_pk_add_f32 v[24:25], v[38:39], v[22:23]
	v_cmp_neq_f32_e64 s[0:1], s30, v6
	v_pk_add_f32 v[32:33], v[24:25], v[24:25] op_sel:[0,1] op_sel_hi:[1,0]
	s_nop 0
	v_pk_add_f32 v[20:21], v[20:21], v[32:33] op_sel:[1,0] op_sel_hi:[0,1]
	v_mov_b32_e32 v25, v20
	v_pk_add_f32 v[34:35], v[24:25], v[36:37] neg_lo:[0,1] neg_hi:[0,1]
	v_mov_b32_e32 v23, v32
	v_sub_f32_e32 v13, v24, v34
	v_pk_add_f32 v[22:23], v[22:23], v[34:35] neg_lo:[0,1] neg_hi:[0,1]
	v_sub_f32_e32 v13, v36, v13
	v_add_f32_e32 v13, v22, v13
	v_add_f32_e32 v13, v13, v23
	;; [unrolled: 1-line block ×3, first 2 shown]
	v_cndmask_b32_e64 v13, v15, v13, s[0:1]
	s_mov_b32 s0, 0x33800000
	v_cmp_lt_f32_e64 s[0:1], |v6|, s0
	s_nop 1
	v_cndmask_b32_e64 v6, v13, v6, s[0:1]
	v_add_f32_e32 v6, v12, v6
.LBB124_114:
	s_or_b64 exec, exec, s[28:29]
	v_max_f32_e32 v12, v6, v6
	v_min_f32_e32 v13, v12, v26
	v_cmp_u_f32_e64 s[0:1], v6, v6
	v_max_f32_e32 v12, v12, v26
	s_movk_i32 s30, 0x1f8
	v_cndmask_b32_e64 v13, v13, v6, s[0:1]
	v_cndmask_b32_e64 v12, v12, v6, s[0:1]
	;; [unrolled: 1-line block ×4, first 2 shown]
	v_cmp_neq_f32_e64 s[0:1], v13, v12
	v_cmp_class_f32_e64 s[28:29], v13, s30
	s_or_b64 s[0:1], s[0:1], s[28:29]
	v_mov_b32_e32 v7, v6
	s_and_saveexec_b64 s[28:29], s[0:1]
	s_cbranch_execz .LBB124_116
; %bb.115:
	v_sub_f32_e32 v7, v13, v12
	s_mov_b32 s0, 0x3fb8aa3b
	v_mul_f32_e32 v13, 0x3fb8aa3b, v7
	v_fma_f32 v15, v7, s0, -v13
	v_rndne_f32_e32 v19, v13
	v_fmamk_f32 v15, v7, 0x32a5705f, v15
	v_sub_f32_e32 v13, v13, v19
	v_add_f32_e32 v13, v13, v15
	v_exp_f32_e32 v13, v13
	v_cvt_i32_f32_e32 v15, v19
	s_mov_b32 s0, 0xc2ce8ed0
	v_cmp_ngt_f32_e64 s[0:1], s0, v7
	s_mov_b32 s31, 0x7f800000
	v_ldexp_f32 v13, v13, v15
	v_cndmask_b32_e64 v13, 0, v13, s[0:1]
	s_mov_b32 s0, 0x42b17218
	v_mov_b32_e32 v15, 0x7f800000
	v_cmp_nlt_f32_e64 s[0:1], s0, v7
	s_nop 1
	v_cndmask_b32_e64 v7, v15, v13, s[0:1]
	v_add_f32_e32 v13, 1.0, v7
	v_add_f32_e32 v19, -1.0, v13
	v_sub_f32_e32 v20, v19, v13
	v_add_f32_e32 v20, 1.0, v20
	v_sub_f32_e32 v19, v7, v19
	v_add_f32_e32 v19, v19, v20
	v_frexp_mant_f32_e32 v22, v13
	s_mov_b32 s0, 0x3f2aaaab
	v_cvt_f64_f32_e32 v[20:21], v13
	v_frexp_exp_i32_f64_e32 v20, v[20:21]
	v_cmp_gt_f32_e64 s[0:1], s0, v22
	s_nop 1
	v_subbrev_co_u32_e64 v26, s[0:1], 0, v20, s[0:1]
	v_sub_u32_e32 v20, 0, v26
	v_ldexp_f32 v13, v13, v20
	v_ldexp_f32 v19, v19, v20
	v_add_f32_e32 v20, -1.0, v13
	v_add_f32_e32 v21, 1.0, v20
	v_sub_f32_e32 v21, v13, v21
	v_add_f32_e32 v22, v19, v21
	v_add_f32_e32 v21, 1.0, v13
	v_add_f32_e32 v23, -1.0, v21
	v_sub_f32_e32 v13, v13, v23
	v_add_f32_e32 v13, v19, v13
	v_add_f32_e32 v19, v21, v13
	v_rcp_f32_e32 v31, v19
	v_sub_f32_e32 v21, v21, v19
	v_add_f32_e32 v13, v13, v21
	v_add_f32_e32 v21, v20, v22
	v_sub_f32_e32 v20, v20, v21
	v_mul_f32_e32 v35, v21, v31
	v_add_f32_e32 v34, v22, v20
	v_mul_f32_e32 v22, v19, v35
	v_fma_f32 v24, v35, v19, -v22
	v_fmac_f32_e32 v24, v35, v13
	v_add_f32_e32 v20, v22, v24
	v_sub_f32_e32 v23, v21, v20
	v_pk_add_f32 v[32:33], v[20:21], v[22:23] neg_lo:[0,1] neg_hi:[0,1]
	v_mov_b32_e32 v25, v20
	v_pk_add_f32 v[20:21], v[32:33], v[24:25] neg_lo:[0,1] neg_hi:[0,1]
	s_mov_b32 s0, 0x3f317218
	v_add_f32_e32 v21, v34, v21
	v_add_f32_e32 v20, v20, v21
	;; [unrolled: 1-line block ×3, first 2 shown]
	v_mul_f32_e32 v34, v31, v21
	v_mul_f32_e32 v22, v19, v34
	v_fma_f32 v24, v34, v19, -v22
	v_fmac_f32_e32 v24, v34, v13
	v_sub_f32_e32 v13, v23, v21
	v_add_f32_e32 v13, v20, v13
	v_add_f32_e32 v20, v22, v24
	v_sub_f32_e32 v23, v21, v20
	v_pk_add_f32 v[32:33], v[20:21], v[22:23] neg_lo:[0,1] neg_hi:[0,1]
	v_mov_b32_e32 v25, v20
	v_pk_add_f32 v[20:21], v[32:33], v[24:25] neg_lo:[0,1] neg_hi:[0,1]
	v_add_f32_e32 v19, v35, v34
	v_add_f32_e32 v13, v13, v21
	v_add_f32_e32 v13, v20, v13
	v_add_f32_e32 v13, v23, v13
	v_sub_f32_e32 v20, v19, v35
	v_mul_f32_e32 v13, v31, v13
	v_sub_f32_e32 v20, v34, v20
	v_add_f32_e32 v13, v20, v13
	v_add_f32_e32 v20, v19, v13
	v_cvt_f32_i32_e32 v22, v26
	v_mul_f32_e32 v23, v20, v20
	v_mov_b32_e32 v21, 0x3ecc95a3
	v_fmac_f32_e32 v21, 0x3e9b6dac, v23
	v_fmaak_f32 v21, v23, v21, 0x3f2aaada
	v_sub_f32_e32 v19, v20, v19
	v_ldexp_f32 v25, v20, 1
	v_mul_f32_e32 v23, v20, v23
	v_mov_b32_e32 v20, 0x3f317218
	v_pk_mul_f32 v[20:21], v[22:23], v[20:21]
	v_sub_f32_e32 v13, v13, v19
	v_fma_f32 v19, v22, s0, -v20
	v_fmamk_f32 v24, v22, 0xb102e308, v19
	v_pk_add_f32 v[22:23], v[20:21], v[24:25]
	v_ldexp_f32 v13, v13, 1
	v_sub_f32_e32 v19, v23, v25
	v_sub_f32_e32 v19, v21, v19
	v_add_f32_e32 v33, v13, v19
	v_mov_b32_e32 v32, v20
	v_pk_add_f32 v[20:21], v[22:23], v[20:21] neg_lo:[0,1] neg_hi:[0,1]
	v_pk_add_f32 v[34:35], v[22:23], v[32:33]
	v_mov_b32_e32 v25, v22
	v_mov_b32_e32 v21, v35
	v_pk_add_f32 v[36:37], v[24:25], v[20:21] neg_lo:[0,1] neg_hi:[0,1]
	v_pk_add_f32 v[20:21], v[24:25], v[20:21]
	v_mov_b32_e32 v32, v33
	v_pk_add_f32 v[24:25], v[20:21], v[22:23] op_sel:[1,0] op_sel_hi:[0,1] neg_lo:[0,1] neg_hi:[0,1]
	v_pk_add_f32 v[38:39], v[34:35], v[24:25] op_sel_hi:[1,0] neg_lo:[0,1] neg_hi:[0,1]
	v_mov_b32_e32 v34, v35
	v_mov_b32_e32 v35, v21
	v_pk_mov_b32 v[24:25], v[22:23], v[24:25] op_sel:[1,0]
	v_mov_b32_e32 v33, v22
	v_pk_add_f32 v[24:25], v[34:35], v[24:25] neg_lo:[0,1] neg_hi:[0,1]
	v_mov_b32_e32 v38, v36
	v_pk_add_f32 v[22:23], v[32:33], v[24:25] neg_lo:[0,1] neg_hi:[0,1]
	v_mov_b32_e32 v37, v21
	v_pk_add_f32 v[24:25], v[38:39], v[22:23]
	v_cmp_neq_f32_e64 s[0:1], s31, v7
	v_pk_add_f32 v[32:33], v[24:25], v[24:25] op_sel:[0,1] op_sel_hi:[1,0]
	s_nop 0
	v_pk_add_f32 v[20:21], v[20:21], v[32:33] op_sel:[1,0] op_sel_hi:[0,1]
	v_mov_b32_e32 v25, v20
	v_pk_add_f32 v[34:35], v[24:25], v[36:37] neg_lo:[0,1] neg_hi:[0,1]
	v_mov_b32_e32 v23, v32
	v_sub_f32_e32 v13, v24, v34
	v_pk_add_f32 v[22:23], v[22:23], v[34:35] neg_lo:[0,1] neg_hi:[0,1]
	v_sub_f32_e32 v13, v36, v13
	v_add_f32_e32 v13, v22, v13
	v_add_f32_e32 v13, v13, v23
	;; [unrolled: 1-line block ×3, first 2 shown]
	v_cndmask_b32_e64 v13, v15, v13, s[0:1]
	s_mov_b32 s0, 0x33800000
	v_cmp_lt_f32_e64 s[0:1], |v7|, s0
	s_nop 1
	v_cndmask_b32_e64 v7, v13, v7, s[0:1]
	v_add_f32_e32 v7, v12, v7
.LBB124_116:
	s_or_b64 exec, exec, s[28:29]
	v_max_f32_e32 v12, v7, v7
	v_min_f32_e32 v13, v12, v27
	v_cmp_u_f32_e64 s[0:1], v7, v7
	v_max_f32_e32 v12, v12, v27
	s_nop 0
	v_cndmask_b32_e64 v13, v13, v7, s[0:1]
	v_cndmask_b32_e64 v12, v12, v7, s[0:1]
	;; [unrolled: 1-line block ×4, first 2 shown]
	v_cmp_neq_f32_e64 s[0:1], v13, v12
	v_cmp_class_f32_e64 s[28:29], v13, s30
	s_or_b64 s[0:1], s[0:1], s[28:29]
	v_mov_b32_e32 v8, v7
	s_and_saveexec_b64 s[28:29], s[0:1]
	s_cbranch_execz .LBB124_118
; %bb.117:
	v_sub_f32_e32 v8, v13, v12
	s_mov_b32 s0, 0x3fb8aa3b
	v_mul_f32_e32 v13, 0x3fb8aa3b, v8
	v_fma_f32 v15, v8, s0, -v13
	v_rndne_f32_e32 v19, v13
	v_fmamk_f32 v15, v8, 0x32a5705f, v15
	v_sub_f32_e32 v13, v13, v19
	v_add_f32_e32 v13, v13, v15
	v_exp_f32_e32 v13, v13
	v_cvt_i32_f32_e32 v15, v19
	s_mov_b32 s0, 0xc2ce8ed0
	v_cmp_ngt_f32_e64 s[0:1], s0, v8
	s_mov_b32 s30, 0x7f800000
	v_ldexp_f32 v13, v13, v15
	v_cndmask_b32_e64 v13, 0, v13, s[0:1]
	s_mov_b32 s0, 0x42b17218
	v_mov_b32_e32 v15, 0x7f800000
	v_cmp_nlt_f32_e64 s[0:1], s0, v8
	s_nop 1
	v_cndmask_b32_e64 v8, v15, v13, s[0:1]
	v_add_f32_e32 v13, 1.0, v8
	v_add_f32_e32 v19, -1.0, v13
	v_sub_f32_e32 v20, v19, v13
	v_add_f32_e32 v20, 1.0, v20
	v_sub_f32_e32 v19, v8, v19
	v_add_f32_e32 v19, v19, v20
	v_frexp_mant_f32_e32 v22, v13
	s_mov_b32 s0, 0x3f2aaaab
	v_cvt_f64_f32_e32 v[20:21], v13
	v_frexp_exp_i32_f64_e32 v20, v[20:21]
	v_cmp_gt_f32_e64 s[0:1], s0, v22
	s_nop 1
	v_subbrev_co_u32_e64 v31, s[0:1], 0, v20, s[0:1]
	v_sub_u32_e32 v20, 0, v31
	v_ldexp_f32 v13, v13, v20
	v_ldexp_f32 v19, v19, v20
	v_add_f32_e32 v20, -1.0, v13
	v_add_f32_e32 v21, 1.0, v20
	v_sub_f32_e32 v21, v13, v21
	v_add_f32_e32 v22, v19, v21
	v_add_f32_e32 v21, 1.0, v13
	v_add_f32_e32 v23, -1.0, v21
	v_sub_f32_e32 v13, v13, v23
	v_add_f32_e32 v13, v19, v13
	v_add_f32_e32 v19, v21, v13
	v_rcp_f32_e32 v32, v19
	v_sub_f32_e32 v21, v21, v19
	v_add_f32_e32 v13, v13, v21
	v_add_f32_e32 v21, v20, v22
	v_sub_f32_e32 v20, v20, v21
	v_mul_f32_e32 v34, v21, v32
	v_add_f32_e32 v33, v22, v20
	v_mul_f32_e32 v22, v19, v34
	v_fma_f32 v24, v34, v19, -v22
	v_fmac_f32_e32 v24, v34, v13
	v_add_f32_e32 v20, v22, v24
	v_sub_f32_e32 v23, v21, v20
	v_pk_add_f32 v[26:27], v[20:21], v[22:23] neg_lo:[0,1] neg_hi:[0,1]
	v_mov_b32_e32 v25, v20
	v_pk_add_f32 v[20:21], v[26:27], v[24:25] neg_lo:[0,1] neg_hi:[0,1]
	s_mov_b32 s0, 0x3f317218
	v_add_f32_e32 v21, v33, v21
	v_add_f32_e32 v20, v20, v21
	v_add_f32_e32 v21, v23, v20
	v_mul_f32_e32 v33, v32, v21
	v_mul_f32_e32 v22, v19, v33
	v_fma_f32 v24, v33, v19, -v22
	v_fmac_f32_e32 v24, v33, v13
	v_sub_f32_e32 v13, v23, v21
	v_add_f32_e32 v13, v20, v13
	v_add_f32_e32 v20, v22, v24
	v_sub_f32_e32 v23, v21, v20
	v_pk_add_f32 v[26:27], v[20:21], v[22:23] neg_lo:[0,1] neg_hi:[0,1]
	v_mov_b32_e32 v25, v20
	v_pk_add_f32 v[20:21], v[26:27], v[24:25] neg_lo:[0,1] neg_hi:[0,1]
	v_add_f32_e32 v19, v34, v33
	v_add_f32_e32 v13, v13, v21
	;; [unrolled: 1-line block ×4, first 2 shown]
	v_sub_f32_e32 v20, v19, v34
	v_mul_f32_e32 v13, v32, v13
	v_sub_f32_e32 v20, v33, v20
	v_add_f32_e32 v13, v20, v13
	v_add_f32_e32 v20, v19, v13
	v_cvt_f32_i32_e32 v22, v31
	v_mul_f32_e32 v23, v20, v20
	v_mov_b32_e32 v21, 0x3ecc95a3
	v_fmac_f32_e32 v21, 0x3e9b6dac, v23
	v_fmaak_f32 v21, v23, v21, 0x3f2aaada
	v_sub_f32_e32 v19, v20, v19
	v_ldexp_f32 v25, v20, 1
	v_mul_f32_e32 v23, v20, v23
	v_mov_b32_e32 v20, 0x3f317218
	v_pk_mul_f32 v[20:21], v[22:23], v[20:21]
	v_sub_f32_e32 v13, v13, v19
	v_fma_f32 v19, v22, s0, -v20
	v_fmamk_f32 v24, v22, 0xb102e308, v19
	v_pk_add_f32 v[22:23], v[20:21], v[24:25]
	v_ldexp_f32 v13, v13, 1
	v_sub_f32_e32 v19, v23, v25
	v_sub_f32_e32 v19, v21, v19
	v_add_f32_e32 v27, v13, v19
	v_mov_b32_e32 v26, v20
	v_pk_add_f32 v[20:21], v[22:23], v[20:21] neg_lo:[0,1] neg_hi:[0,1]
	v_pk_add_f32 v[32:33], v[22:23], v[26:27]
	v_mov_b32_e32 v25, v22
	v_mov_b32_e32 v21, v33
	v_pk_add_f32 v[34:35], v[24:25], v[20:21] neg_lo:[0,1] neg_hi:[0,1]
	v_pk_add_f32 v[20:21], v[24:25], v[20:21]
	v_mov_b32_e32 v26, v27
	v_pk_add_f32 v[24:25], v[20:21], v[22:23] op_sel:[1,0] op_sel_hi:[0,1] neg_lo:[0,1] neg_hi:[0,1]
	v_pk_add_f32 v[36:37], v[32:33], v[24:25] op_sel_hi:[1,0] neg_lo:[0,1] neg_hi:[0,1]
	v_mov_b32_e32 v32, v33
	v_mov_b32_e32 v33, v21
	v_pk_mov_b32 v[24:25], v[22:23], v[24:25] op_sel:[1,0]
	v_mov_b32_e32 v27, v22
	v_pk_add_f32 v[24:25], v[32:33], v[24:25] neg_lo:[0,1] neg_hi:[0,1]
	v_mov_b32_e32 v36, v34
	v_pk_add_f32 v[22:23], v[26:27], v[24:25] neg_lo:[0,1] neg_hi:[0,1]
	v_mov_b32_e32 v35, v21
	v_pk_add_f32 v[24:25], v[36:37], v[22:23]
	v_cmp_neq_f32_e64 s[0:1], s30, v8
	v_pk_add_f32 v[26:27], v[24:25], v[24:25] op_sel:[0,1] op_sel_hi:[1,0]
	s_nop 0
	v_pk_add_f32 v[20:21], v[20:21], v[26:27] op_sel:[1,0] op_sel_hi:[0,1]
	v_mov_b32_e32 v25, v20
	v_pk_add_f32 v[32:33], v[24:25], v[34:35] neg_lo:[0,1] neg_hi:[0,1]
	v_mov_b32_e32 v23, v26
	v_sub_f32_e32 v13, v24, v32
	v_pk_add_f32 v[22:23], v[22:23], v[32:33] neg_lo:[0,1] neg_hi:[0,1]
	v_sub_f32_e32 v13, v34, v13
	v_add_f32_e32 v13, v22, v13
	v_add_f32_e32 v13, v13, v23
	;; [unrolled: 1-line block ×3, first 2 shown]
	v_cndmask_b32_e64 v13, v15, v13, s[0:1]
	s_mov_b32 s0, 0x33800000
	v_cmp_lt_f32_e64 s[0:1], |v8|, s0
	s_nop 1
	v_cndmask_b32_e64 v8, v13, v8, s[0:1]
	v_add_f32_e32 v8, v12, v8
.LBB124_118:
	s_or_b64 exec, exec, s[28:29]
	v_max_f32_e32 v12, v8, v8
	v_min_f32_e32 v13, v12, v28
	v_cmp_u_f32_e64 s[0:1], v8, v8
	v_max_f32_e32 v12, v12, v28
	s_movk_i32 s30, 0x1f8
	v_cndmask_b32_e64 v13, v13, v8, s[0:1]
	v_cndmask_b32_e64 v12, v12, v8, s[0:1]
	;; [unrolled: 1-line block ×4, first 2 shown]
	v_cmp_neq_f32_e64 s[0:1], v13, v12
	v_cmp_class_f32_e64 s[28:29], v13, s30
	s_or_b64 s[0:1], s[0:1], s[28:29]
	v_mov_b32_e32 v9, v8
	s_and_saveexec_b64 s[28:29], s[0:1]
	s_cbranch_execz .LBB124_120
; %bb.119:
	v_sub_f32_e32 v9, v13, v12
	s_mov_b32 s0, 0x3fb8aa3b
	v_mul_f32_e32 v13, 0x3fb8aa3b, v9
	v_fma_f32 v15, v9, s0, -v13
	v_rndne_f32_e32 v19, v13
	v_fmamk_f32 v15, v9, 0x32a5705f, v15
	v_sub_f32_e32 v13, v13, v19
	v_add_f32_e32 v13, v13, v15
	v_exp_f32_e32 v13, v13
	v_cvt_i32_f32_e32 v15, v19
	s_mov_b32 s0, 0xc2ce8ed0
	v_cmp_ngt_f32_e64 s[0:1], s0, v9
	s_mov_b32 s31, 0x7f800000
	v_ldexp_f32 v13, v13, v15
	v_cndmask_b32_e64 v13, 0, v13, s[0:1]
	s_mov_b32 s0, 0x42b17218
	v_mov_b32_e32 v15, 0x7f800000
	v_cmp_nlt_f32_e64 s[0:1], s0, v9
	s_nop 1
	v_cndmask_b32_e64 v9, v15, v13, s[0:1]
	v_add_f32_e32 v13, 1.0, v9
	v_add_f32_e32 v19, -1.0, v13
	v_sub_f32_e32 v20, v19, v13
	v_add_f32_e32 v20, 1.0, v20
	v_sub_f32_e32 v19, v9, v19
	v_add_f32_e32 v19, v19, v20
	v_frexp_mant_f32_e32 v22, v13
	s_mov_b32 s0, 0x3f2aaaab
	v_cvt_f64_f32_e32 v[20:21], v13
	v_frexp_exp_i32_f64_e32 v20, v[20:21]
	v_cmp_gt_f32_e64 s[0:1], s0, v22
	s_nop 1
	v_subbrev_co_u32_e64 v28, s[0:1], 0, v20, s[0:1]
	v_sub_u32_e32 v20, 0, v28
	v_ldexp_f32 v13, v13, v20
	v_ldexp_f32 v19, v19, v20
	v_add_f32_e32 v20, -1.0, v13
	v_add_f32_e32 v21, 1.0, v20
	v_sub_f32_e32 v21, v13, v21
	v_add_f32_e32 v22, v19, v21
	v_add_f32_e32 v21, 1.0, v13
	v_add_f32_e32 v23, -1.0, v21
	v_sub_f32_e32 v13, v13, v23
	v_add_f32_e32 v13, v19, v13
	v_add_f32_e32 v19, v21, v13
	v_rcp_f32_e32 v31, v19
	v_sub_f32_e32 v21, v21, v19
	v_add_f32_e32 v13, v13, v21
	v_add_f32_e32 v21, v20, v22
	v_sub_f32_e32 v20, v20, v21
	v_mul_f32_e32 v33, v21, v31
	v_add_f32_e32 v32, v22, v20
	v_mul_f32_e32 v22, v19, v33
	v_fma_f32 v24, v33, v19, -v22
	v_fmac_f32_e32 v24, v33, v13
	v_add_f32_e32 v20, v22, v24
	v_sub_f32_e32 v23, v21, v20
	v_pk_add_f32 v[26:27], v[20:21], v[22:23] neg_lo:[0,1] neg_hi:[0,1]
	v_mov_b32_e32 v25, v20
	v_pk_add_f32 v[20:21], v[26:27], v[24:25] neg_lo:[0,1] neg_hi:[0,1]
	s_mov_b32 s0, 0x3f317218
	v_add_f32_e32 v21, v32, v21
	v_add_f32_e32 v20, v20, v21
	;; [unrolled: 1-line block ×3, first 2 shown]
	v_mul_f32_e32 v32, v31, v21
	v_mul_f32_e32 v22, v19, v32
	v_fma_f32 v24, v32, v19, -v22
	v_fmac_f32_e32 v24, v32, v13
	v_sub_f32_e32 v13, v23, v21
	v_add_f32_e32 v13, v20, v13
	v_add_f32_e32 v20, v22, v24
	v_sub_f32_e32 v23, v21, v20
	v_pk_add_f32 v[26:27], v[20:21], v[22:23] neg_lo:[0,1] neg_hi:[0,1]
	v_mov_b32_e32 v25, v20
	v_pk_add_f32 v[20:21], v[26:27], v[24:25] neg_lo:[0,1] neg_hi:[0,1]
	v_add_f32_e32 v19, v33, v32
	v_add_f32_e32 v13, v13, v21
	;; [unrolled: 1-line block ×4, first 2 shown]
	v_sub_f32_e32 v20, v19, v33
	v_mul_f32_e32 v13, v31, v13
	v_sub_f32_e32 v20, v32, v20
	v_add_f32_e32 v13, v20, v13
	v_add_f32_e32 v20, v19, v13
	v_cvt_f32_i32_e32 v22, v28
	v_mul_f32_e32 v23, v20, v20
	v_mov_b32_e32 v21, 0x3ecc95a3
	v_fmac_f32_e32 v21, 0x3e9b6dac, v23
	v_fmaak_f32 v21, v23, v21, 0x3f2aaada
	v_sub_f32_e32 v19, v20, v19
	v_ldexp_f32 v25, v20, 1
	v_mul_f32_e32 v23, v20, v23
	v_mov_b32_e32 v20, 0x3f317218
	v_pk_mul_f32 v[20:21], v[22:23], v[20:21]
	v_sub_f32_e32 v13, v13, v19
	v_fma_f32 v19, v22, s0, -v20
	v_fmamk_f32 v24, v22, 0xb102e308, v19
	v_pk_add_f32 v[22:23], v[20:21], v[24:25]
	v_ldexp_f32 v13, v13, 1
	v_sub_f32_e32 v19, v23, v25
	v_sub_f32_e32 v19, v21, v19
	v_add_f32_e32 v27, v13, v19
	v_mov_b32_e32 v26, v20
	v_pk_add_f32 v[20:21], v[22:23], v[20:21] neg_lo:[0,1] neg_hi:[0,1]
	v_pk_add_f32 v[32:33], v[22:23], v[26:27]
	v_mov_b32_e32 v25, v22
	v_mov_b32_e32 v21, v33
	v_pk_add_f32 v[34:35], v[24:25], v[20:21] neg_lo:[0,1] neg_hi:[0,1]
	v_pk_add_f32 v[20:21], v[24:25], v[20:21]
	v_mov_b32_e32 v26, v27
	v_pk_add_f32 v[24:25], v[20:21], v[22:23] op_sel:[1,0] op_sel_hi:[0,1] neg_lo:[0,1] neg_hi:[0,1]
	v_pk_add_f32 v[36:37], v[32:33], v[24:25] op_sel_hi:[1,0] neg_lo:[0,1] neg_hi:[0,1]
	v_mov_b32_e32 v32, v33
	v_mov_b32_e32 v33, v21
	v_pk_mov_b32 v[24:25], v[22:23], v[24:25] op_sel:[1,0]
	v_mov_b32_e32 v27, v22
	v_pk_add_f32 v[24:25], v[32:33], v[24:25] neg_lo:[0,1] neg_hi:[0,1]
	v_mov_b32_e32 v36, v34
	v_pk_add_f32 v[22:23], v[26:27], v[24:25] neg_lo:[0,1] neg_hi:[0,1]
	v_mov_b32_e32 v35, v21
	v_pk_add_f32 v[24:25], v[36:37], v[22:23]
	v_cmp_neq_f32_e64 s[0:1], s31, v9
	v_pk_add_f32 v[26:27], v[24:25], v[24:25] op_sel:[0,1] op_sel_hi:[1,0]
	s_nop 0
	v_pk_add_f32 v[20:21], v[20:21], v[26:27] op_sel:[1,0] op_sel_hi:[0,1]
	v_mov_b32_e32 v25, v20
	v_pk_add_f32 v[32:33], v[24:25], v[34:35] neg_lo:[0,1] neg_hi:[0,1]
	v_mov_b32_e32 v23, v26
	v_sub_f32_e32 v13, v24, v32
	v_pk_add_f32 v[22:23], v[22:23], v[32:33] neg_lo:[0,1] neg_hi:[0,1]
	v_sub_f32_e32 v13, v34, v13
	v_add_f32_e32 v13, v22, v13
	v_add_f32_e32 v13, v13, v23
	;; [unrolled: 1-line block ×3, first 2 shown]
	v_cndmask_b32_e64 v13, v15, v13, s[0:1]
	s_mov_b32 s0, 0x33800000
	v_cmp_lt_f32_e64 s[0:1], |v9|, s0
	s_nop 1
	v_cndmask_b32_e64 v9, v13, v9, s[0:1]
	v_add_f32_e32 v9, v12, v9
.LBB124_120:
	s_or_b64 exec, exec, s[28:29]
	v_max_f32_e32 v12, v9, v9
	v_min_f32_e32 v13, v12, v29
	v_cmp_u_f32_e64 s[0:1], v9, v9
	v_max_f32_e32 v12, v12, v29
	s_nop 0
	v_cndmask_b32_e64 v13, v13, v9, s[0:1]
	v_cndmask_b32_e64 v12, v12, v9, s[0:1]
	v_cndmask_b32_e64 v15, v13, v16, s[52:53]
	v_cndmask_b32_e64 v13, v12, v16, s[52:53]
	v_cmp_neq_f32_e64 s[0:1], v15, v13
	v_cmp_class_f32_e64 s[28:29], v15, s30
	s_or_b64 s[0:1], s[0:1], s[28:29]
	v_mov_b32_e32 v12, v9
	s_and_saveexec_b64 s[28:29], s[0:1]
	s_cbranch_execz .LBB124_122
; %bb.121:
	v_sub_f32_e32 v12, v15, v13
	s_mov_b32 s0, 0x3fb8aa3b
	v_mul_f32_e32 v15, 0x3fb8aa3b, v12
	v_fma_f32 v16, v12, s0, -v15
	v_rndne_f32_e32 v19, v15
	v_fmamk_f32 v16, v12, 0x32a5705f, v16
	v_sub_f32_e32 v15, v15, v19
	v_add_f32_e32 v15, v15, v16
	v_exp_f32_e32 v15, v15
	v_cvt_i32_f32_e32 v16, v19
	s_mov_b32 s0, 0xc2ce8ed0
	v_cmp_ngt_f32_e64 s[0:1], s0, v12
	s_mov_b32 s30, 0x7f800000
	v_ldexp_f32 v15, v15, v16
	v_cndmask_b32_e64 v15, 0, v15, s[0:1]
	s_mov_b32 s0, 0x42b17218
	v_mov_b32_e32 v16, 0x7f800000
	v_cmp_nlt_f32_e64 s[0:1], s0, v12
	s_nop 1
	v_cndmask_b32_e64 v12, v16, v15, s[0:1]
	v_add_f32_e32 v15, 1.0, v12
	v_add_f32_e32 v19, -1.0, v15
	v_sub_f32_e32 v20, v19, v15
	v_add_f32_e32 v20, 1.0, v20
	v_sub_f32_e32 v19, v12, v19
	v_add_f32_e32 v19, v19, v20
	v_frexp_mant_f32_e32 v22, v15
	s_mov_b32 s0, 0x3f2aaaab
	v_cvt_f64_f32_e32 v[20:21], v15
	v_frexp_exp_i32_f64_e32 v20, v[20:21]
	v_cmp_gt_f32_e64 s[0:1], s0, v22
	s_nop 1
	v_subbrev_co_u32_e64 v28, s[0:1], 0, v20, s[0:1]
	v_sub_u32_e32 v20, 0, v28
	v_ldexp_f32 v15, v15, v20
	v_ldexp_f32 v19, v19, v20
	v_add_f32_e32 v20, -1.0, v15
	v_add_f32_e32 v21, 1.0, v20
	v_sub_f32_e32 v21, v15, v21
	v_add_f32_e32 v22, v19, v21
	v_add_f32_e32 v21, 1.0, v15
	v_add_f32_e32 v23, -1.0, v21
	v_sub_f32_e32 v15, v15, v23
	v_add_f32_e32 v15, v19, v15
	v_add_f32_e32 v19, v21, v15
	v_rcp_f32_e32 v29, v19
	v_sub_f32_e32 v21, v21, v19
	v_add_f32_e32 v15, v15, v21
	v_add_f32_e32 v21, v20, v22
	v_sub_f32_e32 v20, v20, v21
	v_mul_f32_e32 v32, v21, v29
	v_add_f32_e32 v31, v22, v20
	v_mul_f32_e32 v22, v19, v32
	v_fma_f32 v24, v32, v19, -v22
	v_fmac_f32_e32 v24, v32, v15
	v_add_f32_e32 v20, v22, v24
	v_sub_f32_e32 v23, v21, v20
	v_pk_add_f32 v[26:27], v[20:21], v[22:23] neg_lo:[0,1] neg_hi:[0,1]
	v_mov_b32_e32 v25, v20
	v_pk_add_f32 v[20:21], v[26:27], v[24:25] neg_lo:[0,1] neg_hi:[0,1]
	s_mov_b32 s0, 0x3f317218
	v_add_f32_e32 v21, v31, v21
	v_add_f32_e32 v20, v20, v21
	;; [unrolled: 1-line block ×3, first 2 shown]
	v_mul_f32_e32 v31, v29, v21
	v_mul_f32_e32 v22, v19, v31
	v_fma_f32 v24, v31, v19, -v22
	v_fmac_f32_e32 v24, v31, v15
	v_sub_f32_e32 v15, v23, v21
	v_add_f32_e32 v15, v20, v15
	v_add_f32_e32 v20, v22, v24
	v_sub_f32_e32 v23, v21, v20
	v_pk_add_f32 v[26:27], v[20:21], v[22:23] neg_lo:[0,1] neg_hi:[0,1]
	v_mov_b32_e32 v25, v20
	v_pk_add_f32 v[20:21], v[26:27], v[24:25] neg_lo:[0,1] neg_hi:[0,1]
	v_add_f32_e32 v19, v32, v31
	v_add_f32_e32 v15, v15, v21
	;; [unrolled: 1-line block ×4, first 2 shown]
	v_sub_f32_e32 v20, v19, v32
	v_mul_f32_e32 v15, v29, v15
	v_sub_f32_e32 v20, v31, v20
	v_add_f32_e32 v15, v20, v15
	v_add_f32_e32 v20, v19, v15
	v_cvt_f32_i32_e32 v22, v28
	v_mul_f32_e32 v23, v20, v20
	v_mov_b32_e32 v21, 0x3ecc95a3
	v_fmac_f32_e32 v21, 0x3e9b6dac, v23
	v_fmaak_f32 v21, v23, v21, 0x3f2aaada
	v_sub_f32_e32 v19, v20, v19
	v_ldexp_f32 v25, v20, 1
	v_mul_f32_e32 v23, v20, v23
	v_mov_b32_e32 v20, 0x3f317218
	v_pk_mul_f32 v[20:21], v[22:23], v[20:21]
	v_sub_f32_e32 v15, v15, v19
	v_fma_f32 v19, v22, s0, -v20
	v_fmamk_f32 v24, v22, 0xb102e308, v19
	v_pk_add_f32 v[22:23], v[20:21], v[24:25]
	v_ldexp_f32 v15, v15, 1
	v_sub_f32_e32 v19, v23, v25
	v_sub_f32_e32 v19, v21, v19
	v_add_f32_e32 v27, v15, v19
	v_mov_b32_e32 v26, v20
	v_pk_add_f32 v[20:21], v[22:23], v[20:21] neg_lo:[0,1] neg_hi:[0,1]
	v_pk_add_f32 v[28:29], v[22:23], v[26:27]
	v_mov_b32_e32 v25, v22
	v_mov_b32_e32 v21, v29
	v_pk_add_f32 v[32:33], v[24:25], v[20:21] neg_lo:[0,1] neg_hi:[0,1]
	v_pk_add_f32 v[20:21], v[24:25], v[20:21]
	v_mov_b32_e32 v26, v27
	v_pk_add_f32 v[24:25], v[20:21], v[22:23] op_sel:[1,0] op_sel_hi:[0,1] neg_lo:[0,1] neg_hi:[0,1]
	v_pk_add_f32 v[34:35], v[28:29], v[24:25] op_sel_hi:[1,0] neg_lo:[0,1] neg_hi:[0,1]
	v_mov_b32_e32 v28, v29
	v_mov_b32_e32 v29, v21
	v_pk_mov_b32 v[24:25], v[22:23], v[24:25] op_sel:[1,0]
	v_mov_b32_e32 v27, v22
	v_pk_add_f32 v[24:25], v[28:29], v[24:25] neg_lo:[0,1] neg_hi:[0,1]
	v_mov_b32_e32 v34, v32
	v_pk_add_f32 v[22:23], v[26:27], v[24:25] neg_lo:[0,1] neg_hi:[0,1]
	v_mov_b32_e32 v33, v21
	v_pk_add_f32 v[24:25], v[34:35], v[22:23]
	v_cmp_neq_f32_e64 s[0:1], s30, v12
	v_pk_add_f32 v[26:27], v[24:25], v[24:25] op_sel:[0,1] op_sel_hi:[1,0]
	s_nop 0
	v_pk_add_f32 v[20:21], v[20:21], v[26:27] op_sel:[1,0] op_sel_hi:[0,1]
	v_mov_b32_e32 v25, v20
	v_pk_add_f32 v[28:29], v[24:25], v[32:33] neg_lo:[0,1] neg_hi:[0,1]
	v_mov_b32_e32 v23, v26
	v_sub_f32_e32 v15, v24, v28
	v_pk_add_f32 v[22:23], v[22:23], v[28:29] neg_lo:[0,1] neg_hi:[0,1]
	v_sub_f32_e32 v15, v32, v15
	v_add_f32_e32 v15, v22, v15
	v_add_f32_e32 v15, v15, v23
	;; [unrolled: 1-line block ×3, first 2 shown]
	v_cndmask_b32_e64 v15, v16, v15, s[0:1]
	s_mov_b32 s0, 0x33800000
	v_cmp_lt_f32_e64 s[0:1], |v12|, s0
	s_nop 1
	v_cndmask_b32_e64 v12, v15, v12, s[0:1]
	v_add_f32_e32 v12, v13, v12
.LBB124_122:
	s_or_b64 exec, exec, s[28:29]
	v_max_f32_e32 v13, v12, v12
	v_min_f32_e32 v15, v13, v30
	v_cmp_u_f32_e64 s[0:1], v12, v12
	v_max_f32_e32 v13, v13, v30
	s_movk_i32 s28, 0x1f8
	v_cndmask_b32_e64 v15, v15, v12, s[0:1]
	v_cndmask_b32_e64 v13, v13, v12, s[0:1]
	;; [unrolled: 1-line block ×4, first 2 shown]
	v_cmp_neq_f32_e64 s[0:1], v16, v15
	v_cmp_class_f32_e64 s[28:29], v16, s28
	s_or_b64 s[0:1], s[0:1], s[28:29]
	v_mov_b32_e32 v13, v12
	s_and_saveexec_b64 s[28:29], s[0:1]
	s_cbranch_execz .LBB124_124
; %bb.123:
	v_sub_f32_e32 v13, v16, v15
	s_mov_b32 s0, 0x3fb8aa3b
	v_mul_f32_e32 v16, 0x3fb8aa3b, v13
	v_fma_f32 v17, v13, s0, -v16
	v_rndne_f32_e32 v19, v16
	v_fmamk_f32 v17, v13, 0x32a5705f, v17
	v_sub_f32_e32 v16, v16, v19
	v_add_f32_e32 v16, v16, v17
	v_exp_f32_e32 v16, v16
	v_cvt_i32_f32_e32 v17, v19
	s_mov_b32 s0, 0xc2ce8ed0
	v_cmp_ngt_f32_e64 s[0:1], s0, v13
	v_mov_b32_e32 v19, 0x7f800000
	v_ldexp_f32 v16, v16, v17
	v_cndmask_b32_e64 v16, 0, v16, s[0:1]
	s_mov_b32 s0, 0x42b17218
	v_cmp_nlt_f32_e64 s[0:1], s0, v13
	s_mov_b32 s30, 0x7f800000
	s_nop 0
	v_cndmask_b32_e64 v13, v19, v16, s[0:1]
	v_add_f32_e32 v20, 1.0, v13
	v_add_f32_e32 v16, -1.0, v20
	v_sub_f32_e32 v17, v16, v20
	v_add_f32_e32 v17, 1.0, v17
	v_sub_f32_e32 v16, v13, v16
	v_add_f32_e32 v21, v16, v17
	v_frexp_mant_f32_e32 v22, v20
	s_mov_b32 s0, 0x3f2aaaab
	v_cvt_f64_f32_e32 v[16:17], v20
	v_frexp_exp_i32_f64_e32 v16, v[16:17]
	v_cmp_gt_f32_e64 s[0:1], s0, v22
	s_nop 1
	v_subbrev_co_u32_e64 v26, s[0:1], 0, v16, s[0:1]
	v_sub_u32_e32 v16, 0, v26
	v_ldexp_f32 v17, v20, v16
	v_add_f32_e32 v20, -1.0, v17
	v_add_f32_e32 v22, 1.0, v17
	v_ldexp_f32 v16, v21, v16
	v_add_f32_e32 v21, 1.0, v20
	v_add_f32_e32 v23, -1.0, v22
	v_sub_f32_e32 v21, v17, v21
	v_sub_f32_e32 v17, v17, v23
	v_add_f32_e32 v21, v16, v21
	v_add_f32_e32 v16, v16, v17
	;; [unrolled: 1-line block ×3, first 2 shown]
	v_rcp_f32_e32 v29, v27
	v_sub_f32_e32 v17, v22, v27
	v_add_f32_e32 v28, v16, v17
	v_add_f32_e32 v17, v20, v21
	v_mul_f32_e32 v31, v17, v29
	v_sub_f32_e32 v16, v20, v17
	v_mul_f32_e32 v20, v27, v31
	v_fma_f32 v22, v31, v27, -v20
	v_fmac_f32_e32 v22, v31, v28
	v_add_f32_e32 v30, v21, v16
	v_add_f32_e32 v16, v20, v22
	v_sub_f32_e32 v21, v17, v16
	v_pk_add_f32 v[24:25], v[16:17], v[20:21] neg_lo:[0,1] neg_hi:[0,1]
	v_mov_b32_e32 v23, v16
	v_pk_add_f32 v[16:17], v[24:25], v[22:23] neg_lo:[0,1] neg_hi:[0,1]
	s_mov_b32 s0, 0x3f317218
	v_add_f32_e32 v17, v30, v17
	v_add_f32_e32 v16, v16, v17
	;; [unrolled: 1-line block ×3, first 2 shown]
	v_mul_f32_e32 v30, v29, v17
	v_mul_f32_e32 v20, v27, v30
	v_fma_f32 v22, v30, v27, -v20
	v_fmac_f32_e32 v22, v30, v28
	v_sub_f32_e32 v21, v21, v17
	v_add_f32_e32 v27, v16, v21
	v_add_f32_e32 v16, v20, v22
	v_sub_f32_e32 v21, v17, v16
	v_pk_add_f32 v[24:25], v[16:17], v[20:21] neg_lo:[0,1] neg_hi:[0,1]
	v_mov_b32_e32 v23, v16
	v_pk_add_f32 v[16:17], v[24:25], v[22:23] neg_lo:[0,1] neg_hi:[0,1]
	v_cvt_f32_i32_e32 v20, v26
	v_add_f32_e32 v17, v27, v17
	v_add_f32_e32 v16, v16, v17
	v_add_f32_e32 v16, v21, v16
	v_add_f32_e32 v21, v31, v30
	v_sub_f32_e32 v17, v21, v31
	v_mul_f32_e32 v16, v29, v16
	v_sub_f32_e32 v17, v30, v17
	v_add_f32_e32 v16, v17, v16
	v_add_f32_e32 v22, v21, v16
	v_mul_f32_e32 v24, v22, v22
	v_mov_b32_e32 v17, 0x3ecc95a3
	v_sub_f32_e32 v21, v22, v21
	v_fmac_f32_e32 v17, 0x3e9b6dac, v24
	v_sub_f32_e32 v16, v16, v21
	v_fmaak_f32 v17, v24, v17, 0x3f2aaada
	v_ldexp_f32 v25, v16, 1
	v_mul_f32_e32 v21, v22, v24
	v_mov_b32_e32 v16, 0x3f317218
	v_pk_mul_f32 v[16:17], v[20:21], v[16:17]
	v_ldexp_f32 v23, v22, 1
	v_fma_f32 v21, v20, s0, -v16
	v_fmamk_f32 v22, v20, 0xb102e308, v21
	v_pk_add_f32 v[20:21], v[16:17], v[22:23]
	v_mov_b32_e32 v24, v16
	v_sub_f32_e32 v23, v21, v23
	v_sub_f32_e32 v23, v17, v23
	v_add_f32_e32 v25, v25, v23
	v_pk_add_f32 v[16:17], v[20:21], v[16:17] neg_lo:[0,1] neg_hi:[0,1]
	v_pk_add_f32 v[26:27], v[20:21], v[24:25]
	v_mov_b32_e32 v23, v20
	v_mov_b32_e32 v17, v27
	v_pk_add_f32 v[28:29], v[22:23], v[16:17] neg_lo:[0,1] neg_hi:[0,1]
	v_pk_add_f32 v[16:17], v[22:23], v[16:17]
	v_mov_b32_e32 v24, v25
	v_pk_add_f32 v[22:23], v[16:17], v[20:21] op_sel:[1,0] op_sel_hi:[0,1] neg_lo:[0,1] neg_hi:[0,1]
	v_pk_add_f32 v[30:31], v[26:27], v[22:23] op_sel_hi:[1,0] neg_lo:[0,1] neg_hi:[0,1]
	v_mov_b32_e32 v26, v27
	v_mov_b32_e32 v27, v17
	v_pk_mov_b32 v[22:23], v[20:21], v[22:23] op_sel:[1,0]
	v_mov_b32_e32 v25, v20
	v_pk_add_f32 v[22:23], v[26:27], v[22:23] neg_lo:[0,1] neg_hi:[0,1]
	v_mov_b32_e32 v30, v28
	v_pk_add_f32 v[20:21], v[24:25], v[22:23] neg_lo:[0,1] neg_hi:[0,1]
	v_mov_b32_e32 v29, v17
	v_pk_add_f32 v[22:23], v[30:31], v[20:21]
	v_cmp_neq_f32_e64 s[0:1], s30, v13
	v_pk_add_f32 v[24:25], v[22:23], v[22:23] op_sel:[0,1] op_sel_hi:[1,0]
	s_nop 0
	v_pk_add_f32 v[16:17], v[16:17], v[24:25] op_sel:[1,0] op_sel_hi:[0,1]
	v_mov_b32_e32 v23, v16
	v_pk_add_f32 v[26:27], v[22:23], v[28:29] neg_lo:[0,1] neg_hi:[0,1]
	v_mov_b32_e32 v21, v24
	v_sub_f32_e32 v17, v22, v26
	v_pk_add_f32 v[20:21], v[20:21], v[26:27] neg_lo:[0,1] neg_hi:[0,1]
	v_sub_f32_e32 v17, v28, v17
	v_add_f32_e32 v17, v20, v17
	v_add_f32_e32 v17, v17, v21
	;; [unrolled: 1-line block ×3, first 2 shown]
	v_cndmask_b32_e64 v16, v19, v16, s[0:1]
	s_mov_b32 s0, 0x33800000
	v_cmp_lt_f32_e64 s[0:1], |v13|, s0
	s_nop 1
	v_cndmask_b32_e64 v13, v16, v13, s[0:1]
	v_add_f32_e32 v13, v15, v13
.LBB124_124:
	s_or_b64 exec, exec, s[28:29]
	v_add_u32_e32 v15, v14, v18
	s_barrier
	ds_write2_b64 v15, v[2:3], v[0:1] offset1:1
	ds_write2_b64 v15, v[4:5], v[10:11] offset0:2 offset1:3
	ds_write2_b64 v15, v[6:7], v[8:9] offset0:4 offset1:5
	ds_write_b64 v15, v[12:13] offset:48
	s_waitcnt lgkmcnt(0)
	s_barrier
	ds_read2st64_b32 v[12:13], v14 offset0:4 offset1:8
	ds_read2st64_b32 v[10:11], v14 offset0:12 offset1:16
	;; [unrolled: 1-line block ×6, first 2 shown]
	ds_read_b32 v16, v14 offset:13312
	v_mov_b32_e32 v15, 0
	v_lshl_add_u64 v[0:1], s[58:59], 0, v[14:15]
	s_and_saveexec_b64 s[0:1], vcc
	s_cbranch_execnz .LBB124_139
; %bb.125:
	s_or_b64 exec, exec, s[0:1]
	s_and_saveexec_b64 s[0:1], s[26:27]
	s_cbranch_execnz .LBB124_140
.LBB124_126:
	s_or_b64 exec, exec, s[0:1]
	s_and_saveexec_b64 s[0:1], s[2:3]
	s_cbranch_execnz .LBB124_141
.LBB124_127:
	s_or_b64 exec, exec, s[0:1]
	s_and_saveexec_b64 s[0:1], s[4:5]
	s_cbranch_execnz .LBB124_142
.LBB124_128:
	s_or_b64 exec, exec, s[0:1]
	s_and_saveexec_b64 s[0:1], s[6:7]
	s_cbranch_execnz .LBB124_143
.LBB124_129:
	s_or_b64 exec, exec, s[0:1]
	s_and_saveexec_b64 s[0:1], s[8:9]
	s_cbranch_execnz .LBB124_144
.LBB124_130:
	s_or_b64 exec, exec, s[0:1]
	s_and_saveexec_b64 s[0:1], s[10:11]
	s_cbranch_execnz .LBB124_145
.LBB124_131:
	s_or_b64 exec, exec, s[0:1]
	s_and_saveexec_b64 s[0:1], s[12:13]
	s_cbranch_execnz .LBB124_146
.LBB124_132:
	s_or_b64 exec, exec, s[0:1]
	s_and_saveexec_b64 s[0:1], s[14:15]
	s_cbranch_execnz .LBB124_147
.LBB124_133:
	s_or_b64 exec, exec, s[0:1]
	s_and_saveexec_b64 s[0:1], s[16:17]
	s_cbranch_execnz .LBB124_148
.LBB124_134:
	s_or_b64 exec, exec, s[0:1]
	s_and_saveexec_b64 s[0:1], s[18:19]
	s_cbranch_execnz .LBB124_149
.LBB124_135:
	s_or_b64 exec, exec, s[0:1]
	s_and_saveexec_b64 s[0:1], s[20:21]
	s_cbranch_execnz .LBB124_150
.LBB124_136:
	s_or_b64 exec, exec, s[0:1]
	s_and_saveexec_b64 s[0:1], s[22:23]
	s_cbranch_execnz .LBB124_151
.LBB124_137:
	s_or_b64 exec, exec, s[0:1]
	s_and_saveexec_b64 s[0:1], s[24:25]
	s_cbranch_execnz .LBB124_152
.LBB124_138:
	s_endpgm
.LBB124_139:
	ds_read_b32 v14, v14
	s_waitcnt lgkmcnt(0)
	global_store_dword v[0:1], v14, off
	s_or_b64 exec, exec, s[0:1]
	s_and_saveexec_b64 s[0:1], s[26:27]
	s_cbranch_execz .LBB124_126
.LBB124_140:
	s_waitcnt lgkmcnt(6)
	global_store_dword v[0:1], v12, off offset:1024
	s_or_b64 exec, exec, s[0:1]
	s_and_saveexec_b64 s[0:1], s[2:3]
	s_cbranch_execz .LBB124_127
.LBB124_141:
	s_waitcnt lgkmcnt(6)
	global_store_dword v[0:1], v13, off offset:2048
	s_or_b64 exec, exec, s[0:1]
	s_and_saveexec_b64 s[0:1], s[4:5]
	s_cbranch_execz .LBB124_128
.LBB124_142:
	s_waitcnt lgkmcnt(5)
	global_store_dword v[0:1], v10, off offset:3072
	s_or_b64 exec, exec, s[0:1]
	s_and_saveexec_b64 s[0:1], s[6:7]
	s_cbranch_execz .LBB124_129
.LBB124_143:
	s_waitcnt lgkmcnt(6)
	v_add_co_u32_e32 v12, vcc, 0x1000, v0
	s_nop 1
	v_addc_co_u32_e32 v13, vcc, 0, v1, vcc
	s_waitcnt lgkmcnt(5)
	global_store_dword v[12:13], v11, off
	s_or_b64 exec, exec, s[0:1]
	s_and_saveexec_b64 s[0:1], s[8:9]
	s_cbranch_execz .LBB124_130
.LBB124_144:
	s_waitcnt lgkmcnt(5)
	v_add_co_u32_e32 v10, vcc, 0x1000, v0
	s_nop 1
	v_addc_co_u32_e32 v11, vcc, 0, v1, vcc
	s_waitcnt lgkmcnt(4)
	global_store_dword v[10:11], v8, off offset:1024
	s_or_b64 exec, exec, s[0:1]
	s_and_saveexec_b64 s[0:1], s[10:11]
	s_cbranch_execz .LBB124_131
.LBB124_145:
	s_waitcnt lgkmcnt(5)
	v_add_co_u32_e32 v10, vcc, 0x1000, v0
	s_nop 1
	v_addc_co_u32_e32 v11, vcc, 0, v1, vcc
	s_waitcnt lgkmcnt(4)
	global_store_dword v[10:11], v9, off offset:2048
	s_or_b64 exec, exec, s[0:1]
	s_and_saveexec_b64 s[0:1], s[12:13]
	s_cbranch_execz .LBB124_132
.LBB124_146:
	s_waitcnt lgkmcnt(4)
	v_add_co_u32_e32 v8, vcc, 0x1000, v0
	s_nop 1
	v_addc_co_u32_e32 v9, vcc, 0, v1, vcc
	s_waitcnt lgkmcnt(3)
	global_store_dword v[8:9], v6, off offset:3072
	s_or_b64 exec, exec, s[0:1]
	s_and_saveexec_b64 s[0:1], s[14:15]
	s_cbranch_execz .LBB124_133
.LBB124_147:
	s_waitcnt lgkmcnt(4)
	v_add_co_u32_e32 v8, vcc, 0x2000, v0
	s_nop 1
	v_addc_co_u32_e32 v9, vcc, 0, v1, vcc
	s_waitcnt lgkmcnt(3)
	global_store_dword v[8:9], v7, off
	s_or_b64 exec, exec, s[0:1]
	s_and_saveexec_b64 s[0:1], s[16:17]
	s_cbranch_execz .LBB124_134
.LBB124_148:
	s_waitcnt lgkmcnt(3)
	v_add_co_u32_e32 v6, vcc, 0x2000, v0
	s_nop 1
	v_addc_co_u32_e32 v7, vcc, 0, v1, vcc
	s_waitcnt lgkmcnt(2)
	global_store_dword v[6:7], v4, off offset:1024
	s_or_b64 exec, exec, s[0:1]
	s_and_saveexec_b64 s[0:1], s[18:19]
	s_cbranch_execz .LBB124_135
.LBB124_149:
	s_waitcnt lgkmcnt(3)
	v_add_co_u32_e32 v6, vcc, 0x2000, v0
	s_nop 1
	v_addc_co_u32_e32 v7, vcc, 0, v1, vcc
	s_waitcnt lgkmcnt(2)
	global_store_dword v[6:7], v5, off offset:2048
	s_or_b64 exec, exec, s[0:1]
	s_and_saveexec_b64 s[0:1], s[20:21]
	s_cbranch_execz .LBB124_136
.LBB124_150:
	s_waitcnt lgkmcnt(2)
	v_add_co_u32_e32 v4, vcc, 0x2000, v0
	s_nop 1
	v_addc_co_u32_e32 v5, vcc, 0, v1, vcc
	s_waitcnt lgkmcnt(1)
	global_store_dword v[4:5], v2, off offset:3072
	s_or_b64 exec, exec, s[0:1]
	s_and_saveexec_b64 s[0:1], s[22:23]
	s_cbranch_execz .LBB124_137
.LBB124_151:
	s_waitcnt lgkmcnt(2)
	v_add_co_u32_e32 v4, vcc, 0x3000, v0
	s_nop 1
	v_addc_co_u32_e32 v5, vcc, 0, v1, vcc
	s_waitcnt lgkmcnt(1)
	global_store_dword v[4:5], v3, off
	s_or_b64 exec, exec, s[0:1]
	s_and_saveexec_b64 s[0:1], s[24:25]
	s_cbranch_execz .LBB124_138
.LBB124_152:
	v_add_co_u32_e32 v0, vcc, 0x3000, v0
	s_nop 1
	v_addc_co_u32_e32 v1, vcc, 0, v1, vcc
	s_waitcnt lgkmcnt(0)
	global_store_dword v[0:1], v16, off offset:1024
	s_endpgm
	.section	.rodata,"a",@progbits
	.p2align	6, 0x0
	.amdhsa_kernel _ZN7rocprim17ROCPRIM_400000_NS6detail17trampoline_kernelINS0_14default_configENS1_20scan_config_selectorIfEEZZNS1_9scan_implILNS1_25lookback_scan_determinismE0ELb0ELb0ES3_PKfPffZZZN2at6native31launch_logcumsumexp_cuda_kernelERKNSB_10TensorBaseESF_lENKUlvE_clEvENKUlvE0_clEvEUlffE_fEEDaPvRmT3_T4_T5_mT6_P12ihipStream_tbENKUlT_T0_E_clISt17integral_constantIbLb1EESW_EEDaSR_SS_EUlSR_E0_NS1_11comp_targetILNS1_3genE0ELNS1_11target_archE4294967295ELNS1_3gpuE0ELNS1_3repE0EEENS1_30default_config_static_selectorELNS0_4arch9wavefront6targetE1EEEvT1_
		.amdhsa_group_segment_fixed_size 14336
		.amdhsa_private_segment_fixed_size 0
		.amdhsa_kernarg_size 32
		.amdhsa_user_sgpr_count 2
		.amdhsa_user_sgpr_dispatch_ptr 0
		.amdhsa_user_sgpr_queue_ptr 0
		.amdhsa_user_sgpr_kernarg_segment_ptr 1
		.amdhsa_user_sgpr_dispatch_id 0
		.amdhsa_user_sgpr_kernarg_preload_length 0
		.amdhsa_user_sgpr_kernarg_preload_offset 0
		.amdhsa_user_sgpr_private_segment_size 0
		.amdhsa_uses_dynamic_stack 0
		.amdhsa_enable_private_segment 0
		.amdhsa_system_sgpr_workgroup_id_x 1
		.amdhsa_system_sgpr_workgroup_id_y 0
		.amdhsa_system_sgpr_workgroup_id_z 0
		.amdhsa_system_sgpr_workgroup_info 0
		.amdhsa_system_vgpr_workitem_id 0
		.amdhsa_next_free_vgpr 55
		.amdhsa_next_free_sgpr 69
		.amdhsa_accum_offset 56
		.amdhsa_reserve_vcc 1
		.amdhsa_float_round_mode_32 0
		.amdhsa_float_round_mode_16_64 0
		.amdhsa_float_denorm_mode_32 3
		.amdhsa_float_denorm_mode_16_64 3
		.amdhsa_dx10_clamp 1
		.amdhsa_ieee_mode 1
		.amdhsa_fp16_overflow 0
		.amdhsa_tg_split 0
		.amdhsa_exception_fp_ieee_invalid_op 0
		.amdhsa_exception_fp_denorm_src 0
		.amdhsa_exception_fp_ieee_div_zero 0
		.amdhsa_exception_fp_ieee_overflow 0
		.amdhsa_exception_fp_ieee_underflow 0
		.amdhsa_exception_fp_ieee_inexact 0
		.amdhsa_exception_int_div_zero 0
	.end_amdhsa_kernel
	.section	.text._ZN7rocprim17ROCPRIM_400000_NS6detail17trampoline_kernelINS0_14default_configENS1_20scan_config_selectorIfEEZZNS1_9scan_implILNS1_25lookback_scan_determinismE0ELb0ELb0ES3_PKfPffZZZN2at6native31launch_logcumsumexp_cuda_kernelERKNSB_10TensorBaseESF_lENKUlvE_clEvENKUlvE0_clEvEUlffE_fEEDaPvRmT3_T4_T5_mT6_P12ihipStream_tbENKUlT_T0_E_clISt17integral_constantIbLb1EESW_EEDaSR_SS_EUlSR_E0_NS1_11comp_targetILNS1_3genE0ELNS1_11target_archE4294967295ELNS1_3gpuE0ELNS1_3repE0EEENS1_30default_config_static_selectorELNS0_4arch9wavefront6targetE1EEEvT1_,"axG",@progbits,_ZN7rocprim17ROCPRIM_400000_NS6detail17trampoline_kernelINS0_14default_configENS1_20scan_config_selectorIfEEZZNS1_9scan_implILNS1_25lookback_scan_determinismE0ELb0ELb0ES3_PKfPffZZZN2at6native31launch_logcumsumexp_cuda_kernelERKNSB_10TensorBaseESF_lENKUlvE_clEvENKUlvE0_clEvEUlffE_fEEDaPvRmT3_T4_T5_mT6_P12ihipStream_tbENKUlT_T0_E_clISt17integral_constantIbLb1EESW_EEDaSR_SS_EUlSR_E0_NS1_11comp_targetILNS1_3genE0ELNS1_11target_archE4294967295ELNS1_3gpuE0ELNS1_3repE0EEENS1_30default_config_static_selectorELNS0_4arch9wavefront6targetE1EEEvT1_,comdat
.Lfunc_end124:
	.size	_ZN7rocprim17ROCPRIM_400000_NS6detail17trampoline_kernelINS0_14default_configENS1_20scan_config_selectorIfEEZZNS1_9scan_implILNS1_25lookback_scan_determinismE0ELb0ELb0ES3_PKfPffZZZN2at6native31launch_logcumsumexp_cuda_kernelERKNSB_10TensorBaseESF_lENKUlvE_clEvENKUlvE0_clEvEUlffE_fEEDaPvRmT3_T4_T5_mT6_P12ihipStream_tbENKUlT_T0_E_clISt17integral_constantIbLb1EESW_EEDaSR_SS_EUlSR_E0_NS1_11comp_targetILNS1_3genE0ELNS1_11target_archE4294967295ELNS1_3gpuE0ELNS1_3repE0EEENS1_30default_config_static_selectorELNS0_4arch9wavefront6targetE1EEEvT1_, .Lfunc_end124-_ZN7rocprim17ROCPRIM_400000_NS6detail17trampoline_kernelINS0_14default_configENS1_20scan_config_selectorIfEEZZNS1_9scan_implILNS1_25lookback_scan_determinismE0ELb0ELb0ES3_PKfPffZZZN2at6native31launch_logcumsumexp_cuda_kernelERKNSB_10TensorBaseESF_lENKUlvE_clEvENKUlvE0_clEvEUlffE_fEEDaPvRmT3_T4_T5_mT6_P12ihipStream_tbENKUlT_T0_E_clISt17integral_constantIbLb1EESW_EEDaSR_SS_EUlSR_E0_NS1_11comp_targetILNS1_3genE0ELNS1_11target_archE4294967295ELNS1_3gpuE0ELNS1_3repE0EEENS1_30default_config_static_selectorELNS0_4arch9wavefront6targetE1EEEvT1_
                                        ; -- End function
	.set _ZN7rocprim17ROCPRIM_400000_NS6detail17trampoline_kernelINS0_14default_configENS1_20scan_config_selectorIfEEZZNS1_9scan_implILNS1_25lookback_scan_determinismE0ELb0ELb0ES3_PKfPffZZZN2at6native31launch_logcumsumexp_cuda_kernelERKNSB_10TensorBaseESF_lENKUlvE_clEvENKUlvE0_clEvEUlffE_fEEDaPvRmT3_T4_T5_mT6_P12ihipStream_tbENKUlT_T0_E_clISt17integral_constantIbLb1EESW_EEDaSR_SS_EUlSR_E0_NS1_11comp_targetILNS1_3genE0ELNS1_11target_archE4294967295ELNS1_3gpuE0ELNS1_3repE0EEENS1_30default_config_static_selectorELNS0_4arch9wavefront6targetE1EEEvT1_.num_vgpr, 55
	.set _ZN7rocprim17ROCPRIM_400000_NS6detail17trampoline_kernelINS0_14default_configENS1_20scan_config_selectorIfEEZZNS1_9scan_implILNS1_25lookback_scan_determinismE0ELb0ELb0ES3_PKfPffZZZN2at6native31launch_logcumsumexp_cuda_kernelERKNSB_10TensorBaseESF_lENKUlvE_clEvENKUlvE0_clEvEUlffE_fEEDaPvRmT3_T4_T5_mT6_P12ihipStream_tbENKUlT_T0_E_clISt17integral_constantIbLb1EESW_EEDaSR_SS_EUlSR_E0_NS1_11comp_targetILNS1_3genE0ELNS1_11target_archE4294967295ELNS1_3gpuE0ELNS1_3repE0EEENS1_30default_config_static_selectorELNS0_4arch9wavefront6targetE1EEEvT1_.num_agpr, 0
	.set _ZN7rocprim17ROCPRIM_400000_NS6detail17trampoline_kernelINS0_14default_configENS1_20scan_config_selectorIfEEZZNS1_9scan_implILNS1_25lookback_scan_determinismE0ELb0ELb0ES3_PKfPffZZZN2at6native31launch_logcumsumexp_cuda_kernelERKNSB_10TensorBaseESF_lENKUlvE_clEvENKUlvE0_clEvEUlffE_fEEDaPvRmT3_T4_T5_mT6_P12ihipStream_tbENKUlT_T0_E_clISt17integral_constantIbLb1EESW_EEDaSR_SS_EUlSR_E0_NS1_11comp_targetILNS1_3genE0ELNS1_11target_archE4294967295ELNS1_3gpuE0ELNS1_3repE0EEENS1_30default_config_static_selectorELNS0_4arch9wavefront6targetE1EEEvT1_.numbered_sgpr, 69
	.set _ZN7rocprim17ROCPRIM_400000_NS6detail17trampoline_kernelINS0_14default_configENS1_20scan_config_selectorIfEEZZNS1_9scan_implILNS1_25lookback_scan_determinismE0ELb0ELb0ES3_PKfPffZZZN2at6native31launch_logcumsumexp_cuda_kernelERKNSB_10TensorBaseESF_lENKUlvE_clEvENKUlvE0_clEvEUlffE_fEEDaPvRmT3_T4_T5_mT6_P12ihipStream_tbENKUlT_T0_E_clISt17integral_constantIbLb1EESW_EEDaSR_SS_EUlSR_E0_NS1_11comp_targetILNS1_3genE0ELNS1_11target_archE4294967295ELNS1_3gpuE0ELNS1_3repE0EEENS1_30default_config_static_selectorELNS0_4arch9wavefront6targetE1EEEvT1_.num_named_barrier, 0
	.set _ZN7rocprim17ROCPRIM_400000_NS6detail17trampoline_kernelINS0_14default_configENS1_20scan_config_selectorIfEEZZNS1_9scan_implILNS1_25lookback_scan_determinismE0ELb0ELb0ES3_PKfPffZZZN2at6native31launch_logcumsumexp_cuda_kernelERKNSB_10TensorBaseESF_lENKUlvE_clEvENKUlvE0_clEvEUlffE_fEEDaPvRmT3_T4_T5_mT6_P12ihipStream_tbENKUlT_T0_E_clISt17integral_constantIbLb1EESW_EEDaSR_SS_EUlSR_E0_NS1_11comp_targetILNS1_3genE0ELNS1_11target_archE4294967295ELNS1_3gpuE0ELNS1_3repE0EEENS1_30default_config_static_selectorELNS0_4arch9wavefront6targetE1EEEvT1_.private_seg_size, 0
	.set _ZN7rocprim17ROCPRIM_400000_NS6detail17trampoline_kernelINS0_14default_configENS1_20scan_config_selectorIfEEZZNS1_9scan_implILNS1_25lookback_scan_determinismE0ELb0ELb0ES3_PKfPffZZZN2at6native31launch_logcumsumexp_cuda_kernelERKNSB_10TensorBaseESF_lENKUlvE_clEvENKUlvE0_clEvEUlffE_fEEDaPvRmT3_T4_T5_mT6_P12ihipStream_tbENKUlT_T0_E_clISt17integral_constantIbLb1EESW_EEDaSR_SS_EUlSR_E0_NS1_11comp_targetILNS1_3genE0ELNS1_11target_archE4294967295ELNS1_3gpuE0ELNS1_3repE0EEENS1_30default_config_static_selectorELNS0_4arch9wavefront6targetE1EEEvT1_.uses_vcc, 1
	.set _ZN7rocprim17ROCPRIM_400000_NS6detail17trampoline_kernelINS0_14default_configENS1_20scan_config_selectorIfEEZZNS1_9scan_implILNS1_25lookback_scan_determinismE0ELb0ELb0ES3_PKfPffZZZN2at6native31launch_logcumsumexp_cuda_kernelERKNSB_10TensorBaseESF_lENKUlvE_clEvENKUlvE0_clEvEUlffE_fEEDaPvRmT3_T4_T5_mT6_P12ihipStream_tbENKUlT_T0_E_clISt17integral_constantIbLb1EESW_EEDaSR_SS_EUlSR_E0_NS1_11comp_targetILNS1_3genE0ELNS1_11target_archE4294967295ELNS1_3gpuE0ELNS1_3repE0EEENS1_30default_config_static_selectorELNS0_4arch9wavefront6targetE1EEEvT1_.uses_flat_scratch, 0
	.set _ZN7rocprim17ROCPRIM_400000_NS6detail17trampoline_kernelINS0_14default_configENS1_20scan_config_selectorIfEEZZNS1_9scan_implILNS1_25lookback_scan_determinismE0ELb0ELb0ES3_PKfPffZZZN2at6native31launch_logcumsumexp_cuda_kernelERKNSB_10TensorBaseESF_lENKUlvE_clEvENKUlvE0_clEvEUlffE_fEEDaPvRmT3_T4_T5_mT6_P12ihipStream_tbENKUlT_T0_E_clISt17integral_constantIbLb1EESW_EEDaSR_SS_EUlSR_E0_NS1_11comp_targetILNS1_3genE0ELNS1_11target_archE4294967295ELNS1_3gpuE0ELNS1_3repE0EEENS1_30default_config_static_selectorELNS0_4arch9wavefront6targetE1EEEvT1_.has_dyn_sized_stack, 0
	.set _ZN7rocprim17ROCPRIM_400000_NS6detail17trampoline_kernelINS0_14default_configENS1_20scan_config_selectorIfEEZZNS1_9scan_implILNS1_25lookback_scan_determinismE0ELb0ELb0ES3_PKfPffZZZN2at6native31launch_logcumsumexp_cuda_kernelERKNSB_10TensorBaseESF_lENKUlvE_clEvENKUlvE0_clEvEUlffE_fEEDaPvRmT3_T4_T5_mT6_P12ihipStream_tbENKUlT_T0_E_clISt17integral_constantIbLb1EESW_EEDaSR_SS_EUlSR_E0_NS1_11comp_targetILNS1_3genE0ELNS1_11target_archE4294967295ELNS1_3gpuE0ELNS1_3repE0EEENS1_30default_config_static_selectorELNS0_4arch9wavefront6targetE1EEEvT1_.has_recursion, 0
	.set _ZN7rocprim17ROCPRIM_400000_NS6detail17trampoline_kernelINS0_14default_configENS1_20scan_config_selectorIfEEZZNS1_9scan_implILNS1_25lookback_scan_determinismE0ELb0ELb0ES3_PKfPffZZZN2at6native31launch_logcumsumexp_cuda_kernelERKNSB_10TensorBaseESF_lENKUlvE_clEvENKUlvE0_clEvEUlffE_fEEDaPvRmT3_T4_T5_mT6_P12ihipStream_tbENKUlT_T0_E_clISt17integral_constantIbLb1EESW_EEDaSR_SS_EUlSR_E0_NS1_11comp_targetILNS1_3genE0ELNS1_11target_archE4294967295ELNS1_3gpuE0ELNS1_3repE0EEENS1_30default_config_static_selectorELNS0_4arch9wavefront6targetE1EEEvT1_.has_indirect_call, 0
	.section	.AMDGPU.csdata,"",@progbits
; Kernel info:
; codeLenInByte = 36956
; TotalNumSgprs: 75
; NumVgprs: 55
; NumAgprs: 0
; TotalNumVgprs: 55
; ScratchSize: 0
; MemoryBound: 0
; FloatMode: 240
; IeeeMode: 1
; LDSByteSize: 14336 bytes/workgroup (compile time only)
; SGPRBlocks: 9
; VGPRBlocks: 6
; NumSGPRsForWavesPerEU: 75
; NumVGPRsForWavesPerEU: 55
; AccumOffset: 56
; Occupancy: 8
; WaveLimiterHint : 0
; COMPUTE_PGM_RSRC2:SCRATCH_EN: 0
; COMPUTE_PGM_RSRC2:USER_SGPR: 2
; COMPUTE_PGM_RSRC2:TRAP_HANDLER: 0
; COMPUTE_PGM_RSRC2:TGID_X_EN: 1
; COMPUTE_PGM_RSRC2:TGID_Y_EN: 0
; COMPUTE_PGM_RSRC2:TGID_Z_EN: 0
; COMPUTE_PGM_RSRC2:TIDIG_COMP_CNT: 0
; COMPUTE_PGM_RSRC3_GFX90A:ACCUM_OFFSET: 13
; COMPUTE_PGM_RSRC3_GFX90A:TG_SPLIT: 0
	.section	.text._ZN7rocprim17ROCPRIM_400000_NS6detail17trampoline_kernelINS0_14default_configENS1_20scan_config_selectorIfEEZZNS1_9scan_implILNS1_25lookback_scan_determinismE0ELb0ELb0ES3_PKfPffZZZN2at6native31launch_logcumsumexp_cuda_kernelERKNSB_10TensorBaseESF_lENKUlvE_clEvENKUlvE0_clEvEUlffE_fEEDaPvRmT3_T4_T5_mT6_P12ihipStream_tbENKUlT_T0_E_clISt17integral_constantIbLb1EESW_EEDaSR_SS_EUlSR_E0_NS1_11comp_targetILNS1_3genE5ELNS1_11target_archE942ELNS1_3gpuE9ELNS1_3repE0EEENS1_30default_config_static_selectorELNS0_4arch9wavefront6targetE1EEEvT1_,"axG",@progbits,_ZN7rocprim17ROCPRIM_400000_NS6detail17trampoline_kernelINS0_14default_configENS1_20scan_config_selectorIfEEZZNS1_9scan_implILNS1_25lookback_scan_determinismE0ELb0ELb0ES3_PKfPffZZZN2at6native31launch_logcumsumexp_cuda_kernelERKNSB_10TensorBaseESF_lENKUlvE_clEvENKUlvE0_clEvEUlffE_fEEDaPvRmT3_T4_T5_mT6_P12ihipStream_tbENKUlT_T0_E_clISt17integral_constantIbLb1EESW_EEDaSR_SS_EUlSR_E0_NS1_11comp_targetILNS1_3genE5ELNS1_11target_archE942ELNS1_3gpuE9ELNS1_3repE0EEENS1_30default_config_static_selectorELNS0_4arch9wavefront6targetE1EEEvT1_,comdat
	.globl	_ZN7rocprim17ROCPRIM_400000_NS6detail17trampoline_kernelINS0_14default_configENS1_20scan_config_selectorIfEEZZNS1_9scan_implILNS1_25lookback_scan_determinismE0ELb0ELb0ES3_PKfPffZZZN2at6native31launch_logcumsumexp_cuda_kernelERKNSB_10TensorBaseESF_lENKUlvE_clEvENKUlvE0_clEvEUlffE_fEEDaPvRmT3_T4_T5_mT6_P12ihipStream_tbENKUlT_T0_E_clISt17integral_constantIbLb1EESW_EEDaSR_SS_EUlSR_E0_NS1_11comp_targetILNS1_3genE5ELNS1_11target_archE942ELNS1_3gpuE9ELNS1_3repE0EEENS1_30default_config_static_selectorELNS0_4arch9wavefront6targetE1EEEvT1_ ; -- Begin function _ZN7rocprim17ROCPRIM_400000_NS6detail17trampoline_kernelINS0_14default_configENS1_20scan_config_selectorIfEEZZNS1_9scan_implILNS1_25lookback_scan_determinismE0ELb0ELb0ES3_PKfPffZZZN2at6native31launch_logcumsumexp_cuda_kernelERKNSB_10TensorBaseESF_lENKUlvE_clEvENKUlvE0_clEvEUlffE_fEEDaPvRmT3_T4_T5_mT6_P12ihipStream_tbENKUlT_T0_E_clISt17integral_constantIbLb1EESW_EEDaSR_SS_EUlSR_E0_NS1_11comp_targetILNS1_3genE5ELNS1_11target_archE942ELNS1_3gpuE9ELNS1_3repE0EEENS1_30default_config_static_selectorELNS0_4arch9wavefront6targetE1EEEvT1_
	.p2align	8
	.type	_ZN7rocprim17ROCPRIM_400000_NS6detail17trampoline_kernelINS0_14default_configENS1_20scan_config_selectorIfEEZZNS1_9scan_implILNS1_25lookback_scan_determinismE0ELb0ELb0ES3_PKfPffZZZN2at6native31launch_logcumsumexp_cuda_kernelERKNSB_10TensorBaseESF_lENKUlvE_clEvENKUlvE0_clEvEUlffE_fEEDaPvRmT3_T4_T5_mT6_P12ihipStream_tbENKUlT_T0_E_clISt17integral_constantIbLb1EESW_EEDaSR_SS_EUlSR_E0_NS1_11comp_targetILNS1_3genE5ELNS1_11target_archE942ELNS1_3gpuE9ELNS1_3repE0EEENS1_30default_config_static_selectorELNS0_4arch9wavefront6targetE1EEEvT1_,@function
_ZN7rocprim17ROCPRIM_400000_NS6detail17trampoline_kernelINS0_14default_configENS1_20scan_config_selectorIfEEZZNS1_9scan_implILNS1_25lookback_scan_determinismE0ELb0ELb0ES3_PKfPffZZZN2at6native31launch_logcumsumexp_cuda_kernelERKNSB_10TensorBaseESF_lENKUlvE_clEvENKUlvE0_clEvEUlffE_fEEDaPvRmT3_T4_T5_mT6_P12ihipStream_tbENKUlT_T0_E_clISt17integral_constantIbLb1EESW_EEDaSR_SS_EUlSR_E0_NS1_11comp_targetILNS1_3genE5ELNS1_11target_archE942ELNS1_3gpuE9ELNS1_3repE0EEENS1_30default_config_static_selectorELNS0_4arch9wavefront6targetE1EEEvT1_: ; @_ZN7rocprim17ROCPRIM_400000_NS6detail17trampoline_kernelINS0_14default_configENS1_20scan_config_selectorIfEEZZNS1_9scan_implILNS1_25lookback_scan_determinismE0ELb0ELb0ES3_PKfPffZZZN2at6native31launch_logcumsumexp_cuda_kernelERKNSB_10TensorBaseESF_lENKUlvE_clEvENKUlvE0_clEvEUlffE_fEEDaPvRmT3_T4_T5_mT6_P12ihipStream_tbENKUlT_T0_E_clISt17integral_constantIbLb1EESW_EEDaSR_SS_EUlSR_E0_NS1_11comp_targetILNS1_3genE5ELNS1_11target_archE942ELNS1_3gpuE9ELNS1_3repE0EEENS1_30default_config_static_selectorELNS0_4arch9wavefront6targetE1EEEvT1_
; %bb.0:
	.section	.rodata,"a",@progbits
	.p2align	6, 0x0
	.amdhsa_kernel _ZN7rocprim17ROCPRIM_400000_NS6detail17trampoline_kernelINS0_14default_configENS1_20scan_config_selectorIfEEZZNS1_9scan_implILNS1_25lookback_scan_determinismE0ELb0ELb0ES3_PKfPffZZZN2at6native31launch_logcumsumexp_cuda_kernelERKNSB_10TensorBaseESF_lENKUlvE_clEvENKUlvE0_clEvEUlffE_fEEDaPvRmT3_T4_T5_mT6_P12ihipStream_tbENKUlT_T0_E_clISt17integral_constantIbLb1EESW_EEDaSR_SS_EUlSR_E0_NS1_11comp_targetILNS1_3genE5ELNS1_11target_archE942ELNS1_3gpuE9ELNS1_3repE0EEENS1_30default_config_static_selectorELNS0_4arch9wavefront6targetE1EEEvT1_
		.amdhsa_group_segment_fixed_size 0
		.amdhsa_private_segment_fixed_size 0
		.amdhsa_kernarg_size 32
		.amdhsa_user_sgpr_count 2
		.amdhsa_user_sgpr_dispatch_ptr 0
		.amdhsa_user_sgpr_queue_ptr 0
		.amdhsa_user_sgpr_kernarg_segment_ptr 1
		.amdhsa_user_sgpr_dispatch_id 0
		.amdhsa_user_sgpr_kernarg_preload_length 0
		.amdhsa_user_sgpr_kernarg_preload_offset 0
		.amdhsa_user_sgpr_private_segment_size 0
		.amdhsa_uses_dynamic_stack 0
		.amdhsa_enable_private_segment 0
		.amdhsa_system_sgpr_workgroup_id_x 1
		.amdhsa_system_sgpr_workgroup_id_y 0
		.amdhsa_system_sgpr_workgroup_id_z 0
		.amdhsa_system_sgpr_workgroup_info 0
		.amdhsa_system_vgpr_workitem_id 0
		.amdhsa_next_free_vgpr 1
		.amdhsa_next_free_sgpr 0
		.amdhsa_accum_offset 4
		.amdhsa_reserve_vcc 0
		.amdhsa_float_round_mode_32 0
		.amdhsa_float_round_mode_16_64 0
		.amdhsa_float_denorm_mode_32 3
		.amdhsa_float_denorm_mode_16_64 3
		.amdhsa_dx10_clamp 1
		.amdhsa_ieee_mode 1
		.amdhsa_fp16_overflow 0
		.amdhsa_tg_split 0
		.amdhsa_exception_fp_ieee_invalid_op 0
		.amdhsa_exception_fp_denorm_src 0
		.amdhsa_exception_fp_ieee_div_zero 0
		.amdhsa_exception_fp_ieee_overflow 0
		.amdhsa_exception_fp_ieee_underflow 0
		.amdhsa_exception_fp_ieee_inexact 0
		.amdhsa_exception_int_div_zero 0
	.end_amdhsa_kernel
	.section	.text._ZN7rocprim17ROCPRIM_400000_NS6detail17trampoline_kernelINS0_14default_configENS1_20scan_config_selectorIfEEZZNS1_9scan_implILNS1_25lookback_scan_determinismE0ELb0ELb0ES3_PKfPffZZZN2at6native31launch_logcumsumexp_cuda_kernelERKNSB_10TensorBaseESF_lENKUlvE_clEvENKUlvE0_clEvEUlffE_fEEDaPvRmT3_T4_T5_mT6_P12ihipStream_tbENKUlT_T0_E_clISt17integral_constantIbLb1EESW_EEDaSR_SS_EUlSR_E0_NS1_11comp_targetILNS1_3genE5ELNS1_11target_archE942ELNS1_3gpuE9ELNS1_3repE0EEENS1_30default_config_static_selectorELNS0_4arch9wavefront6targetE1EEEvT1_,"axG",@progbits,_ZN7rocprim17ROCPRIM_400000_NS6detail17trampoline_kernelINS0_14default_configENS1_20scan_config_selectorIfEEZZNS1_9scan_implILNS1_25lookback_scan_determinismE0ELb0ELb0ES3_PKfPffZZZN2at6native31launch_logcumsumexp_cuda_kernelERKNSB_10TensorBaseESF_lENKUlvE_clEvENKUlvE0_clEvEUlffE_fEEDaPvRmT3_T4_T5_mT6_P12ihipStream_tbENKUlT_T0_E_clISt17integral_constantIbLb1EESW_EEDaSR_SS_EUlSR_E0_NS1_11comp_targetILNS1_3genE5ELNS1_11target_archE942ELNS1_3gpuE9ELNS1_3repE0EEENS1_30default_config_static_selectorELNS0_4arch9wavefront6targetE1EEEvT1_,comdat
.Lfunc_end125:
	.size	_ZN7rocprim17ROCPRIM_400000_NS6detail17trampoline_kernelINS0_14default_configENS1_20scan_config_selectorIfEEZZNS1_9scan_implILNS1_25lookback_scan_determinismE0ELb0ELb0ES3_PKfPffZZZN2at6native31launch_logcumsumexp_cuda_kernelERKNSB_10TensorBaseESF_lENKUlvE_clEvENKUlvE0_clEvEUlffE_fEEDaPvRmT3_T4_T5_mT6_P12ihipStream_tbENKUlT_T0_E_clISt17integral_constantIbLb1EESW_EEDaSR_SS_EUlSR_E0_NS1_11comp_targetILNS1_3genE5ELNS1_11target_archE942ELNS1_3gpuE9ELNS1_3repE0EEENS1_30default_config_static_selectorELNS0_4arch9wavefront6targetE1EEEvT1_, .Lfunc_end125-_ZN7rocprim17ROCPRIM_400000_NS6detail17trampoline_kernelINS0_14default_configENS1_20scan_config_selectorIfEEZZNS1_9scan_implILNS1_25lookback_scan_determinismE0ELb0ELb0ES3_PKfPffZZZN2at6native31launch_logcumsumexp_cuda_kernelERKNSB_10TensorBaseESF_lENKUlvE_clEvENKUlvE0_clEvEUlffE_fEEDaPvRmT3_T4_T5_mT6_P12ihipStream_tbENKUlT_T0_E_clISt17integral_constantIbLb1EESW_EEDaSR_SS_EUlSR_E0_NS1_11comp_targetILNS1_3genE5ELNS1_11target_archE942ELNS1_3gpuE9ELNS1_3repE0EEENS1_30default_config_static_selectorELNS0_4arch9wavefront6targetE1EEEvT1_
                                        ; -- End function
	.set _ZN7rocprim17ROCPRIM_400000_NS6detail17trampoline_kernelINS0_14default_configENS1_20scan_config_selectorIfEEZZNS1_9scan_implILNS1_25lookback_scan_determinismE0ELb0ELb0ES3_PKfPffZZZN2at6native31launch_logcumsumexp_cuda_kernelERKNSB_10TensorBaseESF_lENKUlvE_clEvENKUlvE0_clEvEUlffE_fEEDaPvRmT3_T4_T5_mT6_P12ihipStream_tbENKUlT_T0_E_clISt17integral_constantIbLb1EESW_EEDaSR_SS_EUlSR_E0_NS1_11comp_targetILNS1_3genE5ELNS1_11target_archE942ELNS1_3gpuE9ELNS1_3repE0EEENS1_30default_config_static_selectorELNS0_4arch9wavefront6targetE1EEEvT1_.num_vgpr, 0
	.set _ZN7rocprim17ROCPRIM_400000_NS6detail17trampoline_kernelINS0_14default_configENS1_20scan_config_selectorIfEEZZNS1_9scan_implILNS1_25lookback_scan_determinismE0ELb0ELb0ES3_PKfPffZZZN2at6native31launch_logcumsumexp_cuda_kernelERKNSB_10TensorBaseESF_lENKUlvE_clEvENKUlvE0_clEvEUlffE_fEEDaPvRmT3_T4_T5_mT6_P12ihipStream_tbENKUlT_T0_E_clISt17integral_constantIbLb1EESW_EEDaSR_SS_EUlSR_E0_NS1_11comp_targetILNS1_3genE5ELNS1_11target_archE942ELNS1_3gpuE9ELNS1_3repE0EEENS1_30default_config_static_selectorELNS0_4arch9wavefront6targetE1EEEvT1_.num_agpr, 0
	.set _ZN7rocprim17ROCPRIM_400000_NS6detail17trampoline_kernelINS0_14default_configENS1_20scan_config_selectorIfEEZZNS1_9scan_implILNS1_25lookback_scan_determinismE0ELb0ELb0ES3_PKfPffZZZN2at6native31launch_logcumsumexp_cuda_kernelERKNSB_10TensorBaseESF_lENKUlvE_clEvENKUlvE0_clEvEUlffE_fEEDaPvRmT3_T4_T5_mT6_P12ihipStream_tbENKUlT_T0_E_clISt17integral_constantIbLb1EESW_EEDaSR_SS_EUlSR_E0_NS1_11comp_targetILNS1_3genE5ELNS1_11target_archE942ELNS1_3gpuE9ELNS1_3repE0EEENS1_30default_config_static_selectorELNS0_4arch9wavefront6targetE1EEEvT1_.numbered_sgpr, 0
	.set _ZN7rocprim17ROCPRIM_400000_NS6detail17trampoline_kernelINS0_14default_configENS1_20scan_config_selectorIfEEZZNS1_9scan_implILNS1_25lookback_scan_determinismE0ELb0ELb0ES3_PKfPffZZZN2at6native31launch_logcumsumexp_cuda_kernelERKNSB_10TensorBaseESF_lENKUlvE_clEvENKUlvE0_clEvEUlffE_fEEDaPvRmT3_T4_T5_mT6_P12ihipStream_tbENKUlT_T0_E_clISt17integral_constantIbLb1EESW_EEDaSR_SS_EUlSR_E0_NS1_11comp_targetILNS1_3genE5ELNS1_11target_archE942ELNS1_3gpuE9ELNS1_3repE0EEENS1_30default_config_static_selectorELNS0_4arch9wavefront6targetE1EEEvT1_.num_named_barrier, 0
	.set _ZN7rocprim17ROCPRIM_400000_NS6detail17trampoline_kernelINS0_14default_configENS1_20scan_config_selectorIfEEZZNS1_9scan_implILNS1_25lookback_scan_determinismE0ELb0ELb0ES3_PKfPffZZZN2at6native31launch_logcumsumexp_cuda_kernelERKNSB_10TensorBaseESF_lENKUlvE_clEvENKUlvE0_clEvEUlffE_fEEDaPvRmT3_T4_T5_mT6_P12ihipStream_tbENKUlT_T0_E_clISt17integral_constantIbLb1EESW_EEDaSR_SS_EUlSR_E0_NS1_11comp_targetILNS1_3genE5ELNS1_11target_archE942ELNS1_3gpuE9ELNS1_3repE0EEENS1_30default_config_static_selectorELNS0_4arch9wavefront6targetE1EEEvT1_.private_seg_size, 0
	.set _ZN7rocprim17ROCPRIM_400000_NS6detail17trampoline_kernelINS0_14default_configENS1_20scan_config_selectorIfEEZZNS1_9scan_implILNS1_25lookback_scan_determinismE0ELb0ELb0ES3_PKfPffZZZN2at6native31launch_logcumsumexp_cuda_kernelERKNSB_10TensorBaseESF_lENKUlvE_clEvENKUlvE0_clEvEUlffE_fEEDaPvRmT3_T4_T5_mT6_P12ihipStream_tbENKUlT_T0_E_clISt17integral_constantIbLb1EESW_EEDaSR_SS_EUlSR_E0_NS1_11comp_targetILNS1_3genE5ELNS1_11target_archE942ELNS1_3gpuE9ELNS1_3repE0EEENS1_30default_config_static_selectorELNS0_4arch9wavefront6targetE1EEEvT1_.uses_vcc, 0
	.set _ZN7rocprim17ROCPRIM_400000_NS6detail17trampoline_kernelINS0_14default_configENS1_20scan_config_selectorIfEEZZNS1_9scan_implILNS1_25lookback_scan_determinismE0ELb0ELb0ES3_PKfPffZZZN2at6native31launch_logcumsumexp_cuda_kernelERKNSB_10TensorBaseESF_lENKUlvE_clEvENKUlvE0_clEvEUlffE_fEEDaPvRmT3_T4_T5_mT6_P12ihipStream_tbENKUlT_T0_E_clISt17integral_constantIbLb1EESW_EEDaSR_SS_EUlSR_E0_NS1_11comp_targetILNS1_3genE5ELNS1_11target_archE942ELNS1_3gpuE9ELNS1_3repE0EEENS1_30default_config_static_selectorELNS0_4arch9wavefront6targetE1EEEvT1_.uses_flat_scratch, 0
	.set _ZN7rocprim17ROCPRIM_400000_NS6detail17trampoline_kernelINS0_14default_configENS1_20scan_config_selectorIfEEZZNS1_9scan_implILNS1_25lookback_scan_determinismE0ELb0ELb0ES3_PKfPffZZZN2at6native31launch_logcumsumexp_cuda_kernelERKNSB_10TensorBaseESF_lENKUlvE_clEvENKUlvE0_clEvEUlffE_fEEDaPvRmT3_T4_T5_mT6_P12ihipStream_tbENKUlT_T0_E_clISt17integral_constantIbLb1EESW_EEDaSR_SS_EUlSR_E0_NS1_11comp_targetILNS1_3genE5ELNS1_11target_archE942ELNS1_3gpuE9ELNS1_3repE0EEENS1_30default_config_static_selectorELNS0_4arch9wavefront6targetE1EEEvT1_.has_dyn_sized_stack, 0
	.set _ZN7rocprim17ROCPRIM_400000_NS6detail17trampoline_kernelINS0_14default_configENS1_20scan_config_selectorIfEEZZNS1_9scan_implILNS1_25lookback_scan_determinismE0ELb0ELb0ES3_PKfPffZZZN2at6native31launch_logcumsumexp_cuda_kernelERKNSB_10TensorBaseESF_lENKUlvE_clEvENKUlvE0_clEvEUlffE_fEEDaPvRmT3_T4_T5_mT6_P12ihipStream_tbENKUlT_T0_E_clISt17integral_constantIbLb1EESW_EEDaSR_SS_EUlSR_E0_NS1_11comp_targetILNS1_3genE5ELNS1_11target_archE942ELNS1_3gpuE9ELNS1_3repE0EEENS1_30default_config_static_selectorELNS0_4arch9wavefront6targetE1EEEvT1_.has_recursion, 0
	.set _ZN7rocprim17ROCPRIM_400000_NS6detail17trampoline_kernelINS0_14default_configENS1_20scan_config_selectorIfEEZZNS1_9scan_implILNS1_25lookback_scan_determinismE0ELb0ELb0ES3_PKfPffZZZN2at6native31launch_logcumsumexp_cuda_kernelERKNSB_10TensorBaseESF_lENKUlvE_clEvENKUlvE0_clEvEUlffE_fEEDaPvRmT3_T4_T5_mT6_P12ihipStream_tbENKUlT_T0_E_clISt17integral_constantIbLb1EESW_EEDaSR_SS_EUlSR_E0_NS1_11comp_targetILNS1_3genE5ELNS1_11target_archE942ELNS1_3gpuE9ELNS1_3repE0EEENS1_30default_config_static_selectorELNS0_4arch9wavefront6targetE1EEEvT1_.has_indirect_call, 0
	.section	.AMDGPU.csdata,"",@progbits
; Kernel info:
; codeLenInByte = 0
; TotalNumSgprs: 6
; NumVgprs: 0
; NumAgprs: 0
; TotalNumVgprs: 0
; ScratchSize: 0
; MemoryBound: 0
; FloatMode: 240
; IeeeMode: 1
; LDSByteSize: 0 bytes/workgroup (compile time only)
; SGPRBlocks: 0
; VGPRBlocks: 0
; NumSGPRsForWavesPerEU: 6
; NumVGPRsForWavesPerEU: 1
; AccumOffset: 4
; Occupancy: 8
; WaveLimiterHint : 0
; COMPUTE_PGM_RSRC2:SCRATCH_EN: 0
; COMPUTE_PGM_RSRC2:USER_SGPR: 2
; COMPUTE_PGM_RSRC2:TRAP_HANDLER: 0
; COMPUTE_PGM_RSRC2:TGID_X_EN: 1
; COMPUTE_PGM_RSRC2:TGID_Y_EN: 0
; COMPUTE_PGM_RSRC2:TGID_Z_EN: 0
; COMPUTE_PGM_RSRC2:TIDIG_COMP_CNT: 0
; COMPUTE_PGM_RSRC3_GFX90A:ACCUM_OFFSET: 0
; COMPUTE_PGM_RSRC3_GFX90A:TG_SPLIT: 0
	.section	.text._ZN7rocprim17ROCPRIM_400000_NS6detail17trampoline_kernelINS0_14default_configENS1_20scan_config_selectorIfEEZZNS1_9scan_implILNS1_25lookback_scan_determinismE0ELb0ELb0ES3_PKfPffZZZN2at6native31launch_logcumsumexp_cuda_kernelERKNSB_10TensorBaseESF_lENKUlvE_clEvENKUlvE0_clEvEUlffE_fEEDaPvRmT3_T4_T5_mT6_P12ihipStream_tbENKUlT_T0_E_clISt17integral_constantIbLb1EESW_EEDaSR_SS_EUlSR_E0_NS1_11comp_targetILNS1_3genE4ELNS1_11target_archE910ELNS1_3gpuE8ELNS1_3repE0EEENS1_30default_config_static_selectorELNS0_4arch9wavefront6targetE1EEEvT1_,"axG",@progbits,_ZN7rocprim17ROCPRIM_400000_NS6detail17trampoline_kernelINS0_14default_configENS1_20scan_config_selectorIfEEZZNS1_9scan_implILNS1_25lookback_scan_determinismE0ELb0ELb0ES3_PKfPffZZZN2at6native31launch_logcumsumexp_cuda_kernelERKNSB_10TensorBaseESF_lENKUlvE_clEvENKUlvE0_clEvEUlffE_fEEDaPvRmT3_T4_T5_mT6_P12ihipStream_tbENKUlT_T0_E_clISt17integral_constantIbLb1EESW_EEDaSR_SS_EUlSR_E0_NS1_11comp_targetILNS1_3genE4ELNS1_11target_archE910ELNS1_3gpuE8ELNS1_3repE0EEENS1_30default_config_static_selectorELNS0_4arch9wavefront6targetE1EEEvT1_,comdat
	.globl	_ZN7rocprim17ROCPRIM_400000_NS6detail17trampoline_kernelINS0_14default_configENS1_20scan_config_selectorIfEEZZNS1_9scan_implILNS1_25lookback_scan_determinismE0ELb0ELb0ES3_PKfPffZZZN2at6native31launch_logcumsumexp_cuda_kernelERKNSB_10TensorBaseESF_lENKUlvE_clEvENKUlvE0_clEvEUlffE_fEEDaPvRmT3_T4_T5_mT6_P12ihipStream_tbENKUlT_T0_E_clISt17integral_constantIbLb1EESW_EEDaSR_SS_EUlSR_E0_NS1_11comp_targetILNS1_3genE4ELNS1_11target_archE910ELNS1_3gpuE8ELNS1_3repE0EEENS1_30default_config_static_selectorELNS0_4arch9wavefront6targetE1EEEvT1_ ; -- Begin function _ZN7rocprim17ROCPRIM_400000_NS6detail17trampoline_kernelINS0_14default_configENS1_20scan_config_selectorIfEEZZNS1_9scan_implILNS1_25lookback_scan_determinismE0ELb0ELb0ES3_PKfPffZZZN2at6native31launch_logcumsumexp_cuda_kernelERKNSB_10TensorBaseESF_lENKUlvE_clEvENKUlvE0_clEvEUlffE_fEEDaPvRmT3_T4_T5_mT6_P12ihipStream_tbENKUlT_T0_E_clISt17integral_constantIbLb1EESW_EEDaSR_SS_EUlSR_E0_NS1_11comp_targetILNS1_3genE4ELNS1_11target_archE910ELNS1_3gpuE8ELNS1_3repE0EEENS1_30default_config_static_selectorELNS0_4arch9wavefront6targetE1EEEvT1_
	.p2align	8
	.type	_ZN7rocprim17ROCPRIM_400000_NS6detail17trampoline_kernelINS0_14default_configENS1_20scan_config_selectorIfEEZZNS1_9scan_implILNS1_25lookback_scan_determinismE0ELb0ELb0ES3_PKfPffZZZN2at6native31launch_logcumsumexp_cuda_kernelERKNSB_10TensorBaseESF_lENKUlvE_clEvENKUlvE0_clEvEUlffE_fEEDaPvRmT3_T4_T5_mT6_P12ihipStream_tbENKUlT_T0_E_clISt17integral_constantIbLb1EESW_EEDaSR_SS_EUlSR_E0_NS1_11comp_targetILNS1_3genE4ELNS1_11target_archE910ELNS1_3gpuE8ELNS1_3repE0EEENS1_30default_config_static_selectorELNS0_4arch9wavefront6targetE1EEEvT1_,@function
_ZN7rocprim17ROCPRIM_400000_NS6detail17trampoline_kernelINS0_14default_configENS1_20scan_config_selectorIfEEZZNS1_9scan_implILNS1_25lookback_scan_determinismE0ELb0ELb0ES3_PKfPffZZZN2at6native31launch_logcumsumexp_cuda_kernelERKNSB_10TensorBaseESF_lENKUlvE_clEvENKUlvE0_clEvEUlffE_fEEDaPvRmT3_T4_T5_mT6_P12ihipStream_tbENKUlT_T0_E_clISt17integral_constantIbLb1EESW_EEDaSR_SS_EUlSR_E0_NS1_11comp_targetILNS1_3genE4ELNS1_11target_archE910ELNS1_3gpuE8ELNS1_3repE0EEENS1_30default_config_static_selectorELNS0_4arch9wavefront6targetE1EEEvT1_: ; @_ZN7rocprim17ROCPRIM_400000_NS6detail17trampoline_kernelINS0_14default_configENS1_20scan_config_selectorIfEEZZNS1_9scan_implILNS1_25lookback_scan_determinismE0ELb0ELb0ES3_PKfPffZZZN2at6native31launch_logcumsumexp_cuda_kernelERKNSB_10TensorBaseESF_lENKUlvE_clEvENKUlvE0_clEvEUlffE_fEEDaPvRmT3_T4_T5_mT6_P12ihipStream_tbENKUlT_T0_E_clISt17integral_constantIbLb1EESW_EEDaSR_SS_EUlSR_E0_NS1_11comp_targetILNS1_3genE4ELNS1_11target_archE910ELNS1_3gpuE8ELNS1_3repE0EEENS1_30default_config_static_selectorELNS0_4arch9wavefront6targetE1EEEvT1_
; %bb.0:
	.section	.rodata,"a",@progbits
	.p2align	6, 0x0
	.amdhsa_kernel _ZN7rocprim17ROCPRIM_400000_NS6detail17trampoline_kernelINS0_14default_configENS1_20scan_config_selectorIfEEZZNS1_9scan_implILNS1_25lookback_scan_determinismE0ELb0ELb0ES3_PKfPffZZZN2at6native31launch_logcumsumexp_cuda_kernelERKNSB_10TensorBaseESF_lENKUlvE_clEvENKUlvE0_clEvEUlffE_fEEDaPvRmT3_T4_T5_mT6_P12ihipStream_tbENKUlT_T0_E_clISt17integral_constantIbLb1EESW_EEDaSR_SS_EUlSR_E0_NS1_11comp_targetILNS1_3genE4ELNS1_11target_archE910ELNS1_3gpuE8ELNS1_3repE0EEENS1_30default_config_static_selectorELNS0_4arch9wavefront6targetE1EEEvT1_
		.amdhsa_group_segment_fixed_size 0
		.amdhsa_private_segment_fixed_size 0
		.amdhsa_kernarg_size 32
		.amdhsa_user_sgpr_count 2
		.amdhsa_user_sgpr_dispatch_ptr 0
		.amdhsa_user_sgpr_queue_ptr 0
		.amdhsa_user_sgpr_kernarg_segment_ptr 1
		.amdhsa_user_sgpr_dispatch_id 0
		.amdhsa_user_sgpr_kernarg_preload_length 0
		.amdhsa_user_sgpr_kernarg_preload_offset 0
		.amdhsa_user_sgpr_private_segment_size 0
		.amdhsa_uses_dynamic_stack 0
		.amdhsa_enable_private_segment 0
		.amdhsa_system_sgpr_workgroup_id_x 1
		.amdhsa_system_sgpr_workgroup_id_y 0
		.amdhsa_system_sgpr_workgroup_id_z 0
		.amdhsa_system_sgpr_workgroup_info 0
		.amdhsa_system_vgpr_workitem_id 0
		.amdhsa_next_free_vgpr 1
		.amdhsa_next_free_sgpr 0
		.amdhsa_accum_offset 4
		.amdhsa_reserve_vcc 0
		.amdhsa_float_round_mode_32 0
		.amdhsa_float_round_mode_16_64 0
		.amdhsa_float_denorm_mode_32 3
		.amdhsa_float_denorm_mode_16_64 3
		.amdhsa_dx10_clamp 1
		.amdhsa_ieee_mode 1
		.amdhsa_fp16_overflow 0
		.amdhsa_tg_split 0
		.amdhsa_exception_fp_ieee_invalid_op 0
		.amdhsa_exception_fp_denorm_src 0
		.amdhsa_exception_fp_ieee_div_zero 0
		.amdhsa_exception_fp_ieee_overflow 0
		.amdhsa_exception_fp_ieee_underflow 0
		.amdhsa_exception_fp_ieee_inexact 0
		.amdhsa_exception_int_div_zero 0
	.end_amdhsa_kernel
	.section	.text._ZN7rocprim17ROCPRIM_400000_NS6detail17trampoline_kernelINS0_14default_configENS1_20scan_config_selectorIfEEZZNS1_9scan_implILNS1_25lookback_scan_determinismE0ELb0ELb0ES3_PKfPffZZZN2at6native31launch_logcumsumexp_cuda_kernelERKNSB_10TensorBaseESF_lENKUlvE_clEvENKUlvE0_clEvEUlffE_fEEDaPvRmT3_T4_T5_mT6_P12ihipStream_tbENKUlT_T0_E_clISt17integral_constantIbLb1EESW_EEDaSR_SS_EUlSR_E0_NS1_11comp_targetILNS1_3genE4ELNS1_11target_archE910ELNS1_3gpuE8ELNS1_3repE0EEENS1_30default_config_static_selectorELNS0_4arch9wavefront6targetE1EEEvT1_,"axG",@progbits,_ZN7rocprim17ROCPRIM_400000_NS6detail17trampoline_kernelINS0_14default_configENS1_20scan_config_selectorIfEEZZNS1_9scan_implILNS1_25lookback_scan_determinismE0ELb0ELb0ES3_PKfPffZZZN2at6native31launch_logcumsumexp_cuda_kernelERKNSB_10TensorBaseESF_lENKUlvE_clEvENKUlvE0_clEvEUlffE_fEEDaPvRmT3_T4_T5_mT6_P12ihipStream_tbENKUlT_T0_E_clISt17integral_constantIbLb1EESW_EEDaSR_SS_EUlSR_E0_NS1_11comp_targetILNS1_3genE4ELNS1_11target_archE910ELNS1_3gpuE8ELNS1_3repE0EEENS1_30default_config_static_selectorELNS0_4arch9wavefront6targetE1EEEvT1_,comdat
.Lfunc_end126:
	.size	_ZN7rocprim17ROCPRIM_400000_NS6detail17trampoline_kernelINS0_14default_configENS1_20scan_config_selectorIfEEZZNS1_9scan_implILNS1_25lookback_scan_determinismE0ELb0ELb0ES3_PKfPffZZZN2at6native31launch_logcumsumexp_cuda_kernelERKNSB_10TensorBaseESF_lENKUlvE_clEvENKUlvE0_clEvEUlffE_fEEDaPvRmT3_T4_T5_mT6_P12ihipStream_tbENKUlT_T0_E_clISt17integral_constantIbLb1EESW_EEDaSR_SS_EUlSR_E0_NS1_11comp_targetILNS1_3genE4ELNS1_11target_archE910ELNS1_3gpuE8ELNS1_3repE0EEENS1_30default_config_static_selectorELNS0_4arch9wavefront6targetE1EEEvT1_, .Lfunc_end126-_ZN7rocprim17ROCPRIM_400000_NS6detail17trampoline_kernelINS0_14default_configENS1_20scan_config_selectorIfEEZZNS1_9scan_implILNS1_25lookback_scan_determinismE0ELb0ELb0ES3_PKfPffZZZN2at6native31launch_logcumsumexp_cuda_kernelERKNSB_10TensorBaseESF_lENKUlvE_clEvENKUlvE0_clEvEUlffE_fEEDaPvRmT3_T4_T5_mT6_P12ihipStream_tbENKUlT_T0_E_clISt17integral_constantIbLb1EESW_EEDaSR_SS_EUlSR_E0_NS1_11comp_targetILNS1_3genE4ELNS1_11target_archE910ELNS1_3gpuE8ELNS1_3repE0EEENS1_30default_config_static_selectorELNS0_4arch9wavefront6targetE1EEEvT1_
                                        ; -- End function
	.set _ZN7rocprim17ROCPRIM_400000_NS6detail17trampoline_kernelINS0_14default_configENS1_20scan_config_selectorIfEEZZNS1_9scan_implILNS1_25lookback_scan_determinismE0ELb0ELb0ES3_PKfPffZZZN2at6native31launch_logcumsumexp_cuda_kernelERKNSB_10TensorBaseESF_lENKUlvE_clEvENKUlvE0_clEvEUlffE_fEEDaPvRmT3_T4_T5_mT6_P12ihipStream_tbENKUlT_T0_E_clISt17integral_constantIbLb1EESW_EEDaSR_SS_EUlSR_E0_NS1_11comp_targetILNS1_3genE4ELNS1_11target_archE910ELNS1_3gpuE8ELNS1_3repE0EEENS1_30default_config_static_selectorELNS0_4arch9wavefront6targetE1EEEvT1_.num_vgpr, 0
	.set _ZN7rocprim17ROCPRIM_400000_NS6detail17trampoline_kernelINS0_14default_configENS1_20scan_config_selectorIfEEZZNS1_9scan_implILNS1_25lookback_scan_determinismE0ELb0ELb0ES3_PKfPffZZZN2at6native31launch_logcumsumexp_cuda_kernelERKNSB_10TensorBaseESF_lENKUlvE_clEvENKUlvE0_clEvEUlffE_fEEDaPvRmT3_T4_T5_mT6_P12ihipStream_tbENKUlT_T0_E_clISt17integral_constantIbLb1EESW_EEDaSR_SS_EUlSR_E0_NS1_11comp_targetILNS1_3genE4ELNS1_11target_archE910ELNS1_3gpuE8ELNS1_3repE0EEENS1_30default_config_static_selectorELNS0_4arch9wavefront6targetE1EEEvT1_.num_agpr, 0
	.set _ZN7rocprim17ROCPRIM_400000_NS6detail17trampoline_kernelINS0_14default_configENS1_20scan_config_selectorIfEEZZNS1_9scan_implILNS1_25lookback_scan_determinismE0ELb0ELb0ES3_PKfPffZZZN2at6native31launch_logcumsumexp_cuda_kernelERKNSB_10TensorBaseESF_lENKUlvE_clEvENKUlvE0_clEvEUlffE_fEEDaPvRmT3_T4_T5_mT6_P12ihipStream_tbENKUlT_T0_E_clISt17integral_constantIbLb1EESW_EEDaSR_SS_EUlSR_E0_NS1_11comp_targetILNS1_3genE4ELNS1_11target_archE910ELNS1_3gpuE8ELNS1_3repE0EEENS1_30default_config_static_selectorELNS0_4arch9wavefront6targetE1EEEvT1_.numbered_sgpr, 0
	.set _ZN7rocprim17ROCPRIM_400000_NS6detail17trampoline_kernelINS0_14default_configENS1_20scan_config_selectorIfEEZZNS1_9scan_implILNS1_25lookback_scan_determinismE0ELb0ELb0ES3_PKfPffZZZN2at6native31launch_logcumsumexp_cuda_kernelERKNSB_10TensorBaseESF_lENKUlvE_clEvENKUlvE0_clEvEUlffE_fEEDaPvRmT3_T4_T5_mT6_P12ihipStream_tbENKUlT_T0_E_clISt17integral_constantIbLb1EESW_EEDaSR_SS_EUlSR_E0_NS1_11comp_targetILNS1_3genE4ELNS1_11target_archE910ELNS1_3gpuE8ELNS1_3repE0EEENS1_30default_config_static_selectorELNS0_4arch9wavefront6targetE1EEEvT1_.num_named_barrier, 0
	.set _ZN7rocprim17ROCPRIM_400000_NS6detail17trampoline_kernelINS0_14default_configENS1_20scan_config_selectorIfEEZZNS1_9scan_implILNS1_25lookback_scan_determinismE0ELb0ELb0ES3_PKfPffZZZN2at6native31launch_logcumsumexp_cuda_kernelERKNSB_10TensorBaseESF_lENKUlvE_clEvENKUlvE0_clEvEUlffE_fEEDaPvRmT3_T4_T5_mT6_P12ihipStream_tbENKUlT_T0_E_clISt17integral_constantIbLb1EESW_EEDaSR_SS_EUlSR_E0_NS1_11comp_targetILNS1_3genE4ELNS1_11target_archE910ELNS1_3gpuE8ELNS1_3repE0EEENS1_30default_config_static_selectorELNS0_4arch9wavefront6targetE1EEEvT1_.private_seg_size, 0
	.set _ZN7rocprim17ROCPRIM_400000_NS6detail17trampoline_kernelINS0_14default_configENS1_20scan_config_selectorIfEEZZNS1_9scan_implILNS1_25lookback_scan_determinismE0ELb0ELb0ES3_PKfPffZZZN2at6native31launch_logcumsumexp_cuda_kernelERKNSB_10TensorBaseESF_lENKUlvE_clEvENKUlvE0_clEvEUlffE_fEEDaPvRmT3_T4_T5_mT6_P12ihipStream_tbENKUlT_T0_E_clISt17integral_constantIbLb1EESW_EEDaSR_SS_EUlSR_E0_NS1_11comp_targetILNS1_3genE4ELNS1_11target_archE910ELNS1_3gpuE8ELNS1_3repE0EEENS1_30default_config_static_selectorELNS0_4arch9wavefront6targetE1EEEvT1_.uses_vcc, 0
	.set _ZN7rocprim17ROCPRIM_400000_NS6detail17trampoline_kernelINS0_14default_configENS1_20scan_config_selectorIfEEZZNS1_9scan_implILNS1_25lookback_scan_determinismE0ELb0ELb0ES3_PKfPffZZZN2at6native31launch_logcumsumexp_cuda_kernelERKNSB_10TensorBaseESF_lENKUlvE_clEvENKUlvE0_clEvEUlffE_fEEDaPvRmT3_T4_T5_mT6_P12ihipStream_tbENKUlT_T0_E_clISt17integral_constantIbLb1EESW_EEDaSR_SS_EUlSR_E0_NS1_11comp_targetILNS1_3genE4ELNS1_11target_archE910ELNS1_3gpuE8ELNS1_3repE0EEENS1_30default_config_static_selectorELNS0_4arch9wavefront6targetE1EEEvT1_.uses_flat_scratch, 0
	.set _ZN7rocprim17ROCPRIM_400000_NS6detail17trampoline_kernelINS0_14default_configENS1_20scan_config_selectorIfEEZZNS1_9scan_implILNS1_25lookback_scan_determinismE0ELb0ELb0ES3_PKfPffZZZN2at6native31launch_logcumsumexp_cuda_kernelERKNSB_10TensorBaseESF_lENKUlvE_clEvENKUlvE0_clEvEUlffE_fEEDaPvRmT3_T4_T5_mT6_P12ihipStream_tbENKUlT_T0_E_clISt17integral_constantIbLb1EESW_EEDaSR_SS_EUlSR_E0_NS1_11comp_targetILNS1_3genE4ELNS1_11target_archE910ELNS1_3gpuE8ELNS1_3repE0EEENS1_30default_config_static_selectorELNS0_4arch9wavefront6targetE1EEEvT1_.has_dyn_sized_stack, 0
	.set _ZN7rocprim17ROCPRIM_400000_NS6detail17trampoline_kernelINS0_14default_configENS1_20scan_config_selectorIfEEZZNS1_9scan_implILNS1_25lookback_scan_determinismE0ELb0ELb0ES3_PKfPffZZZN2at6native31launch_logcumsumexp_cuda_kernelERKNSB_10TensorBaseESF_lENKUlvE_clEvENKUlvE0_clEvEUlffE_fEEDaPvRmT3_T4_T5_mT6_P12ihipStream_tbENKUlT_T0_E_clISt17integral_constantIbLb1EESW_EEDaSR_SS_EUlSR_E0_NS1_11comp_targetILNS1_3genE4ELNS1_11target_archE910ELNS1_3gpuE8ELNS1_3repE0EEENS1_30default_config_static_selectorELNS0_4arch9wavefront6targetE1EEEvT1_.has_recursion, 0
	.set _ZN7rocprim17ROCPRIM_400000_NS6detail17trampoline_kernelINS0_14default_configENS1_20scan_config_selectorIfEEZZNS1_9scan_implILNS1_25lookback_scan_determinismE0ELb0ELb0ES3_PKfPffZZZN2at6native31launch_logcumsumexp_cuda_kernelERKNSB_10TensorBaseESF_lENKUlvE_clEvENKUlvE0_clEvEUlffE_fEEDaPvRmT3_T4_T5_mT6_P12ihipStream_tbENKUlT_T0_E_clISt17integral_constantIbLb1EESW_EEDaSR_SS_EUlSR_E0_NS1_11comp_targetILNS1_3genE4ELNS1_11target_archE910ELNS1_3gpuE8ELNS1_3repE0EEENS1_30default_config_static_selectorELNS0_4arch9wavefront6targetE1EEEvT1_.has_indirect_call, 0
	.section	.AMDGPU.csdata,"",@progbits
; Kernel info:
; codeLenInByte = 0
; TotalNumSgprs: 6
; NumVgprs: 0
; NumAgprs: 0
; TotalNumVgprs: 0
; ScratchSize: 0
; MemoryBound: 0
; FloatMode: 240
; IeeeMode: 1
; LDSByteSize: 0 bytes/workgroup (compile time only)
; SGPRBlocks: 0
; VGPRBlocks: 0
; NumSGPRsForWavesPerEU: 6
; NumVGPRsForWavesPerEU: 1
; AccumOffset: 4
; Occupancy: 8
; WaveLimiterHint : 0
; COMPUTE_PGM_RSRC2:SCRATCH_EN: 0
; COMPUTE_PGM_RSRC2:USER_SGPR: 2
; COMPUTE_PGM_RSRC2:TRAP_HANDLER: 0
; COMPUTE_PGM_RSRC2:TGID_X_EN: 1
; COMPUTE_PGM_RSRC2:TGID_Y_EN: 0
; COMPUTE_PGM_RSRC2:TGID_Z_EN: 0
; COMPUTE_PGM_RSRC2:TIDIG_COMP_CNT: 0
; COMPUTE_PGM_RSRC3_GFX90A:ACCUM_OFFSET: 0
; COMPUTE_PGM_RSRC3_GFX90A:TG_SPLIT: 0
	.section	.text._ZN7rocprim17ROCPRIM_400000_NS6detail17trampoline_kernelINS0_14default_configENS1_20scan_config_selectorIfEEZZNS1_9scan_implILNS1_25lookback_scan_determinismE0ELb0ELb0ES3_PKfPffZZZN2at6native31launch_logcumsumexp_cuda_kernelERKNSB_10TensorBaseESF_lENKUlvE_clEvENKUlvE0_clEvEUlffE_fEEDaPvRmT3_T4_T5_mT6_P12ihipStream_tbENKUlT_T0_E_clISt17integral_constantIbLb1EESW_EEDaSR_SS_EUlSR_E0_NS1_11comp_targetILNS1_3genE3ELNS1_11target_archE908ELNS1_3gpuE7ELNS1_3repE0EEENS1_30default_config_static_selectorELNS0_4arch9wavefront6targetE1EEEvT1_,"axG",@progbits,_ZN7rocprim17ROCPRIM_400000_NS6detail17trampoline_kernelINS0_14default_configENS1_20scan_config_selectorIfEEZZNS1_9scan_implILNS1_25lookback_scan_determinismE0ELb0ELb0ES3_PKfPffZZZN2at6native31launch_logcumsumexp_cuda_kernelERKNSB_10TensorBaseESF_lENKUlvE_clEvENKUlvE0_clEvEUlffE_fEEDaPvRmT3_T4_T5_mT6_P12ihipStream_tbENKUlT_T0_E_clISt17integral_constantIbLb1EESW_EEDaSR_SS_EUlSR_E0_NS1_11comp_targetILNS1_3genE3ELNS1_11target_archE908ELNS1_3gpuE7ELNS1_3repE0EEENS1_30default_config_static_selectorELNS0_4arch9wavefront6targetE1EEEvT1_,comdat
	.globl	_ZN7rocprim17ROCPRIM_400000_NS6detail17trampoline_kernelINS0_14default_configENS1_20scan_config_selectorIfEEZZNS1_9scan_implILNS1_25lookback_scan_determinismE0ELb0ELb0ES3_PKfPffZZZN2at6native31launch_logcumsumexp_cuda_kernelERKNSB_10TensorBaseESF_lENKUlvE_clEvENKUlvE0_clEvEUlffE_fEEDaPvRmT3_T4_T5_mT6_P12ihipStream_tbENKUlT_T0_E_clISt17integral_constantIbLb1EESW_EEDaSR_SS_EUlSR_E0_NS1_11comp_targetILNS1_3genE3ELNS1_11target_archE908ELNS1_3gpuE7ELNS1_3repE0EEENS1_30default_config_static_selectorELNS0_4arch9wavefront6targetE1EEEvT1_ ; -- Begin function _ZN7rocprim17ROCPRIM_400000_NS6detail17trampoline_kernelINS0_14default_configENS1_20scan_config_selectorIfEEZZNS1_9scan_implILNS1_25lookback_scan_determinismE0ELb0ELb0ES3_PKfPffZZZN2at6native31launch_logcumsumexp_cuda_kernelERKNSB_10TensorBaseESF_lENKUlvE_clEvENKUlvE0_clEvEUlffE_fEEDaPvRmT3_T4_T5_mT6_P12ihipStream_tbENKUlT_T0_E_clISt17integral_constantIbLb1EESW_EEDaSR_SS_EUlSR_E0_NS1_11comp_targetILNS1_3genE3ELNS1_11target_archE908ELNS1_3gpuE7ELNS1_3repE0EEENS1_30default_config_static_selectorELNS0_4arch9wavefront6targetE1EEEvT1_
	.p2align	8
	.type	_ZN7rocprim17ROCPRIM_400000_NS6detail17trampoline_kernelINS0_14default_configENS1_20scan_config_selectorIfEEZZNS1_9scan_implILNS1_25lookback_scan_determinismE0ELb0ELb0ES3_PKfPffZZZN2at6native31launch_logcumsumexp_cuda_kernelERKNSB_10TensorBaseESF_lENKUlvE_clEvENKUlvE0_clEvEUlffE_fEEDaPvRmT3_T4_T5_mT6_P12ihipStream_tbENKUlT_T0_E_clISt17integral_constantIbLb1EESW_EEDaSR_SS_EUlSR_E0_NS1_11comp_targetILNS1_3genE3ELNS1_11target_archE908ELNS1_3gpuE7ELNS1_3repE0EEENS1_30default_config_static_selectorELNS0_4arch9wavefront6targetE1EEEvT1_,@function
_ZN7rocprim17ROCPRIM_400000_NS6detail17trampoline_kernelINS0_14default_configENS1_20scan_config_selectorIfEEZZNS1_9scan_implILNS1_25lookback_scan_determinismE0ELb0ELb0ES3_PKfPffZZZN2at6native31launch_logcumsumexp_cuda_kernelERKNSB_10TensorBaseESF_lENKUlvE_clEvENKUlvE0_clEvEUlffE_fEEDaPvRmT3_T4_T5_mT6_P12ihipStream_tbENKUlT_T0_E_clISt17integral_constantIbLb1EESW_EEDaSR_SS_EUlSR_E0_NS1_11comp_targetILNS1_3genE3ELNS1_11target_archE908ELNS1_3gpuE7ELNS1_3repE0EEENS1_30default_config_static_selectorELNS0_4arch9wavefront6targetE1EEEvT1_: ; @_ZN7rocprim17ROCPRIM_400000_NS6detail17trampoline_kernelINS0_14default_configENS1_20scan_config_selectorIfEEZZNS1_9scan_implILNS1_25lookback_scan_determinismE0ELb0ELb0ES3_PKfPffZZZN2at6native31launch_logcumsumexp_cuda_kernelERKNSB_10TensorBaseESF_lENKUlvE_clEvENKUlvE0_clEvEUlffE_fEEDaPvRmT3_T4_T5_mT6_P12ihipStream_tbENKUlT_T0_E_clISt17integral_constantIbLb1EESW_EEDaSR_SS_EUlSR_E0_NS1_11comp_targetILNS1_3genE3ELNS1_11target_archE908ELNS1_3gpuE7ELNS1_3repE0EEENS1_30default_config_static_selectorELNS0_4arch9wavefront6targetE1EEEvT1_
; %bb.0:
	.section	.rodata,"a",@progbits
	.p2align	6, 0x0
	.amdhsa_kernel _ZN7rocprim17ROCPRIM_400000_NS6detail17trampoline_kernelINS0_14default_configENS1_20scan_config_selectorIfEEZZNS1_9scan_implILNS1_25lookback_scan_determinismE0ELb0ELb0ES3_PKfPffZZZN2at6native31launch_logcumsumexp_cuda_kernelERKNSB_10TensorBaseESF_lENKUlvE_clEvENKUlvE0_clEvEUlffE_fEEDaPvRmT3_T4_T5_mT6_P12ihipStream_tbENKUlT_T0_E_clISt17integral_constantIbLb1EESW_EEDaSR_SS_EUlSR_E0_NS1_11comp_targetILNS1_3genE3ELNS1_11target_archE908ELNS1_3gpuE7ELNS1_3repE0EEENS1_30default_config_static_selectorELNS0_4arch9wavefront6targetE1EEEvT1_
		.amdhsa_group_segment_fixed_size 0
		.amdhsa_private_segment_fixed_size 0
		.amdhsa_kernarg_size 32
		.amdhsa_user_sgpr_count 2
		.amdhsa_user_sgpr_dispatch_ptr 0
		.amdhsa_user_sgpr_queue_ptr 0
		.amdhsa_user_sgpr_kernarg_segment_ptr 1
		.amdhsa_user_sgpr_dispatch_id 0
		.amdhsa_user_sgpr_kernarg_preload_length 0
		.amdhsa_user_sgpr_kernarg_preload_offset 0
		.amdhsa_user_sgpr_private_segment_size 0
		.amdhsa_uses_dynamic_stack 0
		.amdhsa_enable_private_segment 0
		.amdhsa_system_sgpr_workgroup_id_x 1
		.amdhsa_system_sgpr_workgroup_id_y 0
		.amdhsa_system_sgpr_workgroup_id_z 0
		.amdhsa_system_sgpr_workgroup_info 0
		.amdhsa_system_vgpr_workitem_id 0
		.amdhsa_next_free_vgpr 1
		.amdhsa_next_free_sgpr 0
		.amdhsa_accum_offset 4
		.amdhsa_reserve_vcc 0
		.amdhsa_float_round_mode_32 0
		.amdhsa_float_round_mode_16_64 0
		.amdhsa_float_denorm_mode_32 3
		.amdhsa_float_denorm_mode_16_64 3
		.amdhsa_dx10_clamp 1
		.amdhsa_ieee_mode 1
		.amdhsa_fp16_overflow 0
		.amdhsa_tg_split 0
		.amdhsa_exception_fp_ieee_invalid_op 0
		.amdhsa_exception_fp_denorm_src 0
		.amdhsa_exception_fp_ieee_div_zero 0
		.amdhsa_exception_fp_ieee_overflow 0
		.amdhsa_exception_fp_ieee_underflow 0
		.amdhsa_exception_fp_ieee_inexact 0
		.amdhsa_exception_int_div_zero 0
	.end_amdhsa_kernel
	.section	.text._ZN7rocprim17ROCPRIM_400000_NS6detail17trampoline_kernelINS0_14default_configENS1_20scan_config_selectorIfEEZZNS1_9scan_implILNS1_25lookback_scan_determinismE0ELb0ELb0ES3_PKfPffZZZN2at6native31launch_logcumsumexp_cuda_kernelERKNSB_10TensorBaseESF_lENKUlvE_clEvENKUlvE0_clEvEUlffE_fEEDaPvRmT3_T4_T5_mT6_P12ihipStream_tbENKUlT_T0_E_clISt17integral_constantIbLb1EESW_EEDaSR_SS_EUlSR_E0_NS1_11comp_targetILNS1_3genE3ELNS1_11target_archE908ELNS1_3gpuE7ELNS1_3repE0EEENS1_30default_config_static_selectorELNS0_4arch9wavefront6targetE1EEEvT1_,"axG",@progbits,_ZN7rocprim17ROCPRIM_400000_NS6detail17trampoline_kernelINS0_14default_configENS1_20scan_config_selectorIfEEZZNS1_9scan_implILNS1_25lookback_scan_determinismE0ELb0ELb0ES3_PKfPffZZZN2at6native31launch_logcumsumexp_cuda_kernelERKNSB_10TensorBaseESF_lENKUlvE_clEvENKUlvE0_clEvEUlffE_fEEDaPvRmT3_T4_T5_mT6_P12ihipStream_tbENKUlT_T0_E_clISt17integral_constantIbLb1EESW_EEDaSR_SS_EUlSR_E0_NS1_11comp_targetILNS1_3genE3ELNS1_11target_archE908ELNS1_3gpuE7ELNS1_3repE0EEENS1_30default_config_static_selectorELNS0_4arch9wavefront6targetE1EEEvT1_,comdat
.Lfunc_end127:
	.size	_ZN7rocprim17ROCPRIM_400000_NS6detail17trampoline_kernelINS0_14default_configENS1_20scan_config_selectorIfEEZZNS1_9scan_implILNS1_25lookback_scan_determinismE0ELb0ELb0ES3_PKfPffZZZN2at6native31launch_logcumsumexp_cuda_kernelERKNSB_10TensorBaseESF_lENKUlvE_clEvENKUlvE0_clEvEUlffE_fEEDaPvRmT3_T4_T5_mT6_P12ihipStream_tbENKUlT_T0_E_clISt17integral_constantIbLb1EESW_EEDaSR_SS_EUlSR_E0_NS1_11comp_targetILNS1_3genE3ELNS1_11target_archE908ELNS1_3gpuE7ELNS1_3repE0EEENS1_30default_config_static_selectorELNS0_4arch9wavefront6targetE1EEEvT1_, .Lfunc_end127-_ZN7rocprim17ROCPRIM_400000_NS6detail17trampoline_kernelINS0_14default_configENS1_20scan_config_selectorIfEEZZNS1_9scan_implILNS1_25lookback_scan_determinismE0ELb0ELb0ES3_PKfPffZZZN2at6native31launch_logcumsumexp_cuda_kernelERKNSB_10TensorBaseESF_lENKUlvE_clEvENKUlvE0_clEvEUlffE_fEEDaPvRmT3_T4_T5_mT6_P12ihipStream_tbENKUlT_T0_E_clISt17integral_constantIbLb1EESW_EEDaSR_SS_EUlSR_E0_NS1_11comp_targetILNS1_3genE3ELNS1_11target_archE908ELNS1_3gpuE7ELNS1_3repE0EEENS1_30default_config_static_selectorELNS0_4arch9wavefront6targetE1EEEvT1_
                                        ; -- End function
	.set _ZN7rocprim17ROCPRIM_400000_NS6detail17trampoline_kernelINS0_14default_configENS1_20scan_config_selectorIfEEZZNS1_9scan_implILNS1_25lookback_scan_determinismE0ELb0ELb0ES3_PKfPffZZZN2at6native31launch_logcumsumexp_cuda_kernelERKNSB_10TensorBaseESF_lENKUlvE_clEvENKUlvE0_clEvEUlffE_fEEDaPvRmT3_T4_T5_mT6_P12ihipStream_tbENKUlT_T0_E_clISt17integral_constantIbLb1EESW_EEDaSR_SS_EUlSR_E0_NS1_11comp_targetILNS1_3genE3ELNS1_11target_archE908ELNS1_3gpuE7ELNS1_3repE0EEENS1_30default_config_static_selectorELNS0_4arch9wavefront6targetE1EEEvT1_.num_vgpr, 0
	.set _ZN7rocprim17ROCPRIM_400000_NS6detail17trampoline_kernelINS0_14default_configENS1_20scan_config_selectorIfEEZZNS1_9scan_implILNS1_25lookback_scan_determinismE0ELb0ELb0ES3_PKfPffZZZN2at6native31launch_logcumsumexp_cuda_kernelERKNSB_10TensorBaseESF_lENKUlvE_clEvENKUlvE0_clEvEUlffE_fEEDaPvRmT3_T4_T5_mT6_P12ihipStream_tbENKUlT_T0_E_clISt17integral_constantIbLb1EESW_EEDaSR_SS_EUlSR_E0_NS1_11comp_targetILNS1_3genE3ELNS1_11target_archE908ELNS1_3gpuE7ELNS1_3repE0EEENS1_30default_config_static_selectorELNS0_4arch9wavefront6targetE1EEEvT1_.num_agpr, 0
	.set _ZN7rocprim17ROCPRIM_400000_NS6detail17trampoline_kernelINS0_14default_configENS1_20scan_config_selectorIfEEZZNS1_9scan_implILNS1_25lookback_scan_determinismE0ELb0ELb0ES3_PKfPffZZZN2at6native31launch_logcumsumexp_cuda_kernelERKNSB_10TensorBaseESF_lENKUlvE_clEvENKUlvE0_clEvEUlffE_fEEDaPvRmT3_T4_T5_mT6_P12ihipStream_tbENKUlT_T0_E_clISt17integral_constantIbLb1EESW_EEDaSR_SS_EUlSR_E0_NS1_11comp_targetILNS1_3genE3ELNS1_11target_archE908ELNS1_3gpuE7ELNS1_3repE0EEENS1_30default_config_static_selectorELNS0_4arch9wavefront6targetE1EEEvT1_.numbered_sgpr, 0
	.set _ZN7rocprim17ROCPRIM_400000_NS6detail17trampoline_kernelINS0_14default_configENS1_20scan_config_selectorIfEEZZNS1_9scan_implILNS1_25lookback_scan_determinismE0ELb0ELb0ES3_PKfPffZZZN2at6native31launch_logcumsumexp_cuda_kernelERKNSB_10TensorBaseESF_lENKUlvE_clEvENKUlvE0_clEvEUlffE_fEEDaPvRmT3_T4_T5_mT6_P12ihipStream_tbENKUlT_T0_E_clISt17integral_constantIbLb1EESW_EEDaSR_SS_EUlSR_E0_NS1_11comp_targetILNS1_3genE3ELNS1_11target_archE908ELNS1_3gpuE7ELNS1_3repE0EEENS1_30default_config_static_selectorELNS0_4arch9wavefront6targetE1EEEvT1_.num_named_barrier, 0
	.set _ZN7rocprim17ROCPRIM_400000_NS6detail17trampoline_kernelINS0_14default_configENS1_20scan_config_selectorIfEEZZNS1_9scan_implILNS1_25lookback_scan_determinismE0ELb0ELb0ES3_PKfPffZZZN2at6native31launch_logcumsumexp_cuda_kernelERKNSB_10TensorBaseESF_lENKUlvE_clEvENKUlvE0_clEvEUlffE_fEEDaPvRmT3_T4_T5_mT6_P12ihipStream_tbENKUlT_T0_E_clISt17integral_constantIbLb1EESW_EEDaSR_SS_EUlSR_E0_NS1_11comp_targetILNS1_3genE3ELNS1_11target_archE908ELNS1_3gpuE7ELNS1_3repE0EEENS1_30default_config_static_selectorELNS0_4arch9wavefront6targetE1EEEvT1_.private_seg_size, 0
	.set _ZN7rocprim17ROCPRIM_400000_NS6detail17trampoline_kernelINS0_14default_configENS1_20scan_config_selectorIfEEZZNS1_9scan_implILNS1_25lookback_scan_determinismE0ELb0ELb0ES3_PKfPffZZZN2at6native31launch_logcumsumexp_cuda_kernelERKNSB_10TensorBaseESF_lENKUlvE_clEvENKUlvE0_clEvEUlffE_fEEDaPvRmT3_T4_T5_mT6_P12ihipStream_tbENKUlT_T0_E_clISt17integral_constantIbLb1EESW_EEDaSR_SS_EUlSR_E0_NS1_11comp_targetILNS1_3genE3ELNS1_11target_archE908ELNS1_3gpuE7ELNS1_3repE0EEENS1_30default_config_static_selectorELNS0_4arch9wavefront6targetE1EEEvT1_.uses_vcc, 0
	.set _ZN7rocprim17ROCPRIM_400000_NS6detail17trampoline_kernelINS0_14default_configENS1_20scan_config_selectorIfEEZZNS1_9scan_implILNS1_25lookback_scan_determinismE0ELb0ELb0ES3_PKfPffZZZN2at6native31launch_logcumsumexp_cuda_kernelERKNSB_10TensorBaseESF_lENKUlvE_clEvENKUlvE0_clEvEUlffE_fEEDaPvRmT3_T4_T5_mT6_P12ihipStream_tbENKUlT_T0_E_clISt17integral_constantIbLb1EESW_EEDaSR_SS_EUlSR_E0_NS1_11comp_targetILNS1_3genE3ELNS1_11target_archE908ELNS1_3gpuE7ELNS1_3repE0EEENS1_30default_config_static_selectorELNS0_4arch9wavefront6targetE1EEEvT1_.uses_flat_scratch, 0
	.set _ZN7rocprim17ROCPRIM_400000_NS6detail17trampoline_kernelINS0_14default_configENS1_20scan_config_selectorIfEEZZNS1_9scan_implILNS1_25lookback_scan_determinismE0ELb0ELb0ES3_PKfPffZZZN2at6native31launch_logcumsumexp_cuda_kernelERKNSB_10TensorBaseESF_lENKUlvE_clEvENKUlvE0_clEvEUlffE_fEEDaPvRmT3_T4_T5_mT6_P12ihipStream_tbENKUlT_T0_E_clISt17integral_constantIbLb1EESW_EEDaSR_SS_EUlSR_E0_NS1_11comp_targetILNS1_3genE3ELNS1_11target_archE908ELNS1_3gpuE7ELNS1_3repE0EEENS1_30default_config_static_selectorELNS0_4arch9wavefront6targetE1EEEvT1_.has_dyn_sized_stack, 0
	.set _ZN7rocprim17ROCPRIM_400000_NS6detail17trampoline_kernelINS0_14default_configENS1_20scan_config_selectorIfEEZZNS1_9scan_implILNS1_25lookback_scan_determinismE0ELb0ELb0ES3_PKfPffZZZN2at6native31launch_logcumsumexp_cuda_kernelERKNSB_10TensorBaseESF_lENKUlvE_clEvENKUlvE0_clEvEUlffE_fEEDaPvRmT3_T4_T5_mT6_P12ihipStream_tbENKUlT_T0_E_clISt17integral_constantIbLb1EESW_EEDaSR_SS_EUlSR_E0_NS1_11comp_targetILNS1_3genE3ELNS1_11target_archE908ELNS1_3gpuE7ELNS1_3repE0EEENS1_30default_config_static_selectorELNS0_4arch9wavefront6targetE1EEEvT1_.has_recursion, 0
	.set _ZN7rocprim17ROCPRIM_400000_NS6detail17trampoline_kernelINS0_14default_configENS1_20scan_config_selectorIfEEZZNS1_9scan_implILNS1_25lookback_scan_determinismE0ELb0ELb0ES3_PKfPffZZZN2at6native31launch_logcumsumexp_cuda_kernelERKNSB_10TensorBaseESF_lENKUlvE_clEvENKUlvE0_clEvEUlffE_fEEDaPvRmT3_T4_T5_mT6_P12ihipStream_tbENKUlT_T0_E_clISt17integral_constantIbLb1EESW_EEDaSR_SS_EUlSR_E0_NS1_11comp_targetILNS1_3genE3ELNS1_11target_archE908ELNS1_3gpuE7ELNS1_3repE0EEENS1_30default_config_static_selectorELNS0_4arch9wavefront6targetE1EEEvT1_.has_indirect_call, 0
	.section	.AMDGPU.csdata,"",@progbits
; Kernel info:
; codeLenInByte = 0
; TotalNumSgprs: 6
; NumVgprs: 0
; NumAgprs: 0
; TotalNumVgprs: 0
; ScratchSize: 0
; MemoryBound: 0
; FloatMode: 240
; IeeeMode: 1
; LDSByteSize: 0 bytes/workgroup (compile time only)
; SGPRBlocks: 0
; VGPRBlocks: 0
; NumSGPRsForWavesPerEU: 6
; NumVGPRsForWavesPerEU: 1
; AccumOffset: 4
; Occupancy: 8
; WaveLimiterHint : 0
; COMPUTE_PGM_RSRC2:SCRATCH_EN: 0
; COMPUTE_PGM_RSRC2:USER_SGPR: 2
; COMPUTE_PGM_RSRC2:TRAP_HANDLER: 0
; COMPUTE_PGM_RSRC2:TGID_X_EN: 1
; COMPUTE_PGM_RSRC2:TGID_Y_EN: 0
; COMPUTE_PGM_RSRC2:TGID_Z_EN: 0
; COMPUTE_PGM_RSRC2:TIDIG_COMP_CNT: 0
; COMPUTE_PGM_RSRC3_GFX90A:ACCUM_OFFSET: 0
; COMPUTE_PGM_RSRC3_GFX90A:TG_SPLIT: 0
	.section	.text._ZN7rocprim17ROCPRIM_400000_NS6detail17trampoline_kernelINS0_14default_configENS1_20scan_config_selectorIfEEZZNS1_9scan_implILNS1_25lookback_scan_determinismE0ELb0ELb0ES3_PKfPffZZZN2at6native31launch_logcumsumexp_cuda_kernelERKNSB_10TensorBaseESF_lENKUlvE_clEvENKUlvE0_clEvEUlffE_fEEDaPvRmT3_T4_T5_mT6_P12ihipStream_tbENKUlT_T0_E_clISt17integral_constantIbLb1EESW_EEDaSR_SS_EUlSR_E0_NS1_11comp_targetILNS1_3genE2ELNS1_11target_archE906ELNS1_3gpuE6ELNS1_3repE0EEENS1_30default_config_static_selectorELNS0_4arch9wavefront6targetE1EEEvT1_,"axG",@progbits,_ZN7rocprim17ROCPRIM_400000_NS6detail17trampoline_kernelINS0_14default_configENS1_20scan_config_selectorIfEEZZNS1_9scan_implILNS1_25lookback_scan_determinismE0ELb0ELb0ES3_PKfPffZZZN2at6native31launch_logcumsumexp_cuda_kernelERKNSB_10TensorBaseESF_lENKUlvE_clEvENKUlvE0_clEvEUlffE_fEEDaPvRmT3_T4_T5_mT6_P12ihipStream_tbENKUlT_T0_E_clISt17integral_constantIbLb1EESW_EEDaSR_SS_EUlSR_E0_NS1_11comp_targetILNS1_3genE2ELNS1_11target_archE906ELNS1_3gpuE6ELNS1_3repE0EEENS1_30default_config_static_selectorELNS0_4arch9wavefront6targetE1EEEvT1_,comdat
	.globl	_ZN7rocprim17ROCPRIM_400000_NS6detail17trampoline_kernelINS0_14default_configENS1_20scan_config_selectorIfEEZZNS1_9scan_implILNS1_25lookback_scan_determinismE0ELb0ELb0ES3_PKfPffZZZN2at6native31launch_logcumsumexp_cuda_kernelERKNSB_10TensorBaseESF_lENKUlvE_clEvENKUlvE0_clEvEUlffE_fEEDaPvRmT3_T4_T5_mT6_P12ihipStream_tbENKUlT_T0_E_clISt17integral_constantIbLb1EESW_EEDaSR_SS_EUlSR_E0_NS1_11comp_targetILNS1_3genE2ELNS1_11target_archE906ELNS1_3gpuE6ELNS1_3repE0EEENS1_30default_config_static_selectorELNS0_4arch9wavefront6targetE1EEEvT1_ ; -- Begin function _ZN7rocprim17ROCPRIM_400000_NS6detail17trampoline_kernelINS0_14default_configENS1_20scan_config_selectorIfEEZZNS1_9scan_implILNS1_25lookback_scan_determinismE0ELb0ELb0ES3_PKfPffZZZN2at6native31launch_logcumsumexp_cuda_kernelERKNSB_10TensorBaseESF_lENKUlvE_clEvENKUlvE0_clEvEUlffE_fEEDaPvRmT3_T4_T5_mT6_P12ihipStream_tbENKUlT_T0_E_clISt17integral_constantIbLb1EESW_EEDaSR_SS_EUlSR_E0_NS1_11comp_targetILNS1_3genE2ELNS1_11target_archE906ELNS1_3gpuE6ELNS1_3repE0EEENS1_30default_config_static_selectorELNS0_4arch9wavefront6targetE1EEEvT1_
	.p2align	8
	.type	_ZN7rocprim17ROCPRIM_400000_NS6detail17trampoline_kernelINS0_14default_configENS1_20scan_config_selectorIfEEZZNS1_9scan_implILNS1_25lookback_scan_determinismE0ELb0ELb0ES3_PKfPffZZZN2at6native31launch_logcumsumexp_cuda_kernelERKNSB_10TensorBaseESF_lENKUlvE_clEvENKUlvE0_clEvEUlffE_fEEDaPvRmT3_T4_T5_mT6_P12ihipStream_tbENKUlT_T0_E_clISt17integral_constantIbLb1EESW_EEDaSR_SS_EUlSR_E0_NS1_11comp_targetILNS1_3genE2ELNS1_11target_archE906ELNS1_3gpuE6ELNS1_3repE0EEENS1_30default_config_static_selectorELNS0_4arch9wavefront6targetE1EEEvT1_,@function
_ZN7rocprim17ROCPRIM_400000_NS6detail17trampoline_kernelINS0_14default_configENS1_20scan_config_selectorIfEEZZNS1_9scan_implILNS1_25lookback_scan_determinismE0ELb0ELb0ES3_PKfPffZZZN2at6native31launch_logcumsumexp_cuda_kernelERKNSB_10TensorBaseESF_lENKUlvE_clEvENKUlvE0_clEvEUlffE_fEEDaPvRmT3_T4_T5_mT6_P12ihipStream_tbENKUlT_T0_E_clISt17integral_constantIbLb1EESW_EEDaSR_SS_EUlSR_E0_NS1_11comp_targetILNS1_3genE2ELNS1_11target_archE906ELNS1_3gpuE6ELNS1_3repE0EEENS1_30default_config_static_selectorELNS0_4arch9wavefront6targetE1EEEvT1_: ; @_ZN7rocprim17ROCPRIM_400000_NS6detail17trampoline_kernelINS0_14default_configENS1_20scan_config_selectorIfEEZZNS1_9scan_implILNS1_25lookback_scan_determinismE0ELb0ELb0ES3_PKfPffZZZN2at6native31launch_logcumsumexp_cuda_kernelERKNSB_10TensorBaseESF_lENKUlvE_clEvENKUlvE0_clEvEUlffE_fEEDaPvRmT3_T4_T5_mT6_P12ihipStream_tbENKUlT_T0_E_clISt17integral_constantIbLb1EESW_EEDaSR_SS_EUlSR_E0_NS1_11comp_targetILNS1_3genE2ELNS1_11target_archE906ELNS1_3gpuE6ELNS1_3repE0EEENS1_30default_config_static_selectorELNS0_4arch9wavefront6targetE1EEEvT1_
; %bb.0:
	.section	.rodata,"a",@progbits
	.p2align	6, 0x0
	.amdhsa_kernel _ZN7rocprim17ROCPRIM_400000_NS6detail17trampoline_kernelINS0_14default_configENS1_20scan_config_selectorIfEEZZNS1_9scan_implILNS1_25lookback_scan_determinismE0ELb0ELb0ES3_PKfPffZZZN2at6native31launch_logcumsumexp_cuda_kernelERKNSB_10TensorBaseESF_lENKUlvE_clEvENKUlvE0_clEvEUlffE_fEEDaPvRmT3_T4_T5_mT6_P12ihipStream_tbENKUlT_T0_E_clISt17integral_constantIbLb1EESW_EEDaSR_SS_EUlSR_E0_NS1_11comp_targetILNS1_3genE2ELNS1_11target_archE906ELNS1_3gpuE6ELNS1_3repE0EEENS1_30default_config_static_selectorELNS0_4arch9wavefront6targetE1EEEvT1_
		.amdhsa_group_segment_fixed_size 0
		.amdhsa_private_segment_fixed_size 0
		.amdhsa_kernarg_size 32
		.amdhsa_user_sgpr_count 2
		.amdhsa_user_sgpr_dispatch_ptr 0
		.amdhsa_user_sgpr_queue_ptr 0
		.amdhsa_user_sgpr_kernarg_segment_ptr 1
		.amdhsa_user_sgpr_dispatch_id 0
		.amdhsa_user_sgpr_kernarg_preload_length 0
		.amdhsa_user_sgpr_kernarg_preload_offset 0
		.amdhsa_user_sgpr_private_segment_size 0
		.amdhsa_uses_dynamic_stack 0
		.amdhsa_enable_private_segment 0
		.amdhsa_system_sgpr_workgroup_id_x 1
		.amdhsa_system_sgpr_workgroup_id_y 0
		.amdhsa_system_sgpr_workgroup_id_z 0
		.amdhsa_system_sgpr_workgroup_info 0
		.amdhsa_system_vgpr_workitem_id 0
		.amdhsa_next_free_vgpr 1
		.amdhsa_next_free_sgpr 0
		.amdhsa_accum_offset 4
		.amdhsa_reserve_vcc 0
		.amdhsa_float_round_mode_32 0
		.amdhsa_float_round_mode_16_64 0
		.amdhsa_float_denorm_mode_32 3
		.amdhsa_float_denorm_mode_16_64 3
		.amdhsa_dx10_clamp 1
		.amdhsa_ieee_mode 1
		.amdhsa_fp16_overflow 0
		.amdhsa_tg_split 0
		.amdhsa_exception_fp_ieee_invalid_op 0
		.amdhsa_exception_fp_denorm_src 0
		.amdhsa_exception_fp_ieee_div_zero 0
		.amdhsa_exception_fp_ieee_overflow 0
		.amdhsa_exception_fp_ieee_underflow 0
		.amdhsa_exception_fp_ieee_inexact 0
		.amdhsa_exception_int_div_zero 0
	.end_amdhsa_kernel
	.section	.text._ZN7rocprim17ROCPRIM_400000_NS6detail17trampoline_kernelINS0_14default_configENS1_20scan_config_selectorIfEEZZNS1_9scan_implILNS1_25lookback_scan_determinismE0ELb0ELb0ES3_PKfPffZZZN2at6native31launch_logcumsumexp_cuda_kernelERKNSB_10TensorBaseESF_lENKUlvE_clEvENKUlvE0_clEvEUlffE_fEEDaPvRmT3_T4_T5_mT6_P12ihipStream_tbENKUlT_T0_E_clISt17integral_constantIbLb1EESW_EEDaSR_SS_EUlSR_E0_NS1_11comp_targetILNS1_3genE2ELNS1_11target_archE906ELNS1_3gpuE6ELNS1_3repE0EEENS1_30default_config_static_selectorELNS0_4arch9wavefront6targetE1EEEvT1_,"axG",@progbits,_ZN7rocprim17ROCPRIM_400000_NS6detail17trampoline_kernelINS0_14default_configENS1_20scan_config_selectorIfEEZZNS1_9scan_implILNS1_25lookback_scan_determinismE0ELb0ELb0ES3_PKfPffZZZN2at6native31launch_logcumsumexp_cuda_kernelERKNSB_10TensorBaseESF_lENKUlvE_clEvENKUlvE0_clEvEUlffE_fEEDaPvRmT3_T4_T5_mT6_P12ihipStream_tbENKUlT_T0_E_clISt17integral_constantIbLb1EESW_EEDaSR_SS_EUlSR_E0_NS1_11comp_targetILNS1_3genE2ELNS1_11target_archE906ELNS1_3gpuE6ELNS1_3repE0EEENS1_30default_config_static_selectorELNS0_4arch9wavefront6targetE1EEEvT1_,comdat
.Lfunc_end128:
	.size	_ZN7rocprim17ROCPRIM_400000_NS6detail17trampoline_kernelINS0_14default_configENS1_20scan_config_selectorIfEEZZNS1_9scan_implILNS1_25lookback_scan_determinismE0ELb0ELb0ES3_PKfPffZZZN2at6native31launch_logcumsumexp_cuda_kernelERKNSB_10TensorBaseESF_lENKUlvE_clEvENKUlvE0_clEvEUlffE_fEEDaPvRmT3_T4_T5_mT6_P12ihipStream_tbENKUlT_T0_E_clISt17integral_constantIbLb1EESW_EEDaSR_SS_EUlSR_E0_NS1_11comp_targetILNS1_3genE2ELNS1_11target_archE906ELNS1_3gpuE6ELNS1_3repE0EEENS1_30default_config_static_selectorELNS0_4arch9wavefront6targetE1EEEvT1_, .Lfunc_end128-_ZN7rocprim17ROCPRIM_400000_NS6detail17trampoline_kernelINS0_14default_configENS1_20scan_config_selectorIfEEZZNS1_9scan_implILNS1_25lookback_scan_determinismE0ELb0ELb0ES3_PKfPffZZZN2at6native31launch_logcumsumexp_cuda_kernelERKNSB_10TensorBaseESF_lENKUlvE_clEvENKUlvE0_clEvEUlffE_fEEDaPvRmT3_T4_T5_mT6_P12ihipStream_tbENKUlT_T0_E_clISt17integral_constantIbLb1EESW_EEDaSR_SS_EUlSR_E0_NS1_11comp_targetILNS1_3genE2ELNS1_11target_archE906ELNS1_3gpuE6ELNS1_3repE0EEENS1_30default_config_static_selectorELNS0_4arch9wavefront6targetE1EEEvT1_
                                        ; -- End function
	.set _ZN7rocprim17ROCPRIM_400000_NS6detail17trampoline_kernelINS0_14default_configENS1_20scan_config_selectorIfEEZZNS1_9scan_implILNS1_25lookback_scan_determinismE0ELb0ELb0ES3_PKfPffZZZN2at6native31launch_logcumsumexp_cuda_kernelERKNSB_10TensorBaseESF_lENKUlvE_clEvENKUlvE0_clEvEUlffE_fEEDaPvRmT3_T4_T5_mT6_P12ihipStream_tbENKUlT_T0_E_clISt17integral_constantIbLb1EESW_EEDaSR_SS_EUlSR_E0_NS1_11comp_targetILNS1_3genE2ELNS1_11target_archE906ELNS1_3gpuE6ELNS1_3repE0EEENS1_30default_config_static_selectorELNS0_4arch9wavefront6targetE1EEEvT1_.num_vgpr, 0
	.set _ZN7rocprim17ROCPRIM_400000_NS6detail17trampoline_kernelINS0_14default_configENS1_20scan_config_selectorIfEEZZNS1_9scan_implILNS1_25lookback_scan_determinismE0ELb0ELb0ES3_PKfPffZZZN2at6native31launch_logcumsumexp_cuda_kernelERKNSB_10TensorBaseESF_lENKUlvE_clEvENKUlvE0_clEvEUlffE_fEEDaPvRmT3_T4_T5_mT6_P12ihipStream_tbENKUlT_T0_E_clISt17integral_constantIbLb1EESW_EEDaSR_SS_EUlSR_E0_NS1_11comp_targetILNS1_3genE2ELNS1_11target_archE906ELNS1_3gpuE6ELNS1_3repE0EEENS1_30default_config_static_selectorELNS0_4arch9wavefront6targetE1EEEvT1_.num_agpr, 0
	.set _ZN7rocprim17ROCPRIM_400000_NS6detail17trampoline_kernelINS0_14default_configENS1_20scan_config_selectorIfEEZZNS1_9scan_implILNS1_25lookback_scan_determinismE0ELb0ELb0ES3_PKfPffZZZN2at6native31launch_logcumsumexp_cuda_kernelERKNSB_10TensorBaseESF_lENKUlvE_clEvENKUlvE0_clEvEUlffE_fEEDaPvRmT3_T4_T5_mT6_P12ihipStream_tbENKUlT_T0_E_clISt17integral_constantIbLb1EESW_EEDaSR_SS_EUlSR_E0_NS1_11comp_targetILNS1_3genE2ELNS1_11target_archE906ELNS1_3gpuE6ELNS1_3repE0EEENS1_30default_config_static_selectorELNS0_4arch9wavefront6targetE1EEEvT1_.numbered_sgpr, 0
	.set _ZN7rocprim17ROCPRIM_400000_NS6detail17trampoline_kernelINS0_14default_configENS1_20scan_config_selectorIfEEZZNS1_9scan_implILNS1_25lookback_scan_determinismE0ELb0ELb0ES3_PKfPffZZZN2at6native31launch_logcumsumexp_cuda_kernelERKNSB_10TensorBaseESF_lENKUlvE_clEvENKUlvE0_clEvEUlffE_fEEDaPvRmT3_T4_T5_mT6_P12ihipStream_tbENKUlT_T0_E_clISt17integral_constantIbLb1EESW_EEDaSR_SS_EUlSR_E0_NS1_11comp_targetILNS1_3genE2ELNS1_11target_archE906ELNS1_3gpuE6ELNS1_3repE0EEENS1_30default_config_static_selectorELNS0_4arch9wavefront6targetE1EEEvT1_.num_named_barrier, 0
	.set _ZN7rocprim17ROCPRIM_400000_NS6detail17trampoline_kernelINS0_14default_configENS1_20scan_config_selectorIfEEZZNS1_9scan_implILNS1_25lookback_scan_determinismE0ELb0ELb0ES3_PKfPffZZZN2at6native31launch_logcumsumexp_cuda_kernelERKNSB_10TensorBaseESF_lENKUlvE_clEvENKUlvE0_clEvEUlffE_fEEDaPvRmT3_T4_T5_mT6_P12ihipStream_tbENKUlT_T0_E_clISt17integral_constantIbLb1EESW_EEDaSR_SS_EUlSR_E0_NS1_11comp_targetILNS1_3genE2ELNS1_11target_archE906ELNS1_3gpuE6ELNS1_3repE0EEENS1_30default_config_static_selectorELNS0_4arch9wavefront6targetE1EEEvT1_.private_seg_size, 0
	.set _ZN7rocprim17ROCPRIM_400000_NS6detail17trampoline_kernelINS0_14default_configENS1_20scan_config_selectorIfEEZZNS1_9scan_implILNS1_25lookback_scan_determinismE0ELb0ELb0ES3_PKfPffZZZN2at6native31launch_logcumsumexp_cuda_kernelERKNSB_10TensorBaseESF_lENKUlvE_clEvENKUlvE0_clEvEUlffE_fEEDaPvRmT3_T4_T5_mT6_P12ihipStream_tbENKUlT_T0_E_clISt17integral_constantIbLb1EESW_EEDaSR_SS_EUlSR_E0_NS1_11comp_targetILNS1_3genE2ELNS1_11target_archE906ELNS1_3gpuE6ELNS1_3repE0EEENS1_30default_config_static_selectorELNS0_4arch9wavefront6targetE1EEEvT1_.uses_vcc, 0
	.set _ZN7rocprim17ROCPRIM_400000_NS6detail17trampoline_kernelINS0_14default_configENS1_20scan_config_selectorIfEEZZNS1_9scan_implILNS1_25lookback_scan_determinismE0ELb0ELb0ES3_PKfPffZZZN2at6native31launch_logcumsumexp_cuda_kernelERKNSB_10TensorBaseESF_lENKUlvE_clEvENKUlvE0_clEvEUlffE_fEEDaPvRmT3_T4_T5_mT6_P12ihipStream_tbENKUlT_T0_E_clISt17integral_constantIbLb1EESW_EEDaSR_SS_EUlSR_E0_NS1_11comp_targetILNS1_3genE2ELNS1_11target_archE906ELNS1_3gpuE6ELNS1_3repE0EEENS1_30default_config_static_selectorELNS0_4arch9wavefront6targetE1EEEvT1_.uses_flat_scratch, 0
	.set _ZN7rocprim17ROCPRIM_400000_NS6detail17trampoline_kernelINS0_14default_configENS1_20scan_config_selectorIfEEZZNS1_9scan_implILNS1_25lookback_scan_determinismE0ELb0ELb0ES3_PKfPffZZZN2at6native31launch_logcumsumexp_cuda_kernelERKNSB_10TensorBaseESF_lENKUlvE_clEvENKUlvE0_clEvEUlffE_fEEDaPvRmT3_T4_T5_mT6_P12ihipStream_tbENKUlT_T0_E_clISt17integral_constantIbLb1EESW_EEDaSR_SS_EUlSR_E0_NS1_11comp_targetILNS1_3genE2ELNS1_11target_archE906ELNS1_3gpuE6ELNS1_3repE0EEENS1_30default_config_static_selectorELNS0_4arch9wavefront6targetE1EEEvT1_.has_dyn_sized_stack, 0
	.set _ZN7rocprim17ROCPRIM_400000_NS6detail17trampoline_kernelINS0_14default_configENS1_20scan_config_selectorIfEEZZNS1_9scan_implILNS1_25lookback_scan_determinismE0ELb0ELb0ES3_PKfPffZZZN2at6native31launch_logcumsumexp_cuda_kernelERKNSB_10TensorBaseESF_lENKUlvE_clEvENKUlvE0_clEvEUlffE_fEEDaPvRmT3_T4_T5_mT6_P12ihipStream_tbENKUlT_T0_E_clISt17integral_constantIbLb1EESW_EEDaSR_SS_EUlSR_E0_NS1_11comp_targetILNS1_3genE2ELNS1_11target_archE906ELNS1_3gpuE6ELNS1_3repE0EEENS1_30default_config_static_selectorELNS0_4arch9wavefront6targetE1EEEvT1_.has_recursion, 0
	.set _ZN7rocprim17ROCPRIM_400000_NS6detail17trampoline_kernelINS0_14default_configENS1_20scan_config_selectorIfEEZZNS1_9scan_implILNS1_25lookback_scan_determinismE0ELb0ELb0ES3_PKfPffZZZN2at6native31launch_logcumsumexp_cuda_kernelERKNSB_10TensorBaseESF_lENKUlvE_clEvENKUlvE0_clEvEUlffE_fEEDaPvRmT3_T4_T5_mT6_P12ihipStream_tbENKUlT_T0_E_clISt17integral_constantIbLb1EESW_EEDaSR_SS_EUlSR_E0_NS1_11comp_targetILNS1_3genE2ELNS1_11target_archE906ELNS1_3gpuE6ELNS1_3repE0EEENS1_30default_config_static_selectorELNS0_4arch9wavefront6targetE1EEEvT1_.has_indirect_call, 0
	.section	.AMDGPU.csdata,"",@progbits
; Kernel info:
; codeLenInByte = 0
; TotalNumSgprs: 6
; NumVgprs: 0
; NumAgprs: 0
; TotalNumVgprs: 0
; ScratchSize: 0
; MemoryBound: 0
; FloatMode: 240
; IeeeMode: 1
; LDSByteSize: 0 bytes/workgroup (compile time only)
; SGPRBlocks: 0
; VGPRBlocks: 0
; NumSGPRsForWavesPerEU: 6
; NumVGPRsForWavesPerEU: 1
; AccumOffset: 4
; Occupancy: 8
; WaveLimiterHint : 0
; COMPUTE_PGM_RSRC2:SCRATCH_EN: 0
; COMPUTE_PGM_RSRC2:USER_SGPR: 2
; COMPUTE_PGM_RSRC2:TRAP_HANDLER: 0
; COMPUTE_PGM_RSRC2:TGID_X_EN: 1
; COMPUTE_PGM_RSRC2:TGID_Y_EN: 0
; COMPUTE_PGM_RSRC2:TGID_Z_EN: 0
; COMPUTE_PGM_RSRC2:TIDIG_COMP_CNT: 0
; COMPUTE_PGM_RSRC3_GFX90A:ACCUM_OFFSET: 0
; COMPUTE_PGM_RSRC3_GFX90A:TG_SPLIT: 0
	.section	.text._ZN7rocprim17ROCPRIM_400000_NS6detail17trampoline_kernelINS0_14default_configENS1_20scan_config_selectorIfEEZZNS1_9scan_implILNS1_25lookback_scan_determinismE0ELb0ELb0ES3_PKfPffZZZN2at6native31launch_logcumsumexp_cuda_kernelERKNSB_10TensorBaseESF_lENKUlvE_clEvENKUlvE0_clEvEUlffE_fEEDaPvRmT3_T4_T5_mT6_P12ihipStream_tbENKUlT_T0_E_clISt17integral_constantIbLb1EESW_EEDaSR_SS_EUlSR_E0_NS1_11comp_targetILNS1_3genE10ELNS1_11target_archE1201ELNS1_3gpuE5ELNS1_3repE0EEENS1_30default_config_static_selectorELNS0_4arch9wavefront6targetE1EEEvT1_,"axG",@progbits,_ZN7rocprim17ROCPRIM_400000_NS6detail17trampoline_kernelINS0_14default_configENS1_20scan_config_selectorIfEEZZNS1_9scan_implILNS1_25lookback_scan_determinismE0ELb0ELb0ES3_PKfPffZZZN2at6native31launch_logcumsumexp_cuda_kernelERKNSB_10TensorBaseESF_lENKUlvE_clEvENKUlvE0_clEvEUlffE_fEEDaPvRmT3_T4_T5_mT6_P12ihipStream_tbENKUlT_T0_E_clISt17integral_constantIbLb1EESW_EEDaSR_SS_EUlSR_E0_NS1_11comp_targetILNS1_3genE10ELNS1_11target_archE1201ELNS1_3gpuE5ELNS1_3repE0EEENS1_30default_config_static_selectorELNS0_4arch9wavefront6targetE1EEEvT1_,comdat
	.globl	_ZN7rocprim17ROCPRIM_400000_NS6detail17trampoline_kernelINS0_14default_configENS1_20scan_config_selectorIfEEZZNS1_9scan_implILNS1_25lookback_scan_determinismE0ELb0ELb0ES3_PKfPffZZZN2at6native31launch_logcumsumexp_cuda_kernelERKNSB_10TensorBaseESF_lENKUlvE_clEvENKUlvE0_clEvEUlffE_fEEDaPvRmT3_T4_T5_mT6_P12ihipStream_tbENKUlT_T0_E_clISt17integral_constantIbLb1EESW_EEDaSR_SS_EUlSR_E0_NS1_11comp_targetILNS1_3genE10ELNS1_11target_archE1201ELNS1_3gpuE5ELNS1_3repE0EEENS1_30default_config_static_selectorELNS0_4arch9wavefront6targetE1EEEvT1_ ; -- Begin function _ZN7rocprim17ROCPRIM_400000_NS6detail17trampoline_kernelINS0_14default_configENS1_20scan_config_selectorIfEEZZNS1_9scan_implILNS1_25lookback_scan_determinismE0ELb0ELb0ES3_PKfPffZZZN2at6native31launch_logcumsumexp_cuda_kernelERKNSB_10TensorBaseESF_lENKUlvE_clEvENKUlvE0_clEvEUlffE_fEEDaPvRmT3_T4_T5_mT6_P12ihipStream_tbENKUlT_T0_E_clISt17integral_constantIbLb1EESW_EEDaSR_SS_EUlSR_E0_NS1_11comp_targetILNS1_3genE10ELNS1_11target_archE1201ELNS1_3gpuE5ELNS1_3repE0EEENS1_30default_config_static_selectorELNS0_4arch9wavefront6targetE1EEEvT1_
	.p2align	8
	.type	_ZN7rocprim17ROCPRIM_400000_NS6detail17trampoline_kernelINS0_14default_configENS1_20scan_config_selectorIfEEZZNS1_9scan_implILNS1_25lookback_scan_determinismE0ELb0ELb0ES3_PKfPffZZZN2at6native31launch_logcumsumexp_cuda_kernelERKNSB_10TensorBaseESF_lENKUlvE_clEvENKUlvE0_clEvEUlffE_fEEDaPvRmT3_T4_T5_mT6_P12ihipStream_tbENKUlT_T0_E_clISt17integral_constantIbLb1EESW_EEDaSR_SS_EUlSR_E0_NS1_11comp_targetILNS1_3genE10ELNS1_11target_archE1201ELNS1_3gpuE5ELNS1_3repE0EEENS1_30default_config_static_selectorELNS0_4arch9wavefront6targetE1EEEvT1_,@function
_ZN7rocprim17ROCPRIM_400000_NS6detail17trampoline_kernelINS0_14default_configENS1_20scan_config_selectorIfEEZZNS1_9scan_implILNS1_25lookback_scan_determinismE0ELb0ELb0ES3_PKfPffZZZN2at6native31launch_logcumsumexp_cuda_kernelERKNSB_10TensorBaseESF_lENKUlvE_clEvENKUlvE0_clEvEUlffE_fEEDaPvRmT3_T4_T5_mT6_P12ihipStream_tbENKUlT_T0_E_clISt17integral_constantIbLb1EESW_EEDaSR_SS_EUlSR_E0_NS1_11comp_targetILNS1_3genE10ELNS1_11target_archE1201ELNS1_3gpuE5ELNS1_3repE0EEENS1_30default_config_static_selectorELNS0_4arch9wavefront6targetE1EEEvT1_: ; @_ZN7rocprim17ROCPRIM_400000_NS6detail17trampoline_kernelINS0_14default_configENS1_20scan_config_selectorIfEEZZNS1_9scan_implILNS1_25lookback_scan_determinismE0ELb0ELb0ES3_PKfPffZZZN2at6native31launch_logcumsumexp_cuda_kernelERKNSB_10TensorBaseESF_lENKUlvE_clEvENKUlvE0_clEvEUlffE_fEEDaPvRmT3_T4_T5_mT6_P12ihipStream_tbENKUlT_T0_E_clISt17integral_constantIbLb1EESW_EEDaSR_SS_EUlSR_E0_NS1_11comp_targetILNS1_3genE10ELNS1_11target_archE1201ELNS1_3gpuE5ELNS1_3repE0EEENS1_30default_config_static_selectorELNS0_4arch9wavefront6targetE1EEEvT1_
; %bb.0:
	.section	.rodata,"a",@progbits
	.p2align	6, 0x0
	.amdhsa_kernel _ZN7rocprim17ROCPRIM_400000_NS6detail17trampoline_kernelINS0_14default_configENS1_20scan_config_selectorIfEEZZNS1_9scan_implILNS1_25lookback_scan_determinismE0ELb0ELb0ES3_PKfPffZZZN2at6native31launch_logcumsumexp_cuda_kernelERKNSB_10TensorBaseESF_lENKUlvE_clEvENKUlvE0_clEvEUlffE_fEEDaPvRmT3_T4_T5_mT6_P12ihipStream_tbENKUlT_T0_E_clISt17integral_constantIbLb1EESW_EEDaSR_SS_EUlSR_E0_NS1_11comp_targetILNS1_3genE10ELNS1_11target_archE1201ELNS1_3gpuE5ELNS1_3repE0EEENS1_30default_config_static_selectorELNS0_4arch9wavefront6targetE1EEEvT1_
		.amdhsa_group_segment_fixed_size 0
		.amdhsa_private_segment_fixed_size 0
		.amdhsa_kernarg_size 32
		.amdhsa_user_sgpr_count 2
		.amdhsa_user_sgpr_dispatch_ptr 0
		.amdhsa_user_sgpr_queue_ptr 0
		.amdhsa_user_sgpr_kernarg_segment_ptr 1
		.amdhsa_user_sgpr_dispatch_id 0
		.amdhsa_user_sgpr_kernarg_preload_length 0
		.amdhsa_user_sgpr_kernarg_preload_offset 0
		.amdhsa_user_sgpr_private_segment_size 0
		.amdhsa_uses_dynamic_stack 0
		.amdhsa_enable_private_segment 0
		.amdhsa_system_sgpr_workgroup_id_x 1
		.amdhsa_system_sgpr_workgroup_id_y 0
		.amdhsa_system_sgpr_workgroup_id_z 0
		.amdhsa_system_sgpr_workgroup_info 0
		.amdhsa_system_vgpr_workitem_id 0
		.amdhsa_next_free_vgpr 1
		.amdhsa_next_free_sgpr 0
		.amdhsa_accum_offset 4
		.amdhsa_reserve_vcc 0
		.amdhsa_float_round_mode_32 0
		.amdhsa_float_round_mode_16_64 0
		.amdhsa_float_denorm_mode_32 3
		.amdhsa_float_denorm_mode_16_64 3
		.amdhsa_dx10_clamp 1
		.amdhsa_ieee_mode 1
		.amdhsa_fp16_overflow 0
		.amdhsa_tg_split 0
		.amdhsa_exception_fp_ieee_invalid_op 0
		.amdhsa_exception_fp_denorm_src 0
		.amdhsa_exception_fp_ieee_div_zero 0
		.amdhsa_exception_fp_ieee_overflow 0
		.amdhsa_exception_fp_ieee_underflow 0
		.amdhsa_exception_fp_ieee_inexact 0
		.amdhsa_exception_int_div_zero 0
	.end_amdhsa_kernel
	.section	.text._ZN7rocprim17ROCPRIM_400000_NS6detail17trampoline_kernelINS0_14default_configENS1_20scan_config_selectorIfEEZZNS1_9scan_implILNS1_25lookback_scan_determinismE0ELb0ELb0ES3_PKfPffZZZN2at6native31launch_logcumsumexp_cuda_kernelERKNSB_10TensorBaseESF_lENKUlvE_clEvENKUlvE0_clEvEUlffE_fEEDaPvRmT3_T4_T5_mT6_P12ihipStream_tbENKUlT_T0_E_clISt17integral_constantIbLb1EESW_EEDaSR_SS_EUlSR_E0_NS1_11comp_targetILNS1_3genE10ELNS1_11target_archE1201ELNS1_3gpuE5ELNS1_3repE0EEENS1_30default_config_static_selectorELNS0_4arch9wavefront6targetE1EEEvT1_,"axG",@progbits,_ZN7rocprim17ROCPRIM_400000_NS6detail17trampoline_kernelINS0_14default_configENS1_20scan_config_selectorIfEEZZNS1_9scan_implILNS1_25lookback_scan_determinismE0ELb0ELb0ES3_PKfPffZZZN2at6native31launch_logcumsumexp_cuda_kernelERKNSB_10TensorBaseESF_lENKUlvE_clEvENKUlvE0_clEvEUlffE_fEEDaPvRmT3_T4_T5_mT6_P12ihipStream_tbENKUlT_T0_E_clISt17integral_constantIbLb1EESW_EEDaSR_SS_EUlSR_E0_NS1_11comp_targetILNS1_3genE10ELNS1_11target_archE1201ELNS1_3gpuE5ELNS1_3repE0EEENS1_30default_config_static_selectorELNS0_4arch9wavefront6targetE1EEEvT1_,comdat
.Lfunc_end129:
	.size	_ZN7rocprim17ROCPRIM_400000_NS6detail17trampoline_kernelINS0_14default_configENS1_20scan_config_selectorIfEEZZNS1_9scan_implILNS1_25lookback_scan_determinismE0ELb0ELb0ES3_PKfPffZZZN2at6native31launch_logcumsumexp_cuda_kernelERKNSB_10TensorBaseESF_lENKUlvE_clEvENKUlvE0_clEvEUlffE_fEEDaPvRmT3_T4_T5_mT6_P12ihipStream_tbENKUlT_T0_E_clISt17integral_constantIbLb1EESW_EEDaSR_SS_EUlSR_E0_NS1_11comp_targetILNS1_3genE10ELNS1_11target_archE1201ELNS1_3gpuE5ELNS1_3repE0EEENS1_30default_config_static_selectorELNS0_4arch9wavefront6targetE1EEEvT1_, .Lfunc_end129-_ZN7rocprim17ROCPRIM_400000_NS6detail17trampoline_kernelINS0_14default_configENS1_20scan_config_selectorIfEEZZNS1_9scan_implILNS1_25lookback_scan_determinismE0ELb0ELb0ES3_PKfPffZZZN2at6native31launch_logcumsumexp_cuda_kernelERKNSB_10TensorBaseESF_lENKUlvE_clEvENKUlvE0_clEvEUlffE_fEEDaPvRmT3_T4_T5_mT6_P12ihipStream_tbENKUlT_T0_E_clISt17integral_constantIbLb1EESW_EEDaSR_SS_EUlSR_E0_NS1_11comp_targetILNS1_3genE10ELNS1_11target_archE1201ELNS1_3gpuE5ELNS1_3repE0EEENS1_30default_config_static_selectorELNS0_4arch9wavefront6targetE1EEEvT1_
                                        ; -- End function
	.set _ZN7rocprim17ROCPRIM_400000_NS6detail17trampoline_kernelINS0_14default_configENS1_20scan_config_selectorIfEEZZNS1_9scan_implILNS1_25lookback_scan_determinismE0ELb0ELb0ES3_PKfPffZZZN2at6native31launch_logcumsumexp_cuda_kernelERKNSB_10TensorBaseESF_lENKUlvE_clEvENKUlvE0_clEvEUlffE_fEEDaPvRmT3_T4_T5_mT6_P12ihipStream_tbENKUlT_T0_E_clISt17integral_constantIbLb1EESW_EEDaSR_SS_EUlSR_E0_NS1_11comp_targetILNS1_3genE10ELNS1_11target_archE1201ELNS1_3gpuE5ELNS1_3repE0EEENS1_30default_config_static_selectorELNS0_4arch9wavefront6targetE1EEEvT1_.num_vgpr, 0
	.set _ZN7rocprim17ROCPRIM_400000_NS6detail17trampoline_kernelINS0_14default_configENS1_20scan_config_selectorIfEEZZNS1_9scan_implILNS1_25lookback_scan_determinismE0ELb0ELb0ES3_PKfPffZZZN2at6native31launch_logcumsumexp_cuda_kernelERKNSB_10TensorBaseESF_lENKUlvE_clEvENKUlvE0_clEvEUlffE_fEEDaPvRmT3_T4_T5_mT6_P12ihipStream_tbENKUlT_T0_E_clISt17integral_constantIbLb1EESW_EEDaSR_SS_EUlSR_E0_NS1_11comp_targetILNS1_3genE10ELNS1_11target_archE1201ELNS1_3gpuE5ELNS1_3repE0EEENS1_30default_config_static_selectorELNS0_4arch9wavefront6targetE1EEEvT1_.num_agpr, 0
	.set _ZN7rocprim17ROCPRIM_400000_NS6detail17trampoline_kernelINS0_14default_configENS1_20scan_config_selectorIfEEZZNS1_9scan_implILNS1_25lookback_scan_determinismE0ELb0ELb0ES3_PKfPffZZZN2at6native31launch_logcumsumexp_cuda_kernelERKNSB_10TensorBaseESF_lENKUlvE_clEvENKUlvE0_clEvEUlffE_fEEDaPvRmT3_T4_T5_mT6_P12ihipStream_tbENKUlT_T0_E_clISt17integral_constantIbLb1EESW_EEDaSR_SS_EUlSR_E0_NS1_11comp_targetILNS1_3genE10ELNS1_11target_archE1201ELNS1_3gpuE5ELNS1_3repE0EEENS1_30default_config_static_selectorELNS0_4arch9wavefront6targetE1EEEvT1_.numbered_sgpr, 0
	.set _ZN7rocprim17ROCPRIM_400000_NS6detail17trampoline_kernelINS0_14default_configENS1_20scan_config_selectorIfEEZZNS1_9scan_implILNS1_25lookback_scan_determinismE0ELb0ELb0ES3_PKfPffZZZN2at6native31launch_logcumsumexp_cuda_kernelERKNSB_10TensorBaseESF_lENKUlvE_clEvENKUlvE0_clEvEUlffE_fEEDaPvRmT3_T4_T5_mT6_P12ihipStream_tbENKUlT_T0_E_clISt17integral_constantIbLb1EESW_EEDaSR_SS_EUlSR_E0_NS1_11comp_targetILNS1_3genE10ELNS1_11target_archE1201ELNS1_3gpuE5ELNS1_3repE0EEENS1_30default_config_static_selectorELNS0_4arch9wavefront6targetE1EEEvT1_.num_named_barrier, 0
	.set _ZN7rocprim17ROCPRIM_400000_NS6detail17trampoline_kernelINS0_14default_configENS1_20scan_config_selectorIfEEZZNS1_9scan_implILNS1_25lookback_scan_determinismE0ELb0ELb0ES3_PKfPffZZZN2at6native31launch_logcumsumexp_cuda_kernelERKNSB_10TensorBaseESF_lENKUlvE_clEvENKUlvE0_clEvEUlffE_fEEDaPvRmT3_T4_T5_mT6_P12ihipStream_tbENKUlT_T0_E_clISt17integral_constantIbLb1EESW_EEDaSR_SS_EUlSR_E0_NS1_11comp_targetILNS1_3genE10ELNS1_11target_archE1201ELNS1_3gpuE5ELNS1_3repE0EEENS1_30default_config_static_selectorELNS0_4arch9wavefront6targetE1EEEvT1_.private_seg_size, 0
	.set _ZN7rocprim17ROCPRIM_400000_NS6detail17trampoline_kernelINS0_14default_configENS1_20scan_config_selectorIfEEZZNS1_9scan_implILNS1_25lookback_scan_determinismE0ELb0ELb0ES3_PKfPffZZZN2at6native31launch_logcumsumexp_cuda_kernelERKNSB_10TensorBaseESF_lENKUlvE_clEvENKUlvE0_clEvEUlffE_fEEDaPvRmT3_T4_T5_mT6_P12ihipStream_tbENKUlT_T0_E_clISt17integral_constantIbLb1EESW_EEDaSR_SS_EUlSR_E0_NS1_11comp_targetILNS1_3genE10ELNS1_11target_archE1201ELNS1_3gpuE5ELNS1_3repE0EEENS1_30default_config_static_selectorELNS0_4arch9wavefront6targetE1EEEvT1_.uses_vcc, 0
	.set _ZN7rocprim17ROCPRIM_400000_NS6detail17trampoline_kernelINS0_14default_configENS1_20scan_config_selectorIfEEZZNS1_9scan_implILNS1_25lookback_scan_determinismE0ELb0ELb0ES3_PKfPffZZZN2at6native31launch_logcumsumexp_cuda_kernelERKNSB_10TensorBaseESF_lENKUlvE_clEvENKUlvE0_clEvEUlffE_fEEDaPvRmT3_T4_T5_mT6_P12ihipStream_tbENKUlT_T0_E_clISt17integral_constantIbLb1EESW_EEDaSR_SS_EUlSR_E0_NS1_11comp_targetILNS1_3genE10ELNS1_11target_archE1201ELNS1_3gpuE5ELNS1_3repE0EEENS1_30default_config_static_selectorELNS0_4arch9wavefront6targetE1EEEvT1_.uses_flat_scratch, 0
	.set _ZN7rocprim17ROCPRIM_400000_NS6detail17trampoline_kernelINS0_14default_configENS1_20scan_config_selectorIfEEZZNS1_9scan_implILNS1_25lookback_scan_determinismE0ELb0ELb0ES3_PKfPffZZZN2at6native31launch_logcumsumexp_cuda_kernelERKNSB_10TensorBaseESF_lENKUlvE_clEvENKUlvE0_clEvEUlffE_fEEDaPvRmT3_T4_T5_mT6_P12ihipStream_tbENKUlT_T0_E_clISt17integral_constantIbLb1EESW_EEDaSR_SS_EUlSR_E0_NS1_11comp_targetILNS1_3genE10ELNS1_11target_archE1201ELNS1_3gpuE5ELNS1_3repE0EEENS1_30default_config_static_selectorELNS0_4arch9wavefront6targetE1EEEvT1_.has_dyn_sized_stack, 0
	.set _ZN7rocprim17ROCPRIM_400000_NS6detail17trampoline_kernelINS0_14default_configENS1_20scan_config_selectorIfEEZZNS1_9scan_implILNS1_25lookback_scan_determinismE0ELb0ELb0ES3_PKfPffZZZN2at6native31launch_logcumsumexp_cuda_kernelERKNSB_10TensorBaseESF_lENKUlvE_clEvENKUlvE0_clEvEUlffE_fEEDaPvRmT3_T4_T5_mT6_P12ihipStream_tbENKUlT_T0_E_clISt17integral_constantIbLb1EESW_EEDaSR_SS_EUlSR_E0_NS1_11comp_targetILNS1_3genE10ELNS1_11target_archE1201ELNS1_3gpuE5ELNS1_3repE0EEENS1_30default_config_static_selectorELNS0_4arch9wavefront6targetE1EEEvT1_.has_recursion, 0
	.set _ZN7rocprim17ROCPRIM_400000_NS6detail17trampoline_kernelINS0_14default_configENS1_20scan_config_selectorIfEEZZNS1_9scan_implILNS1_25lookback_scan_determinismE0ELb0ELb0ES3_PKfPffZZZN2at6native31launch_logcumsumexp_cuda_kernelERKNSB_10TensorBaseESF_lENKUlvE_clEvENKUlvE0_clEvEUlffE_fEEDaPvRmT3_T4_T5_mT6_P12ihipStream_tbENKUlT_T0_E_clISt17integral_constantIbLb1EESW_EEDaSR_SS_EUlSR_E0_NS1_11comp_targetILNS1_3genE10ELNS1_11target_archE1201ELNS1_3gpuE5ELNS1_3repE0EEENS1_30default_config_static_selectorELNS0_4arch9wavefront6targetE1EEEvT1_.has_indirect_call, 0
	.section	.AMDGPU.csdata,"",@progbits
; Kernel info:
; codeLenInByte = 0
; TotalNumSgprs: 6
; NumVgprs: 0
; NumAgprs: 0
; TotalNumVgprs: 0
; ScratchSize: 0
; MemoryBound: 0
; FloatMode: 240
; IeeeMode: 1
; LDSByteSize: 0 bytes/workgroup (compile time only)
; SGPRBlocks: 0
; VGPRBlocks: 0
; NumSGPRsForWavesPerEU: 6
; NumVGPRsForWavesPerEU: 1
; AccumOffset: 4
; Occupancy: 8
; WaveLimiterHint : 0
; COMPUTE_PGM_RSRC2:SCRATCH_EN: 0
; COMPUTE_PGM_RSRC2:USER_SGPR: 2
; COMPUTE_PGM_RSRC2:TRAP_HANDLER: 0
; COMPUTE_PGM_RSRC2:TGID_X_EN: 1
; COMPUTE_PGM_RSRC2:TGID_Y_EN: 0
; COMPUTE_PGM_RSRC2:TGID_Z_EN: 0
; COMPUTE_PGM_RSRC2:TIDIG_COMP_CNT: 0
; COMPUTE_PGM_RSRC3_GFX90A:ACCUM_OFFSET: 0
; COMPUTE_PGM_RSRC3_GFX90A:TG_SPLIT: 0
	.section	.text._ZN7rocprim17ROCPRIM_400000_NS6detail17trampoline_kernelINS0_14default_configENS1_20scan_config_selectorIfEEZZNS1_9scan_implILNS1_25lookback_scan_determinismE0ELb0ELb0ES3_PKfPffZZZN2at6native31launch_logcumsumexp_cuda_kernelERKNSB_10TensorBaseESF_lENKUlvE_clEvENKUlvE0_clEvEUlffE_fEEDaPvRmT3_T4_T5_mT6_P12ihipStream_tbENKUlT_T0_E_clISt17integral_constantIbLb1EESW_EEDaSR_SS_EUlSR_E0_NS1_11comp_targetILNS1_3genE10ELNS1_11target_archE1200ELNS1_3gpuE4ELNS1_3repE0EEENS1_30default_config_static_selectorELNS0_4arch9wavefront6targetE1EEEvT1_,"axG",@progbits,_ZN7rocprim17ROCPRIM_400000_NS6detail17trampoline_kernelINS0_14default_configENS1_20scan_config_selectorIfEEZZNS1_9scan_implILNS1_25lookback_scan_determinismE0ELb0ELb0ES3_PKfPffZZZN2at6native31launch_logcumsumexp_cuda_kernelERKNSB_10TensorBaseESF_lENKUlvE_clEvENKUlvE0_clEvEUlffE_fEEDaPvRmT3_T4_T5_mT6_P12ihipStream_tbENKUlT_T0_E_clISt17integral_constantIbLb1EESW_EEDaSR_SS_EUlSR_E0_NS1_11comp_targetILNS1_3genE10ELNS1_11target_archE1200ELNS1_3gpuE4ELNS1_3repE0EEENS1_30default_config_static_selectorELNS0_4arch9wavefront6targetE1EEEvT1_,comdat
	.globl	_ZN7rocprim17ROCPRIM_400000_NS6detail17trampoline_kernelINS0_14default_configENS1_20scan_config_selectorIfEEZZNS1_9scan_implILNS1_25lookback_scan_determinismE0ELb0ELb0ES3_PKfPffZZZN2at6native31launch_logcumsumexp_cuda_kernelERKNSB_10TensorBaseESF_lENKUlvE_clEvENKUlvE0_clEvEUlffE_fEEDaPvRmT3_T4_T5_mT6_P12ihipStream_tbENKUlT_T0_E_clISt17integral_constantIbLb1EESW_EEDaSR_SS_EUlSR_E0_NS1_11comp_targetILNS1_3genE10ELNS1_11target_archE1200ELNS1_3gpuE4ELNS1_3repE0EEENS1_30default_config_static_selectorELNS0_4arch9wavefront6targetE1EEEvT1_ ; -- Begin function _ZN7rocprim17ROCPRIM_400000_NS6detail17trampoline_kernelINS0_14default_configENS1_20scan_config_selectorIfEEZZNS1_9scan_implILNS1_25lookback_scan_determinismE0ELb0ELb0ES3_PKfPffZZZN2at6native31launch_logcumsumexp_cuda_kernelERKNSB_10TensorBaseESF_lENKUlvE_clEvENKUlvE0_clEvEUlffE_fEEDaPvRmT3_T4_T5_mT6_P12ihipStream_tbENKUlT_T0_E_clISt17integral_constantIbLb1EESW_EEDaSR_SS_EUlSR_E0_NS1_11comp_targetILNS1_3genE10ELNS1_11target_archE1200ELNS1_3gpuE4ELNS1_3repE0EEENS1_30default_config_static_selectorELNS0_4arch9wavefront6targetE1EEEvT1_
	.p2align	8
	.type	_ZN7rocprim17ROCPRIM_400000_NS6detail17trampoline_kernelINS0_14default_configENS1_20scan_config_selectorIfEEZZNS1_9scan_implILNS1_25lookback_scan_determinismE0ELb0ELb0ES3_PKfPffZZZN2at6native31launch_logcumsumexp_cuda_kernelERKNSB_10TensorBaseESF_lENKUlvE_clEvENKUlvE0_clEvEUlffE_fEEDaPvRmT3_T4_T5_mT6_P12ihipStream_tbENKUlT_T0_E_clISt17integral_constantIbLb1EESW_EEDaSR_SS_EUlSR_E0_NS1_11comp_targetILNS1_3genE10ELNS1_11target_archE1200ELNS1_3gpuE4ELNS1_3repE0EEENS1_30default_config_static_selectorELNS0_4arch9wavefront6targetE1EEEvT1_,@function
_ZN7rocprim17ROCPRIM_400000_NS6detail17trampoline_kernelINS0_14default_configENS1_20scan_config_selectorIfEEZZNS1_9scan_implILNS1_25lookback_scan_determinismE0ELb0ELb0ES3_PKfPffZZZN2at6native31launch_logcumsumexp_cuda_kernelERKNSB_10TensorBaseESF_lENKUlvE_clEvENKUlvE0_clEvEUlffE_fEEDaPvRmT3_T4_T5_mT6_P12ihipStream_tbENKUlT_T0_E_clISt17integral_constantIbLb1EESW_EEDaSR_SS_EUlSR_E0_NS1_11comp_targetILNS1_3genE10ELNS1_11target_archE1200ELNS1_3gpuE4ELNS1_3repE0EEENS1_30default_config_static_selectorELNS0_4arch9wavefront6targetE1EEEvT1_: ; @_ZN7rocprim17ROCPRIM_400000_NS6detail17trampoline_kernelINS0_14default_configENS1_20scan_config_selectorIfEEZZNS1_9scan_implILNS1_25lookback_scan_determinismE0ELb0ELb0ES3_PKfPffZZZN2at6native31launch_logcumsumexp_cuda_kernelERKNSB_10TensorBaseESF_lENKUlvE_clEvENKUlvE0_clEvEUlffE_fEEDaPvRmT3_T4_T5_mT6_P12ihipStream_tbENKUlT_T0_E_clISt17integral_constantIbLb1EESW_EEDaSR_SS_EUlSR_E0_NS1_11comp_targetILNS1_3genE10ELNS1_11target_archE1200ELNS1_3gpuE4ELNS1_3repE0EEENS1_30default_config_static_selectorELNS0_4arch9wavefront6targetE1EEEvT1_
; %bb.0:
	.section	.rodata,"a",@progbits
	.p2align	6, 0x0
	.amdhsa_kernel _ZN7rocprim17ROCPRIM_400000_NS6detail17trampoline_kernelINS0_14default_configENS1_20scan_config_selectorIfEEZZNS1_9scan_implILNS1_25lookback_scan_determinismE0ELb0ELb0ES3_PKfPffZZZN2at6native31launch_logcumsumexp_cuda_kernelERKNSB_10TensorBaseESF_lENKUlvE_clEvENKUlvE0_clEvEUlffE_fEEDaPvRmT3_T4_T5_mT6_P12ihipStream_tbENKUlT_T0_E_clISt17integral_constantIbLb1EESW_EEDaSR_SS_EUlSR_E0_NS1_11comp_targetILNS1_3genE10ELNS1_11target_archE1200ELNS1_3gpuE4ELNS1_3repE0EEENS1_30default_config_static_selectorELNS0_4arch9wavefront6targetE1EEEvT1_
		.amdhsa_group_segment_fixed_size 0
		.amdhsa_private_segment_fixed_size 0
		.amdhsa_kernarg_size 32
		.amdhsa_user_sgpr_count 2
		.amdhsa_user_sgpr_dispatch_ptr 0
		.amdhsa_user_sgpr_queue_ptr 0
		.amdhsa_user_sgpr_kernarg_segment_ptr 1
		.amdhsa_user_sgpr_dispatch_id 0
		.amdhsa_user_sgpr_kernarg_preload_length 0
		.amdhsa_user_sgpr_kernarg_preload_offset 0
		.amdhsa_user_sgpr_private_segment_size 0
		.amdhsa_uses_dynamic_stack 0
		.amdhsa_enable_private_segment 0
		.amdhsa_system_sgpr_workgroup_id_x 1
		.amdhsa_system_sgpr_workgroup_id_y 0
		.amdhsa_system_sgpr_workgroup_id_z 0
		.amdhsa_system_sgpr_workgroup_info 0
		.amdhsa_system_vgpr_workitem_id 0
		.amdhsa_next_free_vgpr 1
		.amdhsa_next_free_sgpr 0
		.amdhsa_accum_offset 4
		.amdhsa_reserve_vcc 0
		.amdhsa_float_round_mode_32 0
		.amdhsa_float_round_mode_16_64 0
		.amdhsa_float_denorm_mode_32 3
		.amdhsa_float_denorm_mode_16_64 3
		.amdhsa_dx10_clamp 1
		.amdhsa_ieee_mode 1
		.amdhsa_fp16_overflow 0
		.amdhsa_tg_split 0
		.amdhsa_exception_fp_ieee_invalid_op 0
		.amdhsa_exception_fp_denorm_src 0
		.amdhsa_exception_fp_ieee_div_zero 0
		.amdhsa_exception_fp_ieee_overflow 0
		.amdhsa_exception_fp_ieee_underflow 0
		.amdhsa_exception_fp_ieee_inexact 0
		.amdhsa_exception_int_div_zero 0
	.end_amdhsa_kernel
	.section	.text._ZN7rocprim17ROCPRIM_400000_NS6detail17trampoline_kernelINS0_14default_configENS1_20scan_config_selectorIfEEZZNS1_9scan_implILNS1_25lookback_scan_determinismE0ELb0ELb0ES3_PKfPffZZZN2at6native31launch_logcumsumexp_cuda_kernelERKNSB_10TensorBaseESF_lENKUlvE_clEvENKUlvE0_clEvEUlffE_fEEDaPvRmT3_T4_T5_mT6_P12ihipStream_tbENKUlT_T0_E_clISt17integral_constantIbLb1EESW_EEDaSR_SS_EUlSR_E0_NS1_11comp_targetILNS1_3genE10ELNS1_11target_archE1200ELNS1_3gpuE4ELNS1_3repE0EEENS1_30default_config_static_selectorELNS0_4arch9wavefront6targetE1EEEvT1_,"axG",@progbits,_ZN7rocprim17ROCPRIM_400000_NS6detail17trampoline_kernelINS0_14default_configENS1_20scan_config_selectorIfEEZZNS1_9scan_implILNS1_25lookback_scan_determinismE0ELb0ELb0ES3_PKfPffZZZN2at6native31launch_logcumsumexp_cuda_kernelERKNSB_10TensorBaseESF_lENKUlvE_clEvENKUlvE0_clEvEUlffE_fEEDaPvRmT3_T4_T5_mT6_P12ihipStream_tbENKUlT_T0_E_clISt17integral_constantIbLb1EESW_EEDaSR_SS_EUlSR_E0_NS1_11comp_targetILNS1_3genE10ELNS1_11target_archE1200ELNS1_3gpuE4ELNS1_3repE0EEENS1_30default_config_static_selectorELNS0_4arch9wavefront6targetE1EEEvT1_,comdat
.Lfunc_end130:
	.size	_ZN7rocprim17ROCPRIM_400000_NS6detail17trampoline_kernelINS0_14default_configENS1_20scan_config_selectorIfEEZZNS1_9scan_implILNS1_25lookback_scan_determinismE0ELb0ELb0ES3_PKfPffZZZN2at6native31launch_logcumsumexp_cuda_kernelERKNSB_10TensorBaseESF_lENKUlvE_clEvENKUlvE0_clEvEUlffE_fEEDaPvRmT3_T4_T5_mT6_P12ihipStream_tbENKUlT_T0_E_clISt17integral_constantIbLb1EESW_EEDaSR_SS_EUlSR_E0_NS1_11comp_targetILNS1_3genE10ELNS1_11target_archE1200ELNS1_3gpuE4ELNS1_3repE0EEENS1_30default_config_static_selectorELNS0_4arch9wavefront6targetE1EEEvT1_, .Lfunc_end130-_ZN7rocprim17ROCPRIM_400000_NS6detail17trampoline_kernelINS0_14default_configENS1_20scan_config_selectorIfEEZZNS1_9scan_implILNS1_25lookback_scan_determinismE0ELb0ELb0ES3_PKfPffZZZN2at6native31launch_logcumsumexp_cuda_kernelERKNSB_10TensorBaseESF_lENKUlvE_clEvENKUlvE0_clEvEUlffE_fEEDaPvRmT3_T4_T5_mT6_P12ihipStream_tbENKUlT_T0_E_clISt17integral_constantIbLb1EESW_EEDaSR_SS_EUlSR_E0_NS1_11comp_targetILNS1_3genE10ELNS1_11target_archE1200ELNS1_3gpuE4ELNS1_3repE0EEENS1_30default_config_static_selectorELNS0_4arch9wavefront6targetE1EEEvT1_
                                        ; -- End function
	.set _ZN7rocprim17ROCPRIM_400000_NS6detail17trampoline_kernelINS0_14default_configENS1_20scan_config_selectorIfEEZZNS1_9scan_implILNS1_25lookback_scan_determinismE0ELb0ELb0ES3_PKfPffZZZN2at6native31launch_logcumsumexp_cuda_kernelERKNSB_10TensorBaseESF_lENKUlvE_clEvENKUlvE0_clEvEUlffE_fEEDaPvRmT3_T4_T5_mT6_P12ihipStream_tbENKUlT_T0_E_clISt17integral_constantIbLb1EESW_EEDaSR_SS_EUlSR_E0_NS1_11comp_targetILNS1_3genE10ELNS1_11target_archE1200ELNS1_3gpuE4ELNS1_3repE0EEENS1_30default_config_static_selectorELNS0_4arch9wavefront6targetE1EEEvT1_.num_vgpr, 0
	.set _ZN7rocprim17ROCPRIM_400000_NS6detail17trampoline_kernelINS0_14default_configENS1_20scan_config_selectorIfEEZZNS1_9scan_implILNS1_25lookback_scan_determinismE0ELb0ELb0ES3_PKfPffZZZN2at6native31launch_logcumsumexp_cuda_kernelERKNSB_10TensorBaseESF_lENKUlvE_clEvENKUlvE0_clEvEUlffE_fEEDaPvRmT3_T4_T5_mT6_P12ihipStream_tbENKUlT_T0_E_clISt17integral_constantIbLb1EESW_EEDaSR_SS_EUlSR_E0_NS1_11comp_targetILNS1_3genE10ELNS1_11target_archE1200ELNS1_3gpuE4ELNS1_3repE0EEENS1_30default_config_static_selectorELNS0_4arch9wavefront6targetE1EEEvT1_.num_agpr, 0
	.set _ZN7rocprim17ROCPRIM_400000_NS6detail17trampoline_kernelINS0_14default_configENS1_20scan_config_selectorIfEEZZNS1_9scan_implILNS1_25lookback_scan_determinismE0ELb0ELb0ES3_PKfPffZZZN2at6native31launch_logcumsumexp_cuda_kernelERKNSB_10TensorBaseESF_lENKUlvE_clEvENKUlvE0_clEvEUlffE_fEEDaPvRmT3_T4_T5_mT6_P12ihipStream_tbENKUlT_T0_E_clISt17integral_constantIbLb1EESW_EEDaSR_SS_EUlSR_E0_NS1_11comp_targetILNS1_3genE10ELNS1_11target_archE1200ELNS1_3gpuE4ELNS1_3repE0EEENS1_30default_config_static_selectorELNS0_4arch9wavefront6targetE1EEEvT1_.numbered_sgpr, 0
	.set _ZN7rocprim17ROCPRIM_400000_NS6detail17trampoline_kernelINS0_14default_configENS1_20scan_config_selectorIfEEZZNS1_9scan_implILNS1_25lookback_scan_determinismE0ELb0ELb0ES3_PKfPffZZZN2at6native31launch_logcumsumexp_cuda_kernelERKNSB_10TensorBaseESF_lENKUlvE_clEvENKUlvE0_clEvEUlffE_fEEDaPvRmT3_T4_T5_mT6_P12ihipStream_tbENKUlT_T0_E_clISt17integral_constantIbLb1EESW_EEDaSR_SS_EUlSR_E0_NS1_11comp_targetILNS1_3genE10ELNS1_11target_archE1200ELNS1_3gpuE4ELNS1_3repE0EEENS1_30default_config_static_selectorELNS0_4arch9wavefront6targetE1EEEvT1_.num_named_barrier, 0
	.set _ZN7rocprim17ROCPRIM_400000_NS6detail17trampoline_kernelINS0_14default_configENS1_20scan_config_selectorIfEEZZNS1_9scan_implILNS1_25lookback_scan_determinismE0ELb0ELb0ES3_PKfPffZZZN2at6native31launch_logcumsumexp_cuda_kernelERKNSB_10TensorBaseESF_lENKUlvE_clEvENKUlvE0_clEvEUlffE_fEEDaPvRmT3_T4_T5_mT6_P12ihipStream_tbENKUlT_T0_E_clISt17integral_constantIbLb1EESW_EEDaSR_SS_EUlSR_E0_NS1_11comp_targetILNS1_3genE10ELNS1_11target_archE1200ELNS1_3gpuE4ELNS1_3repE0EEENS1_30default_config_static_selectorELNS0_4arch9wavefront6targetE1EEEvT1_.private_seg_size, 0
	.set _ZN7rocprim17ROCPRIM_400000_NS6detail17trampoline_kernelINS0_14default_configENS1_20scan_config_selectorIfEEZZNS1_9scan_implILNS1_25lookback_scan_determinismE0ELb0ELb0ES3_PKfPffZZZN2at6native31launch_logcumsumexp_cuda_kernelERKNSB_10TensorBaseESF_lENKUlvE_clEvENKUlvE0_clEvEUlffE_fEEDaPvRmT3_T4_T5_mT6_P12ihipStream_tbENKUlT_T0_E_clISt17integral_constantIbLb1EESW_EEDaSR_SS_EUlSR_E0_NS1_11comp_targetILNS1_3genE10ELNS1_11target_archE1200ELNS1_3gpuE4ELNS1_3repE0EEENS1_30default_config_static_selectorELNS0_4arch9wavefront6targetE1EEEvT1_.uses_vcc, 0
	.set _ZN7rocprim17ROCPRIM_400000_NS6detail17trampoline_kernelINS0_14default_configENS1_20scan_config_selectorIfEEZZNS1_9scan_implILNS1_25lookback_scan_determinismE0ELb0ELb0ES3_PKfPffZZZN2at6native31launch_logcumsumexp_cuda_kernelERKNSB_10TensorBaseESF_lENKUlvE_clEvENKUlvE0_clEvEUlffE_fEEDaPvRmT3_T4_T5_mT6_P12ihipStream_tbENKUlT_T0_E_clISt17integral_constantIbLb1EESW_EEDaSR_SS_EUlSR_E0_NS1_11comp_targetILNS1_3genE10ELNS1_11target_archE1200ELNS1_3gpuE4ELNS1_3repE0EEENS1_30default_config_static_selectorELNS0_4arch9wavefront6targetE1EEEvT1_.uses_flat_scratch, 0
	.set _ZN7rocprim17ROCPRIM_400000_NS6detail17trampoline_kernelINS0_14default_configENS1_20scan_config_selectorIfEEZZNS1_9scan_implILNS1_25lookback_scan_determinismE0ELb0ELb0ES3_PKfPffZZZN2at6native31launch_logcumsumexp_cuda_kernelERKNSB_10TensorBaseESF_lENKUlvE_clEvENKUlvE0_clEvEUlffE_fEEDaPvRmT3_T4_T5_mT6_P12ihipStream_tbENKUlT_T0_E_clISt17integral_constantIbLb1EESW_EEDaSR_SS_EUlSR_E0_NS1_11comp_targetILNS1_3genE10ELNS1_11target_archE1200ELNS1_3gpuE4ELNS1_3repE0EEENS1_30default_config_static_selectorELNS0_4arch9wavefront6targetE1EEEvT1_.has_dyn_sized_stack, 0
	.set _ZN7rocprim17ROCPRIM_400000_NS6detail17trampoline_kernelINS0_14default_configENS1_20scan_config_selectorIfEEZZNS1_9scan_implILNS1_25lookback_scan_determinismE0ELb0ELb0ES3_PKfPffZZZN2at6native31launch_logcumsumexp_cuda_kernelERKNSB_10TensorBaseESF_lENKUlvE_clEvENKUlvE0_clEvEUlffE_fEEDaPvRmT3_T4_T5_mT6_P12ihipStream_tbENKUlT_T0_E_clISt17integral_constantIbLb1EESW_EEDaSR_SS_EUlSR_E0_NS1_11comp_targetILNS1_3genE10ELNS1_11target_archE1200ELNS1_3gpuE4ELNS1_3repE0EEENS1_30default_config_static_selectorELNS0_4arch9wavefront6targetE1EEEvT1_.has_recursion, 0
	.set _ZN7rocprim17ROCPRIM_400000_NS6detail17trampoline_kernelINS0_14default_configENS1_20scan_config_selectorIfEEZZNS1_9scan_implILNS1_25lookback_scan_determinismE0ELb0ELb0ES3_PKfPffZZZN2at6native31launch_logcumsumexp_cuda_kernelERKNSB_10TensorBaseESF_lENKUlvE_clEvENKUlvE0_clEvEUlffE_fEEDaPvRmT3_T4_T5_mT6_P12ihipStream_tbENKUlT_T0_E_clISt17integral_constantIbLb1EESW_EEDaSR_SS_EUlSR_E0_NS1_11comp_targetILNS1_3genE10ELNS1_11target_archE1200ELNS1_3gpuE4ELNS1_3repE0EEENS1_30default_config_static_selectorELNS0_4arch9wavefront6targetE1EEEvT1_.has_indirect_call, 0
	.section	.AMDGPU.csdata,"",@progbits
; Kernel info:
; codeLenInByte = 0
; TotalNumSgprs: 6
; NumVgprs: 0
; NumAgprs: 0
; TotalNumVgprs: 0
; ScratchSize: 0
; MemoryBound: 0
; FloatMode: 240
; IeeeMode: 1
; LDSByteSize: 0 bytes/workgroup (compile time only)
; SGPRBlocks: 0
; VGPRBlocks: 0
; NumSGPRsForWavesPerEU: 6
; NumVGPRsForWavesPerEU: 1
; AccumOffset: 4
; Occupancy: 8
; WaveLimiterHint : 0
; COMPUTE_PGM_RSRC2:SCRATCH_EN: 0
; COMPUTE_PGM_RSRC2:USER_SGPR: 2
; COMPUTE_PGM_RSRC2:TRAP_HANDLER: 0
; COMPUTE_PGM_RSRC2:TGID_X_EN: 1
; COMPUTE_PGM_RSRC2:TGID_Y_EN: 0
; COMPUTE_PGM_RSRC2:TGID_Z_EN: 0
; COMPUTE_PGM_RSRC2:TIDIG_COMP_CNT: 0
; COMPUTE_PGM_RSRC3_GFX90A:ACCUM_OFFSET: 0
; COMPUTE_PGM_RSRC3_GFX90A:TG_SPLIT: 0
	.section	.text._ZN7rocprim17ROCPRIM_400000_NS6detail17trampoline_kernelINS0_14default_configENS1_20scan_config_selectorIfEEZZNS1_9scan_implILNS1_25lookback_scan_determinismE0ELb0ELb0ES3_PKfPffZZZN2at6native31launch_logcumsumexp_cuda_kernelERKNSB_10TensorBaseESF_lENKUlvE_clEvENKUlvE0_clEvEUlffE_fEEDaPvRmT3_T4_T5_mT6_P12ihipStream_tbENKUlT_T0_E_clISt17integral_constantIbLb1EESW_EEDaSR_SS_EUlSR_E0_NS1_11comp_targetILNS1_3genE9ELNS1_11target_archE1100ELNS1_3gpuE3ELNS1_3repE0EEENS1_30default_config_static_selectorELNS0_4arch9wavefront6targetE1EEEvT1_,"axG",@progbits,_ZN7rocprim17ROCPRIM_400000_NS6detail17trampoline_kernelINS0_14default_configENS1_20scan_config_selectorIfEEZZNS1_9scan_implILNS1_25lookback_scan_determinismE0ELb0ELb0ES3_PKfPffZZZN2at6native31launch_logcumsumexp_cuda_kernelERKNSB_10TensorBaseESF_lENKUlvE_clEvENKUlvE0_clEvEUlffE_fEEDaPvRmT3_T4_T5_mT6_P12ihipStream_tbENKUlT_T0_E_clISt17integral_constantIbLb1EESW_EEDaSR_SS_EUlSR_E0_NS1_11comp_targetILNS1_3genE9ELNS1_11target_archE1100ELNS1_3gpuE3ELNS1_3repE0EEENS1_30default_config_static_selectorELNS0_4arch9wavefront6targetE1EEEvT1_,comdat
	.globl	_ZN7rocprim17ROCPRIM_400000_NS6detail17trampoline_kernelINS0_14default_configENS1_20scan_config_selectorIfEEZZNS1_9scan_implILNS1_25lookback_scan_determinismE0ELb0ELb0ES3_PKfPffZZZN2at6native31launch_logcumsumexp_cuda_kernelERKNSB_10TensorBaseESF_lENKUlvE_clEvENKUlvE0_clEvEUlffE_fEEDaPvRmT3_T4_T5_mT6_P12ihipStream_tbENKUlT_T0_E_clISt17integral_constantIbLb1EESW_EEDaSR_SS_EUlSR_E0_NS1_11comp_targetILNS1_3genE9ELNS1_11target_archE1100ELNS1_3gpuE3ELNS1_3repE0EEENS1_30default_config_static_selectorELNS0_4arch9wavefront6targetE1EEEvT1_ ; -- Begin function _ZN7rocprim17ROCPRIM_400000_NS6detail17trampoline_kernelINS0_14default_configENS1_20scan_config_selectorIfEEZZNS1_9scan_implILNS1_25lookback_scan_determinismE0ELb0ELb0ES3_PKfPffZZZN2at6native31launch_logcumsumexp_cuda_kernelERKNSB_10TensorBaseESF_lENKUlvE_clEvENKUlvE0_clEvEUlffE_fEEDaPvRmT3_T4_T5_mT6_P12ihipStream_tbENKUlT_T0_E_clISt17integral_constantIbLb1EESW_EEDaSR_SS_EUlSR_E0_NS1_11comp_targetILNS1_3genE9ELNS1_11target_archE1100ELNS1_3gpuE3ELNS1_3repE0EEENS1_30default_config_static_selectorELNS0_4arch9wavefront6targetE1EEEvT1_
	.p2align	8
	.type	_ZN7rocprim17ROCPRIM_400000_NS6detail17trampoline_kernelINS0_14default_configENS1_20scan_config_selectorIfEEZZNS1_9scan_implILNS1_25lookback_scan_determinismE0ELb0ELb0ES3_PKfPffZZZN2at6native31launch_logcumsumexp_cuda_kernelERKNSB_10TensorBaseESF_lENKUlvE_clEvENKUlvE0_clEvEUlffE_fEEDaPvRmT3_T4_T5_mT6_P12ihipStream_tbENKUlT_T0_E_clISt17integral_constantIbLb1EESW_EEDaSR_SS_EUlSR_E0_NS1_11comp_targetILNS1_3genE9ELNS1_11target_archE1100ELNS1_3gpuE3ELNS1_3repE0EEENS1_30default_config_static_selectorELNS0_4arch9wavefront6targetE1EEEvT1_,@function
_ZN7rocprim17ROCPRIM_400000_NS6detail17trampoline_kernelINS0_14default_configENS1_20scan_config_selectorIfEEZZNS1_9scan_implILNS1_25lookback_scan_determinismE0ELb0ELb0ES3_PKfPffZZZN2at6native31launch_logcumsumexp_cuda_kernelERKNSB_10TensorBaseESF_lENKUlvE_clEvENKUlvE0_clEvEUlffE_fEEDaPvRmT3_T4_T5_mT6_P12ihipStream_tbENKUlT_T0_E_clISt17integral_constantIbLb1EESW_EEDaSR_SS_EUlSR_E0_NS1_11comp_targetILNS1_3genE9ELNS1_11target_archE1100ELNS1_3gpuE3ELNS1_3repE0EEENS1_30default_config_static_selectorELNS0_4arch9wavefront6targetE1EEEvT1_: ; @_ZN7rocprim17ROCPRIM_400000_NS6detail17trampoline_kernelINS0_14default_configENS1_20scan_config_selectorIfEEZZNS1_9scan_implILNS1_25lookback_scan_determinismE0ELb0ELb0ES3_PKfPffZZZN2at6native31launch_logcumsumexp_cuda_kernelERKNSB_10TensorBaseESF_lENKUlvE_clEvENKUlvE0_clEvEUlffE_fEEDaPvRmT3_T4_T5_mT6_P12ihipStream_tbENKUlT_T0_E_clISt17integral_constantIbLb1EESW_EEDaSR_SS_EUlSR_E0_NS1_11comp_targetILNS1_3genE9ELNS1_11target_archE1100ELNS1_3gpuE3ELNS1_3repE0EEENS1_30default_config_static_selectorELNS0_4arch9wavefront6targetE1EEEvT1_
; %bb.0:
	.section	.rodata,"a",@progbits
	.p2align	6, 0x0
	.amdhsa_kernel _ZN7rocprim17ROCPRIM_400000_NS6detail17trampoline_kernelINS0_14default_configENS1_20scan_config_selectorIfEEZZNS1_9scan_implILNS1_25lookback_scan_determinismE0ELb0ELb0ES3_PKfPffZZZN2at6native31launch_logcumsumexp_cuda_kernelERKNSB_10TensorBaseESF_lENKUlvE_clEvENKUlvE0_clEvEUlffE_fEEDaPvRmT3_T4_T5_mT6_P12ihipStream_tbENKUlT_T0_E_clISt17integral_constantIbLb1EESW_EEDaSR_SS_EUlSR_E0_NS1_11comp_targetILNS1_3genE9ELNS1_11target_archE1100ELNS1_3gpuE3ELNS1_3repE0EEENS1_30default_config_static_selectorELNS0_4arch9wavefront6targetE1EEEvT1_
		.amdhsa_group_segment_fixed_size 0
		.amdhsa_private_segment_fixed_size 0
		.amdhsa_kernarg_size 32
		.amdhsa_user_sgpr_count 2
		.amdhsa_user_sgpr_dispatch_ptr 0
		.amdhsa_user_sgpr_queue_ptr 0
		.amdhsa_user_sgpr_kernarg_segment_ptr 1
		.amdhsa_user_sgpr_dispatch_id 0
		.amdhsa_user_sgpr_kernarg_preload_length 0
		.amdhsa_user_sgpr_kernarg_preload_offset 0
		.amdhsa_user_sgpr_private_segment_size 0
		.amdhsa_uses_dynamic_stack 0
		.amdhsa_enable_private_segment 0
		.amdhsa_system_sgpr_workgroup_id_x 1
		.amdhsa_system_sgpr_workgroup_id_y 0
		.amdhsa_system_sgpr_workgroup_id_z 0
		.amdhsa_system_sgpr_workgroup_info 0
		.amdhsa_system_vgpr_workitem_id 0
		.amdhsa_next_free_vgpr 1
		.amdhsa_next_free_sgpr 0
		.amdhsa_accum_offset 4
		.amdhsa_reserve_vcc 0
		.amdhsa_float_round_mode_32 0
		.amdhsa_float_round_mode_16_64 0
		.amdhsa_float_denorm_mode_32 3
		.amdhsa_float_denorm_mode_16_64 3
		.amdhsa_dx10_clamp 1
		.amdhsa_ieee_mode 1
		.amdhsa_fp16_overflow 0
		.amdhsa_tg_split 0
		.amdhsa_exception_fp_ieee_invalid_op 0
		.amdhsa_exception_fp_denorm_src 0
		.amdhsa_exception_fp_ieee_div_zero 0
		.amdhsa_exception_fp_ieee_overflow 0
		.amdhsa_exception_fp_ieee_underflow 0
		.amdhsa_exception_fp_ieee_inexact 0
		.amdhsa_exception_int_div_zero 0
	.end_amdhsa_kernel
	.section	.text._ZN7rocprim17ROCPRIM_400000_NS6detail17trampoline_kernelINS0_14default_configENS1_20scan_config_selectorIfEEZZNS1_9scan_implILNS1_25lookback_scan_determinismE0ELb0ELb0ES3_PKfPffZZZN2at6native31launch_logcumsumexp_cuda_kernelERKNSB_10TensorBaseESF_lENKUlvE_clEvENKUlvE0_clEvEUlffE_fEEDaPvRmT3_T4_T5_mT6_P12ihipStream_tbENKUlT_T0_E_clISt17integral_constantIbLb1EESW_EEDaSR_SS_EUlSR_E0_NS1_11comp_targetILNS1_3genE9ELNS1_11target_archE1100ELNS1_3gpuE3ELNS1_3repE0EEENS1_30default_config_static_selectorELNS0_4arch9wavefront6targetE1EEEvT1_,"axG",@progbits,_ZN7rocprim17ROCPRIM_400000_NS6detail17trampoline_kernelINS0_14default_configENS1_20scan_config_selectorIfEEZZNS1_9scan_implILNS1_25lookback_scan_determinismE0ELb0ELb0ES3_PKfPffZZZN2at6native31launch_logcumsumexp_cuda_kernelERKNSB_10TensorBaseESF_lENKUlvE_clEvENKUlvE0_clEvEUlffE_fEEDaPvRmT3_T4_T5_mT6_P12ihipStream_tbENKUlT_T0_E_clISt17integral_constantIbLb1EESW_EEDaSR_SS_EUlSR_E0_NS1_11comp_targetILNS1_3genE9ELNS1_11target_archE1100ELNS1_3gpuE3ELNS1_3repE0EEENS1_30default_config_static_selectorELNS0_4arch9wavefront6targetE1EEEvT1_,comdat
.Lfunc_end131:
	.size	_ZN7rocprim17ROCPRIM_400000_NS6detail17trampoline_kernelINS0_14default_configENS1_20scan_config_selectorIfEEZZNS1_9scan_implILNS1_25lookback_scan_determinismE0ELb0ELb0ES3_PKfPffZZZN2at6native31launch_logcumsumexp_cuda_kernelERKNSB_10TensorBaseESF_lENKUlvE_clEvENKUlvE0_clEvEUlffE_fEEDaPvRmT3_T4_T5_mT6_P12ihipStream_tbENKUlT_T0_E_clISt17integral_constantIbLb1EESW_EEDaSR_SS_EUlSR_E0_NS1_11comp_targetILNS1_3genE9ELNS1_11target_archE1100ELNS1_3gpuE3ELNS1_3repE0EEENS1_30default_config_static_selectorELNS0_4arch9wavefront6targetE1EEEvT1_, .Lfunc_end131-_ZN7rocprim17ROCPRIM_400000_NS6detail17trampoline_kernelINS0_14default_configENS1_20scan_config_selectorIfEEZZNS1_9scan_implILNS1_25lookback_scan_determinismE0ELb0ELb0ES3_PKfPffZZZN2at6native31launch_logcumsumexp_cuda_kernelERKNSB_10TensorBaseESF_lENKUlvE_clEvENKUlvE0_clEvEUlffE_fEEDaPvRmT3_T4_T5_mT6_P12ihipStream_tbENKUlT_T0_E_clISt17integral_constantIbLb1EESW_EEDaSR_SS_EUlSR_E0_NS1_11comp_targetILNS1_3genE9ELNS1_11target_archE1100ELNS1_3gpuE3ELNS1_3repE0EEENS1_30default_config_static_selectorELNS0_4arch9wavefront6targetE1EEEvT1_
                                        ; -- End function
	.set _ZN7rocprim17ROCPRIM_400000_NS6detail17trampoline_kernelINS0_14default_configENS1_20scan_config_selectorIfEEZZNS1_9scan_implILNS1_25lookback_scan_determinismE0ELb0ELb0ES3_PKfPffZZZN2at6native31launch_logcumsumexp_cuda_kernelERKNSB_10TensorBaseESF_lENKUlvE_clEvENKUlvE0_clEvEUlffE_fEEDaPvRmT3_T4_T5_mT6_P12ihipStream_tbENKUlT_T0_E_clISt17integral_constantIbLb1EESW_EEDaSR_SS_EUlSR_E0_NS1_11comp_targetILNS1_3genE9ELNS1_11target_archE1100ELNS1_3gpuE3ELNS1_3repE0EEENS1_30default_config_static_selectorELNS0_4arch9wavefront6targetE1EEEvT1_.num_vgpr, 0
	.set _ZN7rocprim17ROCPRIM_400000_NS6detail17trampoline_kernelINS0_14default_configENS1_20scan_config_selectorIfEEZZNS1_9scan_implILNS1_25lookback_scan_determinismE0ELb0ELb0ES3_PKfPffZZZN2at6native31launch_logcumsumexp_cuda_kernelERKNSB_10TensorBaseESF_lENKUlvE_clEvENKUlvE0_clEvEUlffE_fEEDaPvRmT3_T4_T5_mT6_P12ihipStream_tbENKUlT_T0_E_clISt17integral_constantIbLb1EESW_EEDaSR_SS_EUlSR_E0_NS1_11comp_targetILNS1_3genE9ELNS1_11target_archE1100ELNS1_3gpuE3ELNS1_3repE0EEENS1_30default_config_static_selectorELNS0_4arch9wavefront6targetE1EEEvT1_.num_agpr, 0
	.set _ZN7rocprim17ROCPRIM_400000_NS6detail17trampoline_kernelINS0_14default_configENS1_20scan_config_selectorIfEEZZNS1_9scan_implILNS1_25lookback_scan_determinismE0ELb0ELb0ES3_PKfPffZZZN2at6native31launch_logcumsumexp_cuda_kernelERKNSB_10TensorBaseESF_lENKUlvE_clEvENKUlvE0_clEvEUlffE_fEEDaPvRmT3_T4_T5_mT6_P12ihipStream_tbENKUlT_T0_E_clISt17integral_constantIbLb1EESW_EEDaSR_SS_EUlSR_E0_NS1_11comp_targetILNS1_3genE9ELNS1_11target_archE1100ELNS1_3gpuE3ELNS1_3repE0EEENS1_30default_config_static_selectorELNS0_4arch9wavefront6targetE1EEEvT1_.numbered_sgpr, 0
	.set _ZN7rocprim17ROCPRIM_400000_NS6detail17trampoline_kernelINS0_14default_configENS1_20scan_config_selectorIfEEZZNS1_9scan_implILNS1_25lookback_scan_determinismE0ELb0ELb0ES3_PKfPffZZZN2at6native31launch_logcumsumexp_cuda_kernelERKNSB_10TensorBaseESF_lENKUlvE_clEvENKUlvE0_clEvEUlffE_fEEDaPvRmT3_T4_T5_mT6_P12ihipStream_tbENKUlT_T0_E_clISt17integral_constantIbLb1EESW_EEDaSR_SS_EUlSR_E0_NS1_11comp_targetILNS1_3genE9ELNS1_11target_archE1100ELNS1_3gpuE3ELNS1_3repE0EEENS1_30default_config_static_selectorELNS0_4arch9wavefront6targetE1EEEvT1_.num_named_barrier, 0
	.set _ZN7rocprim17ROCPRIM_400000_NS6detail17trampoline_kernelINS0_14default_configENS1_20scan_config_selectorIfEEZZNS1_9scan_implILNS1_25lookback_scan_determinismE0ELb0ELb0ES3_PKfPffZZZN2at6native31launch_logcumsumexp_cuda_kernelERKNSB_10TensorBaseESF_lENKUlvE_clEvENKUlvE0_clEvEUlffE_fEEDaPvRmT3_T4_T5_mT6_P12ihipStream_tbENKUlT_T0_E_clISt17integral_constantIbLb1EESW_EEDaSR_SS_EUlSR_E0_NS1_11comp_targetILNS1_3genE9ELNS1_11target_archE1100ELNS1_3gpuE3ELNS1_3repE0EEENS1_30default_config_static_selectorELNS0_4arch9wavefront6targetE1EEEvT1_.private_seg_size, 0
	.set _ZN7rocprim17ROCPRIM_400000_NS6detail17trampoline_kernelINS0_14default_configENS1_20scan_config_selectorIfEEZZNS1_9scan_implILNS1_25lookback_scan_determinismE0ELb0ELb0ES3_PKfPffZZZN2at6native31launch_logcumsumexp_cuda_kernelERKNSB_10TensorBaseESF_lENKUlvE_clEvENKUlvE0_clEvEUlffE_fEEDaPvRmT3_T4_T5_mT6_P12ihipStream_tbENKUlT_T0_E_clISt17integral_constantIbLb1EESW_EEDaSR_SS_EUlSR_E0_NS1_11comp_targetILNS1_3genE9ELNS1_11target_archE1100ELNS1_3gpuE3ELNS1_3repE0EEENS1_30default_config_static_selectorELNS0_4arch9wavefront6targetE1EEEvT1_.uses_vcc, 0
	.set _ZN7rocprim17ROCPRIM_400000_NS6detail17trampoline_kernelINS0_14default_configENS1_20scan_config_selectorIfEEZZNS1_9scan_implILNS1_25lookback_scan_determinismE0ELb0ELb0ES3_PKfPffZZZN2at6native31launch_logcumsumexp_cuda_kernelERKNSB_10TensorBaseESF_lENKUlvE_clEvENKUlvE0_clEvEUlffE_fEEDaPvRmT3_T4_T5_mT6_P12ihipStream_tbENKUlT_T0_E_clISt17integral_constantIbLb1EESW_EEDaSR_SS_EUlSR_E0_NS1_11comp_targetILNS1_3genE9ELNS1_11target_archE1100ELNS1_3gpuE3ELNS1_3repE0EEENS1_30default_config_static_selectorELNS0_4arch9wavefront6targetE1EEEvT1_.uses_flat_scratch, 0
	.set _ZN7rocprim17ROCPRIM_400000_NS6detail17trampoline_kernelINS0_14default_configENS1_20scan_config_selectorIfEEZZNS1_9scan_implILNS1_25lookback_scan_determinismE0ELb0ELb0ES3_PKfPffZZZN2at6native31launch_logcumsumexp_cuda_kernelERKNSB_10TensorBaseESF_lENKUlvE_clEvENKUlvE0_clEvEUlffE_fEEDaPvRmT3_T4_T5_mT6_P12ihipStream_tbENKUlT_T0_E_clISt17integral_constantIbLb1EESW_EEDaSR_SS_EUlSR_E0_NS1_11comp_targetILNS1_3genE9ELNS1_11target_archE1100ELNS1_3gpuE3ELNS1_3repE0EEENS1_30default_config_static_selectorELNS0_4arch9wavefront6targetE1EEEvT1_.has_dyn_sized_stack, 0
	.set _ZN7rocprim17ROCPRIM_400000_NS6detail17trampoline_kernelINS0_14default_configENS1_20scan_config_selectorIfEEZZNS1_9scan_implILNS1_25lookback_scan_determinismE0ELb0ELb0ES3_PKfPffZZZN2at6native31launch_logcumsumexp_cuda_kernelERKNSB_10TensorBaseESF_lENKUlvE_clEvENKUlvE0_clEvEUlffE_fEEDaPvRmT3_T4_T5_mT6_P12ihipStream_tbENKUlT_T0_E_clISt17integral_constantIbLb1EESW_EEDaSR_SS_EUlSR_E0_NS1_11comp_targetILNS1_3genE9ELNS1_11target_archE1100ELNS1_3gpuE3ELNS1_3repE0EEENS1_30default_config_static_selectorELNS0_4arch9wavefront6targetE1EEEvT1_.has_recursion, 0
	.set _ZN7rocprim17ROCPRIM_400000_NS6detail17trampoline_kernelINS0_14default_configENS1_20scan_config_selectorIfEEZZNS1_9scan_implILNS1_25lookback_scan_determinismE0ELb0ELb0ES3_PKfPffZZZN2at6native31launch_logcumsumexp_cuda_kernelERKNSB_10TensorBaseESF_lENKUlvE_clEvENKUlvE0_clEvEUlffE_fEEDaPvRmT3_T4_T5_mT6_P12ihipStream_tbENKUlT_T0_E_clISt17integral_constantIbLb1EESW_EEDaSR_SS_EUlSR_E0_NS1_11comp_targetILNS1_3genE9ELNS1_11target_archE1100ELNS1_3gpuE3ELNS1_3repE0EEENS1_30default_config_static_selectorELNS0_4arch9wavefront6targetE1EEEvT1_.has_indirect_call, 0
	.section	.AMDGPU.csdata,"",@progbits
; Kernel info:
; codeLenInByte = 0
; TotalNumSgprs: 6
; NumVgprs: 0
; NumAgprs: 0
; TotalNumVgprs: 0
; ScratchSize: 0
; MemoryBound: 0
; FloatMode: 240
; IeeeMode: 1
; LDSByteSize: 0 bytes/workgroup (compile time only)
; SGPRBlocks: 0
; VGPRBlocks: 0
; NumSGPRsForWavesPerEU: 6
; NumVGPRsForWavesPerEU: 1
; AccumOffset: 4
; Occupancy: 8
; WaveLimiterHint : 0
; COMPUTE_PGM_RSRC2:SCRATCH_EN: 0
; COMPUTE_PGM_RSRC2:USER_SGPR: 2
; COMPUTE_PGM_RSRC2:TRAP_HANDLER: 0
; COMPUTE_PGM_RSRC2:TGID_X_EN: 1
; COMPUTE_PGM_RSRC2:TGID_Y_EN: 0
; COMPUTE_PGM_RSRC2:TGID_Z_EN: 0
; COMPUTE_PGM_RSRC2:TIDIG_COMP_CNT: 0
; COMPUTE_PGM_RSRC3_GFX90A:ACCUM_OFFSET: 0
; COMPUTE_PGM_RSRC3_GFX90A:TG_SPLIT: 0
	.section	.text._ZN7rocprim17ROCPRIM_400000_NS6detail17trampoline_kernelINS0_14default_configENS1_20scan_config_selectorIfEEZZNS1_9scan_implILNS1_25lookback_scan_determinismE0ELb0ELb0ES3_PKfPffZZZN2at6native31launch_logcumsumexp_cuda_kernelERKNSB_10TensorBaseESF_lENKUlvE_clEvENKUlvE0_clEvEUlffE_fEEDaPvRmT3_T4_T5_mT6_P12ihipStream_tbENKUlT_T0_E_clISt17integral_constantIbLb1EESW_EEDaSR_SS_EUlSR_E0_NS1_11comp_targetILNS1_3genE8ELNS1_11target_archE1030ELNS1_3gpuE2ELNS1_3repE0EEENS1_30default_config_static_selectorELNS0_4arch9wavefront6targetE1EEEvT1_,"axG",@progbits,_ZN7rocprim17ROCPRIM_400000_NS6detail17trampoline_kernelINS0_14default_configENS1_20scan_config_selectorIfEEZZNS1_9scan_implILNS1_25lookback_scan_determinismE0ELb0ELb0ES3_PKfPffZZZN2at6native31launch_logcumsumexp_cuda_kernelERKNSB_10TensorBaseESF_lENKUlvE_clEvENKUlvE0_clEvEUlffE_fEEDaPvRmT3_T4_T5_mT6_P12ihipStream_tbENKUlT_T0_E_clISt17integral_constantIbLb1EESW_EEDaSR_SS_EUlSR_E0_NS1_11comp_targetILNS1_3genE8ELNS1_11target_archE1030ELNS1_3gpuE2ELNS1_3repE0EEENS1_30default_config_static_selectorELNS0_4arch9wavefront6targetE1EEEvT1_,comdat
	.globl	_ZN7rocprim17ROCPRIM_400000_NS6detail17trampoline_kernelINS0_14default_configENS1_20scan_config_selectorIfEEZZNS1_9scan_implILNS1_25lookback_scan_determinismE0ELb0ELb0ES3_PKfPffZZZN2at6native31launch_logcumsumexp_cuda_kernelERKNSB_10TensorBaseESF_lENKUlvE_clEvENKUlvE0_clEvEUlffE_fEEDaPvRmT3_T4_T5_mT6_P12ihipStream_tbENKUlT_T0_E_clISt17integral_constantIbLb1EESW_EEDaSR_SS_EUlSR_E0_NS1_11comp_targetILNS1_3genE8ELNS1_11target_archE1030ELNS1_3gpuE2ELNS1_3repE0EEENS1_30default_config_static_selectorELNS0_4arch9wavefront6targetE1EEEvT1_ ; -- Begin function _ZN7rocprim17ROCPRIM_400000_NS6detail17trampoline_kernelINS0_14default_configENS1_20scan_config_selectorIfEEZZNS1_9scan_implILNS1_25lookback_scan_determinismE0ELb0ELb0ES3_PKfPffZZZN2at6native31launch_logcumsumexp_cuda_kernelERKNSB_10TensorBaseESF_lENKUlvE_clEvENKUlvE0_clEvEUlffE_fEEDaPvRmT3_T4_T5_mT6_P12ihipStream_tbENKUlT_T0_E_clISt17integral_constantIbLb1EESW_EEDaSR_SS_EUlSR_E0_NS1_11comp_targetILNS1_3genE8ELNS1_11target_archE1030ELNS1_3gpuE2ELNS1_3repE0EEENS1_30default_config_static_selectorELNS0_4arch9wavefront6targetE1EEEvT1_
	.p2align	8
	.type	_ZN7rocprim17ROCPRIM_400000_NS6detail17trampoline_kernelINS0_14default_configENS1_20scan_config_selectorIfEEZZNS1_9scan_implILNS1_25lookback_scan_determinismE0ELb0ELb0ES3_PKfPffZZZN2at6native31launch_logcumsumexp_cuda_kernelERKNSB_10TensorBaseESF_lENKUlvE_clEvENKUlvE0_clEvEUlffE_fEEDaPvRmT3_T4_T5_mT6_P12ihipStream_tbENKUlT_T0_E_clISt17integral_constantIbLb1EESW_EEDaSR_SS_EUlSR_E0_NS1_11comp_targetILNS1_3genE8ELNS1_11target_archE1030ELNS1_3gpuE2ELNS1_3repE0EEENS1_30default_config_static_selectorELNS0_4arch9wavefront6targetE1EEEvT1_,@function
_ZN7rocprim17ROCPRIM_400000_NS6detail17trampoline_kernelINS0_14default_configENS1_20scan_config_selectorIfEEZZNS1_9scan_implILNS1_25lookback_scan_determinismE0ELb0ELb0ES3_PKfPffZZZN2at6native31launch_logcumsumexp_cuda_kernelERKNSB_10TensorBaseESF_lENKUlvE_clEvENKUlvE0_clEvEUlffE_fEEDaPvRmT3_T4_T5_mT6_P12ihipStream_tbENKUlT_T0_E_clISt17integral_constantIbLb1EESW_EEDaSR_SS_EUlSR_E0_NS1_11comp_targetILNS1_3genE8ELNS1_11target_archE1030ELNS1_3gpuE2ELNS1_3repE0EEENS1_30default_config_static_selectorELNS0_4arch9wavefront6targetE1EEEvT1_: ; @_ZN7rocprim17ROCPRIM_400000_NS6detail17trampoline_kernelINS0_14default_configENS1_20scan_config_selectorIfEEZZNS1_9scan_implILNS1_25lookback_scan_determinismE0ELb0ELb0ES3_PKfPffZZZN2at6native31launch_logcumsumexp_cuda_kernelERKNSB_10TensorBaseESF_lENKUlvE_clEvENKUlvE0_clEvEUlffE_fEEDaPvRmT3_T4_T5_mT6_P12ihipStream_tbENKUlT_T0_E_clISt17integral_constantIbLb1EESW_EEDaSR_SS_EUlSR_E0_NS1_11comp_targetILNS1_3genE8ELNS1_11target_archE1030ELNS1_3gpuE2ELNS1_3repE0EEENS1_30default_config_static_selectorELNS0_4arch9wavefront6targetE1EEEvT1_
; %bb.0:
	.section	.rodata,"a",@progbits
	.p2align	6, 0x0
	.amdhsa_kernel _ZN7rocprim17ROCPRIM_400000_NS6detail17trampoline_kernelINS0_14default_configENS1_20scan_config_selectorIfEEZZNS1_9scan_implILNS1_25lookback_scan_determinismE0ELb0ELb0ES3_PKfPffZZZN2at6native31launch_logcumsumexp_cuda_kernelERKNSB_10TensorBaseESF_lENKUlvE_clEvENKUlvE0_clEvEUlffE_fEEDaPvRmT3_T4_T5_mT6_P12ihipStream_tbENKUlT_T0_E_clISt17integral_constantIbLb1EESW_EEDaSR_SS_EUlSR_E0_NS1_11comp_targetILNS1_3genE8ELNS1_11target_archE1030ELNS1_3gpuE2ELNS1_3repE0EEENS1_30default_config_static_selectorELNS0_4arch9wavefront6targetE1EEEvT1_
		.amdhsa_group_segment_fixed_size 0
		.amdhsa_private_segment_fixed_size 0
		.amdhsa_kernarg_size 32
		.amdhsa_user_sgpr_count 2
		.amdhsa_user_sgpr_dispatch_ptr 0
		.amdhsa_user_sgpr_queue_ptr 0
		.amdhsa_user_sgpr_kernarg_segment_ptr 1
		.amdhsa_user_sgpr_dispatch_id 0
		.amdhsa_user_sgpr_kernarg_preload_length 0
		.amdhsa_user_sgpr_kernarg_preload_offset 0
		.amdhsa_user_sgpr_private_segment_size 0
		.amdhsa_uses_dynamic_stack 0
		.amdhsa_enable_private_segment 0
		.amdhsa_system_sgpr_workgroup_id_x 1
		.amdhsa_system_sgpr_workgroup_id_y 0
		.amdhsa_system_sgpr_workgroup_id_z 0
		.amdhsa_system_sgpr_workgroup_info 0
		.amdhsa_system_vgpr_workitem_id 0
		.amdhsa_next_free_vgpr 1
		.amdhsa_next_free_sgpr 0
		.amdhsa_accum_offset 4
		.amdhsa_reserve_vcc 0
		.amdhsa_float_round_mode_32 0
		.amdhsa_float_round_mode_16_64 0
		.amdhsa_float_denorm_mode_32 3
		.amdhsa_float_denorm_mode_16_64 3
		.amdhsa_dx10_clamp 1
		.amdhsa_ieee_mode 1
		.amdhsa_fp16_overflow 0
		.amdhsa_tg_split 0
		.amdhsa_exception_fp_ieee_invalid_op 0
		.amdhsa_exception_fp_denorm_src 0
		.amdhsa_exception_fp_ieee_div_zero 0
		.amdhsa_exception_fp_ieee_overflow 0
		.amdhsa_exception_fp_ieee_underflow 0
		.amdhsa_exception_fp_ieee_inexact 0
		.amdhsa_exception_int_div_zero 0
	.end_amdhsa_kernel
	.section	.text._ZN7rocprim17ROCPRIM_400000_NS6detail17trampoline_kernelINS0_14default_configENS1_20scan_config_selectorIfEEZZNS1_9scan_implILNS1_25lookback_scan_determinismE0ELb0ELb0ES3_PKfPffZZZN2at6native31launch_logcumsumexp_cuda_kernelERKNSB_10TensorBaseESF_lENKUlvE_clEvENKUlvE0_clEvEUlffE_fEEDaPvRmT3_T4_T5_mT6_P12ihipStream_tbENKUlT_T0_E_clISt17integral_constantIbLb1EESW_EEDaSR_SS_EUlSR_E0_NS1_11comp_targetILNS1_3genE8ELNS1_11target_archE1030ELNS1_3gpuE2ELNS1_3repE0EEENS1_30default_config_static_selectorELNS0_4arch9wavefront6targetE1EEEvT1_,"axG",@progbits,_ZN7rocprim17ROCPRIM_400000_NS6detail17trampoline_kernelINS0_14default_configENS1_20scan_config_selectorIfEEZZNS1_9scan_implILNS1_25lookback_scan_determinismE0ELb0ELb0ES3_PKfPffZZZN2at6native31launch_logcumsumexp_cuda_kernelERKNSB_10TensorBaseESF_lENKUlvE_clEvENKUlvE0_clEvEUlffE_fEEDaPvRmT3_T4_T5_mT6_P12ihipStream_tbENKUlT_T0_E_clISt17integral_constantIbLb1EESW_EEDaSR_SS_EUlSR_E0_NS1_11comp_targetILNS1_3genE8ELNS1_11target_archE1030ELNS1_3gpuE2ELNS1_3repE0EEENS1_30default_config_static_selectorELNS0_4arch9wavefront6targetE1EEEvT1_,comdat
.Lfunc_end132:
	.size	_ZN7rocprim17ROCPRIM_400000_NS6detail17trampoline_kernelINS0_14default_configENS1_20scan_config_selectorIfEEZZNS1_9scan_implILNS1_25lookback_scan_determinismE0ELb0ELb0ES3_PKfPffZZZN2at6native31launch_logcumsumexp_cuda_kernelERKNSB_10TensorBaseESF_lENKUlvE_clEvENKUlvE0_clEvEUlffE_fEEDaPvRmT3_T4_T5_mT6_P12ihipStream_tbENKUlT_T0_E_clISt17integral_constantIbLb1EESW_EEDaSR_SS_EUlSR_E0_NS1_11comp_targetILNS1_3genE8ELNS1_11target_archE1030ELNS1_3gpuE2ELNS1_3repE0EEENS1_30default_config_static_selectorELNS0_4arch9wavefront6targetE1EEEvT1_, .Lfunc_end132-_ZN7rocprim17ROCPRIM_400000_NS6detail17trampoline_kernelINS0_14default_configENS1_20scan_config_selectorIfEEZZNS1_9scan_implILNS1_25lookback_scan_determinismE0ELb0ELb0ES3_PKfPffZZZN2at6native31launch_logcumsumexp_cuda_kernelERKNSB_10TensorBaseESF_lENKUlvE_clEvENKUlvE0_clEvEUlffE_fEEDaPvRmT3_T4_T5_mT6_P12ihipStream_tbENKUlT_T0_E_clISt17integral_constantIbLb1EESW_EEDaSR_SS_EUlSR_E0_NS1_11comp_targetILNS1_3genE8ELNS1_11target_archE1030ELNS1_3gpuE2ELNS1_3repE0EEENS1_30default_config_static_selectorELNS0_4arch9wavefront6targetE1EEEvT1_
                                        ; -- End function
	.set _ZN7rocprim17ROCPRIM_400000_NS6detail17trampoline_kernelINS0_14default_configENS1_20scan_config_selectorIfEEZZNS1_9scan_implILNS1_25lookback_scan_determinismE0ELb0ELb0ES3_PKfPffZZZN2at6native31launch_logcumsumexp_cuda_kernelERKNSB_10TensorBaseESF_lENKUlvE_clEvENKUlvE0_clEvEUlffE_fEEDaPvRmT3_T4_T5_mT6_P12ihipStream_tbENKUlT_T0_E_clISt17integral_constantIbLb1EESW_EEDaSR_SS_EUlSR_E0_NS1_11comp_targetILNS1_3genE8ELNS1_11target_archE1030ELNS1_3gpuE2ELNS1_3repE0EEENS1_30default_config_static_selectorELNS0_4arch9wavefront6targetE1EEEvT1_.num_vgpr, 0
	.set _ZN7rocprim17ROCPRIM_400000_NS6detail17trampoline_kernelINS0_14default_configENS1_20scan_config_selectorIfEEZZNS1_9scan_implILNS1_25lookback_scan_determinismE0ELb0ELb0ES3_PKfPffZZZN2at6native31launch_logcumsumexp_cuda_kernelERKNSB_10TensorBaseESF_lENKUlvE_clEvENKUlvE0_clEvEUlffE_fEEDaPvRmT3_T4_T5_mT6_P12ihipStream_tbENKUlT_T0_E_clISt17integral_constantIbLb1EESW_EEDaSR_SS_EUlSR_E0_NS1_11comp_targetILNS1_3genE8ELNS1_11target_archE1030ELNS1_3gpuE2ELNS1_3repE0EEENS1_30default_config_static_selectorELNS0_4arch9wavefront6targetE1EEEvT1_.num_agpr, 0
	.set _ZN7rocprim17ROCPRIM_400000_NS6detail17trampoline_kernelINS0_14default_configENS1_20scan_config_selectorIfEEZZNS1_9scan_implILNS1_25lookback_scan_determinismE0ELb0ELb0ES3_PKfPffZZZN2at6native31launch_logcumsumexp_cuda_kernelERKNSB_10TensorBaseESF_lENKUlvE_clEvENKUlvE0_clEvEUlffE_fEEDaPvRmT3_T4_T5_mT6_P12ihipStream_tbENKUlT_T0_E_clISt17integral_constantIbLb1EESW_EEDaSR_SS_EUlSR_E0_NS1_11comp_targetILNS1_3genE8ELNS1_11target_archE1030ELNS1_3gpuE2ELNS1_3repE0EEENS1_30default_config_static_selectorELNS0_4arch9wavefront6targetE1EEEvT1_.numbered_sgpr, 0
	.set _ZN7rocprim17ROCPRIM_400000_NS6detail17trampoline_kernelINS0_14default_configENS1_20scan_config_selectorIfEEZZNS1_9scan_implILNS1_25lookback_scan_determinismE0ELb0ELb0ES3_PKfPffZZZN2at6native31launch_logcumsumexp_cuda_kernelERKNSB_10TensorBaseESF_lENKUlvE_clEvENKUlvE0_clEvEUlffE_fEEDaPvRmT3_T4_T5_mT6_P12ihipStream_tbENKUlT_T0_E_clISt17integral_constantIbLb1EESW_EEDaSR_SS_EUlSR_E0_NS1_11comp_targetILNS1_3genE8ELNS1_11target_archE1030ELNS1_3gpuE2ELNS1_3repE0EEENS1_30default_config_static_selectorELNS0_4arch9wavefront6targetE1EEEvT1_.num_named_barrier, 0
	.set _ZN7rocprim17ROCPRIM_400000_NS6detail17trampoline_kernelINS0_14default_configENS1_20scan_config_selectorIfEEZZNS1_9scan_implILNS1_25lookback_scan_determinismE0ELb0ELb0ES3_PKfPffZZZN2at6native31launch_logcumsumexp_cuda_kernelERKNSB_10TensorBaseESF_lENKUlvE_clEvENKUlvE0_clEvEUlffE_fEEDaPvRmT3_T4_T5_mT6_P12ihipStream_tbENKUlT_T0_E_clISt17integral_constantIbLb1EESW_EEDaSR_SS_EUlSR_E0_NS1_11comp_targetILNS1_3genE8ELNS1_11target_archE1030ELNS1_3gpuE2ELNS1_3repE0EEENS1_30default_config_static_selectorELNS0_4arch9wavefront6targetE1EEEvT1_.private_seg_size, 0
	.set _ZN7rocprim17ROCPRIM_400000_NS6detail17trampoline_kernelINS0_14default_configENS1_20scan_config_selectorIfEEZZNS1_9scan_implILNS1_25lookback_scan_determinismE0ELb0ELb0ES3_PKfPffZZZN2at6native31launch_logcumsumexp_cuda_kernelERKNSB_10TensorBaseESF_lENKUlvE_clEvENKUlvE0_clEvEUlffE_fEEDaPvRmT3_T4_T5_mT6_P12ihipStream_tbENKUlT_T0_E_clISt17integral_constantIbLb1EESW_EEDaSR_SS_EUlSR_E0_NS1_11comp_targetILNS1_3genE8ELNS1_11target_archE1030ELNS1_3gpuE2ELNS1_3repE0EEENS1_30default_config_static_selectorELNS0_4arch9wavefront6targetE1EEEvT1_.uses_vcc, 0
	.set _ZN7rocprim17ROCPRIM_400000_NS6detail17trampoline_kernelINS0_14default_configENS1_20scan_config_selectorIfEEZZNS1_9scan_implILNS1_25lookback_scan_determinismE0ELb0ELb0ES3_PKfPffZZZN2at6native31launch_logcumsumexp_cuda_kernelERKNSB_10TensorBaseESF_lENKUlvE_clEvENKUlvE0_clEvEUlffE_fEEDaPvRmT3_T4_T5_mT6_P12ihipStream_tbENKUlT_T0_E_clISt17integral_constantIbLb1EESW_EEDaSR_SS_EUlSR_E0_NS1_11comp_targetILNS1_3genE8ELNS1_11target_archE1030ELNS1_3gpuE2ELNS1_3repE0EEENS1_30default_config_static_selectorELNS0_4arch9wavefront6targetE1EEEvT1_.uses_flat_scratch, 0
	.set _ZN7rocprim17ROCPRIM_400000_NS6detail17trampoline_kernelINS0_14default_configENS1_20scan_config_selectorIfEEZZNS1_9scan_implILNS1_25lookback_scan_determinismE0ELb0ELb0ES3_PKfPffZZZN2at6native31launch_logcumsumexp_cuda_kernelERKNSB_10TensorBaseESF_lENKUlvE_clEvENKUlvE0_clEvEUlffE_fEEDaPvRmT3_T4_T5_mT6_P12ihipStream_tbENKUlT_T0_E_clISt17integral_constantIbLb1EESW_EEDaSR_SS_EUlSR_E0_NS1_11comp_targetILNS1_3genE8ELNS1_11target_archE1030ELNS1_3gpuE2ELNS1_3repE0EEENS1_30default_config_static_selectorELNS0_4arch9wavefront6targetE1EEEvT1_.has_dyn_sized_stack, 0
	.set _ZN7rocprim17ROCPRIM_400000_NS6detail17trampoline_kernelINS0_14default_configENS1_20scan_config_selectorIfEEZZNS1_9scan_implILNS1_25lookback_scan_determinismE0ELb0ELb0ES3_PKfPffZZZN2at6native31launch_logcumsumexp_cuda_kernelERKNSB_10TensorBaseESF_lENKUlvE_clEvENKUlvE0_clEvEUlffE_fEEDaPvRmT3_T4_T5_mT6_P12ihipStream_tbENKUlT_T0_E_clISt17integral_constantIbLb1EESW_EEDaSR_SS_EUlSR_E0_NS1_11comp_targetILNS1_3genE8ELNS1_11target_archE1030ELNS1_3gpuE2ELNS1_3repE0EEENS1_30default_config_static_selectorELNS0_4arch9wavefront6targetE1EEEvT1_.has_recursion, 0
	.set _ZN7rocprim17ROCPRIM_400000_NS6detail17trampoline_kernelINS0_14default_configENS1_20scan_config_selectorIfEEZZNS1_9scan_implILNS1_25lookback_scan_determinismE0ELb0ELb0ES3_PKfPffZZZN2at6native31launch_logcumsumexp_cuda_kernelERKNSB_10TensorBaseESF_lENKUlvE_clEvENKUlvE0_clEvEUlffE_fEEDaPvRmT3_T4_T5_mT6_P12ihipStream_tbENKUlT_T0_E_clISt17integral_constantIbLb1EESW_EEDaSR_SS_EUlSR_E0_NS1_11comp_targetILNS1_3genE8ELNS1_11target_archE1030ELNS1_3gpuE2ELNS1_3repE0EEENS1_30default_config_static_selectorELNS0_4arch9wavefront6targetE1EEEvT1_.has_indirect_call, 0
	.section	.AMDGPU.csdata,"",@progbits
; Kernel info:
; codeLenInByte = 0
; TotalNumSgprs: 6
; NumVgprs: 0
; NumAgprs: 0
; TotalNumVgprs: 0
; ScratchSize: 0
; MemoryBound: 0
; FloatMode: 240
; IeeeMode: 1
; LDSByteSize: 0 bytes/workgroup (compile time only)
; SGPRBlocks: 0
; VGPRBlocks: 0
; NumSGPRsForWavesPerEU: 6
; NumVGPRsForWavesPerEU: 1
; AccumOffset: 4
; Occupancy: 8
; WaveLimiterHint : 0
; COMPUTE_PGM_RSRC2:SCRATCH_EN: 0
; COMPUTE_PGM_RSRC2:USER_SGPR: 2
; COMPUTE_PGM_RSRC2:TRAP_HANDLER: 0
; COMPUTE_PGM_RSRC2:TGID_X_EN: 1
; COMPUTE_PGM_RSRC2:TGID_Y_EN: 0
; COMPUTE_PGM_RSRC2:TGID_Z_EN: 0
; COMPUTE_PGM_RSRC2:TIDIG_COMP_CNT: 0
; COMPUTE_PGM_RSRC3_GFX90A:ACCUM_OFFSET: 0
; COMPUTE_PGM_RSRC3_GFX90A:TG_SPLIT: 0
	.section	.text._ZN7rocprim17ROCPRIM_400000_NS6detail31init_lookback_scan_state_kernelINS1_19lookback_scan_stateIfLb1ELb1EEENS1_16block_id_wrapperIjLb0EEEEEvT_jT0_jPNS7_10value_typeE,"axG",@progbits,_ZN7rocprim17ROCPRIM_400000_NS6detail31init_lookback_scan_state_kernelINS1_19lookback_scan_stateIfLb1ELb1EEENS1_16block_id_wrapperIjLb0EEEEEvT_jT0_jPNS7_10value_typeE,comdat
	.protected	_ZN7rocprim17ROCPRIM_400000_NS6detail31init_lookback_scan_state_kernelINS1_19lookback_scan_stateIfLb1ELb1EEENS1_16block_id_wrapperIjLb0EEEEEvT_jT0_jPNS7_10value_typeE ; -- Begin function _ZN7rocprim17ROCPRIM_400000_NS6detail31init_lookback_scan_state_kernelINS1_19lookback_scan_stateIfLb1ELb1EEENS1_16block_id_wrapperIjLb0EEEEEvT_jT0_jPNS7_10value_typeE
	.globl	_ZN7rocprim17ROCPRIM_400000_NS6detail31init_lookback_scan_state_kernelINS1_19lookback_scan_stateIfLb1ELb1EEENS1_16block_id_wrapperIjLb0EEEEEvT_jT0_jPNS7_10value_typeE
	.p2align	8
	.type	_ZN7rocprim17ROCPRIM_400000_NS6detail31init_lookback_scan_state_kernelINS1_19lookback_scan_stateIfLb1ELb1EEENS1_16block_id_wrapperIjLb0EEEEEvT_jT0_jPNS7_10value_typeE,@function
_ZN7rocprim17ROCPRIM_400000_NS6detail31init_lookback_scan_state_kernelINS1_19lookback_scan_stateIfLb1ELb1EEENS1_16block_id_wrapperIjLb0EEEEEvT_jT0_jPNS7_10value_typeE: ; @_ZN7rocprim17ROCPRIM_400000_NS6detail31init_lookback_scan_state_kernelINS1_19lookback_scan_stateIfLb1ELb1EEENS1_16block_id_wrapperIjLb0EEEEEvT_jT0_jPNS7_10value_typeE
; %bb.0:
	s_load_dword s3, s[0:1], 0x2c
	s_load_dwordx2 s[6:7], s[0:1], 0x18
	s_load_dwordx2 s[4:5], s[0:1], 0x0
	s_load_dword s8, s[0:1], 0x8
	s_waitcnt lgkmcnt(0)
	s_and_b32 s3, s3, 0xffff
	s_mul_i32 s2, s2, s3
	s_cmp_eq_u64 s[6:7], 0
	v_add_u32_e32 v0, s2, v0
	s_cbranch_scc1 .LBB133_9
; %bb.1:
	s_load_dword s2, s[0:1], 0x10
	s_mov_b32 s3, 0
	s_waitcnt lgkmcnt(0)
	s_cmp_lt_u32 s2, s8
	s_cselect_b32 s0, s2, 0
	v_cmp_eq_u32_e32 vcc, s0, v0
	s_and_saveexec_b64 s[0:1], vcc
	s_cbranch_execz .LBB133_8
; %bb.2:
	s_add_i32 s2, s2, 64
	s_lshl_b64 s[2:3], s[2:3], 3
	s_add_u32 s2, s4, s2
	s_addc_u32 s3, s5, s3
	v_mov_b32_e32 v2, 0
	global_load_dwordx2 v[4:5], v2, s[2:3] sc1
	s_waitcnt vmcnt(0)
	v_and_b32_e32 v3, 0xff, v5
	v_cmp_ne_u64_e32 vcc, 0, v[2:3]
	s_cbranch_vccnz .LBB133_7
; %bb.3:
	s_mov_b32 s9, 1
.LBB133_4:                              ; =>This Loop Header: Depth=1
                                        ;     Child Loop BB133_5 Depth 2
	s_mov_b32 s10, s9
.LBB133_5:                              ;   Parent Loop BB133_4 Depth=1
                                        ; =>  This Inner Loop Header: Depth=2
	s_add_i32 s10, s10, -1
	s_cmp_eq_u32 s10, 0
	s_sleep 1
	s_cbranch_scc0 .LBB133_5
; %bb.6:                                ;   in Loop: Header=BB133_4 Depth=1
	global_load_dwordx2 v[4:5], v2, s[2:3] sc1
	s_cmp_lt_u32 s9, 32
	s_cselect_b64 s[10:11], -1, 0
	s_cmp_lg_u64 s[10:11], 0
	s_addc_u32 s9, s9, 0
	s_waitcnt vmcnt(0)
	v_and_b32_e32 v3, 0xff, v5
	v_cmp_ne_u64_e32 vcc, 0, v[2:3]
	s_cbranch_vccz .LBB133_4
.LBB133_7:
	v_mov_b32_e32 v1, 0
	global_store_dword v1, v4, s[6:7]
.LBB133_8:
	s_or_b64 exec, exec, s[0:1]
.LBB133_9:
	v_cmp_gt_u32_e32 vcc, s8, v0
	s_and_saveexec_b64 s[0:1], vcc
	s_cbranch_execnz .LBB133_12
; %bb.10:
	s_or_b64 exec, exec, s[0:1]
	v_cmp_gt_u32_e32 vcc, 64, v0
	s_and_saveexec_b64 s[0:1], vcc
	s_cbranch_execnz .LBB133_13
.LBB133_11:
	s_endpgm
.LBB133_12:
	v_add_u32_e32 v2, 64, v0
	v_mov_b32_e32 v3, 0
	v_lshl_add_u64 v[4:5], v[2:3], 3, s[4:5]
	v_mov_b32_e32 v2, v3
	global_store_dwordx2 v[4:5], v[2:3], off
	s_or_b64 exec, exec, s[0:1]
	v_cmp_gt_u32_e32 vcc, 64, v0
	s_and_saveexec_b64 s[0:1], vcc
	s_cbranch_execz .LBB133_11
.LBB133_13:
	v_mov_b32_e32 v1, 0
	v_lshl_add_u64 v[2:3], v[0:1], 3, s[4:5]
	v_mov_b32_e32 v5, 0xff
	v_mov_b32_e32 v4, v1
	global_store_dwordx2 v[2:3], v[4:5], off
	s_endpgm
	.section	.rodata,"a",@progbits
	.p2align	6, 0x0
	.amdhsa_kernel _ZN7rocprim17ROCPRIM_400000_NS6detail31init_lookback_scan_state_kernelINS1_19lookback_scan_stateIfLb1ELb1EEENS1_16block_id_wrapperIjLb0EEEEEvT_jT0_jPNS7_10value_typeE
		.amdhsa_group_segment_fixed_size 0
		.amdhsa_private_segment_fixed_size 0
		.amdhsa_kernarg_size 288
		.amdhsa_user_sgpr_count 2
		.amdhsa_user_sgpr_dispatch_ptr 0
		.amdhsa_user_sgpr_queue_ptr 0
		.amdhsa_user_sgpr_kernarg_segment_ptr 1
		.amdhsa_user_sgpr_dispatch_id 0
		.amdhsa_user_sgpr_kernarg_preload_length 0
		.amdhsa_user_sgpr_kernarg_preload_offset 0
		.amdhsa_user_sgpr_private_segment_size 0
		.amdhsa_uses_dynamic_stack 0
		.amdhsa_enable_private_segment 0
		.amdhsa_system_sgpr_workgroup_id_x 1
		.amdhsa_system_sgpr_workgroup_id_y 0
		.amdhsa_system_sgpr_workgroup_id_z 0
		.amdhsa_system_sgpr_workgroup_info 0
		.amdhsa_system_vgpr_workitem_id 0
		.amdhsa_next_free_vgpr 6
		.amdhsa_next_free_sgpr 12
		.amdhsa_accum_offset 8
		.amdhsa_reserve_vcc 1
		.amdhsa_float_round_mode_32 0
		.amdhsa_float_round_mode_16_64 0
		.amdhsa_float_denorm_mode_32 3
		.amdhsa_float_denorm_mode_16_64 3
		.amdhsa_dx10_clamp 1
		.amdhsa_ieee_mode 1
		.amdhsa_fp16_overflow 0
		.amdhsa_tg_split 0
		.amdhsa_exception_fp_ieee_invalid_op 0
		.amdhsa_exception_fp_denorm_src 0
		.amdhsa_exception_fp_ieee_div_zero 0
		.amdhsa_exception_fp_ieee_overflow 0
		.amdhsa_exception_fp_ieee_underflow 0
		.amdhsa_exception_fp_ieee_inexact 0
		.amdhsa_exception_int_div_zero 0
	.end_amdhsa_kernel
	.section	.text._ZN7rocprim17ROCPRIM_400000_NS6detail31init_lookback_scan_state_kernelINS1_19lookback_scan_stateIfLb1ELb1EEENS1_16block_id_wrapperIjLb0EEEEEvT_jT0_jPNS7_10value_typeE,"axG",@progbits,_ZN7rocprim17ROCPRIM_400000_NS6detail31init_lookback_scan_state_kernelINS1_19lookback_scan_stateIfLb1ELb1EEENS1_16block_id_wrapperIjLb0EEEEEvT_jT0_jPNS7_10value_typeE,comdat
.Lfunc_end133:
	.size	_ZN7rocprim17ROCPRIM_400000_NS6detail31init_lookback_scan_state_kernelINS1_19lookback_scan_stateIfLb1ELb1EEENS1_16block_id_wrapperIjLb0EEEEEvT_jT0_jPNS7_10value_typeE, .Lfunc_end133-_ZN7rocprim17ROCPRIM_400000_NS6detail31init_lookback_scan_state_kernelINS1_19lookback_scan_stateIfLb1ELb1EEENS1_16block_id_wrapperIjLb0EEEEEvT_jT0_jPNS7_10value_typeE
                                        ; -- End function
	.set _ZN7rocprim17ROCPRIM_400000_NS6detail31init_lookback_scan_state_kernelINS1_19lookback_scan_stateIfLb1ELb1EEENS1_16block_id_wrapperIjLb0EEEEEvT_jT0_jPNS7_10value_typeE.num_vgpr, 6
	.set _ZN7rocprim17ROCPRIM_400000_NS6detail31init_lookback_scan_state_kernelINS1_19lookback_scan_stateIfLb1ELb1EEENS1_16block_id_wrapperIjLb0EEEEEvT_jT0_jPNS7_10value_typeE.num_agpr, 0
	.set _ZN7rocprim17ROCPRIM_400000_NS6detail31init_lookback_scan_state_kernelINS1_19lookback_scan_stateIfLb1ELb1EEENS1_16block_id_wrapperIjLb0EEEEEvT_jT0_jPNS7_10value_typeE.numbered_sgpr, 12
	.set _ZN7rocprim17ROCPRIM_400000_NS6detail31init_lookback_scan_state_kernelINS1_19lookback_scan_stateIfLb1ELb1EEENS1_16block_id_wrapperIjLb0EEEEEvT_jT0_jPNS7_10value_typeE.num_named_barrier, 0
	.set _ZN7rocprim17ROCPRIM_400000_NS6detail31init_lookback_scan_state_kernelINS1_19lookback_scan_stateIfLb1ELb1EEENS1_16block_id_wrapperIjLb0EEEEEvT_jT0_jPNS7_10value_typeE.private_seg_size, 0
	.set _ZN7rocprim17ROCPRIM_400000_NS6detail31init_lookback_scan_state_kernelINS1_19lookback_scan_stateIfLb1ELb1EEENS1_16block_id_wrapperIjLb0EEEEEvT_jT0_jPNS7_10value_typeE.uses_vcc, 1
	.set _ZN7rocprim17ROCPRIM_400000_NS6detail31init_lookback_scan_state_kernelINS1_19lookback_scan_stateIfLb1ELb1EEENS1_16block_id_wrapperIjLb0EEEEEvT_jT0_jPNS7_10value_typeE.uses_flat_scratch, 0
	.set _ZN7rocprim17ROCPRIM_400000_NS6detail31init_lookback_scan_state_kernelINS1_19lookback_scan_stateIfLb1ELb1EEENS1_16block_id_wrapperIjLb0EEEEEvT_jT0_jPNS7_10value_typeE.has_dyn_sized_stack, 0
	.set _ZN7rocprim17ROCPRIM_400000_NS6detail31init_lookback_scan_state_kernelINS1_19lookback_scan_stateIfLb1ELb1EEENS1_16block_id_wrapperIjLb0EEEEEvT_jT0_jPNS7_10value_typeE.has_recursion, 0
	.set _ZN7rocprim17ROCPRIM_400000_NS6detail31init_lookback_scan_state_kernelINS1_19lookback_scan_stateIfLb1ELb1EEENS1_16block_id_wrapperIjLb0EEEEEvT_jT0_jPNS7_10value_typeE.has_indirect_call, 0
	.section	.AMDGPU.csdata,"",@progbits
; Kernel info:
; codeLenInByte = 340
; TotalNumSgprs: 18
; NumVgprs: 6
; NumAgprs: 0
; TotalNumVgprs: 6
; ScratchSize: 0
; MemoryBound: 0
; FloatMode: 240
; IeeeMode: 1
; LDSByteSize: 0 bytes/workgroup (compile time only)
; SGPRBlocks: 2
; VGPRBlocks: 0
; NumSGPRsForWavesPerEU: 18
; NumVGPRsForWavesPerEU: 6
; AccumOffset: 8
; Occupancy: 8
; WaveLimiterHint : 0
; COMPUTE_PGM_RSRC2:SCRATCH_EN: 0
; COMPUTE_PGM_RSRC2:USER_SGPR: 2
; COMPUTE_PGM_RSRC2:TRAP_HANDLER: 0
; COMPUTE_PGM_RSRC2:TGID_X_EN: 1
; COMPUTE_PGM_RSRC2:TGID_Y_EN: 0
; COMPUTE_PGM_RSRC2:TGID_Z_EN: 0
; COMPUTE_PGM_RSRC2:TIDIG_COMP_CNT: 0
; COMPUTE_PGM_RSRC3_GFX90A:ACCUM_OFFSET: 1
; COMPUTE_PGM_RSRC3_GFX90A:TG_SPLIT: 0
	.section	.text._ZN7rocprim17ROCPRIM_400000_NS6detail17trampoline_kernelINS0_14default_configENS1_20scan_config_selectorIfEEZZNS1_9scan_implILNS1_25lookback_scan_determinismE0ELb0ELb0ES3_PKfPffZZZN2at6native31launch_logcumsumexp_cuda_kernelERKNSB_10TensorBaseESF_lENKUlvE_clEvENKUlvE0_clEvEUlffE_fEEDaPvRmT3_T4_T5_mT6_P12ihipStream_tbENKUlT_T0_E_clISt17integral_constantIbLb1EESV_IbLb0EEEEDaSR_SS_EUlSR_E_NS1_11comp_targetILNS1_3genE0ELNS1_11target_archE4294967295ELNS1_3gpuE0ELNS1_3repE0EEENS1_30default_config_static_selectorELNS0_4arch9wavefront6targetE1EEEvT1_,"axG",@progbits,_ZN7rocprim17ROCPRIM_400000_NS6detail17trampoline_kernelINS0_14default_configENS1_20scan_config_selectorIfEEZZNS1_9scan_implILNS1_25lookback_scan_determinismE0ELb0ELb0ES3_PKfPffZZZN2at6native31launch_logcumsumexp_cuda_kernelERKNSB_10TensorBaseESF_lENKUlvE_clEvENKUlvE0_clEvEUlffE_fEEDaPvRmT3_T4_T5_mT6_P12ihipStream_tbENKUlT_T0_E_clISt17integral_constantIbLb1EESV_IbLb0EEEEDaSR_SS_EUlSR_E_NS1_11comp_targetILNS1_3genE0ELNS1_11target_archE4294967295ELNS1_3gpuE0ELNS1_3repE0EEENS1_30default_config_static_selectorELNS0_4arch9wavefront6targetE1EEEvT1_,comdat
	.globl	_ZN7rocprim17ROCPRIM_400000_NS6detail17trampoline_kernelINS0_14default_configENS1_20scan_config_selectorIfEEZZNS1_9scan_implILNS1_25lookback_scan_determinismE0ELb0ELb0ES3_PKfPffZZZN2at6native31launch_logcumsumexp_cuda_kernelERKNSB_10TensorBaseESF_lENKUlvE_clEvENKUlvE0_clEvEUlffE_fEEDaPvRmT3_T4_T5_mT6_P12ihipStream_tbENKUlT_T0_E_clISt17integral_constantIbLb1EESV_IbLb0EEEEDaSR_SS_EUlSR_E_NS1_11comp_targetILNS1_3genE0ELNS1_11target_archE4294967295ELNS1_3gpuE0ELNS1_3repE0EEENS1_30default_config_static_selectorELNS0_4arch9wavefront6targetE1EEEvT1_ ; -- Begin function _ZN7rocprim17ROCPRIM_400000_NS6detail17trampoline_kernelINS0_14default_configENS1_20scan_config_selectorIfEEZZNS1_9scan_implILNS1_25lookback_scan_determinismE0ELb0ELb0ES3_PKfPffZZZN2at6native31launch_logcumsumexp_cuda_kernelERKNSB_10TensorBaseESF_lENKUlvE_clEvENKUlvE0_clEvEUlffE_fEEDaPvRmT3_T4_T5_mT6_P12ihipStream_tbENKUlT_T0_E_clISt17integral_constantIbLb1EESV_IbLb0EEEEDaSR_SS_EUlSR_E_NS1_11comp_targetILNS1_3genE0ELNS1_11target_archE4294967295ELNS1_3gpuE0ELNS1_3repE0EEENS1_30default_config_static_selectorELNS0_4arch9wavefront6targetE1EEEvT1_
	.p2align	8
	.type	_ZN7rocprim17ROCPRIM_400000_NS6detail17trampoline_kernelINS0_14default_configENS1_20scan_config_selectorIfEEZZNS1_9scan_implILNS1_25lookback_scan_determinismE0ELb0ELb0ES3_PKfPffZZZN2at6native31launch_logcumsumexp_cuda_kernelERKNSB_10TensorBaseESF_lENKUlvE_clEvENKUlvE0_clEvEUlffE_fEEDaPvRmT3_T4_T5_mT6_P12ihipStream_tbENKUlT_T0_E_clISt17integral_constantIbLb1EESV_IbLb0EEEEDaSR_SS_EUlSR_E_NS1_11comp_targetILNS1_3genE0ELNS1_11target_archE4294967295ELNS1_3gpuE0ELNS1_3repE0EEENS1_30default_config_static_selectorELNS0_4arch9wavefront6targetE1EEEvT1_,@function
_ZN7rocprim17ROCPRIM_400000_NS6detail17trampoline_kernelINS0_14default_configENS1_20scan_config_selectorIfEEZZNS1_9scan_implILNS1_25lookback_scan_determinismE0ELb0ELb0ES3_PKfPffZZZN2at6native31launch_logcumsumexp_cuda_kernelERKNSB_10TensorBaseESF_lENKUlvE_clEvENKUlvE0_clEvEUlffE_fEEDaPvRmT3_T4_T5_mT6_P12ihipStream_tbENKUlT_T0_E_clISt17integral_constantIbLb1EESV_IbLb0EEEEDaSR_SS_EUlSR_E_NS1_11comp_targetILNS1_3genE0ELNS1_11target_archE4294967295ELNS1_3gpuE0ELNS1_3repE0EEENS1_30default_config_static_selectorELNS0_4arch9wavefront6targetE1EEEvT1_: ; @_ZN7rocprim17ROCPRIM_400000_NS6detail17trampoline_kernelINS0_14default_configENS1_20scan_config_selectorIfEEZZNS1_9scan_implILNS1_25lookback_scan_determinismE0ELb0ELb0ES3_PKfPffZZZN2at6native31launch_logcumsumexp_cuda_kernelERKNSB_10TensorBaseESF_lENKUlvE_clEvENKUlvE0_clEvEUlffE_fEEDaPvRmT3_T4_T5_mT6_P12ihipStream_tbENKUlT_T0_E_clISt17integral_constantIbLb1EESV_IbLb0EEEEDaSR_SS_EUlSR_E_NS1_11comp_targetILNS1_3genE0ELNS1_11target_archE4294967295ELNS1_3gpuE0ELNS1_3repE0EEENS1_30default_config_static_selectorELNS0_4arch9wavefront6targetE1EEEvT1_
; %bb.0:
	s_endpgm
	.section	.rodata,"a",@progbits
	.p2align	6, 0x0
	.amdhsa_kernel _ZN7rocprim17ROCPRIM_400000_NS6detail17trampoline_kernelINS0_14default_configENS1_20scan_config_selectorIfEEZZNS1_9scan_implILNS1_25lookback_scan_determinismE0ELb0ELb0ES3_PKfPffZZZN2at6native31launch_logcumsumexp_cuda_kernelERKNSB_10TensorBaseESF_lENKUlvE_clEvENKUlvE0_clEvEUlffE_fEEDaPvRmT3_T4_T5_mT6_P12ihipStream_tbENKUlT_T0_E_clISt17integral_constantIbLb1EESV_IbLb0EEEEDaSR_SS_EUlSR_E_NS1_11comp_targetILNS1_3genE0ELNS1_11target_archE4294967295ELNS1_3gpuE0ELNS1_3repE0EEENS1_30default_config_static_selectorELNS0_4arch9wavefront6targetE1EEEvT1_
		.amdhsa_group_segment_fixed_size 0
		.amdhsa_private_segment_fixed_size 0
		.amdhsa_kernarg_size 96
		.amdhsa_user_sgpr_count 2
		.amdhsa_user_sgpr_dispatch_ptr 0
		.amdhsa_user_sgpr_queue_ptr 0
		.amdhsa_user_sgpr_kernarg_segment_ptr 1
		.amdhsa_user_sgpr_dispatch_id 0
		.amdhsa_user_sgpr_kernarg_preload_length 0
		.amdhsa_user_sgpr_kernarg_preload_offset 0
		.amdhsa_user_sgpr_private_segment_size 0
		.amdhsa_uses_dynamic_stack 0
		.amdhsa_enable_private_segment 0
		.amdhsa_system_sgpr_workgroup_id_x 1
		.amdhsa_system_sgpr_workgroup_id_y 0
		.amdhsa_system_sgpr_workgroup_id_z 0
		.amdhsa_system_sgpr_workgroup_info 0
		.amdhsa_system_vgpr_workitem_id 0
		.amdhsa_next_free_vgpr 1
		.amdhsa_next_free_sgpr 0
		.amdhsa_accum_offset 4
		.amdhsa_reserve_vcc 0
		.amdhsa_float_round_mode_32 0
		.amdhsa_float_round_mode_16_64 0
		.amdhsa_float_denorm_mode_32 3
		.amdhsa_float_denorm_mode_16_64 3
		.amdhsa_dx10_clamp 1
		.amdhsa_ieee_mode 1
		.amdhsa_fp16_overflow 0
		.amdhsa_tg_split 0
		.amdhsa_exception_fp_ieee_invalid_op 0
		.amdhsa_exception_fp_denorm_src 0
		.amdhsa_exception_fp_ieee_div_zero 0
		.amdhsa_exception_fp_ieee_overflow 0
		.amdhsa_exception_fp_ieee_underflow 0
		.amdhsa_exception_fp_ieee_inexact 0
		.amdhsa_exception_int_div_zero 0
	.end_amdhsa_kernel
	.section	.text._ZN7rocprim17ROCPRIM_400000_NS6detail17trampoline_kernelINS0_14default_configENS1_20scan_config_selectorIfEEZZNS1_9scan_implILNS1_25lookback_scan_determinismE0ELb0ELb0ES3_PKfPffZZZN2at6native31launch_logcumsumexp_cuda_kernelERKNSB_10TensorBaseESF_lENKUlvE_clEvENKUlvE0_clEvEUlffE_fEEDaPvRmT3_T4_T5_mT6_P12ihipStream_tbENKUlT_T0_E_clISt17integral_constantIbLb1EESV_IbLb0EEEEDaSR_SS_EUlSR_E_NS1_11comp_targetILNS1_3genE0ELNS1_11target_archE4294967295ELNS1_3gpuE0ELNS1_3repE0EEENS1_30default_config_static_selectorELNS0_4arch9wavefront6targetE1EEEvT1_,"axG",@progbits,_ZN7rocprim17ROCPRIM_400000_NS6detail17trampoline_kernelINS0_14default_configENS1_20scan_config_selectorIfEEZZNS1_9scan_implILNS1_25lookback_scan_determinismE0ELb0ELb0ES3_PKfPffZZZN2at6native31launch_logcumsumexp_cuda_kernelERKNSB_10TensorBaseESF_lENKUlvE_clEvENKUlvE0_clEvEUlffE_fEEDaPvRmT3_T4_T5_mT6_P12ihipStream_tbENKUlT_T0_E_clISt17integral_constantIbLb1EESV_IbLb0EEEEDaSR_SS_EUlSR_E_NS1_11comp_targetILNS1_3genE0ELNS1_11target_archE4294967295ELNS1_3gpuE0ELNS1_3repE0EEENS1_30default_config_static_selectorELNS0_4arch9wavefront6targetE1EEEvT1_,comdat
.Lfunc_end134:
	.size	_ZN7rocprim17ROCPRIM_400000_NS6detail17trampoline_kernelINS0_14default_configENS1_20scan_config_selectorIfEEZZNS1_9scan_implILNS1_25lookback_scan_determinismE0ELb0ELb0ES3_PKfPffZZZN2at6native31launch_logcumsumexp_cuda_kernelERKNSB_10TensorBaseESF_lENKUlvE_clEvENKUlvE0_clEvEUlffE_fEEDaPvRmT3_T4_T5_mT6_P12ihipStream_tbENKUlT_T0_E_clISt17integral_constantIbLb1EESV_IbLb0EEEEDaSR_SS_EUlSR_E_NS1_11comp_targetILNS1_3genE0ELNS1_11target_archE4294967295ELNS1_3gpuE0ELNS1_3repE0EEENS1_30default_config_static_selectorELNS0_4arch9wavefront6targetE1EEEvT1_, .Lfunc_end134-_ZN7rocprim17ROCPRIM_400000_NS6detail17trampoline_kernelINS0_14default_configENS1_20scan_config_selectorIfEEZZNS1_9scan_implILNS1_25lookback_scan_determinismE0ELb0ELb0ES3_PKfPffZZZN2at6native31launch_logcumsumexp_cuda_kernelERKNSB_10TensorBaseESF_lENKUlvE_clEvENKUlvE0_clEvEUlffE_fEEDaPvRmT3_T4_T5_mT6_P12ihipStream_tbENKUlT_T0_E_clISt17integral_constantIbLb1EESV_IbLb0EEEEDaSR_SS_EUlSR_E_NS1_11comp_targetILNS1_3genE0ELNS1_11target_archE4294967295ELNS1_3gpuE0ELNS1_3repE0EEENS1_30default_config_static_selectorELNS0_4arch9wavefront6targetE1EEEvT1_
                                        ; -- End function
	.set _ZN7rocprim17ROCPRIM_400000_NS6detail17trampoline_kernelINS0_14default_configENS1_20scan_config_selectorIfEEZZNS1_9scan_implILNS1_25lookback_scan_determinismE0ELb0ELb0ES3_PKfPffZZZN2at6native31launch_logcumsumexp_cuda_kernelERKNSB_10TensorBaseESF_lENKUlvE_clEvENKUlvE0_clEvEUlffE_fEEDaPvRmT3_T4_T5_mT6_P12ihipStream_tbENKUlT_T0_E_clISt17integral_constantIbLb1EESV_IbLb0EEEEDaSR_SS_EUlSR_E_NS1_11comp_targetILNS1_3genE0ELNS1_11target_archE4294967295ELNS1_3gpuE0ELNS1_3repE0EEENS1_30default_config_static_selectorELNS0_4arch9wavefront6targetE1EEEvT1_.num_vgpr, 0
	.set _ZN7rocprim17ROCPRIM_400000_NS6detail17trampoline_kernelINS0_14default_configENS1_20scan_config_selectorIfEEZZNS1_9scan_implILNS1_25lookback_scan_determinismE0ELb0ELb0ES3_PKfPffZZZN2at6native31launch_logcumsumexp_cuda_kernelERKNSB_10TensorBaseESF_lENKUlvE_clEvENKUlvE0_clEvEUlffE_fEEDaPvRmT3_T4_T5_mT6_P12ihipStream_tbENKUlT_T0_E_clISt17integral_constantIbLb1EESV_IbLb0EEEEDaSR_SS_EUlSR_E_NS1_11comp_targetILNS1_3genE0ELNS1_11target_archE4294967295ELNS1_3gpuE0ELNS1_3repE0EEENS1_30default_config_static_selectorELNS0_4arch9wavefront6targetE1EEEvT1_.num_agpr, 0
	.set _ZN7rocprim17ROCPRIM_400000_NS6detail17trampoline_kernelINS0_14default_configENS1_20scan_config_selectorIfEEZZNS1_9scan_implILNS1_25lookback_scan_determinismE0ELb0ELb0ES3_PKfPffZZZN2at6native31launch_logcumsumexp_cuda_kernelERKNSB_10TensorBaseESF_lENKUlvE_clEvENKUlvE0_clEvEUlffE_fEEDaPvRmT3_T4_T5_mT6_P12ihipStream_tbENKUlT_T0_E_clISt17integral_constantIbLb1EESV_IbLb0EEEEDaSR_SS_EUlSR_E_NS1_11comp_targetILNS1_3genE0ELNS1_11target_archE4294967295ELNS1_3gpuE0ELNS1_3repE0EEENS1_30default_config_static_selectorELNS0_4arch9wavefront6targetE1EEEvT1_.numbered_sgpr, 0
	.set _ZN7rocprim17ROCPRIM_400000_NS6detail17trampoline_kernelINS0_14default_configENS1_20scan_config_selectorIfEEZZNS1_9scan_implILNS1_25lookback_scan_determinismE0ELb0ELb0ES3_PKfPffZZZN2at6native31launch_logcumsumexp_cuda_kernelERKNSB_10TensorBaseESF_lENKUlvE_clEvENKUlvE0_clEvEUlffE_fEEDaPvRmT3_T4_T5_mT6_P12ihipStream_tbENKUlT_T0_E_clISt17integral_constantIbLb1EESV_IbLb0EEEEDaSR_SS_EUlSR_E_NS1_11comp_targetILNS1_3genE0ELNS1_11target_archE4294967295ELNS1_3gpuE0ELNS1_3repE0EEENS1_30default_config_static_selectorELNS0_4arch9wavefront6targetE1EEEvT1_.num_named_barrier, 0
	.set _ZN7rocprim17ROCPRIM_400000_NS6detail17trampoline_kernelINS0_14default_configENS1_20scan_config_selectorIfEEZZNS1_9scan_implILNS1_25lookback_scan_determinismE0ELb0ELb0ES3_PKfPffZZZN2at6native31launch_logcumsumexp_cuda_kernelERKNSB_10TensorBaseESF_lENKUlvE_clEvENKUlvE0_clEvEUlffE_fEEDaPvRmT3_T4_T5_mT6_P12ihipStream_tbENKUlT_T0_E_clISt17integral_constantIbLb1EESV_IbLb0EEEEDaSR_SS_EUlSR_E_NS1_11comp_targetILNS1_3genE0ELNS1_11target_archE4294967295ELNS1_3gpuE0ELNS1_3repE0EEENS1_30default_config_static_selectorELNS0_4arch9wavefront6targetE1EEEvT1_.private_seg_size, 0
	.set _ZN7rocprim17ROCPRIM_400000_NS6detail17trampoline_kernelINS0_14default_configENS1_20scan_config_selectorIfEEZZNS1_9scan_implILNS1_25lookback_scan_determinismE0ELb0ELb0ES3_PKfPffZZZN2at6native31launch_logcumsumexp_cuda_kernelERKNSB_10TensorBaseESF_lENKUlvE_clEvENKUlvE0_clEvEUlffE_fEEDaPvRmT3_T4_T5_mT6_P12ihipStream_tbENKUlT_T0_E_clISt17integral_constantIbLb1EESV_IbLb0EEEEDaSR_SS_EUlSR_E_NS1_11comp_targetILNS1_3genE0ELNS1_11target_archE4294967295ELNS1_3gpuE0ELNS1_3repE0EEENS1_30default_config_static_selectorELNS0_4arch9wavefront6targetE1EEEvT1_.uses_vcc, 0
	.set _ZN7rocprim17ROCPRIM_400000_NS6detail17trampoline_kernelINS0_14default_configENS1_20scan_config_selectorIfEEZZNS1_9scan_implILNS1_25lookback_scan_determinismE0ELb0ELb0ES3_PKfPffZZZN2at6native31launch_logcumsumexp_cuda_kernelERKNSB_10TensorBaseESF_lENKUlvE_clEvENKUlvE0_clEvEUlffE_fEEDaPvRmT3_T4_T5_mT6_P12ihipStream_tbENKUlT_T0_E_clISt17integral_constantIbLb1EESV_IbLb0EEEEDaSR_SS_EUlSR_E_NS1_11comp_targetILNS1_3genE0ELNS1_11target_archE4294967295ELNS1_3gpuE0ELNS1_3repE0EEENS1_30default_config_static_selectorELNS0_4arch9wavefront6targetE1EEEvT1_.uses_flat_scratch, 0
	.set _ZN7rocprim17ROCPRIM_400000_NS6detail17trampoline_kernelINS0_14default_configENS1_20scan_config_selectorIfEEZZNS1_9scan_implILNS1_25lookback_scan_determinismE0ELb0ELb0ES3_PKfPffZZZN2at6native31launch_logcumsumexp_cuda_kernelERKNSB_10TensorBaseESF_lENKUlvE_clEvENKUlvE0_clEvEUlffE_fEEDaPvRmT3_T4_T5_mT6_P12ihipStream_tbENKUlT_T0_E_clISt17integral_constantIbLb1EESV_IbLb0EEEEDaSR_SS_EUlSR_E_NS1_11comp_targetILNS1_3genE0ELNS1_11target_archE4294967295ELNS1_3gpuE0ELNS1_3repE0EEENS1_30default_config_static_selectorELNS0_4arch9wavefront6targetE1EEEvT1_.has_dyn_sized_stack, 0
	.set _ZN7rocprim17ROCPRIM_400000_NS6detail17trampoline_kernelINS0_14default_configENS1_20scan_config_selectorIfEEZZNS1_9scan_implILNS1_25lookback_scan_determinismE0ELb0ELb0ES3_PKfPffZZZN2at6native31launch_logcumsumexp_cuda_kernelERKNSB_10TensorBaseESF_lENKUlvE_clEvENKUlvE0_clEvEUlffE_fEEDaPvRmT3_T4_T5_mT6_P12ihipStream_tbENKUlT_T0_E_clISt17integral_constantIbLb1EESV_IbLb0EEEEDaSR_SS_EUlSR_E_NS1_11comp_targetILNS1_3genE0ELNS1_11target_archE4294967295ELNS1_3gpuE0ELNS1_3repE0EEENS1_30default_config_static_selectorELNS0_4arch9wavefront6targetE1EEEvT1_.has_recursion, 0
	.set _ZN7rocprim17ROCPRIM_400000_NS6detail17trampoline_kernelINS0_14default_configENS1_20scan_config_selectorIfEEZZNS1_9scan_implILNS1_25lookback_scan_determinismE0ELb0ELb0ES3_PKfPffZZZN2at6native31launch_logcumsumexp_cuda_kernelERKNSB_10TensorBaseESF_lENKUlvE_clEvENKUlvE0_clEvEUlffE_fEEDaPvRmT3_T4_T5_mT6_P12ihipStream_tbENKUlT_T0_E_clISt17integral_constantIbLb1EESV_IbLb0EEEEDaSR_SS_EUlSR_E_NS1_11comp_targetILNS1_3genE0ELNS1_11target_archE4294967295ELNS1_3gpuE0ELNS1_3repE0EEENS1_30default_config_static_selectorELNS0_4arch9wavefront6targetE1EEEvT1_.has_indirect_call, 0
	.section	.AMDGPU.csdata,"",@progbits
; Kernel info:
; codeLenInByte = 4
; TotalNumSgprs: 6
; NumVgprs: 0
; NumAgprs: 0
; TotalNumVgprs: 0
; ScratchSize: 0
; MemoryBound: 0
; FloatMode: 240
; IeeeMode: 1
; LDSByteSize: 0 bytes/workgroup (compile time only)
; SGPRBlocks: 0
; VGPRBlocks: 0
; NumSGPRsForWavesPerEU: 6
; NumVGPRsForWavesPerEU: 1
; AccumOffset: 4
; Occupancy: 8
; WaveLimiterHint : 0
; COMPUTE_PGM_RSRC2:SCRATCH_EN: 0
; COMPUTE_PGM_RSRC2:USER_SGPR: 2
; COMPUTE_PGM_RSRC2:TRAP_HANDLER: 0
; COMPUTE_PGM_RSRC2:TGID_X_EN: 1
; COMPUTE_PGM_RSRC2:TGID_Y_EN: 0
; COMPUTE_PGM_RSRC2:TGID_Z_EN: 0
; COMPUTE_PGM_RSRC2:TIDIG_COMP_CNT: 0
; COMPUTE_PGM_RSRC3_GFX90A:ACCUM_OFFSET: 0
; COMPUTE_PGM_RSRC3_GFX90A:TG_SPLIT: 0
	.section	.text._ZN7rocprim17ROCPRIM_400000_NS6detail17trampoline_kernelINS0_14default_configENS1_20scan_config_selectorIfEEZZNS1_9scan_implILNS1_25lookback_scan_determinismE0ELb0ELb0ES3_PKfPffZZZN2at6native31launch_logcumsumexp_cuda_kernelERKNSB_10TensorBaseESF_lENKUlvE_clEvENKUlvE0_clEvEUlffE_fEEDaPvRmT3_T4_T5_mT6_P12ihipStream_tbENKUlT_T0_E_clISt17integral_constantIbLb1EESV_IbLb0EEEEDaSR_SS_EUlSR_E_NS1_11comp_targetILNS1_3genE5ELNS1_11target_archE942ELNS1_3gpuE9ELNS1_3repE0EEENS1_30default_config_static_selectorELNS0_4arch9wavefront6targetE1EEEvT1_,"axG",@progbits,_ZN7rocprim17ROCPRIM_400000_NS6detail17trampoline_kernelINS0_14default_configENS1_20scan_config_selectorIfEEZZNS1_9scan_implILNS1_25lookback_scan_determinismE0ELb0ELb0ES3_PKfPffZZZN2at6native31launch_logcumsumexp_cuda_kernelERKNSB_10TensorBaseESF_lENKUlvE_clEvENKUlvE0_clEvEUlffE_fEEDaPvRmT3_T4_T5_mT6_P12ihipStream_tbENKUlT_T0_E_clISt17integral_constantIbLb1EESV_IbLb0EEEEDaSR_SS_EUlSR_E_NS1_11comp_targetILNS1_3genE5ELNS1_11target_archE942ELNS1_3gpuE9ELNS1_3repE0EEENS1_30default_config_static_selectorELNS0_4arch9wavefront6targetE1EEEvT1_,comdat
	.globl	_ZN7rocprim17ROCPRIM_400000_NS6detail17trampoline_kernelINS0_14default_configENS1_20scan_config_selectorIfEEZZNS1_9scan_implILNS1_25lookback_scan_determinismE0ELb0ELb0ES3_PKfPffZZZN2at6native31launch_logcumsumexp_cuda_kernelERKNSB_10TensorBaseESF_lENKUlvE_clEvENKUlvE0_clEvEUlffE_fEEDaPvRmT3_T4_T5_mT6_P12ihipStream_tbENKUlT_T0_E_clISt17integral_constantIbLb1EESV_IbLb0EEEEDaSR_SS_EUlSR_E_NS1_11comp_targetILNS1_3genE5ELNS1_11target_archE942ELNS1_3gpuE9ELNS1_3repE0EEENS1_30default_config_static_selectorELNS0_4arch9wavefront6targetE1EEEvT1_ ; -- Begin function _ZN7rocprim17ROCPRIM_400000_NS6detail17trampoline_kernelINS0_14default_configENS1_20scan_config_selectorIfEEZZNS1_9scan_implILNS1_25lookback_scan_determinismE0ELb0ELb0ES3_PKfPffZZZN2at6native31launch_logcumsumexp_cuda_kernelERKNSB_10TensorBaseESF_lENKUlvE_clEvENKUlvE0_clEvEUlffE_fEEDaPvRmT3_T4_T5_mT6_P12ihipStream_tbENKUlT_T0_E_clISt17integral_constantIbLb1EESV_IbLb0EEEEDaSR_SS_EUlSR_E_NS1_11comp_targetILNS1_3genE5ELNS1_11target_archE942ELNS1_3gpuE9ELNS1_3repE0EEENS1_30default_config_static_selectorELNS0_4arch9wavefront6targetE1EEEvT1_
	.p2align	8
	.type	_ZN7rocprim17ROCPRIM_400000_NS6detail17trampoline_kernelINS0_14default_configENS1_20scan_config_selectorIfEEZZNS1_9scan_implILNS1_25lookback_scan_determinismE0ELb0ELb0ES3_PKfPffZZZN2at6native31launch_logcumsumexp_cuda_kernelERKNSB_10TensorBaseESF_lENKUlvE_clEvENKUlvE0_clEvEUlffE_fEEDaPvRmT3_T4_T5_mT6_P12ihipStream_tbENKUlT_T0_E_clISt17integral_constantIbLb1EESV_IbLb0EEEEDaSR_SS_EUlSR_E_NS1_11comp_targetILNS1_3genE5ELNS1_11target_archE942ELNS1_3gpuE9ELNS1_3repE0EEENS1_30default_config_static_selectorELNS0_4arch9wavefront6targetE1EEEvT1_,@function
_ZN7rocprim17ROCPRIM_400000_NS6detail17trampoline_kernelINS0_14default_configENS1_20scan_config_selectorIfEEZZNS1_9scan_implILNS1_25lookback_scan_determinismE0ELb0ELb0ES3_PKfPffZZZN2at6native31launch_logcumsumexp_cuda_kernelERKNSB_10TensorBaseESF_lENKUlvE_clEvENKUlvE0_clEvEUlffE_fEEDaPvRmT3_T4_T5_mT6_P12ihipStream_tbENKUlT_T0_E_clISt17integral_constantIbLb1EESV_IbLb0EEEEDaSR_SS_EUlSR_E_NS1_11comp_targetILNS1_3genE5ELNS1_11target_archE942ELNS1_3gpuE9ELNS1_3repE0EEENS1_30default_config_static_selectorELNS0_4arch9wavefront6targetE1EEEvT1_: ; @_ZN7rocprim17ROCPRIM_400000_NS6detail17trampoline_kernelINS0_14default_configENS1_20scan_config_selectorIfEEZZNS1_9scan_implILNS1_25lookback_scan_determinismE0ELb0ELb0ES3_PKfPffZZZN2at6native31launch_logcumsumexp_cuda_kernelERKNSB_10TensorBaseESF_lENKUlvE_clEvENKUlvE0_clEvEUlffE_fEEDaPvRmT3_T4_T5_mT6_P12ihipStream_tbENKUlT_T0_E_clISt17integral_constantIbLb1EESV_IbLb0EEEEDaSR_SS_EUlSR_E_NS1_11comp_targetILNS1_3genE5ELNS1_11target_archE942ELNS1_3gpuE9ELNS1_3repE0EEENS1_30default_config_static_selectorELNS0_4arch9wavefront6targetE1EEEvT1_
; %bb.0:
	.section	.rodata,"a",@progbits
	.p2align	6, 0x0
	.amdhsa_kernel _ZN7rocprim17ROCPRIM_400000_NS6detail17trampoline_kernelINS0_14default_configENS1_20scan_config_selectorIfEEZZNS1_9scan_implILNS1_25lookback_scan_determinismE0ELb0ELb0ES3_PKfPffZZZN2at6native31launch_logcumsumexp_cuda_kernelERKNSB_10TensorBaseESF_lENKUlvE_clEvENKUlvE0_clEvEUlffE_fEEDaPvRmT3_T4_T5_mT6_P12ihipStream_tbENKUlT_T0_E_clISt17integral_constantIbLb1EESV_IbLb0EEEEDaSR_SS_EUlSR_E_NS1_11comp_targetILNS1_3genE5ELNS1_11target_archE942ELNS1_3gpuE9ELNS1_3repE0EEENS1_30default_config_static_selectorELNS0_4arch9wavefront6targetE1EEEvT1_
		.amdhsa_group_segment_fixed_size 0
		.amdhsa_private_segment_fixed_size 0
		.amdhsa_kernarg_size 96
		.amdhsa_user_sgpr_count 2
		.amdhsa_user_sgpr_dispatch_ptr 0
		.amdhsa_user_sgpr_queue_ptr 0
		.amdhsa_user_sgpr_kernarg_segment_ptr 1
		.amdhsa_user_sgpr_dispatch_id 0
		.amdhsa_user_sgpr_kernarg_preload_length 0
		.amdhsa_user_sgpr_kernarg_preload_offset 0
		.amdhsa_user_sgpr_private_segment_size 0
		.amdhsa_uses_dynamic_stack 0
		.amdhsa_enable_private_segment 0
		.amdhsa_system_sgpr_workgroup_id_x 1
		.amdhsa_system_sgpr_workgroup_id_y 0
		.amdhsa_system_sgpr_workgroup_id_z 0
		.amdhsa_system_sgpr_workgroup_info 0
		.amdhsa_system_vgpr_workitem_id 0
		.amdhsa_next_free_vgpr 1
		.amdhsa_next_free_sgpr 0
		.amdhsa_accum_offset 4
		.amdhsa_reserve_vcc 0
		.amdhsa_float_round_mode_32 0
		.amdhsa_float_round_mode_16_64 0
		.amdhsa_float_denorm_mode_32 3
		.amdhsa_float_denorm_mode_16_64 3
		.amdhsa_dx10_clamp 1
		.amdhsa_ieee_mode 1
		.amdhsa_fp16_overflow 0
		.amdhsa_tg_split 0
		.amdhsa_exception_fp_ieee_invalid_op 0
		.amdhsa_exception_fp_denorm_src 0
		.amdhsa_exception_fp_ieee_div_zero 0
		.amdhsa_exception_fp_ieee_overflow 0
		.amdhsa_exception_fp_ieee_underflow 0
		.amdhsa_exception_fp_ieee_inexact 0
		.amdhsa_exception_int_div_zero 0
	.end_amdhsa_kernel
	.section	.text._ZN7rocprim17ROCPRIM_400000_NS6detail17trampoline_kernelINS0_14default_configENS1_20scan_config_selectorIfEEZZNS1_9scan_implILNS1_25lookback_scan_determinismE0ELb0ELb0ES3_PKfPffZZZN2at6native31launch_logcumsumexp_cuda_kernelERKNSB_10TensorBaseESF_lENKUlvE_clEvENKUlvE0_clEvEUlffE_fEEDaPvRmT3_T4_T5_mT6_P12ihipStream_tbENKUlT_T0_E_clISt17integral_constantIbLb1EESV_IbLb0EEEEDaSR_SS_EUlSR_E_NS1_11comp_targetILNS1_3genE5ELNS1_11target_archE942ELNS1_3gpuE9ELNS1_3repE0EEENS1_30default_config_static_selectorELNS0_4arch9wavefront6targetE1EEEvT1_,"axG",@progbits,_ZN7rocprim17ROCPRIM_400000_NS6detail17trampoline_kernelINS0_14default_configENS1_20scan_config_selectorIfEEZZNS1_9scan_implILNS1_25lookback_scan_determinismE0ELb0ELb0ES3_PKfPffZZZN2at6native31launch_logcumsumexp_cuda_kernelERKNSB_10TensorBaseESF_lENKUlvE_clEvENKUlvE0_clEvEUlffE_fEEDaPvRmT3_T4_T5_mT6_P12ihipStream_tbENKUlT_T0_E_clISt17integral_constantIbLb1EESV_IbLb0EEEEDaSR_SS_EUlSR_E_NS1_11comp_targetILNS1_3genE5ELNS1_11target_archE942ELNS1_3gpuE9ELNS1_3repE0EEENS1_30default_config_static_selectorELNS0_4arch9wavefront6targetE1EEEvT1_,comdat
.Lfunc_end135:
	.size	_ZN7rocprim17ROCPRIM_400000_NS6detail17trampoline_kernelINS0_14default_configENS1_20scan_config_selectorIfEEZZNS1_9scan_implILNS1_25lookback_scan_determinismE0ELb0ELb0ES3_PKfPffZZZN2at6native31launch_logcumsumexp_cuda_kernelERKNSB_10TensorBaseESF_lENKUlvE_clEvENKUlvE0_clEvEUlffE_fEEDaPvRmT3_T4_T5_mT6_P12ihipStream_tbENKUlT_T0_E_clISt17integral_constantIbLb1EESV_IbLb0EEEEDaSR_SS_EUlSR_E_NS1_11comp_targetILNS1_3genE5ELNS1_11target_archE942ELNS1_3gpuE9ELNS1_3repE0EEENS1_30default_config_static_selectorELNS0_4arch9wavefront6targetE1EEEvT1_, .Lfunc_end135-_ZN7rocprim17ROCPRIM_400000_NS6detail17trampoline_kernelINS0_14default_configENS1_20scan_config_selectorIfEEZZNS1_9scan_implILNS1_25lookback_scan_determinismE0ELb0ELb0ES3_PKfPffZZZN2at6native31launch_logcumsumexp_cuda_kernelERKNSB_10TensorBaseESF_lENKUlvE_clEvENKUlvE0_clEvEUlffE_fEEDaPvRmT3_T4_T5_mT6_P12ihipStream_tbENKUlT_T0_E_clISt17integral_constantIbLb1EESV_IbLb0EEEEDaSR_SS_EUlSR_E_NS1_11comp_targetILNS1_3genE5ELNS1_11target_archE942ELNS1_3gpuE9ELNS1_3repE0EEENS1_30default_config_static_selectorELNS0_4arch9wavefront6targetE1EEEvT1_
                                        ; -- End function
	.set _ZN7rocprim17ROCPRIM_400000_NS6detail17trampoline_kernelINS0_14default_configENS1_20scan_config_selectorIfEEZZNS1_9scan_implILNS1_25lookback_scan_determinismE0ELb0ELb0ES3_PKfPffZZZN2at6native31launch_logcumsumexp_cuda_kernelERKNSB_10TensorBaseESF_lENKUlvE_clEvENKUlvE0_clEvEUlffE_fEEDaPvRmT3_T4_T5_mT6_P12ihipStream_tbENKUlT_T0_E_clISt17integral_constantIbLb1EESV_IbLb0EEEEDaSR_SS_EUlSR_E_NS1_11comp_targetILNS1_3genE5ELNS1_11target_archE942ELNS1_3gpuE9ELNS1_3repE0EEENS1_30default_config_static_selectorELNS0_4arch9wavefront6targetE1EEEvT1_.num_vgpr, 0
	.set _ZN7rocprim17ROCPRIM_400000_NS6detail17trampoline_kernelINS0_14default_configENS1_20scan_config_selectorIfEEZZNS1_9scan_implILNS1_25lookback_scan_determinismE0ELb0ELb0ES3_PKfPffZZZN2at6native31launch_logcumsumexp_cuda_kernelERKNSB_10TensorBaseESF_lENKUlvE_clEvENKUlvE0_clEvEUlffE_fEEDaPvRmT3_T4_T5_mT6_P12ihipStream_tbENKUlT_T0_E_clISt17integral_constantIbLb1EESV_IbLb0EEEEDaSR_SS_EUlSR_E_NS1_11comp_targetILNS1_3genE5ELNS1_11target_archE942ELNS1_3gpuE9ELNS1_3repE0EEENS1_30default_config_static_selectorELNS0_4arch9wavefront6targetE1EEEvT1_.num_agpr, 0
	.set _ZN7rocprim17ROCPRIM_400000_NS6detail17trampoline_kernelINS0_14default_configENS1_20scan_config_selectorIfEEZZNS1_9scan_implILNS1_25lookback_scan_determinismE0ELb0ELb0ES3_PKfPffZZZN2at6native31launch_logcumsumexp_cuda_kernelERKNSB_10TensorBaseESF_lENKUlvE_clEvENKUlvE0_clEvEUlffE_fEEDaPvRmT3_T4_T5_mT6_P12ihipStream_tbENKUlT_T0_E_clISt17integral_constantIbLb1EESV_IbLb0EEEEDaSR_SS_EUlSR_E_NS1_11comp_targetILNS1_3genE5ELNS1_11target_archE942ELNS1_3gpuE9ELNS1_3repE0EEENS1_30default_config_static_selectorELNS0_4arch9wavefront6targetE1EEEvT1_.numbered_sgpr, 0
	.set _ZN7rocprim17ROCPRIM_400000_NS6detail17trampoline_kernelINS0_14default_configENS1_20scan_config_selectorIfEEZZNS1_9scan_implILNS1_25lookback_scan_determinismE0ELb0ELb0ES3_PKfPffZZZN2at6native31launch_logcumsumexp_cuda_kernelERKNSB_10TensorBaseESF_lENKUlvE_clEvENKUlvE0_clEvEUlffE_fEEDaPvRmT3_T4_T5_mT6_P12ihipStream_tbENKUlT_T0_E_clISt17integral_constantIbLb1EESV_IbLb0EEEEDaSR_SS_EUlSR_E_NS1_11comp_targetILNS1_3genE5ELNS1_11target_archE942ELNS1_3gpuE9ELNS1_3repE0EEENS1_30default_config_static_selectorELNS0_4arch9wavefront6targetE1EEEvT1_.num_named_barrier, 0
	.set _ZN7rocprim17ROCPRIM_400000_NS6detail17trampoline_kernelINS0_14default_configENS1_20scan_config_selectorIfEEZZNS1_9scan_implILNS1_25lookback_scan_determinismE0ELb0ELb0ES3_PKfPffZZZN2at6native31launch_logcumsumexp_cuda_kernelERKNSB_10TensorBaseESF_lENKUlvE_clEvENKUlvE0_clEvEUlffE_fEEDaPvRmT3_T4_T5_mT6_P12ihipStream_tbENKUlT_T0_E_clISt17integral_constantIbLb1EESV_IbLb0EEEEDaSR_SS_EUlSR_E_NS1_11comp_targetILNS1_3genE5ELNS1_11target_archE942ELNS1_3gpuE9ELNS1_3repE0EEENS1_30default_config_static_selectorELNS0_4arch9wavefront6targetE1EEEvT1_.private_seg_size, 0
	.set _ZN7rocprim17ROCPRIM_400000_NS6detail17trampoline_kernelINS0_14default_configENS1_20scan_config_selectorIfEEZZNS1_9scan_implILNS1_25lookback_scan_determinismE0ELb0ELb0ES3_PKfPffZZZN2at6native31launch_logcumsumexp_cuda_kernelERKNSB_10TensorBaseESF_lENKUlvE_clEvENKUlvE0_clEvEUlffE_fEEDaPvRmT3_T4_T5_mT6_P12ihipStream_tbENKUlT_T0_E_clISt17integral_constantIbLb1EESV_IbLb0EEEEDaSR_SS_EUlSR_E_NS1_11comp_targetILNS1_3genE5ELNS1_11target_archE942ELNS1_3gpuE9ELNS1_3repE0EEENS1_30default_config_static_selectorELNS0_4arch9wavefront6targetE1EEEvT1_.uses_vcc, 0
	.set _ZN7rocprim17ROCPRIM_400000_NS6detail17trampoline_kernelINS0_14default_configENS1_20scan_config_selectorIfEEZZNS1_9scan_implILNS1_25lookback_scan_determinismE0ELb0ELb0ES3_PKfPffZZZN2at6native31launch_logcumsumexp_cuda_kernelERKNSB_10TensorBaseESF_lENKUlvE_clEvENKUlvE0_clEvEUlffE_fEEDaPvRmT3_T4_T5_mT6_P12ihipStream_tbENKUlT_T0_E_clISt17integral_constantIbLb1EESV_IbLb0EEEEDaSR_SS_EUlSR_E_NS1_11comp_targetILNS1_3genE5ELNS1_11target_archE942ELNS1_3gpuE9ELNS1_3repE0EEENS1_30default_config_static_selectorELNS0_4arch9wavefront6targetE1EEEvT1_.uses_flat_scratch, 0
	.set _ZN7rocprim17ROCPRIM_400000_NS6detail17trampoline_kernelINS0_14default_configENS1_20scan_config_selectorIfEEZZNS1_9scan_implILNS1_25lookback_scan_determinismE0ELb0ELb0ES3_PKfPffZZZN2at6native31launch_logcumsumexp_cuda_kernelERKNSB_10TensorBaseESF_lENKUlvE_clEvENKUlvE0_clEvEUlffE_fEEDaPvRmT3_T4_T5_mT6_P12ihipStream_tbENKUlT_T0_E_clISt17integral_constantIbLb1EESV_IbLb0EEEEDaSR_SS_EUlSR_E_NS1_11comp_targetILNS1_3genE5ELNS1_11target_archE942ELNS1_3gpuE9ELNS1_3repE0EEENS1_30default_config_static_selectorELNS0_4arch9wavefront6targetE1EEEvT1_.has_dyn_sized_stack, 0
	.set _ZN7rocprim17ROCPRIM_400000_NS6detail17trampoline_kernelINS0_14default_configENS1_20scan_config_selectorIfEEZZNS1_9scan_implILNS1_25lookback_scan_determinismE0ELb0ELb0ES3_PKfPffZZZN2at6native31launch_logcumsumexp_cuda_kernelERKNSB_10TensorBaseESF_lENKUlvE_clEvENKUlvE0_clEvEUlffE_fEEDaPvRmT3_T4_T5_mT6_P12ihipStream_tbENKUlT_T0_E_clISt17integral_constantIbLb1EESV_IbLb0EEEEDaSR_SS_EUlSR_E_NS1_11comp_targetILNS1_3genE5ELNS1_11target_archE942ELNS1_3gpuE9ELNS1_3repE0EEENS1_30default_config_static_selectorELNS0_4arch9wavefront6targetE1EEEvT1_.has_recursion, 0
	.set _ZN7rocprim17ROCPRIM_400000_NS6detail17trampoline_kernelINS0_14default_configENS1_20scan_config_selectorIfEEZZNS1_9scan_implILNS1_25lookback_scan_determinismE0ELb0ELb0ES3_PKfPffZZZN2at6native31launch_logcumsumexp_cuda_kernelERKNSB_10TensorBaseESF_lENKUlvE_clEvENKUlvE0_clEvEUlffE_fEEDaPvRmT3_T4_T5_mT6_P12ihipStream_tbENKUlT_T0_E_clISt17integral_constantIbLb1EESV_IbLb0EEEEDaSR_SS_EUlSR_E_NS1_11comp_targetILNS1_3genE5ELNS1_11target_archE942ELNS1_3gpuE9ELNS1_3repE0EEENS1_30default_config_static_selectorELNS0_4arch9wavefront6targetE1EEEvT1_.has_indirect_call, 0
	.section	.AMDGPU.csdata,"",@progbits
; Kernel info:
; codeLenInByte = 0
; TotalNumSgprs: 6
; NumVgprs: 0
; NumAgprs: 0
; TotalNumVgprs: 0
; ScratchSize: 0
; MemoryBound: 0
; FloatMode: 240
; IeeeMode: 1
; LDSByteSize: 0 bytes/workgroup (compile time only)
; SGPRBlocks: 0
; VGPRBlocks: 0
; NumSGPRsForWavesPerEU: 6
; NumVGPRsForWavesPerEU: 1
; AccumOffset: 4
; Occupancy: 8
; WaveLimiterHint : 0
; COMPUTE_PGM_RSRC2:SCRATCH_EN: 0
; COMPUTE_PGM_RSRC2:USER_SGPR: 2
; COMPUTE_PGM_RSRC2:TRAP_HANDLER: 0
; COMPUTE_PGM_RSRC2:TGID_X_EN: 1
; COMPUTE_PGM_RSRC2:TGID_Y_EN: 0
; COMPUTE_PGM_RSRC2:TGID_Z_EN: 0
; COMPUTE_PGM_RSRC2:TIDIG_COMP_CNT: 0
; COMPUTE_PGM_RSRC3_GFX90A:ACCUM_OFFSET: 0
; COMPUTE_PGM_RSRC3_GFX90A:TG_SPLIT: 0
	.section	.text._ZN7rocprim17ROCPRIM_400000_NS6detail17trampoline_kernelINS0_14default_configENS1_20scan_config_selectorIfEEZZNS1_9scan_implILNS1_25lookback_scan_determinismE0ELb0ELb0ES3_PKfPffZZZN2at6native31launch_logcumsumexp_cuda_kernelERKNSB_10TensorBaseESF_lENKUlvE_clEvENKUlvE0_clEvEUlffE_fEEDaPvRmT3_T4_T5_mT6_P12ihipStream_tbENKUlT_T0_E_clISt17integral_constantIbLb1EESV_IbLb0EEEEDaSR_SS_EUlSR_E_NS1_11comp_targetILNS1_3genE4ELNS1_11target_archE910ELNS1_3gpuE8ELNS1_3repE0EEENS1_30default_config_static_selectorELNS0_4arch9wavefront6targetE1EEEvT1_,"axG",@progbits,_ZN7rocprim17ROCPRIM_400000_NS6detail17trampoline_kernelINS0_14default_configENS1_20scan_config_selectorIfEEZZNS1_9scan_implILNS1_25lookback_scan_determinismE0ELb0ELb0ES3_PKfPffZZZN2at6native31launch_logcumsumexp_cuda_kernelERKNSB_10TensorBaseESF_lENKUlvE_clEvENKUlvE0_clEvEUlffE_fEEDaPvRmT3_T4_T5_mT6_P12ihipStream_tbENKUlT_T0_E_clISt17integral_constantIbLb1EESV_IbLb0EEEEDaSR_SS_EUlSR_E_NS1_11comp_targetILNS1_3genE4ELNS1_11target_archE910ELNS1_3gpuE8ELNS1_3repE0EEENS1_30default_config_static_selectorELNS0_4arch9wavefront6targetE1EEEvT1_,comdat
	.globl	_ZN7rocprim17ROCPRIM_400000_NS6detail17trampoline_kernelINS0_14default_configENS1_20scan_config_selectorIfEEZZNS1_9scan_implILNS1_25lookback_scan_determinismE0ELb0ELb0ES3_PKfPffZZZN2at6native31launch_logcumsumexp_cuda_kernelERKNSB_10TensorBaseESF_lENKUlvE_clEvENKUlvE0_clEvEUlffE_fEEDaPvRmT3_T4_T5_mT6_P12ihipStream_tbENKUlT_T0_E_clISt17integral_constantIbLb1EESV_IbLb0EEEEDaSR_SS_EUlSR_E_NS1_11comp_targetILNS1_3genE4ELNS1_11target_archE910ELNS1_3gpuE8ELNS1_3repE0EEENS1_30default_config_static_selectorELNS0_4arch9wavefront6targetE1EEEvT1_ ; -- Begin function _ZN7rocprim17ROCPRIM_400000_NS6detail17trampoline_kernelINS0_14default_configENS1_20scan_config_selectorIfEEZZNS1_9scan_implILNS1_25lookback_scan_determinismE0ELb0ELb0ES3_PKfPffZZZN2at6native31launch_logcumsumexp_cuda_kernelERKNSB_10TensorBaseESF_lENKUlvE_clEvENKUlvE0_clEvEUlffE_fEEDaPvRmT3_T4_T5_mT6_P12ihipStream_tbENKUlT_T0_E_clISt17integral_constantIbLb1EESV_IbLb0EEEEDaSR_SS_EUlSR_E_NS1_11comp_targetILNS1_3genE4ELNS1_11target_archE910ELNS1_3gpuE8ELNS1_3repE0EEENS1_30default_config_static_selectorELNS0_4arch9wavefront6targetE1EEEvT1_
	.p2align	8
	.type	_ZN7rocprim17ROCPRIM_400000_NS6detail17trampoline_kernelINS0_14default_configENS1_20scan_config_selectorIfEEZZNS1_9scan_implILNS1_25lookback_scan_determinismE0ELb0ELb0ES3_PKfPffZZZN2at6native31launch_logcumsumexp_cuda_kernelERKNSB_10TensorBaseESF_lENKUlvE_clEvENKUlvE0_clEvEUlffE_fEEDaPvRmT3_T4_T5_mT6_P12ihipStream_tbENKUlT_T0_E_clISt17integral_constantIbLb1EESV_IbLb0EEEEDaSR_SS_EUlSR_E_NS1_11comp_targetILNS1_3genE4ELNS1_11target_archE910ELNS1_3gpuE8ELNS1_3repE0EEENS1_30default_config_static_selectorELNS0_4arch9wavefront6targetE1EEEvT1_,@function
_ZN7rocprim17ROCPRIM_400000_NS6detail17trampoline_kernelINS0_14default_configENS1_20scan_config_selectorIfEEZZNS1_9scan_implILNS1_25lookback_scan_determinismE0ELb0ELb0ES3_PKfPffZZZN2at6native31launch_logcumsumexp_cuda_kernelERKNSB_10TensorBaseESF_lENKUlvE_clEvENKUlvE0_clEvEUlffE_fEEDaPvRmT3_T4_T5_mT6_P12ihipStream_tbENKUlT_T0_E_clISt17integral_constantIbLb1EESV_IbLb0EEEEDaSR_SS_EUlSR_E_NS1_11comp_targetILNS1_3genE4ELNS1_11target_archE910ELNS1_3gpuE8ELNS1_3repE0EEENS1_30default_config_static_selectorELNS0_4arch9wavefront6targetE1EEEvT1_: ; @_ZN7rocprim17ROCPRIM_400000_NS6detail17trampoline_kernelINS0_14default_configENS1_20scan_config_selectorIfEEZZNS1_9scan_implILNS1_25lookback_scan_determinismE0ELb0ELb0ES3_PKfPffZZZN2at6native31launch_logcumsumexp_cuda_kernelERKNSB_10TensorBaseESF_lENKUlvE_clEvENKUlvE0_clEvEUlffE_fEEDaPvRmT3_T4_T5_mT6_P12ihipStream_tbENKUlT_T0_E_clISt17integral_constantIbLb1EESV_IbLb0EEEEDaSR_SS_EUlSR_E_NS1_11comp_targetILNS1_3genE4ELNS1_11target_archE910ELNS1_3gpuE8ELNS1_3repE0EEENS1_30default_config_static_selectorELNS0_4arch9wavefront6targetE1EEEvT1_
; %bb.0:
	.section	.rodata,"a",@progbits
	.p2align	6, 0x0
	.amdhsa_kernel _ZN7rocprim17ROCPRIM_400000_NS6detail17trampoline_kernelINS0_14default_configENS1_20scan_config_selectorIfEEZZNS1_9scan_implILNS1_25lookback_scan_determinismE0ELb0ELb0ES3_PKfPffZZZN2at6native31launch_logcumsumexp_cuda_kernelERKNSB_10TensorBaseESF_lENKUlvE_clEvENKUlvE0_clEvEUlffE_fEEDaPvRmT3_T4_T5_mT6_P12ihipStream_tbENKUlT_T0_E_clISt17integral_constantIbLb1EESV_IbLb0EEEEDaSR_SS_EUlSR_E_NS1_11comp_targetILNS1_3genE4ELNS1_11target_archE910ELNS1_3gpuE8ELNS1_3repE0EEENS1_30default_config_static_selectorELNS0_4arch9wavefront6targetE1EEEvT1_
		.amdhsa_group_segment_fixed_size 0
		.amdhsa_private_segment_fixed_size 0
		.amdhsa_kernarg_size 96
		.amdhsa_user_sgpr_count 2
		.amdhsa_user_sgpr_dispatch_ptr 0
		.amdhsa_user_sgpr_queue_ptr 0
		.amdhsa_user_sgpr_kernarg_segment_ptr 1
		.amdhsa_user_sgpr_dispatch_id 0
		.amdhsa_user_sgpr_kernarg_preload_length 0
		.amdhsa_user_sgpr_kernarg_preload_offset 0
		.amdhsa_user_sgpr_private_segment_size 0
		.amdhsa_uses_dynamic_stack 0
		.amdhsa_enable_private_segment 0
		.amdhsa_system_sgpr_workgroup_id_x 1
		.amdhsa_system_sgpr_workgroup_id_y 0
		.amdhsa_system_sgpr_workgroup_id_z 0
		.amdhsa_system_sgpr_workgroup_info 0
		.amdhsa_system_vgpr_workitem_id 0
		.amdhsa_next_free_vgpr 1
		.amdhsa_next_free_sgpr 0
		.amdhsa_accum_offset 4
		.amdhsa_reserve_vcc 0
		.amdhsa_float_round_mode_32 0
		.amdhsa_float_round_mode_16_64 0
		.amdhsa_float_denorm_mode_32 3
		.amdhsa_float_denorm_mode_16_64 3
		.amdhsa_dx10_clamp 1
		.amdhsa_ieee_mode 1
		.amdhsa_fp16_overflow 0
		.amdhsa_tg_split 0
		.amdhsa_exception_fp_ieee_invalid_op 0
		.amdhsa_exception_fp_denorm_src 0
		.amdhsa_exception_fp_ieee_div_zero 0
		.amdhsa_exception_fp_ieee_overflow 0
		.amdhsa_exception_fp_ieee_underflow 0
		.amdhsa_exception_fp_ieee_inexact 0
		.amdhsa_exception_int_div_zero 0
	.end_amdhsa_kernel
	.section	.text._ZN7rocprim17ROCPRIM_400000_NS6detail17trampoline_kernelINS0_14default_configENS1_20scan_config_selectorIfEEZZNS1_9scan_implILNS1_25lookback_scan_determinismE0ELb0ELb0ES3_PKfPffZZZN2at6native31launch_logcumsumexp_cuda_kernelERKNSB_10TensorBaseESF_lENKUlvE_clEvENKUlvE0_clEvEUlffE_fEEDaPvRmT3_T4_T5_mT6_P12ihipStream_tbENKUlT_T0_E_clISt17integral_constantIbLb1EESV_IbLb0EEEEDaSR_SS_EUlSR_E_NS1_11comp_targetILNS1_3genE4ELNS1_11target_archE910ELNS1_3gpuE8ELNS1_3repE0EEENS1_30default_config_static_selectorELNS0_4arch9wavefront6targetE1EEEvT1_,"axG",@progbits,_ZN7rocprim17ROCPRIM_400000_NS6detail17trampoline_kernelINS0_14default_configENS1_20scan_config_selectorIfEEZZNS1_9scan_implILNS1_25lookback_scan_determinismE0ELb0ELb0ES3_PKfPffZZZN2at6native31launch_logcumsumexp_cuda_kernelERKNSB_10TensorBaseESF_lENKUlvE_clEvENKUlvE0_clEvEUlffE_fEEDaPvRmT3_T4_T5_mT6_P12ihipStream_tbENKUlT_T0_E_clISt17integral_constantIbLb1EESV_IbLb0EEEEDaSR_SS_EUlSR_E_NS1_11comp_targetILNS1_3genE4ELNS1_11target_archE910ELNS1_3gpuE8ELNS1_3repE0EEENS1_30default_config_static_selectorELNS0_4arch9wavefront6targetE1EEEvT1_,comdat
.Lfunc_end136:
	.size	_ZN7rocprim17ROCPRIM_400000_NS6detail17trampoline_kernelINS0_14default_configENS1_20scan_config_selectorIfEEZZNS1_9scan_implILNS1_25lookback_scan_determinismE0ELb0ELb0ES3_PKfPffZZZN2at6native31launch_logcumsumexp_cuda_kernelERKNSB_10TensorBaseESF_lENKUlvE_clEvENKUlvE0_clEvEUlffE_fEEDaPvRmT3_T4_T5_mT6_P12ihipStream_tbENKUlT_T0_E_clISt17integral_constantIbLb1EESV_IbLb0EEEEDaSR_SS_EUlSR_E_NS1_11comp_targetILNS1_3genE4ELNS1_11target_archE910ELNS1_3gpuE8ELNS1_3repE0EEENS1_30default_config_static_selectorELNS0_4arch9wavefront6targetE1EEEvT1_, .Lfunc_end136-_ZN7rocprim17ROCPRIM_400000_NS6detail17trampoline_kernelINS0_14default_configENS1_20scan_config_selectorIfEEZZNS1_9scan_implILNS1_25lookback_scan_determinismE0ELb0ELb0ES3_PKfPffZZZN2at6native31launch_logcumsumexp_cuda_kernelERKNSB_10TensorBaseESF_lENKUlvE_clEvENKUlvE0_clEvEUlffE_fEEDaPvRmT3_T4_T5_mT6_P12ihipStream_tbENKUlT_T0_E_clISt17integral_constantIbLb1EESV_IbLb0EEEEDaSR_SS_EUlSR_E_NS1_11comp_targetILNS1_3genE4ELNS1_11target_archE910ELNS1_3gpuE8ELNS1_3repE0EEENS1_30default_config_static_selectorELNS0_4arch9wavefront6targetE1EEEvT1_
                                        ; -- End function
	.set _ZN7rocprim17ROCPRIM_400000_NS6detail17trampoline_kernelINS0_14default_configENS1_20scan_config_selectorIfEEZZNS1_9scan_implILNS1_25lookback_scan_determinismE0ELb0ELb0ES3_PKfPffZZZN2at6native31launch_logcumsumexp_cuda_kernelERKNSB_10TensorBaseESF_lENKUlvE_clEvENKUlvE0_clEvEUlffE_fEEDaPvRmT3_T4_T5_mT6_P12ihipStream_tbENKUlT_T0_E_clISt17integral_constantIbLb1EESV_IbLb0EEEEDaSR_SS_EUlSR_E_NS1_11comp_targetILNS1_3genE4ELNS1_11target_archE910ELNS1_3gpuE8ELNS1_3repE0EEENS1_30default_config_static_selectorELNS0_4arch9wavefront6targetE1EEEvT1_.num_vgpr, 0
	.set _ZN7rocprim17ROCPRIM_400000_NS6detail17trampoline_kernelINS0_14default_configENS1_20scan_config_selectorIfEEZZNS1_9scan_implILNS1_25lookback_scan_determinismE0ELb0ELb0ES3_PKfPffZZZN2at6native31launch_logcumsumexp_cuda_kernelERKNSB_10TensorBaseESF_lENKUlvE_clEvENKUlvE0_clEvEUlffE_fEEDaPvRmT3_T4_T5_mT6_P12ihipStream_tbENKUlT_T0_E_clISt17integral_constantIbLb1EESV_IbLb0EEEEDaSR_SS_EUlSR_E_NS1_11comp_targetILNS1_3genE4ELNS1_11target_archE910ELNS1_3gpuE8ELNS1_3repE0EEENS1_30default_config_static_selectorELNS0_4arch9wavefront6targetE1EEEvT1_.num_agpr, 0
	.set _ZN7rocprim17ROCPRIM_400000_NS6detail17trampoline_kernelINS0_14default_configENS1_20scan_config_selectorIfEEZZNS1_9scan_implILNS1_25lookback_scan_determinismE0ELb0ELb0ES3_PKfPffZZZN2at6native31launch_logcumsumexp_cuda_kernelERKNSB_10TensorBaseESF_lENKUlvE_clEvENKUlvE0_clEvEUlffE_fEEDaPvRmT3_T4_T5_mT6_P12ihipStream_tbENKUlT_T0_E_clISt17integral_constantIbLb1EESV_IbLb0EEEEDaSR_SS_EUlSR_E_NS1_11comp_targetILNS1_3genE4ELNS1_11target_archE910ELNS1_3gpuE8ELNS1_3repE0EEENS1_30default_config_static_selectorELNS0_4arch9wavefront6targetE1EEEvT1_.numbered_sgpr, 0
	.set _ZN7rocprim17ROCPRIM_400000_NS6detail17trampoline_kernelINS0_14default_configENS1_20scan_config_selectorIfEEZZNS1_9scan_implILNS1_25lookback_scan_determinismE0ELb0ELb0ES3_PKfPffZZZN2at6native31launch_logcumsumexp_cuda_kernelERKNSB_10TensorBaseESF_lENKUlvE_clEvENKUlvE0_clEvEUlffE_fEEDaPvRmT3_T4_T5_mT6_P12ihipStream_tbENKUlT_T0_E_clISt17integral_constantIbLb1EESV_IbLb0EEEEDaSR_SS_EUlSR_E_NS1_11comp_targetILNS1_3genE4ELNS1_11target_archE910ELNS1_3gpuE8ELNS1_3repE0EEENS1_30default_config_static_selectorELNS0_4arch9wavefront6targetE1EEEvT1_.num_named_barrier, 0
	.set _ZN7rocprim17ROCPRIM_400000_NS6detail17trampoline_kernelINS0_14default_configENS1_20scan_config_selectorIfEEZZNS1_9scan_implILNS1_25lookback_scan_determinismE0ELb0ELb0ES3_PKfPffZZZN2at6native31launch_logcumsumexp_cuda_kernelERKNSB_10TensorBaseESF_lENKUlvE_clEvENKUlvE0_clEvEUlffE_fEEDaPvRmT3_T4_T5_mT6_P12ihipStream_tbENKUlT_T0_E_clISt17integral_constantIbLb1EESV_IbLb0EEEEDaSR_SS_EUlSR_E_NS1_11comp_targetILNS1_3genE4ELNS1_11target_archE910ELNS1_3gpuE8ELNS1_3repE0EEENS1_30default_config_static_selectorELNS0_4arch9wavefront6targetE1EEEvT1_.private_seg_size, 0
	.set _ZN7rocprim17ROCPRIM_400000_NS6detail17trampoline_kernelINS0_14default_configENS1_20scan_config_selectorIfEEZZNS1_9scan_implILNS1_25lookback_scan_determinismE0ELb0ELb0ES3_PKfPffZZZN2at6native31launch_logcumsumexp_cuda_kernelERKNSB_10TensorBaseESF_lENKUlvE_clEvENKUlvE0_clEvEUlffE_fEEDaPvRmT3_T4_T5_mT6_P12ihipStream_tbENKUlT_T0_E_clISt17integral_constantIbLb1EESV_IbLb0EEEEDaSR_SS_EUlSR_E_NS1_11comp_targetILNS1_3genE4ELNS1_11target_archE910ELNS1_3gpuE8ELNS1_3repE0EEENS1_30default_config_static_selectorELNS0_4arch9wavefront6targetE1EEEvT1_.uses_vcc, 0
	.set _ZN7rocprim17ROCPRIM_400000_NS6detail17trampoline_kernelINS0_14default_configENS1_20scan_config_selectorIfEEZZNS1_9scan_implILNS1_25lookback_scan_determinismE0ELb0ELb0ES3_PKfPffZZZN2at6native31launch_logcumsumexp_cuda_kernelERKNSB_10TensorBaseESF_lENKUlvE_clEvENKUlvE0_clEvEUlffE_fEEDaPvRmT3_T4_T5_mT6_P12ihipStream_tbENKUlT_T0_E_clISt17integral_constantIbLb1EESV_IbLb0EEEEDaSR_SS_EUlSR_E_NS1_11comp_targetILNS1_3genE4ELNS1_11target_archE910ELNS1_3gpuE8ELNS1_3repE0EEENS1_30default_config_static_selectorELNS0_4arch9wavefront6targetE1EEEvT1_.uses_flat_scratch, 0
	.set _ZN7rocprim17ROCPRIM_400000_NS6detail17trampoline_kernelINS0_14default_configENS1_20scan_config_selectorIfEEZZNS1_9scan_implILNS1_25lookback_scan_determinismE0ELb0ELb0ES3_PKfPffZZZN2at6native31launch_logcumsumexp_cuda_kernelERKNSB_10TensorBaseESF_lENKUlvE_clEvENKUlvE0_clEvEUlffE_fEEDaPvRmT3_T4_T5_mT6_P12ihipStream_tbENKUlT_T0_E_clISt17integral_constantIbLb1EESV_IbLb0EEEEDaSR_SS_EUlSR_E_NS1_11comp_targetILNS1_3genE4ELNS1_11target_archE910ELNS1_3gpuE8ELNS1_3repE0EEENS1_30default_config_static_selectorELNS0_4arch9wavefront6targetE1EEEvT1_.has_dyn_sized_stack, 0
	.set _ZN7rocprim17ROCPRIM_400000_NS6detail17trampoline_kernelINS0_14default_configENS1_20scan_config_selectorIfEEZZNS1_9scan_implILNS1_25lookback_scan_determinismE0ELb0ELb0ES3_PKfPffZZZN2at6native31launch_logcumsumexp_cuda_kernelERKNSB_10TensorBaseESF_lENKUlvE_clEvENKUlvE0_clEvEUlffE_fEEDaPvRmT3_T4_T5_mT6_P12ihipStream_tbENKUlT_T0_E_clISt17integral_constantIbLb1EESV_IbLb0EEEEDaSR_SS_EUlSR_E_NS1_11comp_targetILNS1_3genE4ELNS1_11target_archE910ELNS1_3gpuE8ELNS1_3repE0EEENS1_30default_config_static_selectorELNS0_4arch9wavefront6targetE1EEEvT1_.has_recursion, 0
	.set _ZN7rocprim17ROCPRIM_400000_NS6detail17trampoline_kernelINS0_14default_configENS1_20scan_config_selectorIfEEZZNS1_9scan_implILNS1_25lookback_scan_determinismE0ELb0ELb0ES3_PKfPffZZZN2at6native31launch_logcumsumexp_cuda_kernelERKNSB_10TensorBaseESF_lENKUlvE_clEvENKUlvE0_clEvEUlffE_fEEDaPvRmT3_T4_T5_mT6_P12ihipStream_tbENKUlT_T0_E_clISt17integral_constantIbLb1EESV_IbLb0EEEEDaSR_SS_EUlSR_E_NS1_11comp_targetILNS1_3genE4ELNS1_11target_archE910ELNS1_3gpuE8ELNS1_3repE0EEENS1_30default_config_static_selectorELNS0_4arch9wavefront6targetE1EEEvT1_.has_indirect_call, 0
	.section	.AMDGPU.csdata,"",@progbits
; Kernel info:
; codeLenInByte = 0
; TotalNumSgprs: 6
; NumVgprs: 0
; NumAgprs: 0
; TotalNumVgprs: 0
; ScratchSize: 0
; MemoryBound: 0
; FloatMode: 240
; IeeeMode: 1
; LDSByteSize: 0 bytes/workgroup (compile time only)
; SGPRBlocks: 0
; VGPRBlocks: 0
; NumSGPRsForWavesPerEU: 6
; NumVGPRsForWavesPerEU: 1
; AccumOffset: 4
; Occupancy: 8
; WaveLimiterHint : 0
; COMPUTE_PGM_RSRC2:SCRATCH_EN: 0
; COMPUTE_PGM_RSRC2:USER_SGPR: 2
; COMPUTE_PGM_RSRC2:TRAP_HANDLER: 0
; COMPUTE_PGM_RSRC2:TGID_X_EN: 1
; COMPUTE_PGM_RSRC2:TGID_Y_EN: 0
; COMPUTE_PGM_RSRC2:TGID_Z_EN: 0
; COMPUTE_PGM_RSRC2:TIDIG_COMP_CNT: 0
; COMPUTE_PGM_RSRC3_GFX90A:ACCUM_OFFSET: 0
; COMPUTE_PGM_RSRC3_GFX90A:TG_SPLIT: 0
	.section	.text._ZN7rocprim17ROCPRIM_400000_NS6detail17trampoline_kernelINS0_14default_configENS1_20scan_config_selectorIfEEZZNS1_9scan_implILNS1_25lookback_scan_determinismE0ELb0ELb0ES3_PKfPffZZZN2at6native31launch_logcumsumexp_cuda_kernelERKNSB_10TensorBaseESF_lENKUlvE_clEvENKUlvE0_clEvEUlffE_fEEDaPvRmT3_T4_T5_mT6_P12ihipStream_tbENKUlT_T0_E_clISt17integral_constantIbLb1EESV_IbLb0EEEEDaSR_SS_EUlSR_E_NS1_11comp_targetILNS1_3genE3ELNS1_11target_archE908ELNS1_3gpuE7ELNS1_3repE0EEENS1_30default_config_static_selectorELNS0_4arch9wavefront6targetE1EEEvT1_,"axG",@progbits,_ZN7rocprim17ROCPRIM_400000_NS6detail17trampoline_kernelINS0_14default_configENS1_20scan_config_selectorIfEEZZNS1_9scan_implILNS1_25lookback_scan_determinismE0ELb0ELb0ES3_PKfPffZZZN2at6native31launch_logcumsumexp_cuda_kernelERKNSB_10TensorBaseESF_lENKUlvE_clEvENKUlvE0_clEvEUlffE_fEEDaPvRmT3_T4_T5_mT6_P12ihipStream_tbENKUlT_T0_E_clISt17integral_constantIbLb1EESV_IbLb0EEEEDaSR_SS_EUlSR_E_NS1_11comp_targetILNS1_3genE3ELNS1_11target_archE908ELNS1_3gpuE7ELNS1_3repE0EEENS1_30default_config_static_selectorELNS0_4arch9wavefront6targetE1EEEvT1_,comdat
	.globl	_ZN7rocprim17ROCPRIM_400000_NS6detail17trampoline_kernelINS0_14default_configENS1_20scan_config_selectorIfEEZZNS1_9scan_implILNS1_25lookback_scan_determinismE0ELb0ELb0ES3_PKfPffZZZN2at6native31launch_logcumsumexp_cuda_kernelERKNSB_10TensorBaseESF_lENKUlvE_clEvENKUlvE0_clEvEUlffE_fEEDaPvRmT3_T4_T5_mT6_P12ihipStream_tbENKUlT_T0_E_clISt17integral_constantIbLb1EESV_IbLb0EEEEDaSR_SS_EUlSR_E_NS1_11comp_targetILNS1_3genE3ELNS1_11target_archE908ELNS1_3gpuE7ELNS1_3repE0EEENS1_30default_config_static_selectorELNS0_4arch9wavefront6targetE1EEEvT1_ ; -- Begin function _ZN7rocprim17ROCPRIM_400000_NS6detail17trampoline_kernelINS0_14default_configENS1_20scan_config_selectorIfEEZZNS1_9scan_implILNS1_25lookback_scan_determinismE0ELb0ELb0ES3_PKfPffZZZN2at6native31launch_logcumsumexp_cuda_kernelERKNSB_10TensorBaseESF_lENKUlvE_clEvENKUlvE0_clEvEUlffE_fEEDaPvRmT3_T4_T5_mT6_P12ihipStream_tbENKUlT_T0_E_clISt17integral_constantIbLb1EESV_IbLb0EEEEDaSR_SS_EUlSR_E_NS1_11comp_targetILNS1_3genE3ELNS1_11target_archE908ELNS1_3gpuE7ELNS1_3repE0EEENS1_30default_config_static_selectorELNS0_4arch9wavefront6targetE1EEEvT1_
	.p2align	8
	.type	_ZN7rocprim17ROCPRIM_400000_NS6detail17trampoline_kernelINS0_14default_configENS1_20scan_config_selectorIfEEZZNS1_9scan_implILNS1_25lookback_scan_determinismE0ELb0ELb0ES3_PKfPffZZZN2at6native31launch_logcumsumexp_cuda_kernelERKNSB_10TensorBaseESF_lENKUlvE_clEvENKUlvE0_clEvEUlffE_fEEDaPvRmT3_T4_T5_mT6_P12ihipStream_tbENKUlT_T0_E_clISt17integral_constantIbLb1EESV_IbLb0EEEEDaSR_SS_EUlSR_E_NS1_11comp_targetILNS1_3genE3ELNS1_11target_archE908ELNS1_3gpuE7ELNS1_3repE0EEENS1_30default_config_static_selectorELNS0_4arch9wavefront6targetE1EEEvT1_,@function
_ZN7rocprim17ROCPRIM_400000_NS6detail17trampoline_kernelINS0_14default_configENS1_20scan_config_selectorIfEEZZNS1_9scan_implILNS1_25lookback_scan_determinismE0ELb0ELb0ES3_PKfPffZZZN2at6native31launch_logcumsumexp_cuda_kernelERKNSB_10TensorBaseESF_lENKUlvE_clEvENKUlvE0_clEvEUlffE_fEEDaPvRmT3_T4_T5_mT6_P12ihipStream_tbENKUlT_T0_E_clISt17integral_constantIbLb1EESV_IbLb0EEEEDaSR_SS_EUlSR_E_NS1_11comp_targetILNS1_3genE3ELNS1_11target_archE908ELNS1_3gpuE7ELNS1_3repE0EEENS1_30default_config_static_selectorELNS0_4arch9wavefront6targetE1EEEvT1_: ; @_ZN7rocprim17ROCPRIM_400000_NS6detail17trampoline_kernelINS0_14default_configENS1_20scan_config_selectorIfEEZZNS1_9scan_implILNS1_25lookback_scan_determinismE0ELb0ELb0ES3_PKfPffZZZN2at6native31launch_logcumsumexp_cuda_kernelERKNSB_10TensorBaseESF_lENKUlvE_clEvENKUlvE0_clEvEUlffE_fEEDaPvRmT3_T4_T5_mT6_P12ihipStream_tbENKUlT_T0_E_clISt17integral_constantIbLb1EESV_IbLb0EEEEDaSR_SS_EUlSR_E_NS1_11comp_targetILNS1_3genE3ELNS1_11target_archE908ELNS1_3gpuE7ELNS1_3repE0EEENS1_30default_config_static_selectorELNS0_4arch9wavefront6targetE1EEEvT1_
; %bb.0:
	.section	.rodata,"a",@progbits
	.p2align	6, 0x0
	.amdhsa_kernel _ZN7rocprim17ROCPRIM_400000_NS6detail17trampoline_kernelINS0_14default_configENS1_20scan_config_selectorIfEEZZNS1_9scan_implILNS1_25lookback_scan_determinismE0ELb0ELb0ES3_PKfPffZZZN2at6native31launch_logcumsumexp_cuda_kernelERKNSB_10TensorBaseESF_lENKUlvE_clEvENKUlvE0_clEvEUlffE_fEEDaPvRmT3_T4_T5_mT6_P12ihipStream_tbENKUlT_T0_E_clISt17integral_constantIbLb1EESV_IbLb0EEEEDaSR_SS_EUlSR_E_NS1_11comp_targetILNS1_3genE3ELNS1_11target_archE908ELNS1_3gpuE7ELNS1_3repE0EEENS1_30default_config_static_selectorELNS0_4arch9wavefront6targetE1EEEvT1_
		.amdhsa_group_segment_fixed_size 0
		.amdhsa_private_segment_fixed_size 0
		.amdhsa_kernarg_size 96
		.amdhsa_user_sgpr_count 2
		.amdhsa_user_sgpr_dispatch_ptr 0
		.amdhsa_user_sgpr_queue_ptr 0
		.amdhsa_user_sgpr_kernarg_segment_ptr 1
		.amdhsa_user_sgpr_dispatch_id 0
		.amdhsa_user_sgpr_kernarg_preload_length 0
		.amdhsa_user_sgpr_kernarg_preload_offset 0
		.amdhsa_user_sgpr_private_segment_size 0
		.amdhsa_uses_dynamic_stack 0
		.amdhsa_enable_private_segment 0
		.amdhsa_system_sgpr_workgroup_id_x 1
		.amdhsa_system_sgpr_workgroup_id_y 0
		.amdhsa_system_sgpr_workgroup_id_z 0
		.amdhsa_system_sgpr_workgroup_info 0
		.amdhsa_system_vgpr_workitem_id 0
		.amdhsa_next_free_vgpr 1
		.amdhsa_next_free_sgpr 0
		.amdhsa_accum_offset 4
		.amdhsa_reserve_vcc 0
		.amdhsa_float_round_mode_32 0
		.amdhsa_float_round_mode_16_64 0
		.amdhsa_float_denorm_mode_32 3
		.amdhsa_float_denorm_mode_16_64 3
		.amdhsa_dx10_clamp 1
		.amdhsa_ieee_mode 1
		.amdhsa_fp16_overflow 0
		.amdhsa_tg_split 0
		.amdhsa_exception_fp_ieee_invalid_op 0
		.amdhsa_exception_fp_denorm_src 0
		.amdhsa_exception_fp_ieee_div_zero 0
		.amdhsa_exception_fp_ieee_overflow 0
		.amdhsa_exception_fp_ieee_underflow 0
		.amdhsa_exception_fp_ieee_inexact 0
		.amdhsa_exception_int_div_zero 0
	.end_amdhsa_kernel
	.section	.text._ZN7rocprim17ROCPRIM_400000_NS6detail17trampoline_kernelINS0_14default_configENS1_20scan_config_selectorIfEEZZNS1_9scan_implILNS1_25lookback_scan_determinismE0ELb0ELb0ES3_PKfPffZZZN2at6native31launch_logcumsumexp_cuda_kernelERKNSB_10TensorBaseESF_lENKUlvE_clEvENKUlvE0_clEvEUlffE_fEEDaPvRmT3_T4_T5_mT6_P12ihipStream_tbENKUlT_T0_E_clISt17integral_constantIbLb1EESV_IbLb0EEEEDaSR_SS_EUlSR_E_NS1_11comp_targetILNS1_3genE3ELNS1_11target_archE908ELNS1_3gpuE7ELNS1_3repE0EEENS1_30default_config_static_selectorELNS0_4arch9wavefront6targetE1EEEvT1_,"axG",@progbits,_ZN7rocprim17ROCPRIM_400000_NS6detail17trampoline_kernelINS0_14default_configENS1_20scan_config_selectorIfEEZZNS1_9scan_implILNS1_25lookback_scan_determinismE0ELb0ELb0ES3_PKfPffZZZN2at6native31launch_logcumsumexp_cuda_kernelERKNSB_10TensorBaseESF_lENKUlvE_clEvENKUlvE0_clEvEUlffE_fEEDaPvRmT3_T4_T5_mT6_P12ihipStream_tbENKUlT_T0_E_clISt17integral_constantIbLb1EESV_IbLb0EEEEDaSR_SS_EUlSR_E_NS1_11comp_targetILNS1_3genE3ELNS1_11target_archE908ELNS1_3gpuE7ELNS1_3repE0EEENS1_30default_config_static_selectorELNS0_4arch9wavefront6targetE1EEEvT1_,comdat
.Lfunc_end137:
	.size	_ZN7rocprim17ROCPRIM_400000_NS6detail17trampoline_kernelINS0_14default_configENS1_20scan_config_selectorIfEEZZNS1_9scan_implILNS1_25lookback_scan_determinismE0ELb0ELb0ES3_PKfPffZZZN2at6native31launch_logcumsumexp_cuda_kernelERKNSB_10TensorBaseESF_lENKUlvE_clEvENKUlvE0_clEvEUlffE_fEEDaPvRmT3_T4_T5_mT6_P12ihipStream_tbENKUlT_T0_E_clISt17integral_constantIbLb1EESV_IbLb0EEEEDaSR_SS_EUlSR_E_NS1_11comp_targetILNS1_3genE3ELNS1_11target_archE908ELNS1_3gpuE7ELNS1_3repE0EEENS1_30default_config_static_selectorELNS0_4arch9wavefront6targetE1EEEvT1_, .Lfunc_end137-_ZN7rocprim17ROCPRIM_400000_NS6detail17trampoline_kernelINS0_14default_configENS1_20scan_config_selectorIfEEZZNS1_9scan_implILNS1_25lookback_scan_determinismE0ELb0ELb0ES3_PKfPffZZZN2at6native31launch_logcumsumexp_cuda_kernelERKNSB_10TensorBaseESF_lENKUlvE_clEvENKUlvE0_clEvEUlffE_fEEDaPvRmT3_T4_T5_mT6_P12ihipStream_tbENKUlT_T0_E_clISt17integral_constantIbLb1EESV_IbLb0EEEEDaSR_SS_EUlSR_E_NS1_11comp_targetILNS1_3genE3ELNS1_11target_archE908ELNS1_3gpuE7ELNS1_3repE0EEENS1_30default_config_static_selectorELNS0_4arch9wavefront6targetE1EEEvT1_
                                        ; -- End function
	.set _ZN7rocprim17ROCPRIM_400000_NS6detail17trampoline_kernelINS0_14default_configENS1_20scan_config_selectorIfEEZZNS1_9scan_implILNS1_25lookback_scan_determinismE0ELb0ELb0ES3_PKfPffZZZN2at6native31launch_logcumsumexp_cuda_kernelERKNSB_10TensorBaseESF_lENKUlvE_clEvENKUlvE0_clEvEUlffE_fEEDaPvRmT3_T4_T5_mT6_P12ihipStream_tbENKUlT_T0_E_clISt17integral_constantIbLb1EESV_IbLb0EEEEDaSR_SS_EUlSR_E_NS1_11comp_targetILNS1_3genE3ELNS1_11target_archE908ELNS1_3gpuE7ELNS1_3repE0EEENS1_30default_config_static_selectorELNS0_4arch9wavefront6targetE1EEEvT1_.num_vgpr, 0
	.set _ZN7rocprim17ROCPRIM_400000_NS6detail17trampoline_kernelINS0_14default_configENS1_20scan_config_selectorIfEEZZNS1_9scan_implILNS1_25lookback_scan_determinismE0ELb0ELb0ES3_PKfPffZZZN2at6native31launch_logcumsumexp_cuda_kernelERKNSB_10TensorBaseESF_lENKUlvE_clEvENKUlvE0_clEvEUlffE_fEEDaPvRmT3_T4_T5_mT6_P12ihipStream_tbENKUlT_T0_E_clISt17integral_constantIbLb1EESV_IbLb0EEEEDaSR_SS_EUlSR_E_NS1_11comp_targetILNS1_3genE3ELNS1_11target_archE908ELNS1_3gpuE7ELNS1_3repE0EEENS1_30default_config_static_selectorELNS0_4arch9wavefront6targetE1EEEvT1_.num_agpr, 0
	.set _ZN7rocprim17ROCPRIM_400000_NS6detail17trampoline_kernelINS0_14default_configENS1_20scan_config_selectorIfEEZZNS1_9scan_implILNS1_25lookback_scan_determinismE0ELb0ELb0ES3_PKfPffZZZN2at6native31launch_logcumsumexp_cuda_kernelERKNSB_10TensorBaseESF_lENKUlvE_clEvENKUlvE0_clEvEUlffE_fEEDaPvRmT3_T4_T5_mT6_P12ihipStream_tbENKUlT_T0_E_clISt17integral_constantIbLb1EESV_IbLb0EEEEDaSR_SS_EUlSR_E_NS1_11comp_targetILNS1_3genE3ELNS1_11target_archE908ELNS1_3gpuE7ELNS1_3repE0EEENS1_30default_config_static_selectorELNS0_4arch9wavefront6targetE1EEEvT1_.numbered_sgpr, 0
	.set _ZN7rocprim17ROCPRIM_400000_NS6detail17trampoline_kernelINS0_14default_configENS1_20scan_config_selectorIfEEZZNS1_9scan_implILNS1_25lookback_scan_determinismE0ELb0ELb0ES3_PKfPffZZZN2at6native31launch_logcumsumexp_cuda_kernelERKNSB_10TensorBaseESF_lENKUlvE_clEvENKUlvE0_clEvEUlffE_fEEDaPvRmT3_T4_T5_mT6_P12ihipStream_tbENKUlT_T0_E_clISt17integral_constantIbLb1EESV_IbLb0EEEEDaSR_SS_EUlSR_E_NS1_11comp_targetILNS1_3genE3ELNS1_11target_archE908ELNS1_3gpuE7ELNS1_3repE0EEENS1_30default_config_static_selectorELNS0_4arch9wavefront6targetE1EEEvT1_.num_named_barrier, 0
	.set _ZN7rocprim17ROCPRIM_400000_NS6detail17trampoline_kernelINS0_14default_configENS1_20scan_config_selectorIfEEZZNS1_9scan_implILNS1_25lookback_scan_determinismE0ELb0ELb0ES3_PKfPffZZZN2at6native31launch_logcumsumexp_cuda_kernelERKNSB_10TensorBaseESF_lENKUlvE_clEvENKUlvE0_clEvEUlffE_fEEDaPvRmT3_T4_T5_mT6_P12ihipStream_tbENKUlT_T0_E_clISt17integral_constantIbLb1EESV_IbLb0EEEEDaSR_SS_EUlSR_E_NS1_11comp_targetILNS1_3genE3ELNS1_11target_archE908ELNS1_3gpuE7ELNS1_3repE0EEENS1_30default_config_static_selectorELNS0_4arch9wavefront6targetE1EEEvT1_.private_seg_size, 0
	.set _ZN7rocprim17ROCPRIM_400000_NS6detail17trampoline_kernelINS0_14default_configENS1_20scan_config_selectorIfEEZZNS1_9scan_implILNS1_25lookback_scan_determinismE0ELb0ELb0ES3_PKfPffZZZN2at6native31launch_logcumsumexp_cuda_kernelERKNSB_10TensorBaseESF_lENKUlvE_clEvENKUlvE0_clEvEUlffE_fEEDaPvRmT3_T4_T5_mT6_P12ihipStream_tbENKUlT_T0_E_clISt17integral_constantIbLb1EESV_IbLb0EEEEDaSR_SS_EUlSR_E_NS1_11comp_targetILNS1_3genE3ELNS1_11target_archE908ELNS1_3gpuE7ELNS1_3repE0EEENS1_30default_config_static_selectorELNS0_4arch9wavefront6targetE1EEEvT1_.uses_vcc, 0
	.set _ZN7rocprim17ROCPRIM_400000_NS6detail17trampoline_kernelINS0_14default_configENS1_20scan_config_selectorIfEEZZNS1_9scan_implILNS1_25lookback_scan_determinismE0ELb0ELb0ES3_PKfPffZZZN2at6native31launch_logcumsumexp_cuda_kernelERKNSB_10TensorBaseESF_lENKUlvE_clEvENKUlvE0_clEvEUlffE_fEEDaPvRmT3_T4_T5_mT6_P12ihipStream_tbENKUlT_T0_E_clISt17integral_constantIbLb1EESV_IbLb0EEEEDaSR_SS_EUlSR_E_NS1_11comp_targetILNS1_3genE3ELNS1_11target_archE908ELNS1_3gpuE7ELNS1_3repE0EEENS1_30default_config_static_selectorELNS0_4arch9wavefront6targetE1EEEvT1_.uses_flat_scratch, 0
	.set _ZN7rocprim17ROCPRIM_400000_NS6detail17trampoline_kernelINS0_14default_configENS1_20scan_config_selectorIfEEZZNS1_9scan_implILNS1_25lookback_scan_determinismE0ELb0ELb0ES3_PKfPffZZZN2at6native31launch_logcumsumexp_cuda_kernelERKNSB_10TensorBaseESF_lENKUlvE_clEvENKUlvE0_clEvEUlffE_fEEDaPvRmT3_T4_T5_mT6_P12ihipStream_tbENKUlT_T0_E_clISt17integral_constantIbLb1EESV_IbLb0EEEEDaSR_SS_EUlSR_E_NS1_11comp_targetILNS1_3genE3ELNS1_11target_archE908ELNS1_3gpuE7ELNS1_3repE0EEENS1_30default_config_static_selectorELNS0_4arch9wavefront6targetE1EEEvT1_.has_dyn_sized_stack, 0
	.set _ZN7rocprim17ROCPRIM_400000_NS6detail17trampoline_kernelINS0_14default_configENS1_20scan_config_selectorIfEEZZNS1_9scan_implILNS1_25lookback_scan_determinismE0ELb0ELb0ES3_PKfPffZZZN2at6native31launch_logcumsumexp_cuda_kernelERKNSB_10TensorBaseESF_lENKUlvE_clEvENKUlvE0_clEvEUlffE_fEEDaPvRmT3_T4_T5_mT6_P12ihipStream_tbENKUlT_T0_E_clISt17integral_constantIbLb1EESV_IbLb0EEEEDaSR_SS_EUlSR_E_NS1_11comp_targetILNS1_3genE3ELNS1_11target_archE908ELNS1_3gpuE7ELNS1_3repE0EEENS1_30default_config_static_selectorELNS0_4arch9wavefront6targetE1EEEvT1_.has_recursion, 0
	.set _ZN7rocprim17ROCPRIM_400000_NS6detail17trampoline_kernelINS0_14default_configENS1_20scan_config_selectorIfEEZZNS1_9scan_implILNS1_25lookback_scan_determinismE0ELb0ELb0ES3_PKfPffZZZN2at6native31launch_logcumsumexp_cuda_kernelERKNSB_10TensorBaseESF_lENKUlvE_clEvENKUlvE0_clEvEUlffE_fEEDaPvRmT3_T4_T5_mT6_P12ihipStream_tbENKUlT_T0_E_clISt17integral_constantIbLb1EESV_IbLb0EEEEDaSR_SS_EUlSR_E_NS1_11comp_targetILNS1_3genE3ELNS1_11target_archE908ELNS1_3gpuE7ELNS1_3repE0EEENS1_30default_config_static_selectorELNS0_4arch9wavefront6targetE1EEEvT1_.has_indirect_call, 0
	.section	.AMDGPU.csdata,"",@progbits
; Kernel info:
; codeLenInByte = 0
; TotalNumSgprs: 6
; NumVgprs: 0
; NumAgprs: 0
; TotalNumVgprs: 0
; ScratchSize: 0
; MemoryBound: 0
; FloatMode: 240
; IeeeMode: 1
; LDSByteSize: 0 bytes/workgroup (compile time only)
; SGPRBlocks: 0
; VGPRBlocks: 0
; NumSGPRsForWavesPerEU: 6
; NumVGPRsForWavesPerEU: 1
; AccumOffset: 4
; Occupancy: 8
; WaveLimiterHint : 0
; COMPUTE_PGM_RSRC2:SCRATCH_EN: 0
; COMPUTE_PGM_RSRC2:USER_SGPR: 2
; COMPUTE_PGM_RSRC2:TRAP_HANDLER: 0
; COMPUTE_PGM_RSRC2:TGID_X_EN: 1
; COMPUTE_PGM_RSRC2:TGID_Y_EN: 0
; COMPUTE_PGM_RSRC2:TGID_Z_EN: 0
; COMPUTE_PGM_RSRC2:TIDIG_COMP_CNT: 0
; COMPUTE_PGM_RSRC3_GFX90A:ACCUM_OFFSET: 0
; COMPUTE_PGM_RSRC3_GFX90A:TG_SPLIT: 0
	.section	.text._ZN7rocprim17ROCPRIM_400000_NS6detail17trampoline_kernelINS0_14default_configENS1_20scan_config_selectorIfEEZZNS1_9scan_implILNS1_25lookback_scan_determinismE0ELb0ELb0ES3_PKfPffZZZN2at6native31launch_logcumsumexp_cuda_kernelERKNSB_10TensorBaseESF_lENKUlvE_clEvENKUlvE0_clEvEUlffE_fEEDaPvRmT3_T4_T5_mT6_P12ihipStream_tbENKUlT_T0_E_clISt17integral_constantIbLb1EESV_IbLb0EEEEDaSR_SS_EUlSR_E_NS1_11comp_targetILNS1_3genE2ELNS1_11target_archE906ELNS1_3gpuE6ELNS1_3repE0EEENS1_30default_config_static_selectorELNS0_4arch9wavefront6targetE1EEEvT1_,"axG",@progbits,_ZN7rocprim17ROCPRIM_400000_NS6detail17trampoline_kernelINS0_14default_configENS1_20scan_config_selectorIfEEZZNS1_9scan_implILNS1_25lookback_scan_determinismE0ELb0ELb0ES3_PKfPffZZZN2at6native31launch_logcumsumexp_cuda_kernelERKNSB_10TensorBaseESF_lENKUlvE_clEvENKUlvE0_clEvEUlffE_fEEDaPvRmT3_T4_T5_mT6_P12ihipStream_tbENKUlT_T0_E_clISt17integral_constantIbLb1EESV_IbLb0EEEEDaSR_SS_EUlSR_E_NS1_11comp_targetILNS1_3genE2ELNS1_11target_archE906ELNS1_3gpuE6ELNS1_3repE0EEENS1_30default_config_static_selectorELNS0_4arch9wavefront6targetE1EEEvT1_,comdat
	.globl	_ZN7rocprim17ROCPRIM_400000_NS6detail17trampoline_kernelINS0_14default_configENS1_20scan_config_selectorIfEEZZNS1_9scan_implILNS1_25lookback_scan_determinismE0ELb0ELb0ES3_PKfPffZZZN2at6native31launch_logcumsumexp_cuda_kernelERKNSB_10TensorBaseESF_lENKUlvE_clEvENKUlvE0_clEvEUlffE_fEEDaPvRmT3_T4_T5_mT6_P12ihipStream_tbENKUlT_T0_E_clISt17integral_constantIbLb1EESV_IbLb0EEEEDaSR_SS_EUlSR_E_NS1_11comp_targetILNS1_3genE2ELNS1_11target_archE906ELNS1_3gpuE6ELNS1_3repE0EEENS1_30default_config_static_selectorELNS0_4arch9wavefront6targetE1EEEvT1_ ; -- Begin function _ZN7rocprim17ROCPRIM_400000_NS6detail17trampoline_kernelINS0_14default_configENS1_20scan_config_selectorIfEEZZNS1_9scan_implILNS1_25lookback_scan_determinismE0ELb0ELb0ES3_PKfPffZZZN2at6native31launch_logcumsumexp_cuda_kernelERKNSB_10TensorBaseESF_lENKUlvE_clEvENKUlvE0_clEvEUlffE_fEEDaPvRmT3_T4_T5_mT6_P12ihipStream_tbENKUlT_T0_E_clISt17integral_constantIbLb1EESV_IbLb0EEEEDaSR_SS_EUlSR_E_NS1_11comp_targetILNS1_3genE2ELNS1_11target_archE906ELNS1_3gpuE6ELNS1_3repE0EEENS1_30default_config_static_selectorELNS0_4arch9wavefront6targetE1EEEvT1_
	.p2align	8
	.type	_ZN7rocprim17ROCPRIM_400000_NS6detail17trampoline_kernelINS0_14default_configENS1_20scan_config_selectorIfEEZZNS1_9scan_implILNS1_25lookback_scan_determinismE0ELb0ELb0ES3_PKfPffZZZN2at6native31launch_logcumsumexp_cuda_kernelERKNSB_10TensorBaseESF_lENKUlvE_clEvENKUlvE0_clEvEUlffE_fEEDaPvRmT3_T4_T5_mT6_P12ihipStream_tbENKUlT_T0_E_clISt17integral_constantIbLb1EESV_IbLb0EEEEDaSR_SS_EUlSR_E_NS1_11comp_targetILNS1_3genE2ELNS1_11target_archE906ELNS1_3gpuE6ELNS1_3repE0EEENS1_30default_config_static_selectorELNS0_4arch9wavefront6targetE1EEEvT1_,@function
_ZN7rocprim17ROCPRIM_400000_NS6detail17trampoline_kernelINS0_14default_configENS1_20scan_config_selectorIfEEZZNS1_9scan_implILNS1_25lookback_scan_determinismE0ELb0ELb0ES3_PKfPffZZZN2at6native31launch_logcumsumexp_cuda_kernelERKNSB_10TensorBaseESF_lENKUlvE_clEvENKUlvE0_clEvEUlffE_fEEDaPvRmT3_T4_T5_mT6_P12ihipStream_tbENKUlT_T0_E_clISt17integral_constantIbLb1EESV_IbLb0EEEEDaSR_SS_EUlSR_E_NS1_11comp_targetILNS1_3genE2ELNS1_11target_archE906ELNS1_3gpuE6ELNS1_3repE0EEENS1_30default_config_static_selectorELNS0_4arch9wavefront6targetE1EEEvT1_: ; @_ZN7rocprim17ROCPRIM_400000_NS6detail17trampoline_kernelINS0_14default_configENS1_20scan_config_selectorIfEEZZNS1_9scan_implILNS1_25lookback_scan_determinismE0ELb0ELb0ES3_PKfPffZZZN2at6native31launch_logcumsumexp_cuda_kernelERKNSB_10TensorBaseESF_lENKUlvE_clEvENKUlvE0_clEvEUlffE_fEEDaPvRmT3_T4_T5_mT6_P12ihipStream_tbENKUlT_T0_E_clISt17integral_constantIbLb1EESV_IbLb0EEEEDaSR_SS_EUlSR_E_NS1_11comp_targetILNS1_3genE2ELNS1_11target_archE906ELNS1_3gpuE6ELNS1_3repE0EEENS1_30default_config_static_selectorELNS0_4arch9wavefront6targetE1EEEvT1_
; %bb.0:
	.section	.rodata,"a",@progbits
	.p2align	6, 0x0
	.amdhsa_kernel _ZN7rocprim17ROCPRIM_400000_NS6detail17trampoline_kernelINS0_14default_configENS1_20scan_config_selectorIfEEZZNS1_9scan_implILNS1_25lookback_scan_determinismE0ELb0ELb0ES3_PKfPffZZZN2at6native31launch_logcumsumexp_cuda_kernelERKNSB_10TensorBaseESF_lENKUlvE_clEvENKUlvE0_clEvEUlffE_fEEDaPvRmT3_T4_T5_mT6_P12ihipStream_tbENKUlT_T0_E_clISt17integral_constantIbLb1EESV_IbLb0EEEEDaSR_SS_EUlSR_E_NS1_11comp_targetILNS1_3genE2ELNS1_11target_archE906ELNS1_3gpuE6ELNS1_3repE0EEENS1_30default_config_static_selectorELNS0_4arch9wavefront6targetE1EEEvT1_
		.amdhsa_group_segment_fixed_size 0
		.amdhsa_private_segment_fixed_size 0
		.amdhsa_kernarg_size 96
		.amdhsa_user_sgpr_count 2
		.amdhsa_user_sgpr_dispatch_ptr 0
		.amdhsa_user_sgpr_queue_ptr 0
		.amdhsa_user_sgpr_kernarg_segment_ptr 1
		.amdhsa_user_sgpr_dispatch_id 0
		.amdhsa_user_sgpr_kernarg_preload_length 0
		.amdhsa_user_sgpr_kernarg_preload_offset 0
		.amdhsa_user_sgpr_private_segment_size 0
		.amdhsa_uses_dynamic_stack 0
		.amdhsa_enable_private_segment 0
		.amdhsa_system_sgpr_workgroup_id_x 1
		.amdhsa_system_sgpr_workgroup_id_y 0
		.amdhsa_system_sgpr_workgroup_id_z 0
		.amdhsa_system_sgpr_workgroup_info 0
		.amdhsa_system_vgpr_workitem_id 0
		.amdhsa_next_free_vgpr 1
		.amdhsa_next_free_sgpr 0
		.amdhsa_accum_offset 4
		.amdhsa_reserve_vcc 0
		.amdhsa_float_round_mode_32 0
		.amdhsa_float_round_mode_16_64 0
		.amdhsa_float_denorm_mode_32 3
		.amdhsa_float_denorm_mode_16_64 3
		.amdhsa_dx10_clamp 1
		.amdhsa_ieee_mode 1
		.amdhsa_fp16_overflow 0
		.amdhsa_tg_split 0
		.amdhsa_exception_fp_ieee_invalid_op 0
		.amdhsa_exception_fp_denorm_src 0
		.amdhsa_exception_fp_ieee_div_zero 0
		.amdhsa_exception_fp_ieee_overflow 0
		.amdhsa_exception_fp_ieee_underflow 0
		.amdhsa_exception_fp_ieee_inexact 0
		.amdhsa_exception_int_div_zero 0
	.end_amdhsa_kernel
	.section	.text._ZN7rocprim17ROCPRIM_400000_NS6detail17trampoline_kernelINS0_14default_configENS1_20scan_config_selectorIfEEZZNS1_9scan_implILNS1_25lookback_scan_determinismE0ELb0ELb0ES3_PKfPffZZZN2at6native31launch_logcumsumexp_cuda_kernelERKNSB_10TensorBaseESF_lENKUlvE_clEvENKUlvE0_clEvEUlffE_fEEDaPvRmT3_T4_T5_mT6_P12ihipStream_tbENKUlT_T0_E_clISt17integral_constantIbLb1EESV_IbLb0EEEEDaSR_SS_EUlSR_E_NS1_11comp_targetILNS1_3genE2ELNS1_11target_archE906ELNS1_3gpuE6ELNS1_3repE0EEENS1_30default_config_static_selectorELNS0_4arch9wavefront6targetE1EEEvT1_,"axG",@progbits,_ZN7rocprim17ROCPRIM_400000_NS6detail17trampoline_kernelINS0_14default_configENS1_20scan_config_selectorIfEEZZNS1_9scan_implILNS1_25lookback_scan_determinismE0ELb0ELb0ES3_PKfPffZZZN2at6native31launch_logcumsumexp_cuda_kernelERKNSB_10TensorBaseESF_lENKUlvE_clEvENKUlvE0_clEvEUlffE_fEEDaPvRmT3_T4_T5_mT6_P12ihipStream_tbENKUlT_T0_E_clISt17integral_constantIbLb1EESV_IbLb0EEEEDaSR_SS_EUlSR_E_NS1_11comp_targetILNS1_3genE2ELNS1_11target_archE906ELNS1_3gpuE6ELNS1_3repE0EEENS1_30default_config_static_selectorELNS0_4arch9wavefront6targetE1EEEvT1_,comdat
.Lfunc_end138:
	.size	_ZN7rocprim17ROCPRIM_400000_NS6detail17trampoline_kernelINS0_14default_configENS1_20scan_config_selectorIfEEZZNS1_9scan_implILNS1_25lookback_scan_determinismE0ELb0ELb0ES3_PKfPffZZZN2at6native31launch_logcumsumexp_cuda_kernelERKNSB_10TensorBaseESF_lENKUlvE_clEvENKUlvE0_clEvEUlffE_fEEDaPvRmT3_T4_T5_mT6_P12ihipStream_tbENKUlT_T0_E_clISt17integral_constantIbLb1EESV_IbLb0EEEEDaSR_SS_EUlSR_E_NS1_11comp_targetILNS1_3genE2ELNS1_11target_archE906ELNS1_3gpuE6ELNS1_3repE0EEENS1_30default_config_static_selectorELNS0_4arch9wavefront6targetE1EEEvT1_, .Lfunc_end138-_ZN7rocprim17ROCPRIM_400000_NS6detail17trampoline_kernelINS0_14default_configENS1_20scan_config_selectorIfEEZZNS1_9scan_implILNS1_25lookback_scan_determinismE0ELb0ELb0ES3_PKfPffZZZN2at6native31launch_logcumsumexp_cuda_kernelERKNSB_10TensorBaseESF_lENKUlvE_clEvENKUlvE0_clEvEUlffE_fEEDaPvRmT3_T4_T5_mT6_P12ihipStream_tbENKUlT_T0_E_clISt17integral_constantIbLb1EESV_IbLb0EEEEDaSR_SS_EUlSR_E_NS1_11comp_targetILNS1_3genE2ELNS1_11target_archE906ELNS1_3gpuE6ELNS1_3repE0EEENS1_30default_config_static_selectorELNS0_4arch9wavefront6targetE1EEEvT1_
                                        ; -- End function
	.set _ZN7rocprim17ROCPRIM_400000_NS6detail17trampoline_kernelINS0_14default_configENS1_20scan_config_selectorIfEEZZNS1_9scan_implILNS1_25lookback_scan_determinismE0ELb0ELb0ES3_PKfPffZZZN2at6native31launch_logcumsumexp_cuda_kernelERKNSB_10TensorBaseESF_lENKUlvE_clEvENKUlvE0_clEvEUlffE_fEEDaPvRmT3_T4_T5_mT6_P12ihipStream_tbENKUlT_T0_E_clISt17integral_constantIbLb1EESV_IbLb0EEEEDaSR_SS_EUlSR_E_NS1_11comp_targetILNS1_3genE2ELNS1_11target_archE906ELNS1_3gpuE6ELNS1_3repE0EEENS1_30default_config_static_selectorELNS0_4arch9wavefront6targetE1EEEvT1_.num_vgpr, 0
	.set _ZN7rocprim17ROCPRIM_400000_NS6detail17trampoline_kernelINS0_14default_configENS1_20scan_config_selectorIfEEZZNS1_9scan_implILNS1_25lookback_scan_determinismE0ELb0ELb0ES3_PKfPffZZZN2at6native31launch_logcumsumexp_cuda_kernelERKNSB_10TensorBaseESF_lENKUlvE_clEvENKUlvE0_clEvEUlffE_fEEDaPvRmT3_T4_T5_mT6_P12ihipStream_tbENKUlT_T0_E_clISt17integral_constantIbLb1EESV_IbLb0EEEEDaSR_SS_EUlSR_E_NS1_11comp_targetILNS1_3genE2ELNS1_11target_archE906ELNS1_3gpuE6ELNS1_3repE0EEENS1_30default_config_static_selectorELNS0_4arch9wavefront6targetE1EEEvT1_.num_agpr, 0
	.set _ZN7rocprim17ROCPRIM_400000_NS6detail17trampoline_kernelINS0_14default_configENS1_20scan_config_selectorIfEEZZNS1_9scan_implILNS1_25lookback_scan_determinismE0ELb0ELb0ES3_PKfPffZZZN2at6native31launch_logcumsumexp_cuda_kernelERKNSB_10TensorBaseESF_lENKUlvE_clEvENKUlvE0_clEvEUlffE_fEEDaPvRmT3_T4_T5_mT6_P12ihipStream_tbENKUlT_T0_E_clISt17integral_constantIbLb1EESV_IbLb0EEEEDaSR_SS_EUlSR_E_NS1_11comp_targetILNS1_3genE2ELNS1_11target_archE906ELNS1_3gpuE6ELNS1_3repE0EEENS1_30default_config_static_selectorELNS0_4arch9wavefront6targetE1EEEvT1_.numbered_sgpr, 0
	.set _ZN7rocprim17ROCPRIM_400000_NS6detail17trampoline_kernelINS0_14default_configENS1_20scan_config_selectorIfEEZZNS1_9scan_implILNS1_25lookback_scan_determinismE0ELb0ELb0ES3_PKfPffZZZN2at6native31launch_logcumsumexp_cuda_kernelERKNSB_10TensorBaseESF_lENKUlvE_clEvENKUlvE0_clEvEUlffE_fEEDaPvRmT3_T4_T5_mT6_P12ihipStream_tbENKUlT_T0_E_clISt17integral_constantIbLb1EESV_IbLb0EEEEDaSR_SS_EUlSR_E_NS1_11comp_targetILNS1_3genE2ELNS1_11target_archE906ELNS1_3gpuE6ELNS1_3repE0EEENS1_30default_config_static_selectorELNS0_4arch9wavefront6targetE1EEEvT1_.num_named_barrier, 0
	.set _ZN7rocprim17ROCPRIM_400000_NS6detail17trampoline_kernelINS0_14default_configENS1_20scan_config_selectorIfEEZZNS1_9scan_implILNS1_25lookback_scan_determinismE0ELb0ELb0ES3_PKfPffZZZN2at6native31launch_logcumsumexp_cuda_kernelERKNSB_10TensorBaseESF_lENKUlvE_clEvENKUlvE0_clEvEUlffE_fEEDaPvRmT3_T4_T5_mT6_P12ihipStream_tbENKUlT_T0_E_clISt17integral_constantIbLb1EESV_IbLb0EEEEDaSR_SS_EUlSR_E_NS1_11comp_targetILNS1_3genE2ELNS1_11target_archE906ELNS1_3gpuE6ELNS1_3repE0EEENS1_30default_config_static_selectorELNS0_4arch9wavefront6targetE1EEEvT1_.private_seg_size, 0
	.set _ZN7rocprim17ROCPRIM_400000_NS6detail17trampoline_kernelINS0_14default_configENS1_20scan_config_selectorIfEEZZNS1_9scan_implILNS1_25lookback_scan_determinismE0ELb0ELb0ES3_PKfPffZZZN2at6native31launch_logcumsumexp_cuda_kernelERKNSB_10TensorBaseESF_lENKUlvE_clEvENKUlvE0_clEvEUlffE_fEEDaPvRmT3_T4_T5_mT6_P12ihipStream_tbENKUlT_T0_E_clISt17integral_constantIbLb1EESV_IbLb0EEEEDaSR_SS_EUlSR_E_NS1_11comp_targetILNS1_3genE2ELNS1_11target_archE906ELNS1_3gpuE6ELNS1_3repE0EEENS1_30default_config_static_selectorELNS0_4arch9wavefront6targetE1EEEvT1_.uses_vcc, 0
	.set _ZN7rocprim17ROCPRIM_400000_NS6detail17trampoline_kernelINS0_14default_configENS1_20scan_config_selectorIfEEZZNS1_9scan_implILNS1_25lookback_scan_determinismE0ELb0ELb0ES3_PKfPffZZZN2at6native31launch_logcumsumexp_cuda_kernelERKNSB_10TensorBaseESF_lENKUlvE_clEvENKUlvE0_clEvEUlffE_fEEDaPvRmT3_T4_T5_mT6_P12ihipStream_tbENKUlT_T0_E_clISt17integral_constantIbLb1EESV_IbLb0EEEEDaSR_SS_EUlSR_E_NS1_11comp_targetILNS1_3genE2ELNS1_11target_archE906ELNS1_3gpuE6ELNS1_3repE0EEENS1_30default_config_static_selectorELNS0_4arch9wavefront6targetE1EEEvT1_.uses_flat_scratch, 0
	.set _ZN7rocprim17ROCPRIM_400000_NS6detail17trampoline_kernelINS0_14default_configENS1_20scan_config_selectorIfEEZZNS1_9scan_implILNS1_25lookback_scan_determinismE0ELb0ELb0ES3_PKfPffZZZN2at6native31launch_logcumsumexp_cuda_kernelERKNSB_10TensorBaseESF_lENKUlvE_clEvENKUlvE0_clEvEUlffE_fEEDaPvRmT3_T4_T5_mT6_P12ihipStream_tbENKUlT_T0_E_clISt17integral_constantIbLb1EESV_IbLb0EEEEDaSR_SS_EUlSR_E_NS1_11comp_targetILNS1_3genE2ELNS1_11target_archE906ELNS1_3gpuE6ELNS1_3repE0EEENS1_30default_config_static_selectorELNS0_4arch9wavefront6targetE1EEEvT1_.has_dyn_sized_stack, 0
	.set _ZN7rocprim17ROCPRIM_400000_NS6detail17trampoline_kernelINS0_14default_configENS1_20scan_config_selectorIfEEZZNS1_9scan_implILNS1_25lookback_scan_determinismE0ELb0ELb0ES3_PKfPffZZZN2at6native31launch_logcumsumexp_cuda_kernelERKNSB_10TensorBaseESF_lENKUlvE_clEvENKUlvE0_clEvEUlffE_fEEDaPvRmT3_T4_T5_mT6_P12ihipStream_tbENKUlT_T0_E_clISt17integral_constantIbLb1EESV_IbLb0EEEEDaSR_SS_EUlSR_E_NS1_11comp_targetILNS1_3genE2ELNS1_11target_archE906ELNS1_3gpuE6ELNS1_3repE0EEENS1_30default_config_static_selectorELNS0_4arch9wavefront6targetE1EEEvT1_.has_recursion, 0
	.set _ZN7rocprim17ROCPRIM_400000_NS6detail17trampoline_kernelINS0_14default_configENS1_20scan_config_selectorIfEEZZNS1_9scan_implILNS1_25lookback_scan_determinismE0ELb0ELb0ES3_PKfPffZZZN2at6native31launch_logcumsumexp_cuda_kernelERKNSB_10TensorBaseESF_lENKUlvE_clEvENKUlvE0_clEvEUlffE_fEEDaPvRmT3_T4_T5_mT6_P12ihipStream_tbENKUlT_T0_E_clISt17integral_constantIbLb1EESV_IbLb0EEEEDaSR_SS_EUlSR_E_NS1_11comp_targetILNS1_3genE2ELNS1_11target_archE906ELNS1_3gpuE6ELNS1_3repE0EEENS1_30default_config_static_selectorELNS0_4arch9wavefront6targetE1EEEvT1_.has_indirect_call, 0
	.section	.AMDGPU.csdata,"",@progbits
; Kernel info:
; codeLenInByte = 0
; TotalNumSgprs: 6
; NumVgprs: 0
; NumAgprs: 0
; TotalNumVgprs: 0
; ScratchSize: 0
; MemoryBound: 0
; FloatMode: 240
; IeeeMode: 1
; LDSByteSize: 0 bytes/workgroup (compile time only)
; SGPRBlocks: 0
; VGPRBlocks: 0
; NumSGPRsForWavesPerEU: 6
; NumVGPRsForWavesPerEU: 1
; AccumOffset: 4
; Occupancy: 8
; WaveLimiterHint : 0
; COMPUTE_PGM_RSRC2:SCRATCH_EN: 0
; COMPUTE_PGM_RSRC2:USER_SGPR: 2
; COMPUTE_PGM_RSRC2:TRAP_HANDLER: 0
; COMPUTE_PGM_RSRC2:TGID_X_EN: 1
; COMPUTE_PGM_RSRC2:TGID_Y_EN: 0
; COMPUTE_PGM_RSRC2:TGID_Z_EN: 0
; COMPUTE_PGM_RSRC2:TIDIG_COMP_CNT: 0
; COMPUTE_PGM_RSRC3_GFX90A:ACCUM_OFFSET: 0
; COMPUTE_PGM_RSRC3_GFX90A:TG_SPLIT: 0
	.section	.text._ZN7rocprim17ROCPRIM_400000_NS6detail17trampoline_kernelINS0_14default_configENS1_20scan_config_selectorIfEEZZNS1_9scan_implILNS1_25lookback_scan_determinismE0ELb0ELb0ES3_PKfPffZZZN2at6native31launch_logcumsumexp_cuda_kernelERKNSB_10TensorBaseESF_lENKUlvE_clEvENKUlvE0_clEvEUlffE_fEEDaPvRmT3_T4_T5_mT6_P12ihipStream_tbENKUlT_T0_E_clISt17integral_constantIbLb1EESV_IbLb0EEEEDaSR_SS_EUlSR_E_NS1_11comp_targetILNS1_3genE10ELNS1_11target_archE1201ELNS1_3gpuE5ELNS1_3repE0EEENS1_30default_config_static_selectorELNS0_4arch9wavefront6targetE1EEEvT1_,"axG",@progbits,_ZN7rocprim17ROCPRIM_400000_NS6detail17trampoline_kernelINS0_14default_configENS1_20scan_config_selectorIfEEZZNS1_9scan_implILNS1_25lookback_scan_determinismE0ELb0ELb0ES3_PKfPffZZZN2at6native31launch_logcumsumexp_cuda_kernelERKNSB_10TensorBaseESF_lENKUlvE_clEvENKUlvE0_clEvEUlffE_fEEDaPvRmT3_T4_T5_mT6_P12ihipStream_tbENKUlT_T0_E_clISt17integral_constantIbLb1EESV_IbLb0EEEEDaSR_SS_EUlSR_E_NS1_11comp_targetILNS1_3genE10ELNS1_11target_archE1201ELNS1_3gpuE5ELNS1_3repE0EEENS1_30default_config_static_selectorELNS0_4arch9wavefront6targetE1EEEvT1_,comdat
	.globl	_ZN7rocprim17ROCPRIM_400000_NS6detail17trampoline_kernelINS0_14default_configENS1_20scan_config_selectorIfEEZZNS1_9scan_implILNS1_25lookback_scan_determinismE0ELb0ELb0ES3_PKfPffZZZN2at6native31launch_logcumsumexp_cuda_kernelERKNSB_10TensorBaseESF_lENKUlvE_clEvENKUlvE0_clEvEUlffE_fEEDaPvRmT3_T4_T5_mT6_P12ihipStream_tbENKUlT_T0_E_clISt17integral_constantIbLb1EESV_IbLb0EEEEDaSR_SS_EUlSR_E_NS1_11comp_targetILNS1_3genE10ELNS1_11target_archE1201ELNS1_3gpuE5ELNS1_3repE0EEENS1_30default_config_static_selectorELNS0_4arch9wavefront6targetE1EEEvT1_ ; -- Begin function _ZN7rocprim17ROCPRIM_400000_NS6detail17trampoline_kernelINS0_14default_configENS1_20scan_config_selectorIfEEZZNS1_9scan_implILNS1_25lookback_scan_determinismE0ELb0ELb0ES3_PKfPffZZZN2at6native31launch_logcumsumexp_cuda_kernelERKNSB_10TensorBaseESF_lENKUlvE_clEvENKUlvE0_clEvEUlffE_fEEDaPvRmT3_T4_T5_mT6_P12ihipStream_tbENKUlT_T0_E_clISt17integral_constantIbLb1EESV_IbLb0EEEEDaSR_SS_EUlSR_E_NS1_11comp_targetILNS1_3genE10ELNS1_11target_archE1201ELNS1_3gpuE5ELNS1_3repE0EEENS1_30default_config_static_selectorELNS0_4arch9wavefront6targetE1EEEvT1_
	.p2align	8
	.type	_ZN7rocprim17ROCPRIM_400000_NS6detail17trampoline_kernelINS0_14default_configENS1_20scan_config_selectorIfEEZZNS1_9scan_implILNS1_25lookback_scan_determinismE0ELb0ELb0ES3_PKfPffZZZN2at6native31launch_logcumsumexp_cuda_kernelERKNSB_10TensorBaseESF_lENKUlvE_clEvENKUlvE0_clEvEUlffE_fEEDaPvRmT3_T4_T5_mT6_P12ihipStream_tbENKUlT_T0_E_clISt17integral_constantIbLb1EESV_IbLb0EEEEDaSR_SS_EUlSR_E_NS1_11comp_targetILNS1_3genE10ELNS1_11target_archE1201ELNS1_3gpuE5ELNS1_3repE0EEENS1_30default_config_static_selectorELNS0_4arch9wavefront6targetE1EEEvT1_,@function
_ZN7rocprim17ROCPRIM_400000_NS6detail17trampoline_kernelINS0_14default_configENS1_20scan_config_selectorIfEEZZNS1_9scan_implILNS1_25lookback_scan_determinismE0ELb0ELb0ES3_PKfPffZZZN2at6native31launch_logcumsumexp_cuda_kernelERKNSB_10TensorBaseESF_lENKUlvE_clEvENKUlvE0_clEvEUlffE_fEEDaPvRmT3_T4_T5_mT6_P12ihipStream_tbENKUlT_T0_E_clISt17integral_constantIbLb1EESV_IbLb0EEEEDaSR_SS_EUlSR_E_NS1_11comp_targetILNS1_3genE10ELNS1_11target_archE1201ELNS1_3gpuE5ELNS1_3repE0EEENS1_30default_config_static_selectorELNS0_4arch9wavefront6targetE1EEEvT1_: ; @_ZN7rocprim17ROCPRIM_400000_NS6detail17trampoline_kernelINS0_14default_configENS1_20scan_config_selectorIfEEZZNS1_9scan_implILNS1_25lookback_scan_determinismE0ELb0ELb0ES3_PKfPffZZZN2at6native31launch_logcumsumexp_cuda_kernelERKNSB_10TensorBaseESF_lENKUlvE_clEvENKUlvE0_clEvEUlffE_fEEDaPvRmT3_T4_T5_mT6_P12ihipStream_tbENKUlT_T0_E_clISt17integral_constantIbLb1EESV_IbLb0EEEEDaSR_SS_EUlSR_E_NS1_11comp_targetILNS1_3genE10ELNS1_11target_archE1201ELNS1_3gpuE5ELNS1_3repE0EEENS1_30default_config_static_selectorELNS0_4arch9wavefront6targetE1EEEvT1_
; %bb.0:
	.section	.rodata,"a",@progbits
	.p2align	6, 0x0
	.amdhsa_kernel _ZN7rocprim17ROCPRIM_400000_NS6detail17trampoline_kernelINS0_14default_configENS1_20scan_config_selectorIfEEZZNS1_9scan_implILNS1_25lookback_scan_determinismE0ELb0ELb0ES3_PKfPffZZZN2at6native31launch_logcumsumexp_cuda_kernelERKNSB_10TensorBaseESF_lENKUlvE_clEvENKUlvE0_clEvEUlffE_fEEDaPvRmT3_T4_T5_mT6_P12ihipStream_tbENKUlT_T0_E_clISt17integral_constantIbLb1EESV_IbLb0EEEEDaSR_SS_EUlSR_E_NS1_11comp_targetILNS1_3genE10ELNS1_11target_archE1201ELNS1_3gpuE5ELNS1_3repE0EEENS1_30default_config_static_selectorELNS0_4arch9wavefront6targetE1EEEvT1_
		.amdhsa_group_segment_fixed_size 0
		.amdhsa_private_segment_fixed_size 0
		.amdhsa_kernarg_size 96
		.amdhsa_user_sgpr_count 2
		.amdhsa_user_sgpr_dispatch_ptr 0
		.amdhsa_user_sgpr_queue_ptr 0
		.amdhsa_user_sgpr_kernarg_segment_ptr 1
		.amdhsa_user_sgpr_dispatch_id 0
		.amdhsa_user_sgpr_kernarg_preload_length 0
		.amdhsa_user_sgpr_kernarg_preload_offset 0
		.amdhsa_user_sgpr_private_segment_size 0
		.amdhsa_uses_dynamic_stack 0
		.amdhsa_enable_private_segment 0
		.amdhsa_system_sgpr_workgroup_id_x 1
		.amdhsa_system_sgpr_workgroup_id_y 0
		.amdhsa_system_sgpr_workgroup_id_z 0
		.amdhsa_system_sgpr_workgroup_info 0
		.amdhsa_system_vgpr_workitem_id 0
		.amdhsa_next_free_vgpr 1
		.amdhsa_next_free_sgpr 0
		.amdhsa_accum_offset 4
		.amdhsa_reserve_vcc 0
		.amdhsa_float_round_mode_32 0
		.amdhsa_float_round_mode_16_64 0
		.amdhsa_float_denorm_mode_32 3
		.amdhsa_float_denorm_mode_16_64 3
		.amdhsa_dx10_clamp 1
		.amdhsa_ieee_mode 1
		.amdhsa_fp16_overflow 0
		.amdhsa_tg_split 0
		.amdhsa_exception_fp_ieee_invalid_op 0
		.amdhsa_exception_fp_denorm_src 0
		.amdhsa_exception_fp_ieee_div_zero 0
		.amdhsa_exception_fp_ieee_overflow 0
		.amdhsa_exception_fp_ieee_underflow 0
		.amdhsa_exception_fp_ieee_inexact 0
		.amdhsa_exception_int_div_zero 0
	.end_amdhsa_kernel
	.section	.text._ZN7rocprim17ROCPRIM_400000_NS6detail17trampoline_kernelINS0_14default_configENS1_20scan_config_selectorIfEEZZNS1_9scan_implILNS1_25lookback_scan_determinismE0ELb0ELb0ES3_PKfPffZZZN2at6native31launch_logcumsumexp_cuda_kernelERKNSB_10TensorBaseESF_lENKUlvE_clEvENKUlvE0_clEvEUlffE_fEEDaPvRmT3_T4_T5_mT6_P12ihipStream_tbENKUlT_T0_E_clISt17integral_constantIbLb1EESV_IbLb0EEEEDaSR_SS_EUlSR_E_NS1_11comp_targetILNS1_3genE10ELNS1_11target_archE1201ELNS1_3gpuE5ELNS1_3repE0EEENS1_30default_config_static_selectorELNS0_4arch9wavefront6targetE1EEEvT1_,"axG",@progbits,_ZN7rocprim17ROCPRIM_400000_NS6detail17trampoline_kernelINS0_14default_configENS1_20scan_config_selectorIfEEZZNS1_9scan_implILNS1_25lookback_scan_determinismE0ELb0ELb0ES3_PKfPffZZZN2at6native31launch_logcumsumexp_cuda_kernelERKNSB_10TensorBaseESF_lENKUlvE_clEvENKUlvE0_clEvEUlffE_fEEDaPvRmT3_T4_T5_mT6_P12ihipStream_tbENKUlT_T0_E_clISt17integral_constantIbLb1EESV_IbLb0EEEEDaSR_SS_EUlSR_E_NS1_11comp_targetILNS1_3genE10ELNS1_11target_archE1201ELNS1_3gpuE5ELNS1_3repE0EEENS1_30default_config_static_selectorELNS0_4arch9wavefront6targetE1EEEvT1_,comdat
.Lfunc_end139:
	.size	_ZN7rocprim17ROCPRIM_400000_NS6detail17trampoline_kernelINS0_14default_configENS1_20scan_config_selectorIfEEZZNS1_9scan_implILNS1_25lookback_scan_determinismE0ELb0ELb0ES3_PKfPffZZZN2at6native31launch_logcumsumexp_cuda_kernelERKNSB_10TensorBaseESF_lENKUlvE_clEvENKUlvE0_clEvEUlffE_fEEDaPvRmT3_T4_T5_mT6_P12ihipStream_tbENKUlT_T0_E_clISt17integral_constantIbLb1EESV_IbLb0EEEEDaSR_SS_EUlSR_E_NS1_11comp_targetILNS1_3genE10ELNS1_11target_archE1201ELNS1_3gpuE5ELNS1_3repE0EEENS1_30default_config_static_selectorELNS0_4arch9wavefront6targetE1EEEvT1_, .Lfunc_end139-_ZN7rocprim17ROCPRIM_400000_NS6detail17trampoline_kernelINS0_14default_configENS1_20scan_config_selectorIfEEZZNS1_9scan_implILNS1_25lookback_scan_determinismE0ELb0ELb0ES3_PKfPffZZZN2at6native31launch_logcumsumexp_cuda_kernelERKNSB_10TensorBaseESF_lENKUlvE_clEvENKUlvE0_clEvEUlffE_fEEDaPvRmT3_T4_T5_mT6_P12ihipStream_tbENKUlT_T0_E_clISt17integral_constantIbLb1EESV_IbLb0EEEEDaSR_SS_EUlSR_E_NS1_11comp_targetILNS1_3genE10ELNS1_11target_archE1201ELNS1_3gpuE5ELNS1_3repE0EEENS1_30default_config_static_selectorELNS0_4arch9wavefront6targetE1EEEvT1_
                                        ; -- End function
	.set _ZN7rocprim17ROCPRIM_400000_NS6detail17trampoline_kernelINS0_14default_configENS1_20scan_config_selectorIfEEZZNS1_9scan_implILNS1_25lookback_scan_determinismE0ELb0ELb0ES3_PKfPffZZZN2at6native31launch_logcumsumexp_cuda_kernelERKNSB_10TensorBaseESF_lENKUlvE_clEvENKUlvE0_clEvEUlffE_fEEDaPvRmT3_T4_T5_mT6_P12ihipStream_tbENKUlT_T0_E_clISt17integral_constantIbLb1EESV_IbLb0EEEEDaSR_SS_EUlSR_E_NS1_11comp_targetILNS1_3genE10ELNS1_11target_archE1201ELNS1_3gpuE5ELNS1_3repE0EEENS1_30default_config_static_selectorELNS0_4arch9wavefront6targetE1EEEvT1_.num_vgpr, 0
	.set _ZN7rocprim17ROCPRIM_400000_NS6detail17trampoline_kernelINS0_14default_configENS1_20scan_config_selectorIfEEZZNS1_9scan_implILNS1_25lookback_scan_determinismE0ELb0ELb0ES3_PKfPffZZZN2at6native31launch_logcumsumexp_cuda_kernelERKNSB_10TensorBaseESF_lENKUlvE_clEvENKUlvE0_clEvEUlffE_fEEDaPvRmT3_T4_T5_mT6_P12ihipStream_tbENKUlT_T0_E_clISt17integral_constantIbLb1EESV_IbLb0EEEEDaSR_SS_EUlSR_E_NS1_11comp_targetILNS1_3genE10ELNS1_11target_archE1201ELNS1_3gpuE5ELNS1_3repE0EEENS1_30default_config_static_selectorELNS0_4arch9wavefront6targetE1EEEvT1_.num_agpr, 0
	.set _ZN7rocprim17ROCPRIM_400000_NS6detail17trampoline_kernelINS0_14default_configENS1_20scan_config_selectorIfEEZZNS1_9scan_implILNS1_25lookback_scan_determinismE0ELb0ELb0ES3_PKfPffZZZN2at6native31launch_logcumsumexp_cuda_kernelERKNSB_10TensorBaseESF_lENKUlvE_clEvENKUlvE0_clEvEUlffE_fEEDaPvRmT3_T4_T5_mT6_P12ihipStream_tbENKUlT_T0_E_clISt17integral_constantIbLb1EESV_IbLb0EEEEDaSR_SS_EUlSR_E_NS1_11comp_targetILNS1_3genE10ELNS1_11target_archE1201ELNS1_3gpuE5ELNS1_3repE0EEENS1_30default_config_static_selectorELNS0_4arch9wavefront6targetE1EEEvT1_.numbered_sgpr, 0
	.set _ZN7rocprim17ROCPRIM_400000_NS6detail17trampoline_kernelINS0_14default_configENS1_20scan_config_selectorIfEEZZNS1_9scan_implILNS1_25lookback_scan_determinismE0ELb0ELb0ES3_PKfPffZZZN2at6native31launch_logcumsumexp_cuda_kernelERKNSB_10TensorBaseESF_lENKUlvE_clEvENKUlvE0_clEvEUlffE_fEEDaPvRmT3_T4_T5_mT6_P12ihipStream_tbENKUlT_T0_E_clISt17integral_constantIbLb1EESV_IbLb0EEEEDaSR_SS_EUlSR_E_NS1_11comp_targetILNS1_3genE10ELNS1_11target_archE1201ELNS1_3gpuE5ELNS1_3repE0EEENS1_30default_config_static_selectorELNS0_4arch9wavefront6targetE1EEEvT1_.num_named_barrier, 0
	.set _ZN7rocprim17ROCPRIM_400000_NS6detail17trampoline_kernelINS0_14default_configENS1_20scan_config_selectorIfEEZZNS1_9scan_implILNS1_25lookback_scan_determinismE0ELb0ELb0ES3_PKfPffZZZN2at6native31launch_logcumsumexp_cuda_kernelERKNSB_10TensorBaseESF_lENKUlvE_clEvENKUlvE0_clEvEUlffE_fEEDaPvRmT3_T4_T5_mT6_P12ihipStream_tbENKUlT_T0_E_clISt17integral_constantIbLb1EESV_IbLb0EEEEDaSR_SS_EUlSR_E_NS1_11comp_targetILNS1_3genE10ELNS1_11target_archE1201ELNS1_3gpuE5ELNS1_3repE0EEENS1_30default_config_static_selectorELNS0_4arch9wavefront6targetE1EEEvT1_.private_seg_size, 0
	.set _ZN7rocprim17ROCPRIM_400000_NS6detail17trampoline_kernelINS0_14default_configENS1_20scan_config_selectorIfEEZZNS1_9scan_implILNS1_25lookback_scan_determinismE0ELb0ELb0ES3_PKfPffZZZN2at6native31launch_logcumsumexp_cuda_kernelERKNSB_10TensorBaseESF_lENKUlvE_clEvENKUlvE0_clEvEUlffE_fEEDaPvRmT3_T4_T5_mT6_P12ihipStream_tbENKUlT_T0_E_clISt17integral_constantIbLb1EESV_IbLb0EEEEDaSR_SS_EUlSR_E_NS1_11comp_targetILNS1_3genE10ELNS1_11target_archE1201ELNS1_3gpuE5ELNS1_3repE0EEENS1_30default_config_static_selectorELNS0_4arch9wavefront6targetE1EEEvT1_.uses_vcc, 0
	.set _ZN7rocprim17ROCPRIM_400000_NS6detail17trampoline_kernelINS0_14default_configENS1_20scan_config_selectorIfEEZZNS1_9scan_implILNS1_25lookback_scan_determinismE0ELb0ELb0ES3_PKfPffZZZN2at6native31launch_logcumsumexp_cuda_kernelERKNSB_10TensorBaseESF_lENKUlvE_clEvENKUlvE0_clEvEUlffE_fEEDaPvRmT3_T4_T5_mT6_P12ihipStream_tbENKUlT_T0_E_clISt17integral_constantIbLb1EESV_IbLb0EEEEDaSR_SS_EUlSR_E_NS1_11comp_targetILNS1_3genE10ELNS1_11target_archE1201ELNS1_3gpuE5ELNS1_3repE0EEENS1_30default_config_static_selectorELNS0_4arch9wavefront6targetE1EEEvT1_.uses_flat_scratch, 0
	.set _ZN7rocprim17ROCPRIM_400000_NS6detail17trampoline_kernelINS0_14default_configENS1_20scan_config_selectorIfEEZZNS1_9scan_implILNS1_25lookback_scan_determinismE0ELb0ELb0ES3_PKfPffZZZN2at6native31launch_logcumsumexp_cuda_kernelERKNSB_10TensorBaseESF_lENKUlvE_clEvENKUlvE0_clEvEUlffE_fEEDaPvRmT3_T4_T5_mT6_P12ihipStream_tbENKUlT_T0_E_clISt17integral_constantIbLb1EESV_IbLb0EEEEDaSR_SS_EUlSR_E_NS1_11comp_targetILNS1_3genE10ELNS1_11target_archE1201ELNS1_3gpuE5ELNS1_3repE0EEENS1_30default_config_static_selectorELNS0_4arch9wavefront6targetE1EEEvT1_.has_dyn_sized_stack, 0
	.set _ZN7rocprim17ROCPRIM_400000_NS6detail17trampoline_kernelINS0_14default_configENS1_20scan_config_selectorIfEEZZNS1_9scan_implILNS1_25lookback_scan_determinismE0ELb0ELb0ES3_PKfPffZZZN2at6native31launch_logcumsumexp_cuda_kernelERKNSB_10TensorBaseESF_lENKUlvE_clEvENKUlvE0_clEvEUlffE_fEEDaPvRmT3_T4_T5_mT6_P12ihipStream_tbENKUlT_T0_E_clISt17integral_constantIbLb1EESV_IbLb0EEEEDaSR_SS_EUlSR_E_NS1_11comp_targetILNS1_3genE10ELNS1_11target_archE1201ELNS1_3gpuE5ELNS1_3repE0EEENS1_30default_config_static_selectorELNS0_4arch9wavefront6targetE1EEEvT1_.has_recursion, 0
	.set _ZN7rocprim17ROCPRIM_400000_NS6detail17trampoline_kernelINS0_14default_configENS1_20scan_config_selectorIfEEZZNS1_9scan_implILNS1_25lookback_scan_determinismE0ELb0ELb0ES3_PKfPffZZZN2at6native31launch_logcumsumexp_cuda_kernelERKNSB_10TensorBaseESF_lENKUlvE_clEvENKUlvE0_clEvEUlffE_fEEDaPvRmT3_T4_T5_mT6_P12ihipStream_tbENKUlT_T0_E_clISt17integral_constantIbLb1EESV_IbLb0EEEEDaSR_SS_EUlSR_E_NS1_11comp_targetILNS1_3genE10ELNS1_11target_archE1201ELNS1_3gpuE5ELNS1_3repE0EEENS1_30default_config_static_selectorELNS0_4arch9wavefront6targetE1EEEvT1_.has_indirect_call, 0
	.section	.AMDGPU.csdata,"",@progbits
; Kernel info:
; codeLenInByte = 0
; TotalNumSgprs: 6
; NumVgprs: 0
; NumAgprs: 0
; TotalNumVgprs: 0
; ScratchSize: 0
; MemoryBound: 0
; FloatMode: 240
; IeeeMode: 1
; LDSByteSize: 0 bytes/workgroup (compile time only)
; SGPRBlocks: 0
; VGPRBlocks: 0
; NumSGPRsForWavesPerEU: 6
; NumVGPRsForWavesPerEU: 1
; AccumOffset: 4
; Occupancy: 8
; WaveLimiterHint : 0
; COMPUTE_PGM_RSRC2:SCRATCH_EN: 0
; COMPUTE_PGM_RSRC2:USER_SGPR: 2
; COMPUTE_PGM_RSRC2:TRAP_HANDLER: 0
; COMPUTE_PGM_RSRC2:TGID_X_EN: 1
; COMPUTE_PGM_RSRC2:TGID_Y_EN: 0
; COMPUTE_PGM_RSRC2:TGID_Z_EN: 0
; COMPUTE_PGM_RSRC2:TIDIG_COMP_CNT: 0
; COMPUTE_PGM_RSRC3_GFX90A:ACCUM_OFFSET: 0
; COMPUTE_PGM_RSRC3_GFX90A:TG_SPLIT: 0
	.section	.text._ZN7rocprim17ROCPRIM_400000_NS6detail17trampoline_kernelINS0_14default_configENS1_20scan_config_selectorIfEEZZNS1_9scan_implILNS1_25lookback_scan_determinismE0ELb0ELb0ES3_PKfPffZZZN2at6native31launch_logcumsumexp_cuda_kernelERKNSB_10TensorBaseESF_lENKUlvE_clEvENKUlvE0_clEvEUlffE_fEEDaPvRmT3_T4_T5_mT6_P12ihipStream_tbENKUlT_T0_E_clISt17integral_constantIbLb1EESV_IbLb0EEEEDaSR_SS_EUlSR_E_NS1_11comp_targetILNS1_3genE10ELNS1_11target_archE1200ELNS1_3gpuE4ELNS1_3repE0EEENS1_30default_config_static_selectorELNS0_4arch9wavefront6targetE1EEEvT1_,"axG",@progbits,_ZN7rocprim17ROCPRIM_400000_NS6detail17trampoline_kernelINS0_14default_configENS1_20scan_config_selectorIfEEZZNS1_9scan_implILNS1_25lookback_scan_determinismE0ELb0ELb0ES3_PKfPffZZZN2at6native31launch_logcumsumexp_cuda_kernelERKNSB_10TensorBaseESF_lENKUlvE_clEvENKUlvE0_clEvEUlffE_fEEDaPvRmT3_T4_T5_mT6_P12ihipStream_tbENKUlT_T0_E_clISt17integral_constantIbLb1EESV_IbLb0EEEEDaSR_SS_EUlSR_E_NS1_11comp_targetILNS1_3genE10ELNS1_11target_archE1200ELNS1_3gpuE4ELNS1_3repE0EEENS1_30default_config_static_selectorELNS0_4arch9wavefront6targetE1EEEvT1_,comdat
	.globl	_ZN7rocprim17ROCPRIM_400000_NS6detail17trampoline_kernelINS0_14default_configENS1_20scan_config_selectorIfEEZZNS1_9scan_implILNS1_25lookback_scan_determinismE0ELb0ELb0ES3_PKfPffZZZN2at6native31launch_logcumsumexp_cuda_kernelERKNSB_10TensorBaseESF_lENKUlvE_clEvENKUlvE0_clEvEUlffE_fEEDaPvRmT3_T4_T5_mT6_P12ihipStream_tbENKUlT_T0_E_clISt17integral_constantIbLb1EESV_IbLb0EEEEDaSR_SS_EUlSR_E_NS1_11comp_targetILNS1_3genE10ELNS1_11target_archE1200ELNS1_3gpuE4ELNS1_3repE0EEENS1_30default_config_static_selectorELNS0_4arch9wavefront6targetE1EEEvT1_ ; -- Begin function _ZN7rocprim17ROCPRIM_400000_NS6detail17trampoline_kernelINS0_14default_configENS1_20scan_config_selectorIfEEZZNS1_9scan_implILNS1_25lookback_scan_determinismE0ELb0ELb0ES3_PKfPffZZZN2at6native31launch_logcumsumexp_cuda_kernelERKNSB_10TensorBaseESF_lENKUlvE_clEvENKUlvE0_clEvEUlffE_fEEDaPvRmT3_T4_T5_mT6_P12ihipStream_tbENKUlT_T0_E_clISt17integral_constantIbLb1EESV_IbLb0EEEEDaSR_SS_EUlSR_E_NS1_11comp_targetILNS1_3genE10ELNS1_11target_archE1200ELNS1_3gpuE4ELNS1_3repE0EEENS1_30default_config_static_selectorELNS0_4arch9wavefront6targetE1EEEvT1_
	.p2align	8
	.type	_ZN7rocprim17ROCPRIM_400000_NS6detail17trampoline_kernelINS0_14default_configENS1_20scan_config_selectorIfEEZZNS1_9scan_implILNS1_25lookback_scan_determinismE0ELb0ELb0ES3_PKfPffZZZN2at6native31launch_logcumsumexp_cuda_kernelERKNSB_10TensorBaseESF_lENKUlvE_clEvENKUlvE0_clEvEUlffE_fEEDaPvRmT3_T4_T5_mT6_P12ihipStream_tbENKUlT_T0_E_clISt17integral_constantIbLb1EESV_IbLb0EEEEDaSR_SS_EUlSR_E_NS1_11comp_targetILNS1_3genE10ELNS1_11target_archE1200ELNS1_3gpuE4ELNS1_3repE0EEENS1_30default_config_static_selectorELNS0_4arch9wavefront6targetE1EEEvT1_,@function
_ZN7rocprim17ROCPRIM_400000_NS6detail17trampoline_kernelINS0_14default_configENS1_20scan_config_selectorIfEEZZNS1_9scan_implILNS1_25lookback_scan_determinismE0ELb0ELb0ES3_PKfPffZZZN2at6native31launch_logcumsumexp_cuda_kernelERKNSB_10TensorBaseESF_lENKUlvE_clEvENKUlvE0_clEvEUlffE_fEEDaPvRmT3_T4_T5_mT6_P12ihipStream_tbENKUlT_T0_E_clISt17integral_constantIbLb1EESV_IbLb0EEEEDaSR_SS_EUlSR_E_NS1_11comp_targetILNS1_3genE10ELNS1_11target_archE1200ELNS1_3gpuE4ELNS1_3repE0EEENS1_30default_config_static_selectorELNS0_4arch9wavefront6targetE1EEEvT1_: ; @_ZN7rocprim17ROCPRIM_400000_NS6detail17trampoline_kernelINS0_14default_configENS1_20scan_config_selectorIfEEZZNS1_9scan_implILNS1_25lookback_scan_determinismE0ELb0ELb0ES3_PKfPffZZZN2at6native31launch_logcumsumexp_cuda_kernelERKNSB_10TensorBaseESF_lENKUlvE_clEvENKUlvE0_clEvEUlffE_fEEDaPvRmT3_T4_T5_mT6_P12ihipStream_tbENKUlT_T0_E_clISt17integral_constantIbLb1EESV_IbLb0EEEEDaSR_SS_EUlSR_E_NS1_11comp_targetILNS1_3genE10ELNS1_11target_archE1200ELNS1_3gpuE4ELNS1_3repE0EEENS1_30default_config_static_selectorELNS0_4arch9wavefront6targetE1EEEvT1_
; %bb.0:
	.section	.rodata,"a",@progbits
	.p2align	6, 0x0
	.amdhsa_kernel _ZN7rocprim17ROCPRIM_400000_NS6detail17trampoline_kernelINS0_14default_configENS1_20scan_config_selectorIfEEZZNS1_9scan_implILNS1_25lookback_scan_determinismE0ELb0ELb0ES3_PKfPffZZZN2at6native31launch_logcumsumexp_cuda_kernelERKNSB_10TensorBaseESF_lENKUlvE_clEvENKUlvE0_clEvEUlffE_fEEDaPvRmT3_T4_T5_mT6_P12ihipStream_tbENKUlT_T0_E_clISt17integral_constantIbLb1EESV_IbLb0EEEEDaSR_SS_EUlSR_E_NS1_11comp_targetILNS1_3genE10ELNS1_11target_archE1200ELNS1_3gpuE4ELNS1_3repE0EEENS1_30default_config_static_selectorELNS0_4arch9wavefront6targetE1EEEvT1_
		.amdhsa_group_segment_fixed_size 0
		.amdhsa_private_segment_fixed_size 0
		.amdhsa_kernarg_size 96
		.amdhsa_user_sgpr_count 2
		.amdhsa_user_sgpr_dispatch_ptr 0
		.amdhsa_user_sgpr_queue_ptr 0
		.amdhsa_user_sgpr_kernarg_segment_ptr 1
		.amdhsa_user_sgpr_dispatch_id 0
		.amdhsa_user_sgpr_kernarg_preload_length 0
		.amdhsa_user_sgpr_kernarg_preload_offset 0
		.amdhsa_user_sgpr_private_segment_size 0
		.amdhsa_uses_dynamic_stack 0
		.amdhsa_enable_private_segment 0
		.amdhsa_system_sgpr_workgroup_id_x 1
		.amdhsa_system_sgpr_workgroup_id_y 0
		.amdhsa_system_sgpr_workgroup_id_z 0
		.amdhsa_system_sgpr_workgroup_info 0
		.amdhsa_system_vgpr_workitem_id 0
		.amdhsa_next_free_vgpr 1
		.amdhsa_next_free_sgpr 0
		.amdhsa_accum_offset 4
		.amdhsa_reserve_vcc 0
		.amdhsa_float_round_mode_32 0
		.amdhsa_float_round_mode_16_64 0
		.amdhsa_float_denorm_mode_32 3
		.amdhsa_float_denorm_mode_16_64 3
		.amdhsa_dx10_clamp 1
		.amdhsa_ieee_mode 1
		.amdhsa_fp16_overflow 0
		.amdhsa_tg_split 0
		.amdhsa_exception_fp_ieee_invalid_op 0
		.amdhsa_exception_fp_denorm_src 0
		.amdhsa_exception_fp_ieee_div_zero 0
		.amdhsa_exception_fp_ieee_overflow 0
		.amdhsa_exception_fp_ieee_underflow 0
		.amdhsa_exception_fp_ieee_inexact 0
		.amdhsa_exception_int_div_zero 0
	.end_amdhsa_kernel
	.section	.text._ZN7rocprim17ROCPRIM_400000_NS6detail17trampoline_kernelINS0_14default_configENS1_20scan_config_selectorIfEEZZNS1_9scan_implILNS1_25lookback_scan_determinismE0ELb0ELb0ES3_PKfPffZZZN2at6native31launch_logcumsumexp_cuda_kernelERKNSB_10TensorBaseESF_lENKUlvE_clEvENKUlvE0_clEvEUlffE_fEEDaPvRmT3_T4_T5_mT6_P12ihipStream_tbENKUlT_T0_E_clISt17integral_constantIbLb1EESV_IbLb0EEEEDaSR_SS_EUlSR_E_NS1_11comp_targetILNS1_3genE10ELNS1_11target_archE1200ELNS1_3gpuE4ELNS1_3repE0EEENS1_30default_config_static_selectorELNS0_4arch9wavefront6targetE1EEEvT1_,"axG",@progbits,_ZN7rocprim17ROCPRIM_400000_NS6detail17trampoline_kernelINS0_14default_configENS1_20scan_config_selectorIfEEZZNS1_9scan_implILNS1_25lookback_scan_determinismE0ELb0ELb0ES3_PKfPffZZZN2at6native31launch_logcumsumexp_cuda_kernelERKNSB_10TensorBaseESF_lENKUlvE_clEvENKUlvE0_clEvEUlffE_fEEDaPvRmT3_T4_T5_mT6_P12ihipStream_tbENKUlT_T0_E_clISt17integral_constantIbLb1EESV_IbLb0EEEEDaSR_SS_EUlSR_E_NS1_11comp_targetILNS1_3genE10ELNS1_11target_archE1200ELNS1_3gpuE4ELNS1_3repE0EEENS1_30default_config_static_selectorELNS0_4arch9wavefront6targetE1EEEvT1_,comdat
.Lfunc_end140:
	.size	_ZN7rocprim17ROCPRIM_400000_NS6detail17trampoline_kernelINS0_14default_configENS1_20scan_config_selectorIfEEZZNS1_9scan_implILNS1_25lookback_scan_determinismE0ELb0ELb0ES3_PKfPffZZZN2at6native31launch_logcumsumexp_cuda_kernelERKNSB_10TensorBaseESF_lENKUlvE_clEvENKUlvE0_clEvEUlffE_fEEDaPvRmT3_T4_T5_mT6_P12ihipStream_tbENKUlT_T0_E_clISt17integral_constantIbLb1EESV_IbLb0EEEEDaSR_SS_EUlSR_E_NS1_11comp_targetILNS1_3genE10ELNS1_11target_archE1200ELNS1_3gpuE4ELNS1_3repE0EEENS1_30default_config_static_selectorELNS0_4arch9wavefront6targetE1EEEvT1_, .Lfunc_end140-_ZN7rocprim17ROCPRIM_400000_NS6detail17trampoline_kernelINS0_14default_configENS1_20scan_config_selectorIfEEZZNS1_9scan_implILNS1_25lookback_scan_determinismE0ELb0ELb0ES3_PKfPffZZZN2at6native31launch_logcumsumexp_cuda_kernelERKNSB_10TensorBaseESF_lENKUlvE_clEvENKUlvE0_clEvEUlffE_fEEDaPvRmT3_T4_T5_mT6_P12ihipStream_tbENKUlT_T0_E_clISt17integral_constantIbLb1EESV_IbLb0EEEEDaSR_SS_EUlSR_E_NS1_11comp_targetILNS1_3genE10ELNS1_11target_archE1200ELNS1_3gpuE4ELNS1_3repE0EEENS1_30default_config_static_selectorELNS0_4arch9wavefront6targetE1EEEvT1_
                                        ; -- End function
	.set _ZN7rocprim17ROCPRIM_400000_NS6detail17trampoline_kernelINS0_14default_configENS1_20scan_config_selectorIfEEZZNS1_9scan_implILNS1_25lookback_scan_determinismE0ELb0ELb0ES3_PKfPffZZZN2at6native31launch_logcumsumexp_cuda_kernelERKNSB_10TensorBaseESF_lENKUlvE_clEvENKUlvE0_clEvEUlffE_fEEDaPvRmT3_T4_T5_mT6_P12ihipStream_tbENKUlT_T0_E_clISt17integral_constantIbLb1EESV_IbLb0EEEEDaSR_SS_EUlSR_E_NS1_11comp_targetILNS1_3genE10ELNS1_11target_archE1200ELNS1_3gpuE4ELNS1_3repE0EEENS1_30default_config_static_selectorELNS0_4arch9wavefront6targetE1EEEvT1_.num_vgpr, 0
	.set _ZN7rocprim17ROCPRIM_400000_NS6detail17trampoline_kernelINS0_14default_configENS1_20scan_config_selectorIfEEZZNS1_9scan_implILNS1_25lookback_scan_determinismE0ELb0ELb0ES3_PKfPffZZZN2at6native31launch_logcumsumexp_cuda_kernelERKNSB_10TensorBaseESF_lENKUlvE_clEvENKUlvE0_clEvEUlffE_fEEDaPvRmT3_T4_T5_mT6_P12ihipStream_tbENKUlT_T0_E_clISt17integral_constantIbLb1EESV_IbLb0EEEEDaSR_SS_EUlSR_E_NS1_11comp_targetILNS1_3genE10ELNS1_11target_archE1200ELNS1_3gpuE4ELNS1_3repE0EEENS1_30default_config_static_selectorELNS0_4arch9wavefront6targetE1EEEvT1_.num_agpr, 0
	.set _ZN7rocprim17ROCPRIM_400000_NS6detail17trampoline_kernelINS0_14default_configENS1_20scan_config_selectorIfEEZZNS1_9scan_implILNS1_25lookback_scan_determinismE0ELb0ELb0ES3_PKfPffZZZN2at6native31launch_logcumsumexp_cuda_kernelERKNSB_10TensorBaseESF_lENKUlvE_clEvENKUlvE0_clEvEUlffE_fEEDaPvRmT3_T4_T5_mT6_P12ihipStream_tbENKUlT_T0_E_clISt17integral_constantIbLb1EESV_IbLb0EEEEDaSR_SS_EUlSR_E_NS1_11comp_targetILNS1_3genE10ELNS1_11target_archE1200ELNS1_3gpuE4ELNS1_3repE0EEENS1_30default_config_static_selectorELNS0_4arch9wavefront6targetE1EEEvT1_.numbered_sgpr, 0
	.set _ZN7rocprim17ROCPRIM_400000_NS6detail17trampoline_kernelINS0_14default_configENS1_20scan_config_selectorIfEEZZNS1_9scan_implILNS1_25lookback_scan_determinismE0ELb0ELb0ES3_PKfPffZZZN2at6native31launch_logcumsumexp_cuda_kernelERKNSB_10TensorBaseESF_lENKUlvE_clEvENKUlvE0_clEvEUlffE_fEEDaPvRmT3_T4_T5_mT6_P12ihipStream_tbENKUlT_T0_E_clISt17integral_constantIbLb1EESV_IbLb0EEEEDaSR_SS_EUlSR_E_NS1_11comp_targetILNS1_3genE10ELNS1_11target_archE1200ELNS1_3gpuE4ELNS1_3repE0EEENS1_30default_config_static_selectorELNS0_4arch9wavefront6targetE1EEEvT1_.num_named_barrier, 0
	.set _ZN7rocprim17ROCPRIM_400000_NS6detail17trampoline_kernelINS0_14default_configENS1_20scan_config_selectorIfEEZZNS1_9scan_implILNS1_25lookback_scan_determinismE0ELb0ELb0ES3_PKfPffZZZN2at6native31launch_logcumsumexp_cuda_kernelERKNSB_10TensorBaseESF_lENKUlvE_clEvENKUlvE0_clEvEUlffE_fEEDaPvRmT3_T4_T5_mT6_P12ihipStream_tbENKUlT_T0_E_clISt17integral_constantIbLb1EESV_IbLb0EEEEDaSR_SS_EUlSR_E_NS1_11comp_targetILNS1_3genE10ELNS1_11target_archE1200ELNS1_3gpuE4ELNS1_3repE0EEENS1_30default_config_static_selectorELNS0_4arch9wavefront6targetE1EEEvT1_.private_seg_size, 0
	.set _ZN7rocprim17ROCPRIM_400000_NS6detail17trampoline_kernelINS0_14default_configENS1_20scan_config_selectorIfEEZZNS1_9scan_implILNS1_25lookback_scan_determinismE0ELb0ELb0ES3_PKfPffZZZN2at6native31launch_logcumsumexp_cuda_kernelERKNSB_10TensorBaseESF_lENKUlvE_clEvENKUlvE0_clEvEUlffE_fEEDaPvRmT3_T4_T5_mT6_P12ihipStream_tbENKUlT_T0_E_clISt17integral_constantIbLb1EESV_IbLb0EEEEDaSR_SS_EUlSR_E_NS1_11comp_targetILNS1_3genE10ELNS1_11target_archE1200ELNS1_3gpuE4ELNS1_3repE0EEENS1_30default_config_static_selectorELNS0_4arch9wavefront6targetE1EEEvT1_.uses_vcc, 0
	.set _ZN7rocprim17ROCPRIM_400000_NS6detail17trampoline_kernelINS0_14default_configENS1_20scan_config_selectorIfEEZZNS1_9scan_implILNS1_25lookback_scan_determinismE0ELb0ELb0ES3_PKfPffZZZN2at6native31launch_logcumsumexp_cuda_kernelERKNSB_10TensorBaseESF_lENKUlvE_clEvENKUlvE0_clEvEUlffE_fEEDaPvRmT3_T4_T5_mT6_P12ihipStream_tbENKUlT_T0_E_clISt17integral_constantIbLb1EESV_IbLb0EEEEDaSR_SS_EUlSR_E_NS1_11comp_targetILNS1_3genE10ELNS1_11target_archE1200ELNS1_3gpuE4ELNS1_3repE0EEENS1_30default_config_static_selectorELNS0_4arch9wavefront6targetE1EEEvT1_.uses_flat_scratch, 0
	.set _ZN7rocprim17ROCPRIM_400000_NS6detail17trampoline_kernelINS0_14default_configENS1_20scan_config_selectorIfEEZZNS1_9scan_implILNS1_25lookback_scan_determinismE0ELb0ELb0ES3_PKfPffZZZN2at6native31launch_logcumsumexp_cuda_kernelERKNSB_10TensorBaseESF_lENKUlvE_clEvENKUlvE0_clEvEUlffE_fEEDaPvRmT3_T4_T5_mT6_P12ihipStream_tbENKUlT_T0_E_clISt17integral_constantIbLb1EESV_IbLb0EEEEDaSR_SS_EUlSR_E_NS1_11comp_targetILNS1_3genE10ELNS1_11target_archE1200ELNS1_3gpuE4ELNS1_3repE0EEENS1_30default_config_static_selectorELNS0_4arch9wavefront6targetE1EEEvT1_.has_dyn_sized_stack, 0
	.set _ZN7rocprim17ROCPRIM_400000_NS6detail17trampoline_kernelINS0_14default_configENS1_20scan_config_selectorIfEEZZNS1_9scan_implILNS1_25lookback_scan_determinismE0ELb0ELb0ES3_PKfPffZZZN2at6native31launch_logcumsumexp_cuda_kernelERKNSB_10TensorBaseESF_lENKUlvE_clEvENKUlvE0_clEvEUlffE_fEEDaPvRmT3_T4_T5_mT6_P12ihipStream_tbENKUlT_T0_E_clISt17integral_constantIbLb1EESV_IbLb0EEEEDaSR_SS_EUlSR_E_NS1_11comp_targetILNS1_3genE10ELNS1_11target_archE1200ELNS1_3gpuE4ELNS1_3repE0EEENS1_30default_config_static_selectorELNS0_4arch9wavefront6targetE1EEEvT1_.has_recursion, 0
	.set _ZN7rocprim17ROCPRIM_400000_NS6detail17trampoline_kernelINS0_14default_configENS1_20scan_config_selectorIfEEZZNS1_9scan_implILNS1_25lookback_scan_determinismE0ELb0ELb0ES3_PKfPffZZZN2at6native31launch_logcumsumexp_cuda_kernelERKNSB_10TensorBaseESF_lENKUlvE_clEvENKUlvE0_clEvEUlffE_fEEDaPvRmT3_T4_T5_mT6_P12ihipStream_tbENKUlT_T0_E_clISt17integral_constantIbLb1EESV_IbLb0EEEEDaSR_SS_EUlSR_E_NS1_11comp_targetILNS1_3genE10ELNS1_11target_archE1200ELNS1_3gpuE4ELNS1_3repE0EEENS1_30default_config_static_selectorELNS0_4arch9wavefront6targetE1EEEvT1_.has_indirect_call, 0
	.section	.AMDGPU.csdata,"",@progbits
; Kernel info:
; codeLenInByte = 0
; TotalNumSgprs: 6
; NumVgprs: 0
; NumAgprs: 0
; TotalNumVgprs: 0
; ScratchSize: 0
; MemoryBound: 0
; FloatMode: 240
; IeeeMode: 1
; LDSByteSize: 0 bytes/workgroup (compile time only)
; SGPRBlocks: 0
; VGPRBlocks: 0
; NumSGPRsForWavesPerEU: 6
; NumVGPRsForWavesPerEU: 1
; AccumOffset: 4
; Occupancy: 8
; WaveLimiterHint : 0
; COMPUTE_PGM_RSRC2:SCRATCH_EN: 0
; COMPUTE_PGM_RSRC2:USER_SGPR: 2
; COMPUTE_PGM_RSRC2:TRAP_HANDLER: 0
; COMPUTE_PGM_RSRC2:TGID_X_EN: 1
; COMPUTE_PGM_RSRC2:TGID_Y_EN: 0
; COMPUTE_PGM_RSRC2:TGID_Z_EN: 0
; COMPUTE_PGM_RSRC2:TIDIG_COMP_CNT: 0
; COMPUTE_PGM_RSRC3_GFX90A:ACCUM_OFFSET: 0
; COMPUTE_PGM_RSRC3_GFX90A:TG_SPLIT: 0
	.section	.text._ZN7rocprim17ROCPRIM_400000_NS6detail17trampoline_kernelINS0_14default_configENS1_20scan_config_selectorIfEEZZNS1_9scan_implILNS1_25lookback_scan_determinismE0ELb0ELb0ES3_PKfPffZZZN2at6native31launch_logcumsumexp_cuda_kernelERKNSB_10TensorBaseESF_lENKUlvE_clEvENKUlvE0_clEvEUlffE_fEEDaPvRmT3_T4_T5_mT6_P12ihipStream_tbENKUlT_T0_E_clISt17integral_constantIbLb1EESV_IbLb0EEEEDaSR_SS_EUlSR_E_NS1_11comp_targetILNS1_3genE9ELNS1_11target_archE1100ELNS1_3gpuE3ELNS1_3repE0EEENS1_30default_config_static_selectorELNS0_4arch9wavefront6targetE1EEEvT1_,"axG",@progbits,_ZN7rocprim17ROCPRIM_400000_NS6detail17trampoline_kernelINS0_14default_configENS1_20scan_config_selectorIfEEZZNS1_9scan_implILNS1_25lookback_scan_determinismE0ELb0ELb0ES3_PKfPffZZZN2at6native31launch_logcumsumexp_cuda_kernelERKNSB_10TensorBaseESF_lENKUlvE_clEvENKUlvE0_clEvEUlffE_fEEDaPvRmT3_T4_T5_mT6_P12ihipStream_tbENKUlT_T0_E_clISt17integral_constantIbLb1EESV_IbLb0EEEEDaSR_SS_EUlSR_E_NS1_11comp_targetILNS1_3genE9ELNS1_11target_archE1100ELNS1_3gpuE3ELNS1_3repE0EEENS1_30default_config_static_selectorELNS0_4arch9wavefront6targetE1EEEvT1_,comdat
	.globl	_ZN7rocprim17ROCPRIM_400000_NS6detail17trampoline_kernelINS0_14default_configENS1_20scan_config_selectorIfEEZZNS1_9scan_implILNS1_25lookback_scan_determinismE0ELb0ELb0ES3_PKfPffZZZN2at6native31launch_logcumsumexp_cuda_kernelERKNSB_10TensorBaseESF_lENKUlvE_clEvENKUlvE0_clEvEUlffE_fEEDaPvRmT3_T4_T5_mT6_P12ihipStream_tbENKUlT_T0_E_clISt17integral_constantIbLb1EESV_IbLb0EEEEDaSR_SS_EUlSR_E_NS1_11comp_targetILNS1_3genE9ELNS1_11target_archE1100ELNS1_3gpuE3ELNS1_3repE0EEENS1_30default_config_static_selectorELNS0_4arch9wavefront6targetE1EEEvT1_ ; -- Begin function _ZN7rocprim17ROCPRIM_400000_NS6detail17trampoline_kernelINS0_14default_configENS1_20scan_config_selectorIfEEZZNS1_9scan_implILNS1_25lookback_scan_determinismE0ELb0ELb0ES3_PKfPffZZZN2at6native31launch_logcumsumexp_cuda_kernelERKNSB_10TensorBaseESF_lENKUlvE_clEvENKUlvE0_clEvEUlffE_fEEDaPvRmT3_T4_T5_mT6_P12ihipStream_tbENKUlT_T0_E_clISt17integral_constantIbLb1EESV_IbLb0EEEEDaSR_SS_EUlSR_E_NS1_11comp_targetILNS1_3genE9ELNS1_11target_archE1100ELNS1_3gpuE3ELNS1_3repE0EEENS1_30default_config_static_selectorELNS0_4arch9wavefront6targetE1EEEvT1_
	.p2align	8
	.type	_ZN7rocprim17ROCPRIM_400000_NS6detail17trampoline_kernelINS0_14default_configENS1_20scan_config_selectorIfEEZZNS1_9scan_implILNS1_25lookback_scan_determinismE0ELb0ELb0ES3_PKfPffZZZN2at6native31launch_logcumsumexp_cuda_kernelERKNSB_10TensorBaseESF_lENKUlvE_clEvENKUlvE0_clEvEUlffE_fEEDaPvRmT3_T4_T5_mT6_P12ihipStream_tbENKUlT_T0_E_clISt17integral_constantIbLb1EESV_IbLb0EEEEDaSR_SS_EUlSR_E_NS1_11comp_targetILNS1_3genE9ELNS1_11target_archE1100ELNS1_3gpuE3ELNS1_3repE0EEENS1_30default_config_static_selectorELNS0_4arch9wavefront6targetE1EEEvT1_,@function
_ZN7rocprim17ROCPRIM_400000_NS6detail17trampoline_kernelINS0_14default_configENS1_20scan_config_selectorIfEEZZNS1_9scan_implILNS1_25lookback_scan_determinismE0ELb0ELb0ES3_PKfPffZZZN2at6native31launch_logcumsumexp_cuda_kernelERKNSB_10TensorBaseESF_lENKUlvE_clEvENKUlvE0_clEvEUlffE_fEEDaPvRmT3_T4_T5_mT6_P12ihipStream_tbENKUlT_T0_E_clISt17integral_constantIbLb1EESV_IbLb0EEEEDaSR_SS_EUlSR_E_NS1_11comp_targetILNS1_3genE9ELNS1_11target_archE1100ELNS1_3gpuE3ELNS1_3repE0EEENS1_30default_config_static_selectorELNS0_4arch9wavefront6targetE1EEEvT1_: ; @_ZN7rocprim17ROCPRIM_400000_NS6detail17trampoline_kernelINS0_14default_configENS1_20scan_config_selectorIfEEZZNS1_9scan_implILNS1_25lookback_scan_determinismE0ELb0ELb0ES3_PKfPffZZZN2at6native31launch_logcumsumexp_cuda_kernelERKNSB_10TensorBaseESF_lENKUlvE_clEvENKUlvE0_clEvEUlffE_fEEDaPvRmT3_T4_T5_mT6_P12ihipStream_tbENKUlT_T0_E_clISt17integral_constantIbLb1EESV_IbLb0EEEEDaSR_SS_EUlSR_E_NS1_11comp_targetILNS1_3genE9ELNS1_11target_archE1100ELNS1_3gpuE3ELNS1_3repE0EEENS1_30default_config_static_selectorELNS0_4arch9wavefront6targetE1EEEvT1_
; %bb.0:
	.section	.rodata,"a",@progbits
	.p2align	6, 0x0
	.amdhsa_kernel _ZN7rocprim17ROCPRIM_400000_NS6detail17trampoline_kernelINS0_14default_configENS1_20scan_config_selectorIfEEZZNS1_9scan_implILNS1_25lookback_scan_determinismE0ELb0ELb0ES3_PKfPffZZZN2at6native31launch_logcumsumexp_cuda_kernelERKNSB_10TensorBaseESF_lENKUlvE_clEvENKUlvE0_clEvEUlffE_fEEDaPvRmT3_T4_T5_mT6_P12ihipStream_tbENKUlT_T0_E_clISt17integral_constantIbLb1EESV_IbLb0EEEEDaSR_SS_EUlSR_E_NS1_11comp_targetILNS1_3genE9ELNS1_11target_archE1100ELNS1_3gpuE3ELNS1_3repE0EEENS1_30default_config_static_selectorELNS0_4arch9wavefront6targetE1EEEvT1_
		.amdhsa_group_segment_fixed_size 0
		.amdhsa_private_segment_fixed_size 0
		.amdhsa_kernarg_size 96
		.amdhsa_user_sgpr_count 2
		.amdhsa_user_sgpr_dispatch_ptr 0
		.amdhsa_user_sgpr_queue_ptr 0
		.amdhsa_user_sgpr_kernarg_segment_ptr 1
		.amdhsa_user_sgpr_dispatch_id 0
		.amdhsa_user_sgpr_kernarg_preload_length 0
		.amdhsa_user_sgpr_kernarg_preload_offset 0
		.amdhsa_user_sgpr_private_segment_size 0
		.amdhsa_uses_dynamic_stack 0
		.amdhsa_enable_private_segment 0
		.amdhsa_system_sgpr_workgroup_id_x 1
		.amdhsa_system_sgpr_workgroup_id_y 0
		.amdhsa_system_sgpr_workgroup_id_z 0
		.amdhsa_system_sgpr_workgroup_info 0
		.amdhsa_system_vgpr_workitem_id 0
		.amdhsa_next_free_vgpr 1
		.amdhsa_next_free_sgpr 0
		.amdhsa_accum_offset 4
		.amdhsa_reserve_vcc 0
		.amdhsa_float_round_mode_32 0
		.amdhsa_float_round_mode_16_64 0
		.amdhsa_float_denorm_mode_32 3
		.amdhsa_float_denorm_mode_16_64 3
		.amdhsa_dx10_clamp 1
		.amdhsa_ieee_mode 1
		.amdhsa_fp16_overflow 0
		.amdhsa_tg_split 0
		.amdhsa_exception_fp_ieee_invalid_op 0
		.amdhsa_exception_fp_denorm_src 0
		.amdhsa_exception_fp_ieee_div_zero 0
		.amdhsa_exception_fp_ieee_overflow 0
		.amdhsa_exception_fp_ieee_underflow 0
		.amdhsa_exception_fp_ieee_inexact 0
		.amdhsa_exception_int_div_zero 0
	.end_amdhsa_kernel
	.section	.text._ZN7rocprim17ROCPRIM_400000_NS6detail17trampoline_kernelINS0_14default_configENS1_20scan_config_selectorIfEEZZNS1_9scan_implILNS1_25lookback_scan_determinismE0ELb0ELb0ES3_PKfPffZZZN2at6native31launch_logcumsumexp_cuda_kernelERKNSB_10TensorBaseESF_lENKUlvE_clEvENKUlvE0_clEvEUlffE_fEEDaPvRmT3_T4_T5_mT6_P12ihipStream_tbENKUlT_T0_E_clISt17integral_constantIbLb1EESV_IbLb0EEEEDaSR_SS_EUlSR_E_NS1_11comp_targetILNS1_3genE9ELNS1_11target_archE1100ELNS1_3gpuE3ELNS1_3repE0EEENS1_30default_config_static_selectorELNS0_4arch9wavefront6targetE1EEEvT1_,"axG",@progbits,_ZN7rocprim17ROCPRIM_400000_NS6detail17trampoline_kernelINS0_14default_configENS1_20scan_config_selectorIfEEZZNS1_9scan_implILNS1_25lookback_scan_determinismE0ELb0ELb0ES3_PKfPffZZZN2at6native31launch_logcumsumexp_cuda_kernelERKNSB_10TensorBaseESF_lENKUlvE_clEvENKUlvE0_clEvEUlffE_fEEDaPvRmT3_T4_T5_mT6_P12ihipStream_tbENKUlT_T0_E_clISt17integral_constantIbLb1EESV_IbLb0EEEEDaSR_SS_EUlSR_E_NS1_11comp_targetILNS1_3genE9ELNS1_11target_archE1100ELNS1_3gpuE3ELNS1_3repE0EEENS1_30default_config_static_selectorELNS0_4arch9wavefront6targetE1EEEvT1_,comdat
.Lfunc_end141:
	.size	_ZN7rocprim17ROCPRIM_400000_NS6detail17trampoline_kernelINS0_14default_configENS1_20scan_config_selectorIfEEZZNS1_9scan_implILNS1_25lookback_scan_determinismE0ELb0ELb0ES3_PKfPffZZZN2at6native31launch_logcumsumexp_cuda_kernelERKNSB_10TensorBaseESF_lENKUlvE_clEvENKUlvE0_clEvEUlffE_fEEDaPvRmT3_T4_T5_mT6_P12ihipStream_tbENKUlT_T0_E_clISt17integral_constantIbLb1EESV_IbLb0EEEEDaSR_SS_EUlSR_E_NS1_11comp_targetILNS1_3genE9ELNS1_11target_archE1100ELNS1_3gpuE3ELNS1_3repE0EEENS1_30default_config_static_selectorELNS0_4arch9wavefront6targetE1EEEvT1_, .Lfunc_end141-_ZN7rocprim17ROCPRIM_400000_NS6detail17trampoline_kernelINS0_14default_configENS1_20scan_config_selectorIfEEZZNS1_9scan_implILNS1_25lookback_scan_determinismE0ELb0ELb0ES3_PKfPffZZZN2at6native31launch_logcumsumexp_cuda_kernelERKNSB_10TensorBaseESF_lENKUlvE_clEvENKUlvE0_clEvEUlffE_fEEDaPvRmT3_T4_T5_mT6_P12ihipStream_tbENKUlT_T0_E_clISt17integral_constantIbLb1EESV_IbLb0EEEEDaSR_SS_EUlSR_E_NS1_11comp_targetILNS1_3genE9ELNS1_11target_archE1100ELNS1_3gpuE3ELNS1_3repE0EEENS1_30default_config_static_selectorELNS0_4arch9wavefront6targetE1EEEvT1_
                                        ; -- End function
	.set _ZN7rocprim17ROCPRIM_400000_NS6detail17trampoline_kernelINS0_14default_configENS1_20scan_config_selectorIfEEZZNS1_9scan_implILNS1_25lookback_scan_determinismE0ELb0ELb0ES3_PKfPffZZZN2at6native31launch_logcumsumexp_cuda_kernelERKNSB_10TensorBaseESF_lENKUlvE_clEvENKUlvE0_clEvEUlffE_fEEDaPvRmT3_T4_T5_mT6_P12ihipStream_tbENKUlT_T0_E_clISt17integral_constantIbLb1EESV_IbLb0EEEEDaSR_SS_EUlSR_E_NS1_11comp_targetILNS1_3genE9ELNS1_11target_archE1100ELNS1_3gpuE3ELNS1_3repE0EEENS1_30default_config_static_selectorELNS0_4arch9wavefront6targetE1EEEvT1_.num_vgpr, 0
	.set _ZN7rocprim17ROCPRIM_400000_NS6detail17trampoline_kernelINS0_14default_configENS1_20scan_config_selectorIfEEZZNS1_9scan_implILNS1_25lookback_scan_determinismE0ELb0ELb0ES3_PKfPffZZZN2at6native31launch_logcumsumexp_cuda_kernelERKNSB_10TensorBaseESF_lENKUlvE_clEvENKUlvE0_clEvEUlffE_fEEDaPvRmT3_T4_T5_mT6_P12ihipStream_tbENKUlT_T0_E_clISt17integral_constantIbLb1EESV_IbLb0EEEEDaSR_SS_EUlSR_E_NS1_11comp_targetILNS1_3genE9ELNS1_11target_archE1100ELNS1_3gpuE3ELNS1_3repE0EEENS1_30default_config_static_selectorELNS0_4arch9wavefront6targetE1EEEvT1_.num_agpr, 0
	.set _ZN7rocprim17ROCPRIM_400000_NS6detail17trampoline_kernelINS0_14default_configENS1_20scan_config_selectorIfEEZZNS1_9scan_implILNS1_25lookback_scan_determinismE0ELb0ELb0ES3_PKfPffZZZN2at6native31launch_logcumsumexp_cuda_kernelERKNSB_10TensorBaseESF_lENKUlvE_clEvENKUlvE0_clEvEUlffE_fEEDaPvRmT3_T4_T5_mT6_P12ihipStream_tbENKUlT_T0_E_clISt17integral_constantIbLb1EESV_IbLb0EEEEDaSR_SS_EUlSR_E_NS1_11comp_targetILNS1_3genE9ELNS1_11target_archE1100ELNS1_3gpuE3ELNS1_3repE0EEENS1_30default_config_static_selectorELNS0_4arch9wavefront6targetE1EEEvT1_.numbered_sgpr, 0
	.set _ZN7rocprim17ROCPRIM_400000_NS6detail17trampoline_kernelINS0_14default_configENS1_20scan_config_selectorIfEEZZNS1_9scan_implILNS1_25lookback_scan_determinismE0ELb0ELb0ES3_PKfPffZZZN2at6native31launch_logcumsumexp_cuda_kernelERKNSB_10TensorBaseESF_lENKUlvE_clEvENKUlvE0_clEvEUlffE_fEEDaPvRmT3_T4_T5_mT6_P12ihipStream_tbENKUlT_T0_E_clISt17integral_constantIbLb1EESV_IbLb0EEEEDaSR_SS_EUlSR_E_NS1_11comp_targetILNS1_3genE9ELNS1_11target_archE1100ELNS1_3gpuE3ELNS1_3repE0EEENS1_30default_config_static_selectorELNS0_4arch9wavefront6targetE1EEEvT1_.num_named_barrier, 0
	.set _ZN7rocprim17ROCPRIM_400000_NS6detail17trampoline_kernelINS0_14default_configENS1_20scan_config_selectorIfEEZZNS1_9scan_implILNS1_25lookback_scan_determinismE0ELb0ELb0ES3_PKfPffZZZN2at6native31launch_logcumsumexp_cuda_kernelERKNSB_10TensorBaseESF_lENKUlvE_clEvENKUlvE0_clEvEUlffE_fEEDaPvRmT3_T4_T5_mT6_P12ihipStream_tbENKUlT_T0_E_clISt17integral_constantIbLb1EESV_IbLb0EEEEDaSR_SS_EUlSR_E_NS1_11comp_targetILNS1_3genE9ELNS1_11target_archE1100ELNS1_3gpuE3ELNS1_3repE0EEENS1_30default_config_static_selectorELNS0_4arch9wavefront6targetE1EEEvT1_.private_seg_size, 0
	.set _ZN7rocprim17ROCPRIM_400000_NS6detail17trampoline_kernelINS0_14default_configENS1_20scan_config_selectorIfEEZZNS1_9scan_implILNS1_25lookback_scan_determinismE0ELb0ELb0ES3_PKfPffZZZN2at6native31launch_logcumsumexp_cuda_kernelERKNSB_10TensorBaseESF_lENKUlvE_clEvENKUlvE0_clEvEUlffE_fEEDaPvRmT3_T4_T5_mT6_P12ihipStream_tbENKUlT_T0_E_clISt17integral_constantIbLb1EESV_IbLb0EEEEDaSR_SS_EUlSR_E_NS1_11comp_targetILNS1_3genE9ELNS1_11target_archE1100ELNS1_3gpuE3ELNS1_3repE0EEENS1_30default_config_static_selectorELNS0_4arch9wavefront6targetE1EEEvT1_.uses_vcc, 0
	.set _ZN7rocprim17ROCPRIM_400000_NS6detail17trampoline_kernelINS0_14default_configENS1_20scan_config_selectorIfEEZZNS1_9scan_implILNS1_25lookback_scan_determinismE0ELb0ELb0ES3_PKfPffZZZN2at6native31launch_logcumsumexp_cuda_kernelERKNSB_10TensorBaseESF_lENKUlvE_clEvENKUlvE0_clEvEUlffE_fEEDaPvRmT3_T4_T5_mT6_P12ihipStream_tbENKUlT_T0_E_clISt17integral_constantIbLb1EESV_IbLb0EEEEDaSR_SS_EUlSR_E_NS1_11comp_targetILNS1_3genE9ELNS1_11target_archE1100ELNS1_3gpuE3ELNS1_3repE0EEENS1_30default_config_static_selectorELNS0_4arch9wavefront6targetE1EEEvT1_.uses_flat_scratch, 0
	.set _ZN7rocprim17ROCPRIM_400000_NS6detail17trampoline_kernelINS0_14default_configENS1_20scan_config_selectorIfEEZZNS1_9scan_implILNS1_25lookback_scan_determinismE0ELb0ELb0ES3_PKfPffZZZN2at6native31launch_logcumsumexp_cuda_kernelERKNSB_10TensorBaseESF_lENKUlvE_clEvENKUlvE0_clEvEUlffE_fEEDaPvRmT3_T4_T5_mT6_P12ihipStream_tbENKUlT_T0_E_clISt17integral_constantIbLb1EESV_IbLb0EEEEDaSR_SS_EUlSR_E_NS1_11comp_targetILNS1_3genE9ELNS1_11target_archE1100ELNS1_3gpuE3ELNS1_3repE0EEENS1_30default_config_static_selectorELNS0_4arch9wavefront6targetE1EEEvT1_.has_dyn_sized_stack, 0
	.set _ZN7rocprim17ROCPRIM_400000_NS6detail17trampoline_kernelINS0_14default_configENS1_20scan_config_selectorIfEEZZNS1_9scan_implILNS1_25lookback_scan_determinismE0ELb0ELb0ES3_PKfPffZZZN2at6native31launch_logcumsumexp_cuda_kernelERKNSB_10TensorBaseESF_lENKUlvE_clEvENKUlvE0_clEvEUlffE_fEEDaPvRmT3_T4_T5_mT6_P12ihipStream_tbENKUlT_T0_E_clISt17integral_constantIbLb1EESV_IbLb0EEEEDaSR_SS_EUlSR_E_NS1_11comp_targetILNS1_3genE9ELNS1_11target_archE1100ELNS1_3gpuE3ELNS1_3repE0EEENS1_30default_config_static_selectorELNS0_4arch9wavefront6targetE1EEEvT1_.has_recursion, 0
	.set _ZN7rocprim17ROCPRIM_400000_NS6detail17trampoline_kernelINS0_14default_configENS1_20scan_config_selectorIfEEZZNS1_9scan_implILNS1_25lookback_scan_determinismE0ELb0ELb0ES3_PKfPffZZZN2at6native31launch_logcumsumexp_cuda_kernelERKNSB_10TensorBaseESF_lENKUlvE_clEvENKUlvE0_clEvEUlffE_fEEDaPvRmT3_T4_T5_mT6_P12ihipStream_tbENKUlT_T0_E_clISt17integral_constantIbLb1EESV_IbLb0EEEEDaSR_SS_EUlSR_E_NS1_11comp_targetILNS1_3genE9ELNS1_11target_archE1100ELNS1_3gpuE3ELNS1_3repE0EEENS1_30default_config_static_selectorELNS0_4arch9wavefront6targetE1EEEvT1_.has_indirect_call, 0
	.section	.AMDGPU.csdata,"",@progbits
; Kernel info:
; codeLenInByte = 0
; TotalNumSgprs: 6
; NumVgprs: 0
; NumAgprs: 0
; TotalNumVgprs: 0
; ScratchSize: 0
; MemoryBound: 0
; FloatMode: 240
; IeeeMode: 1
; LDSByteSize: 0 bytes/workgroup (compile time only)
; SGPRBlocks: 0
; VGPRBlocks: 0
; NumSGPRsForWavesPerEU: 6
; NumVGPRsForWavesPerEU: 1
; AccumOffset: 4
; Occupancy: 8
; WaveLimiterHint : 0
; COMPUTE_PGM_RSRC2:SCRATCH_EN: 0
; COMPUTE_PGM_RSRC2:USER_SGPR: 2
; COMPUTE_PGM_RSRC2:TRAP_HANDLER: 0
; COMPUTE_PGM_RSRC2:TGID_X_EN: 1
; COMPUTE_PGM_RSRC2:TGID_Y_EN: 0
; COMPUTE_PGM_RSRC2:TGID_Z_EN: 0
; COMPUTE_PGM_RSRC2:TIDIG_COMP_CNT: 0
; COMPUTE_PGM_RSRC3_GFX90A:ACCUM_OFFSET: 0
; COMPUTE_PGM_RSRC3_GFX90A:TG_SPLIT: 0
	.section	.text._ZN7rocprim17ROCPRIM_400000_NS6detail17trampoline_kernelINS0_14default_configENS1_20scan_config_selectorIfEEZZNS1_9scan_implILNS1_25lookback_scan_determinismE0ELb0ELb0ES3_PKfPffZZZN2at6native31launch_logcumsumexp_cuda_kernelERKNSB_10TensorBaseESF_lENKUlvE_clEvENKUlvE0_clEvEUlffE_fEEDaPvRmT3_T4_T5_mT6_P12ihipStream_tbENKUlT_T0_E_clISt17integral_constantIbLb1EESV_IbLb0EEEEDaSR_SS_EUlSR_E_NS1_11comp_targetILNS1_3genE8ELNS1_11target_archE1030ELNS1_3gpuE2ELNS1_3repE0EEENS1_30default_config_static_selectorELNS0_4arch9wavefront6targetE1EEEvT1_,"axG",@progbits,_ZN7rocprim17ROCPRIM_400000_NS6detail17trampoline_kernelINS0_14default_configENS1_20scan_config_selectorIfEEZZNS1_9scan_implILNS1_25lookback_scan_determinismE0ELb0ELb0ES3_PKfPffZZZN2at6native31launch_logcumsumexp_cuda_kernelERKNSB_10TensorBaseESF_lENKUlvE_clEvENKUlvE0_clEvEUlffE_fEEDaPvRmT3_T4_T5_mT6_P12ihipStream_tbENKUlT_T0_E_clISt17integral_constantIbLb1EESV_IbLb0EEEEDaSR_SS_EUlSR_E_NS1_11comp_targetILNS1_3genE8ELNS1_11target_archE1030ELNS1_3gpuE2ELNS1_3repE0EEENS1_30default_config_static_selectorELNS0_4arch9wavefront6targetE1EEEvT1_,comdat
	.globl	_ZN7rocprim17ROCPRIM_400000_NS6detail17trampoline_kernelINS0_14default_configENS1_20scan_config_selectorIfEEZZNS1_9scan_implILNS1_25lookback_scan_determinismE0ELb0ELb0ES3_PKfPffZZZN2at6native31launch_logcumsumexp_cuda_kernelERKNSB_10TensorBaseESF_lENKUlvE_clEvENKUlvE0_clEvEUlffE_fEEDaPvRmT3_T4_T5_mT6_P12ihipStream_tbENKUlT_T0_E_clISt17integral_constantIbLb1EESV_IbLb0EEEEDaSR_SS_EUlSR_E_NS1_11comp_targetILNS1_3genE8ELNS1_11target_archE1030ELNS1_3gpuE2ELNS1_3repE0EEENS1_30default_config_static_selectorELNS0_4arch9wavefront6targetE1EEEvT1_ ; -- Begin function _ZN7rocprim17ROCPRIM_400000_NS6detail17trampoline_kernelINS0_14default_configENS1_20scan_config_selectorIfEEZZNS1_9scan_implILNS1_25lookback_scan_determinismE0ELb0ELb0ES3_PKfPffZZZN2at6native31launch_logcumsumexp_cuda_kernelERKNSB_10TensorBaseESF_lENKUlvE_clEvENKUlvE0_clEvEUlffE_fEEDaPvRmT3_T4_T5_mT6_P12ihipStream_tbENKUlT_T0_E_clISt17integral_constantIbLb1EESV_IbLb0EEEEDaSR_SS_EUlSR_E_NS1_11comp_targetILNS1_3genE8ELNS1_11target_archE1030ELNS1_3gpuE2ELNS1_3repE0EEENS1_30default_config_static_selectorELNS0_4arch9wavefront6targetE1EEEvT1_
	.p2align	8
	.type	_ZN7rocprim17ROCPRIM_400000_NS6detail17trampoline_kernelINS0_14default_configENS1_20scan_config_selectorIfEEZZNS1_9scan_implILNS1_25lookback_scan_determinismE0ELb0ELb0ES3_PKfPffZZZN2at6native31launch_logcumsumexp_cuda_kernelERKNSB_10TensorBaseESF_lENKUlvE_clEvENKUlvE0_clEvEUlffE_fEEDaPvRmT3_T4_T5_mT6_P12ihipStream_tbENKUlT_T0_E_clISt17integral_constantIbLb1EESV_IbLb0EEEEDaSR_SS_EUlSR_E_NS1_11comp_targetILNS1_3genE8ELNS1_11target_archE1030ELNS1_3gpuE2ELNS1_3repE0EEENS1_30default_config_static_selectorELNS0_4arch9wavefront6targetE1EEEvT1_,@function
_ZN7rocprim17ROCPRIM_400000_NS6detail17trampoline_kernelINS0_14default_configENS1_20scan_config_selectorIfEEZZNS1_9scan_implILNS1_25lookback_scan_determinismE0ELb0ELb0ES3_PKfPffZZZN2at6native31launch_logcumsumexp_cuda_kernelERKNSB_10TensorBaseESF_lENKUlvE_clEvENKUlvE0_clEvEUlffE_fEEDaPvRmT3_T4_T5_mT6_P12ihipStream_tbENKUlT_T0_E_clISt17integral_constantIbLb1EESV_IbLb0EEEEDaSR_SS_EUlSR_E_NS1_11comp_targetILNS1_3genE8ELNS1_11target_archE1030ELNS1_3gpuE2ELNS1_3repE0EEENS1_30default_config_static_selectorELNS0_4arch9wavefront6targetE1EEEvT1_: ; @_ZN7rocprim17ROCPRIM_400000_NS6detail17trampoline_kernelINS0_14default_configENS1_20scan_config_selectorIfEEZZNS1_9scan_implILNS1_25lookback_scan_determinismE0ELb0ELb0ES3_PKfPffZZZN2at6native31launch_logcumsumexp_cuda_kernelERKNSB_10TensorBaseESF_lENKUlvE_clEvENKUlvE0_clEvEUlffE_fEEDaPvRmT3_T4_T5_mT6_P12ihipStream_tbENKUlT_T0_E_clISt17integral_constantIbLb1EESV_IbLb0EEEEDaSR_SS_EUlSR_E_NS1_11comp_targetILNS1_3genE8ELNS1_11target_archE1030ELNS1_3gpuE2ELNS1_3repE0EEENS1_30default_config_static_selectorELNS0_4arch9wavefront6targetE1EEEvT1_
; %bb.0:
	.section	.rodata,"a",@progbits
	.p2align	6, 0x0
	.amdhsa_kernel _ZN7rocprim17ROCPRIM_400000_NS6detail17trampoline_kernelINS0_14default_configENS1_20scan_config_selectorIfEEZZNS1_9scan_implILNS1_25lookback_scan_determinismE0ELb0ELb0ES3_PKfPffZZZN2at6native31launch_logcumsumexp_cuda_kernelERKNSB_10TensorBaseESF_lENKUlvE_clEvENKUlvE0_clEvEUlffE_fEEDaPvRmT3_T4_T5_mT6_P12ihipStream_tbENKUlT_T0_E_clISt17integral_constantIbLb1EESV_IbLb0EEEEDaSR_SS_EUlSR_E_NS1_11comp_targetILNS1_3genE8ELNS1_11target_archE1030ELNS1_3gpuE2ELNS1_3repE0EEENS1_30default_config_static_selectorELNS0_4arch9wavefront6targetE1EEEvT1_
		.amdhsa_group_segment_fixed_size 0
		.amdhsa_private_segment_fixed_size 0
		.amdhsa_kernarg_size 96
		.amdhsa_user_sgpr_count 2
		.amdhsa_user_sgpr_dispatch_ptr 0
		.amdhsa_user_sgpr_queue_ptr 0
		.amdhsa_user_sgpr_kernarg_segment_ptr 1
		.amdhsa_user_sgpr_dispatch_id 0
		.amdhsa_user_sgpr_kernarg_preload_length 0
		.amdhsa_user_sgpr_kernarg_preload_offset 0
		.amdhsa_user_sgpr_private_segment_size 0
		.amdhsa_uses_dynamic_stack 0
		.amdhsa_enable_private_segment 0
		.amdhsa_system_sgpr_workgroup_id_x 1
		.amdhsa_system_sgpr_workgroup_id_y 0
		.amdhsa_system_sgpr_workgroup_id_z 0
		.amdhsa_system_sgpr_workgroup_info 0
		.amdhsa_system_vgpr_workitem_id 0
		.amdhsa_next_free_vgpr 1
		.amdhsa_next_free_sgpr 0
		.amdhsa_accum_offset 4
		.amdhsa_reserve_vcc 0
		.amdhsa_float_round_mode_32 0
		.amdhsa_float_round_mode_16_64 0
		.amdhsa_float_denorm_mode_32 3
		.amdhsa_float_denorm_mode_16_64 3
		.amdhsa_dx10_clamp 1
		.amdhsa_ieee_mode 1
		.amdhsa_fp16_overflow 0
		.amdhsa_tg_split 0
		.amdhsa_exception_fp_ieee_invalid_op 0
		.amdhsa_exception_fp_denorm_src 0
		.amdhsa_exception_fp_ieee_div_zero 0
		.amdhsa_exception_fp_ieee_overflow 0
		.amdhsa_exception_fp_ieee_underflow 0
		.amdhsa_exception_fp_ieee_inexact 0
		.amdhsa_exception_int_div_zero 0
	.end_amdhsa_kernel
	.section	.text._ZN7rocprim17ROCPRIM_400000_NS6detail17trampoline_kernelINS0_14default_configENS1_20scan_config_selectorIfEEZZNS1_9scan_implILNS1_25lookback_scan_determinismE0ELb0ELb0ES3_PKfPffZZZN2at6native31launch_logcumsumexp_cuda_kernelERKNSB_10TensorBaseESF_lENKUlvE_clEvENKUlvE0_clEvEUlffE_fEEDaPvRmT3_T4_T5_mT6_P12ihipStream_tbENKUlT_T0_E_clISt17integral_constantIbLb1EESV_IbLb0EEEEDaSR_SS_EUlSR_E_NS1_11comp_targetILNS1_3genE8ELNS1_11target_archE1030ELNS1_3gpuE2ELNS1_3repE0EEENS1_30default_config_static_selectorELNS0_4arch9wavefront6targetE1EEEvT1_,"axG",@progbits,_ZN7rocprim17ROCPRIM_400000_NS6detail17trampoline_kernelINS0_14default_configENS1_20scan_config_selectorIfEEZZNS1_9scan_implILNS1_25lookback_scan_determinismE0ELb0ELb0ES3_PKfPffZZZN2at6native31launch_logcumsumexp_cuda_kernelERKNSB_10TensorBaseESF_lENKUlvE_clEvENKUlvE0_clEvEUlffE_fEEDaPvRmT3_T4_T5_mT6_P12ihipStream_tbENKUlT_T0_E_clISt17integral_constantIbLb1EESV_IbLb0EEEEDaSR_SS_EUlSR_E_NS1_11comp_targetILNS1_3genE8ELNS1_11target_archE1030ELNS1_3gpuE2ELNS1_3repE0EEENS1_30default_config_static_selectorELNS0_4arch9wavefront6targetE1EEEvT1_,comdat
.Lfunc_end142:
	.size	_ZN7rocprim17ROCPRIM_400000_NS6detail17trampoline_kernelINS0_14default_configENS1_20scan_config_selectorIfEEZZNS1_9scan_implILNS1_25lookback_scan_determinismE0ELb0ELb0ES3_PKfPffZZZN2at6native31launch_logcumsumexp_cuda_kernelERKNSB_10TensorBaseESF_lENKUlvE_clEvENKUlvE0_clEvEUlffE_fEEDaPvRmT3_T4_T5_mT6_P12ihipStream_tbENKUlT_T0_E_clISt17integral_constantIbLb1EESV_IbLb0EEEEDaSR_SS_EUlSR_E_NS1_11comp_targetILNS1_3genE8ELNS1_11target_archE1030ELNS1_3gpuE2ELNS1_3repE0EEENS1_30default_config_static_selectorELNS0_4arch9wavefront6targetE1EEEvT1_, .Lfunc_end142-_ZN7rocprim17ROCPRIM_400000_NS6detail17trampoline_kernelINS0_14default_configENS1_20scan_config_selectorIfEEZZNS1_9scan_implILNS1_25lookback_scan_determinismE0ELb0ELb0ES3_PKfPffZZZN2at6native31launch_logcumsumexp_cuda_kernelERKNSB_10TensorBaseESF_lENKUlvE_clEvENKUlvE0_clEvEUlffE_fEEDaPvRmT3_T4_T5_mT6_P12ihipStream_tbENKUlT_T0_E_clISt17integral_constantIbLb1EESV_IbLb0EEEEDaSR_SS_EUlSR_E_NS1_11comp_targetILNS1_3genE8ELNS1_11target_archE1030ELNS1_3gpuE2ELNS1_3repE0EEENS1_30default_config_static_selectorELNS0_4arch9wavefront6targetE1EEEvT1_
                                        ; -- End function
	.set _ZN7rocprim17ROCPRIM_400000_NS6detail17trampoline_kernelINS0_14default_configENS1_20scan_config_selectorIfEEZZNS1_9scan_implILNS1_25lookback_scan_determinismE0ELb0ELb0ES3_PKfPffZZZN2at6native31launch_logcumsumexp_cuda_kernelERKNSB_10TensorBaseESF_lENKUlvE_clEvENKUlvE0_clEvEUlffE_fEEDaPvRmT3_T4_T5_mT6_P12ihipStream_tbENKUlT_T0_E_clISt17integral_constantIbLb1EESV_IbLb0EEEEDaSR_SS_EUlSR_E_NS1_11comp_targetILNS1_3genE8ELNS1_11target_archE1030ELNS1_3gpuE2ELNS1_3repE0EEENS1_30default_config_static_selectorELNS0_4arch9wavefront6targetE1EEEvT1_.num_vgpr, 0
	.set _ZN7rocprim17ROCPRIM_400000_NS6detail17trampoline_kernelINS0_14default_configENS1_20scan_config_selectorIfEEZZNS1_9scan_implILNS1_25lookback_scan_determinismE0ELb0ELb0ES3_PKfPffZZZN2at6native31launch_logcumsumexp_cuda_kernelERKNSB_10TensorBaseESF_lENKUlvE_clEvENKUlvE0_clEvEUlffE_fEEDaPvRmT3_T4_T5_mT6_P12ihipStream_tbENKUlT_T0_E_clISt17integral_constantIbLb1EESV_IbLb0EEEEDaSR_SS_EUlSR_E_NS1_11comp_targetILNS1_3genE8ELNS1_11target_archE1030ELNS1_3gpuE2ELNS1_3repE0EEENS1_30default_config_static_selectorELNS0_4arch9wavefront6targetE1EEEvT1_.num_agpr, 0
	.set _ZN7rocprim17ROCPRIM_400000_NS6detail17trampoline_kernelINS0_14default_configENS1_20scan_config_selectorIfEEZZNS1_9scan_implILNS1_25lookback_scan_determinismE0ELb0ELb0ES3_PKfPffZZZN2at6native31launch_logcumsumexp_cuda_kernelERKNSB_10TensorBaseESF_lENKUlvE_clEvENKUlvE0_clEvEUlffE_fEEDaPvRmT3_T4_T5_mT6_P12ihipStream_tbENKUlT_T0_E_clISt17integral_constantIbLb1EESV_IbLb0EEEEDaSR_SS_EUlSR_E_NS1_11comp_targetILNS1_3genE8ELNS1_11target_archE1030ELNS1_3gpuE2ELNS1_3repE0EEENS1_30default_config_static_selectorELNS0_4arch9wavefront6targetE1EEEvT1_.numbered_sgpr, 0
	.set _ZN7rocprim17ROCPRIM_400000_NS6detail17trampoline_kernelINS0_14default_configENS1_20scan_config_selectorIfEEZZNS1_9scan_implILNS1_25lookback_scan_determinismE0ELb0ELb0ES3_PKfPffZZZN2at6native31launch_logcumsumexp_cuda_kernelERKNSB_10TensorBaseESF_lENKUlvE_clEvENKUlvE0_clEvEUlffE_fEEDaPvRmT3_T4_T5_mT6_P12ihipStream_tbENKUlT_T0_E_clISt17integral_constantIbLb1EESV_IbLb0EEEEDaSR_SS_EUlSR_E_NS1_11comp_targetILNS1_3genE8ELNS1_11target_archE1030ELNS1_3gpuE2ELNS1_3repE0EEENS1_30default_config_static_selectorELNS0_4arch9wavefront6targetE1EEEvT1_.num_named_barrier, 0
	.set _ZN7rocprim17ROCPRIM_400000_NS6detail17trampoline_kernelINS0_14default_configENS1_20scan_config_selectorIfEEZZNS1_9scan_implILNS1_25lookback_scan_determinismE0ELb0ELb0ES3_PKfPffZZZN2at6native31launch_logcumsumexp_cuda_kernelERKNSB_10TensorBaseESF_lENKUlvE_clEvENKUlvE0_clEvEUlffE_fEEDaPvRmT3_T4_T5_mT6_P12ihipStream_tbENKUlT_T0_E_clISt17integral_constantIbLb1EESV_IbLb0EEEEDaSR_SS_EUlSR_E_NS1_11comp_targetILNS1_3genE8ELNS1_11target_archE1030ELNS1_3gpuE2ELNS1_3repE0EEENS1_30default_config_static_selectorELNS0_4arch9wavefront6targetE1EEEvT1_.private_seg_size, 0
	.set _ZN7rocprim17ROCPRIM_400000_NS6detail17trampoline_kernelINS0_14default_configENS1_20scan_config_selectorIfEEZZNS1_9scan_implILNS1_25lookback_scan_determinismE0ELb0ELb0ES3_PKfPffZZZN2at6native31launch_logcumsumexp_cuda_kernelERKNSB_10TensorBaseESF_lENKUlvE_clEvENKUlvE0_clEvEUlffE_fEEDaPvRmT3_T4_T5_mT6_P12ihipStream_tbENKUlT_T0_E_clISt17integral_constantIbLb1EESV_IbLb0EEEEDaSR_SS_EUlSR_E_NS1_11comp_targetILNS1_3genE8ELNS1_11target_archE1030ELNS1_3gpuE2ELNS1_3repE0EEENS1_30default_config_static_selectorELNS0_4arch9wavefront6targetE1EEEvT1_.uses_vcc, 0
	.set _ZN7rocprim17ROCPRIM_400000_NS6detail17trampoline_kernelINS0_14default_configENS1_20scan_config_selectorIfEEZZNS1_9scan_implILNS1_25lookback_scan_determinismE0ELb0ELb0ES3_PKfPffZZZN2at6native31launch_logcumsumexp_cuda_kernelERKNSB_10TensorBaseESF_lENKUlvE_clEvENKUlvE0_clEvEUlffE_fEEDaPvRmT3_T4_T5_mT6_P12ihipStream_tbENKUlT_T0_E_clISt17integral_constantIbLb1EESV_IbLb0EEEEDaSR_SS_EUlSR_E_NS1_11comp_targetILNS1_3genE8ELNS1_11target_archE1030ELNS1_3gpuE2ELNS1_3repE0EEENS1_30default_config_static_selectorELNS0_4arch9wavefront6targetE1EEEvT1_.uses_flat_scratch, 0
	.set _ZN7rocprim17ROCPRIM_400000_NS6detail17trampoline_kernelINS0_14default_configENS1_20scan_config_selectorIfEEZZNS1_9scan_implILNS1_25lookback_scan_determinismE0ELb0ELb0ES3_PKfPffZZZN2at6native31launch_logcumsumexp_cuda_kernelERKNSB_10TensorBaseESF_lENKUlvE_clEvENKUlvE0_clEvEUlffE_fEEDaPvRmT3_T4_T5_mT6_P12ihipStream_tbENKUlT_T0_E_clISt17integral_constantIbLb1EESV_IbLb0EEEEDaSR_SS_EUlSR_E_NS1_11comp_targetILNS1_3genE8ELNS1_11target_archE1030ELNS1_3gpuE2ELNS1_3repE0EEENS1_30default_config_static_selectorELNS0_4arch9wavefront6targetE1EEEvT1_.has_dyn_sized_stack, 0
	.set _ZN7rocprim17ROCPRIM_400000_NS6detail17trampoline_kernelINS0_14default_configENS1_20scan_config_selectorIfEEZZNS1_9scan_implILNS1_25lookback_scan_determinismE0ELb0ELb0ES3_PKfPffZZZN2at6native31launch_logcumsumexp_cuda_kernelERKNSB_10TensorBaseESF_lENKUlvE_clEvENKUlvE0_clEvEUlffE_fEEDaPvRmT3_T4_T5_mT6_P12ihipStream_tbENKUlT_T0_E_clISt17integral_constantIbLb1EESV_IbLb0EEEEDaSR_SS_EUlSR_E_NS1_11comp_targetILNS1_3genE8ELNS1_11target_archE1030ELNS1_3gpuE2ELNS1_3repE0EEENS1_30default_config_static_selectorELNS0_4arch9wavefront6targetE1EEEvT1_.has_recursion, 0
	.set _ZN7rocprim17ROCPRIM_400000_NS6detail17trampoline_kernelINS0_14default_configENS1_20scan_config_selectorIfEEZZNS1_9scan_implILNS1_25lookback_scan_determinismE0ELb0ELb0ES3_PKfPffZZZN2at6native31launch_logcumsumexp_cuda_kernelERKNSB_10TensorBaseESF_lENKUlvE_clEvENKUlvE0_clEvEUlffE_fEEDaPvRmT3_T4_T5_mT6_P12ihipStream_tbENKUlT_T0_E_clISt17integral_constantIbLb1EESV_IbLb0EEEEDaSR_SS_EUlSR_E_NS1_11comp_targetILNS1_3genE8ELNS1_11target_archE1030ELNS1_3gpuE2ELNS1_3repE0EEENS1_30default_config_static_selectorELNS0_4arch9wavefront6targetE1EEEvT1_.has_indirect_call, 0
	.section	.AMDGPU.csdata,"",@progbits
; Kernel info:
; codeLenInByte = 0
; TotalNumSgprs: 6
; NumVgprs: 0
; NumAgprs: 0
; TotalNumVgprs: 0
; ScratchSize: 0
; MemoryBound: 0
; FloatMode: 240
; IeeeMode: 1
; LDSByteSize: 0 bytes/workgroup (compile time only)
; SGPRBlocks: 0
; VGPRBlocks: 0
; NumSGPRsForWavesPerEU: 6
; NumVGPRsForWavesPerEU: 1
; AccumOffset: 4
; Occupancy: 8
; WaveLimiterHint : 0
; COMPUTE_PGM_RSRC2:SCRATCH_EN: 0
; COMPUTE_PGM_RSRC2:USER_SGPR: 2
; COMPUTE_PGM_RSRC2:TRAP_HANDLER: 0
; COMPUTE_PGM_RSRC2:TGID_X_EN: 1
; COMPUTE_PGM_RSRC2:TGID_Y_EN: 0
; COMPUTE_PGM_RSRC2:TGID_Z_EN: 0
; COMPUTE_PGM_RSRC2:TIDIG_COMP_CNT: 0
; COMPUTE_PGM_RSRC3_GFX90A:ACCUM_OFFSET: 0
; COMPUTE_PGM_RSRC3_GFX90A:TG_SPLIT: 0
	.section	.text._ZN7rocprim17ROCPRIM_400000_NS6detail17trampoline_kernelINS0_14default_configENS1_20scan_config_selectorIfEEZZNS1_9scan_implILNS1_25lookback_scan_determinismE0ELb0ELb0ES3_PKfPffZZZN2at6native31launch_logcumsumexp_cuda_kernelERKNSB_10TensorBaseESF_lENKUlvE_clEvENKUlvE0_clEvEUlffE_fEEDaPvRmT3_T4_T5_mT6_P12ihipStream_tbENKUlT_T0_E_clISt17integral_constantIbLb1EESV_IbLb0EEEEDaSR_SS_EUlSR_E0_NS1_11comp_targetILNS1_3genE0ELNS1_11target_archE4294967295ELNS1_3gpuE0ELNS1_3repE0EEENS1_30default_config_static_selectorELNS0_4arch9wavefront6targetE1EEEvT1_,"axG",@progbits,_ZN7rocprim17ROCPRIM_400000_NS6detail17trampoline_kernelINS0_14default_configENS1_20scan_config_selectorIfEEZZNS1_9scan_implILNS1_25lookback_scan_determinismE0ELb0ELb0ES3_PKfPffZZZN2at6native31launch_logcumsumexp_cuda_kernelERKNSB_10TensorBaseESF_lENKUlvE_clEvENKUlvE0_clEvEUlffE_fEEDaPvRmT3_T4_T5_mT6_P12ihipStream_tbENKUlT_T0_E_clISt17integral_constantIbLb1EESV_IbLb0EEEEDaSR_SS_EUlSR_E0_NS1_11comp_targetILNS1_3genE0ELNS1_11target_archE4294967295ELNS1_3gpuE0ELNS1_3repE0EEENS1_30default_config_static_selectorELNS0_4arch9wavefront6targetE1EEEvT1_,comdat
	.globl	_ZN7rocprim17ROCPRIM_400000_NS6detail17trampoline_kernelINS0_14default_configENS1_20scan_config_selectorIfEEZZNS1_9scan_implILNS1_25lookback_scan_determinismE0ELb0ELb0ES3_PKfPffZZZN2at6native31launch_logcumsumexp_cuda_kernelERKNSB_10TensorBaseESF_lENKUlvE_clEvENKUlvE0_clEvEUlffE_fEEDaPvRmT3_T4_T5_mT6_P12ihipStream_tbENKUlT_T0_E_clISt17integral_constantIbLb1EESV_IbLb0EEEEDaSR_SS_EUlSR_E0_NS1_11comp_targetILNS1_3genE0ELNS1_11target_archE4294967295ELNS1_3gpuE0ELNS1_3repE0EEENS1_30default_config_static_selectorELNS0_4arch9wavefront6targetE1EEEvT1_ ; -- Begin function _ZN7rocprim17ROCPRIM_400000_NS6detail17trampoline_kernelINS0_14default_configENS1_20scan_config_selectorIfEEZZNS1_9scan_implILNS1_25lookback_scan_determinismE0ELb0ELb0ES3_PKfPffZZZN2at6native31launch_logcumsumexp_cuda_kernelERKNSB_10TensorBaseESF_lENKUlvE_clEvENKUlvE0_clEvEUlffE_fEEDaPvRmT3_T4_T5_mT6_P12ihipStream_tbENKUlT_T0_E_clISt17integral_constantIbLb1EESV_IbLb0EEEEDaSR_SS_EUlSR_E0_NS1_11comp_targetILNS1_3genE0ELNS1_11target_archE4294967295ELNS1_3gpuE0ELNS1_3repE0EEENS1_30default_config_static_selectorELNS0_4arch9wavefront6targetE1EEEvT1_
	.p2align	8
	.type	_ZN7rocprim17ROCPRIM_400000_NS6detail17trampoline_kernelINS0_14default_configENS1_20scan_config_selectorIfEEZZNS1_9scan_implILNS1_25lookback_scan_determinismE0ELb0ELb0ES3_PKfPffZZZN2at6native31launch_logcumsumexp_cuda_kernelERKNSB_10TensorBaseESF_lENKUlvE_clEvENKUlvE0_clEvEUlffE_fEEDaPvRmT3_T4_T5_mT6_P12ihipStream_tbENKUlT_T0_E_clISt17integral_constantIbLb1EESV_IbLb0EEEEDaSR_SS_EUlSR_E0_NS1_11comp_targetILNS1_3genE0ELNS1_11target_archE4294967295ELNS1_3gpuE0ELNS1_3repE0EEENS1_30default_config_static_selectorELNS0_4arch9wavefront6targetE1EEEvT1_,@function
_ZN7rocprim17ROCPRIM_400000_NS6detail17trampoline_kernelINS0_14default_configENS1_20scan_config_selectorIfEEZZNS1_9scan_implILNS1_25lookback_scan_determinismE0ELb0ELb0ES3_PKfPffZZZN2at6native31launch_logcumsumexp_cuda_kernelERKNSB_10TensorBaseESF_lENKUlvE_clEvENKUlvE0_clEvEUlffE_fEEDaPvRmT3_T4_T5_mT6_P12ihipStream_tbENKUlT_T0_E_clISt17integral_constantIbLb1EESV_IbLb0EEEEDaSR_SS_EUlSR_E0_NS1_11comp_targetILNS1_3genE0ELNS1_11target_archE4294967295ELNS1_3gpuE0ELNS1_3repE0EEENS1_30default_config_static_selectorELNS0_4arch9wavefront6targetE1EEEvT1_: ; @_ZN7rocprim17ROCPRIM_400000_NS6detail17trampoline_kernelINS0_14default_configENS1_20scan_config_selectorIfEEZZNS1_9scan_implILNS1_25lookback_scan_determinismE0ELb0ELb0ES3_PKfPffZZZN2at6native31launch_logcumsumexp_cuda_kernelERKNSB_10TensorBaseESF_lENKUlvE_clEvENKUlvE0_clEvEUlffE_fEEDaPvRmT3_T4_T5_mT6_P12ihipStream_tbENKUlT_T0_E_clISt17integral_constantIbLb1EESV_IbLb0EEEEDaSR_SS_EUlSR_E0_NS1_11comp_targetILNS1_3genE0ELNS1_11target_archE4294967295ELNS1_3gpuE0ELNS1_3repE0EEENS1_30default_config_static_selectorELNS0_4arch9wavefront6targetE1EEEvT1_
; %bb.0:
	s_load_dwordx4 s[28:31], s[0:1], 0x0
	v_lshlrev_b32_e32 v14, 2, v0
	s_waitcnt lgkmcnt(0)
	s_load_dword s31, s[28:29], 0x0
	v_cmp_gt_u32_e32 vcc, s30, v0
	s_waitcnt lgkmcnt(0)
	v_mov_b32_e32 v1, s31
	s_and_saveexec_b64 s[2:3], vcc
	s_cbranch_execz .LBB143_2
; %bb.1:
	global_load_dword v1, v14, s[28:29]
.LBB143_2:
	s_or_b64 exec, exec, s[2:3]
	v_or_b32_e32 v2, 0x100, v0
	v_cmp_gt_u32_e64 s[26:27], s30, v2
	v_mov_b32_e32 v2, s31
	s_and_saveexec_b64 s[2:3], s[26:27]
	s_cbranch_execz .LBB143_4
; %bb.3:
	global_load_dword v2, v14, s[28:29] offset:1024
.LBB143_4:
	s_or_b64 exec, exec, s[2:3]
	v_or_b32_e32 v3, 0x200, v0
	v_cmp_gt_u32_e64 s[2:3], s30, v3
	v_mov_b32_e32 v3, s31
	s_and_saveexec_b64 s[4:5], s[2:3]
	s_cbranch_execz .LBB143_6
; %bb.5:
	global_load_dword v3, v14, s[28:29] offset:2048
.LBB143_6:
	s_or_b64 exec, exec, s[4:5]
	v_or_b32_e32 v4, 0x300, v0
	v_cmp_gt_u32_e64 s[4:5], s30, v4
	v_mov_b32_e32 v4, s31
	s_and_saveexec_b64 s[6:7], s[4:5]
	s_cbranch_execz .LBB143_8
; %bb.7:
	global_load_dword v4, v14, s[28:29] offset:3072
.LBB143_8:
	s_or_b64 exec, exec, s[6:7]
	v_or_b32_e32 v6, 0x400, v0
	v_cmp_gt_u32_e64 s[6:7], s30, v6
	v_mov_b32_e32 v5, s31
	s_and_saveexec_b64 s[8:9], s[6:7]
	s_cbranch_execz .LBB143_10
; %bb.9:
	v_lshlrev_b32_e32 v5, 2, v6
	global_load_dword v5, v5, s[28:29]
.LBB143_10:
	s_or_b64 exec, exec, s[8:9]
	v_or_b32_e32 v7, 0x500, v0
	v_cmp_gt_u32_e64 s[8:9], s30, v7
	v_mov_b32_e32 v6, s31
	s_and_saveexec_b64 s[10:11], s[8:9]
	s_cbranch_execz .LBB143_12
; %bb.11:
	v_lshlrev_b32_e32 v6, 2, v7
	global_load_dword v6, v6, s[28:29]
.LBB143_12:
	;; [unrolled: 10-line block ×10, first 2 shown]
	s_or_b64 exec, exec, s[30:31]
	s_waitcnt vmcnt(0)
	ds_write2st64_b32 v14, v1, v2 offset1:4
	ds_write2st64_b32 v14, v3, v4 offset0:8 offset1:12
	ds_write2st64_b32 v14, v5, v6 offset0:16 offset1:20
	;; [unrolled: 1-line block ×6, first 2 shown]
	v_mad_u32_u24 v1, v0, 52, v14
	s_waitcnt lgkmcnt(0)
	s_barrier
	ds_read2_b64 v[2:5], v1 offset1:1
	ds_read2_b64 v[10:13], v1 offset0:2 offset1:3
	ds_read2_b64 v[6:9], v1 offset0:4 offset1:5
	ds_read_b64 v[16:17], v1 offset:48
	s_movk_i32 s33, 0x1f8
	s_waitcnt lgkmcnt(3)
	v_max_f32_e32 v24, v3, v3
	v_max_f32_e32 v32, v2, v2
	v_min_f32_e32 v31, v32, v24
	v_cmp_u_f32_e64 s[56:57], v2, v2
	v_cmp_u_f32_e64 s[28:29], v3, v3
	v_max_f32_e32 v33, v32, v24
	v_cndmask_b32_e64 v1, v31, v2, s[56:57]
	v_cndmask_b32_e64 v15, v1, v3, s[28:29]
	;; [unrolled: 1-line block ×4, first 2 shown]
	v_cmp_neq_f32_e64 s[30:31], v15, v1
	v_cmp_class_f32_e64 s[34:35], v15, s33
	s_or_b64 s[30:31], s[30:31], s[34:35]
	v_mov_b32_e32 v35, v2
	s_waitcnt lgkmcnt(0)
	s_barrier
	s_and_saveexec_b64 s[34:35], s[30:31]
	s_cbranch_execz .LBB143_30
; %bb.29:
	v_sub_f32_e32 v15, v15, v1
	s_mov_b32 s30, 0x3fb8aa3b
	v_mul_f32_e32 v18, 0x3fb8aa3b, v15
	v_fma_f32 v19, v15, s30, -v18
	v_rndne_f32_e32 v20, v18
	v_fmamk_f32 v19, v15, 0x32a5705f, v19
	v_sub_f32_e32 v18, v18, v20
	v_add_f32_e32 v18, v18, v19
	v_exp_f32_e32 v18, v18
	v_cvt_i32_f32_e32 v19, v20
	s_mov_b32 s30, 0xc2ce8ed0
	v_cmp_ngt_f32_e64 s[30:31], s30, v15
	v_mov_b32_e32 v25, 0x7f800000
	v_ldexp_f32 v18, v18, v19
	v_cndmask_b32_e64 v18, 0, v18, s[30:31]
	s_mov_b32 s30, 0x42b17218
	v_cmp_nlt_f32_e64 s[30:31], s30, v15
	s_mov_b32 s36, 0x7f800000
	s_nop 0
	v_cndmask_b32_e64 v15, v25, v18, s[30:31]
	v_add_f32_e32 v20, 1.0, v15
	v_add_f32_e32 v18, -1.0, v20
	v_sub_f32_e32 v19, v18, v20
	v_add_f32_e32 v19, 1.0, v19
	v_sub_f32_e32 v18, v15, v18
	v_add_f32_e32 v21, v18, v19
	v_frexp_mant_f32_e32 v22, v20
	s_mov_b32 s30, 0x3f2aaaab
	v_cvt_f64_f32_e32 v[18:19], v20
	v_frexp_exp_i32_f64_e32 v18, v[18:19]
	v_cmp_gt_f32_e64 s[30:31], s30, v22
	s_nop 1
	v_subbrev_co_u32_e64 v28, s[30:31], 0, v18, s[30:31]
	v_sub_u32_e32 v18, 0, v28
	v_ldexp_f32 v19, v20, v18
	v_add_f32_e32 v20, -1.0, v19
	v_add_f32_e32 v22, 1.0, v19
	v_ldexp_f32 v18, v21, v18
	v_add_f32_e32 v21, 1.0, v20
	v_add_f32_e32 v23, -1.0, v22
	v_sub_f32_e32 v21, v19, v21
	v_sub_f32_e32 v19, v19, v23
	v_add_f32_e32 v21, v18, v21
	v_add_f32_e32 v18, v18, v19
	;; [unrolled: 1-line block ×3, first 2 shown]
	v_rcp_f32_e32 v34, v29
	v_sub_f32_e32 v19, v22, v29
	v_add_f32_e32 v30, v18, v19
	v_add_f32_e32 v19, v20, v21
	v_mul_f32_e32 v36, v19, v34
	v_sub_f32_e32 v18, v20, v19
	v_mul_f32_e32 v20, v29, v36
	v_fma_f32 v22, v36, v29, -v20
	v_fmac_f32_e32 v22, v36, v30
	v_add_f32_e32 v35, v21, v18
	v_add_f32_e32 v18, v20, v22
	v_sub_f32_e32 v21, v19, v18
	v_pk_add_f32 v[26:27], v[18:19], v[20:21] neg_lo:[0,1] neg_hi:[0,1]
	v_mov_b32_e32 v23, v18
	v_pk_add_f32 v[18:19], v[26:27], v[22:23] neg_lo:[0,1] neg_hi:[0,1]
	s_mov_b32 s30, 0x3f317218
	v_add_f32_e32 v19, v35, v19
	v_add_f32_e32 v18, v18, v19
	v_add_f32_e32 v19, v21, v18
	v_mul_f32_e32 v35, v34, v19
	v_mul_f32_e32 v20, v29, v35
	v_fma_f32 v22, v35, v29, -v20
	v_fmac_f32_e32 v22, v35, v30
	v_sub_f32_e32 v21, v21, v19
	v_add_f32_e32 v29, v18, v21
	v_add_f32_e32 v18, v20, v22
	v_sub_f32_e32 v21, v19, v18
	v_pk_add_f32 v[26:27], v[18:19], v[20:21] neg_lo:[0,1] neg_hi:[0,1]
	v_mov_b32_e32 v23, v18
	v_pk_add_f32 v[18:19], v[26:27], v[22:23] neg_lo:[0,1] neg_hi:[0,1]
	v_cvt_f32_i32_e32 v20, v28
	v_add_f32_e32 v19, v29, v19
	v_add_f32_e32 v18, v18, v19
	;; [unrolled: 1-line block ×4, first 2 shown]
	v_sub_f32_e32 v19, v21, v36
	v_mul_f32_e32 v18, v34, v18
	v_sub_f32_e32 v19, v35, v19
	v_add_f32_e32 v18, v19, v18
	v_add_f32_e32 v22, v21, v18
	v_mul_f32_e32 v26, v22, v22
	v_mov_b32_e32 v19, 0x3ecc95a3
	v_sub_f32_e32 v21, v22, v21
	v_fmac_f32_e32 v19, 0x3e9b6dac, v26
	v_sub_f32_e32 v18, v18, v21
	v_fmaak_f32 v19, v26, v19, 0x3f2aaada
	v_ldexp_f32 v27, v18, 1
	v_mul_f32_e32 v21, v22, v26
	v_mov_b32_e32 v18, 0x3f317218
	v_pk_mul_f32 v[18:19], v[20:21], v[18:19]
	v_ldexp_f32 v23, v22, 1
	v_fma_f32 v21, v20, s30, -v18
	v_fmamk_f32 v22, v20, 0xb102e308, v21
	v_pk_add_f32 v[20:21], v[18:19], v[22:23]
	v_mov_b32_e32 v26, v18
	v_sub_f32_e32 v23, v21, v23
	v_sub_f32_e32 v23, v19, v23
	v_add_f32_e32 v27, v27, v23
	v_pk_add_f32 v[18:19], v[20:21], v[18:19] neg_lo:[0,1] neg_hi:[0,1]
	v_pk_add_f32 v[28:29], v[20:21], v[26:27]
	v_mov_b32_e32 v23, v20
	v_mov_b32_e32 v19, v29
	v_pk_add_f32 v[34:35], v[22:23], v[18:19] neg_lo:[0,1] neg_hi:[0,1]
	v_pk_add_f32 v[18:19], v[22:23], v[18:19]
	v_mov_b32_e32 v26, v27
	v_pk_add_f32 v[22:23], v[18:19], v[20:21] op_sel:[1,0] op_sel_hi:[0,1] neg_lo:[0,1] neg_hi:[0,1]
	v_pk_add_f32 v[36:37], v[28:29], v[22:23] op_sel_hi:[1,0] neg_lo:[0,1] neg_hi:[0,1]
	v_mov_b32_e32 v28, v29
	v_mov_b32_e32 v29, v19
	v_pk_mov_b32 v[22:23], v[20:21], v[22:23] op_sel:[1,0]
	v_mov_b32_e32 v27, v20
	v_pk_add_f32 v[22:23], v[28:29], v[22:23] neg_lo:[0,1] neg_hi:[0,1]
	v_mov_b32_e32 v36, v34
	v_pk_add_f32 v[20:21], v[26:27], v[22:23] neg_lo:[0,1] neg_hi:[0,1]
	v_mov_b32_e32 v35, v19
	v_pk_add_f32 v[22:23], v[36:37], v[20:21]
	v_cmp_neq_f32_e64 s[30:31], s36, v15
	v_pk_add_f32 v[26:27], v[22:23], v[22:23] op_sel:[0,1] op_sel_hi:[1,0]
	s_nop 0
	v_pk_add_f32 v[18:19], v[18:19], v[26:27] op_sel:[1,0] op_sel_hi:[0,1]
	v_mov_b32_e32 v23, v18
	v_pk_add_f32 v[28:29], v[22:23], v[34:35] neg_lo:[0,1] neg_hi:[0,1]
	v_mov_b32_e32 v21, v26
	v_sub_f32_e32 v19, v22, v28
	v_pk_add_f32 v[20:21], v[20:21], v[28:29] neg_lo:[0,1] neg_hi:[0,1]
	v_sub_f32_e32 v19, v34, v19
	v_add_f32_e32 v19, v20, v19
	v_add_f32_e32 v19, v19, v21
	;; [unrolled: 1-line block ×3, first 2 shown]
	v_cndmask_b32_e64 v18, v25, v18, s[30:31]
	s_mov_b32 s30, 0x33800000
	v_cmp_lt_f32_e64 s[30:31], |v15|, s30
	s_nop 1
	v_cndmask_b32_e64 v15, v18, v15, s[30:31]
	v_add_f32_e32 v35, v1, v15
.LBB143_30:
	s_or_b64 exec, exec, s[34:35]
	v_max_f32_e32 v15, v35, v35
	v_max_f32_e32 v1, v4, v4
	v_min_f32_e32 v18, v15, v1
	v_cmp_u_f32_e64 s[34:35], v35, v35
	v_max_f32_e32 v15, v15, v1
	v_cmp_u_f32_e64 s[30:31], v4, v4
	v_cndmask_b32_e64 v18, v18, v35, s[34:35]
	v_cndmask_b32_e64 v15, v15, v35, s[34:35]
	;; [unrolled: 1-line block ×4, first 2 shown]
	v_cmp_neq_f32_e64 s[34:35], v18, v15
	v_cmp_class_f32_e64 s[36:37], v18, s33
	s_or_b64 s[34:35], s[34:35], s[36:37]
	s_and_saveexec_b64 s[36:37], s[34:35]
	s_cbranch_execz .LBB143_32
; %bb.31:
	v_sub_f32_e32 v18, v18, v15
	s_mov_b32 s33, 0x3fb8aa3b
	v_mul_f32_e32 v19, 0x3fb8aa3b, v18
	v_fma_f32 v20, v18, s33, -v19
	v_rndne_f32_e32 v21, v19
	v_fmamk_f32 v20, v18, 0x32a5705f, v20
	v_sub_f32_e32 v19, v19, v21
	v_add_f32_e32 v19, v19, v20
	v_exp_f32_e32 v19, v19
	v_cvt_i32_f32_e32 v20, v21
	s_mov_b32 s33, 0xc2ce8ed0
	v_cmp_ngt_f32_e64 s[34:35], s33, v18
	s_mov_b32 s33, 0x42b17218
	v_ldexp_f32 v19, v19, v20
	v_cndmask_b32_e64 v19, 0, v19, s[34:35]
	v_mov_b32_e32 v25, 0x7f800000
	v_cmp_nlt_f32_e64 s[34:35], s33, v18
	s_mov_b32 s33, 0x3f2aaaab
	s_mov_b32 s38, 0x7f800000
	v_cndmask_b32_e64 v30, v25, v19, s[34:35]
	v_add_f32_e32 v20, 1.0, v30
	v_add_f32_e32 v18, -1.0, v20
	v_sub_f32_e32 v19, v18, v20
	v_add_f32_e32 v19, 1.0, v19
	v_sub_f32_e32 v18, v30, v18
	v_add_f32_e32 v21, v18, v19
	v_frexp_mant_f32_e32 v22, v20
	v_cvt_f64_f32_e32 v[18:19], v20
	v_frexp_exp_i32_f64_e32 v18, v[18:19]
	v_cmp_gt_f32_e64 s[34:35], s33, v22
	s_mov_b32 s33, 0x3f317218
	s_nop 0
	v_subbrev_co_u32_e64 v28, s[34:35], 0, v18, s[34:35]
	v_sub_u32_e32 v18, 0, v28
	v_ldexp_f32 v19, v20, v18
	v_add_f32_e32 v20, -1.0, v19
	v_add_f32_e32 v22, 1.0, v19
	v_ldexp_f32 v18, v21, v18
	v_add_f32_e32 v21, 1.0, v20
	v_add_f32_e32 v23, -1.0, v22
	v_sub_f32_e32 v21, v19, v21
	v_sub_f32_e32 v19, v19, v23
	v_add_f32_e32 v21, v18, v21
	v_add_f32_e32 v18, v18, v19
	v_add_f32_e32 v29, v22, v18
	v_rcp_f32_e32 v35, v29
	v_sub_f32_e32 v19, v22, v29
	v_add_f32_e32 v34, v18, v19
	v_add_f32_e32 v19, v20, v21
	v_mul_f32_e32 v37, v19, v35
	v_sub_f32_e32 v18, v20, v19
	v_mul_f32_e32 v20, v29, v37
	v_fma_f32 v22, v37, v29, -v20
	v_fmac_f32_e32 v22, v37, v34
	v_add_f32_e32 v36, v21, v18
	v_add_f32_e32 v18, v20, v22
	v_sub_f32_e32 v21, v19, v18
	v_pk_add_f32 v[26:27], v[18:19], v[20:21] neg_lo:[0,1] neg_hi:[0,1]
	v_mov_b32_e32 v23, v18
	v_pk_add_f32 v[18:19], v[26:27], v[22:23] neg_lo:[0,1] neg_hi:[0,1]
	v_cmp_neq_f32_e64 s[34:35], s38, v30
	v_add_f32_e32 v19, v36, v19
	v_add_f32_e32 v18, v18, v19
	;; [unrolled: 1-line block ×3, first 2 shown]
	v_mul_f32_e32 v36, v35, v19
	v_mul_f32_e32 v20, v29, v36
	v_fma_f32 v22, v36, v29, -v20
	v_fmac_f32_e32 v22, v36, v34
	v_sub_f32_e32 v21, v21, v19
	v_add_f32_e32 v29, v18, v21
	v_add_f32_e32 v18, v20, v22
	v_sub_f32_e32 v21, v19, v18
	v_pk_add_f32 v[26:27], v[18:19], v[20:21] neg_lo:[0,1] neg_hi:[0,1]
	v_mov_b32_e32 v23, v18
	v_pk_add_f32 v[18:19], v[26:27], v[22:23] neg_lo:[0,1] neg_hi:[0,1]
	v_cvt_f32_i32_e32 v20, v28
	v_add_f32_e32 v19, v29, v19
	v_add_f32_e32 v18, v18, v19
	;; [unrolled: 1-line block ×4, first 2 shown]
	v_sub_f32_e32 v19, v21, v37
	v_mul_f32_e32 v18, v35, v18
	v_sub_f32_e32 v19, v36, v19
	v_add_f32_e32 v18, v19, v18
	v_add_f32_e32 v22, v21, v18
	v_mul_f32_e32 v26, v22, v22
	v_mov_b32_e32 v19, 0x3ecc95a3
	v_sub_f32_e32 v21, v22, v21
	v_fmac_f32_e32 v19, 0x3e9b6dac, v26
	v_sub_f32_e32 v18, v18, v21
	v_fmaak_f32 v19, v26, v19, 0x3f2aaada
	v_ldexp_f32 v27, v18, 1
	v_mul_f32_e32 v21, v22, v26
	v_mov_b32_e32 v18, 0x3f317218
	v_pk_mul_f32 v[18:19], v[20:21], v[18:19]
	v_ldexp_f32 v23, v22, 1
	v_fma_f32 v21, v20, s33, -v18
	v_fmamk_f32 v22, v20, 0xb102e308, v21
	v_pk_add_f32 v[20:21], v[18:19], v[22:23]
	v_mov_b32_e32 v26, v18
	v_sub_f32_e32 v23, v21, v23
	v_sub_f32_e32 v23, v19, v23
	v_add_f32_e32 v27, v27, v23
	v_pk_add_f32 v[18:19], v[20:21], v[18:19] neg_lo:[0,1] neg_hi:[0,1]
	v_pk_add_f32 v[28:29], v[20:21], v[26:27]
	v_mov_b32_e32 v23, v20
	v_mov_b32_e32 v19, v29
	v_pk_add_f32 v[34:35], v[22:23], v[18:19] neg_lo:[0,1] neg_hi:[0,1]
	v_pk_add_f32 v[18:19], v[22:23], v[18:19]
	v_mov_b32_e32 v26, v27
	v_pk_add_f32 v[22:23], v[18:19], v[20:21] op_sel:[1,0] op_sel_hi:[0,1] neg_lo:[0,1] neg_hi:[0,1]
	v_pk_add_f32 v[36:37], v[28:29], v[22:23] op_sel_hi:[1,0] neg_lo:[0,1] neg_hi:[0,1]
	v_mov_b32_e32 v28, v29
	v_mov_b32_e32 v29, v19
	v_pk_mov_b32 v[22:23], v[20:21], v[22:23] op_sel:[1,0]
	v_mov_b32_e32 v27, v20
	v_pk_add_f32 v[22:23], v[28:29], v[22:23] neg_lo:[0,1] neg_hi:[0,1]
	v_mov_b32_e32 v36, v34
	v_pk_add_f32 v[20:21], v[26:27], v[22:23] neg_lo:[0,1] neg_hi:[0,1]
	v_mov_b32_e32 v35, v19
	v_pk_add_f32 v[22:23], v[36:37], v[20:21]
	s_mov_b32 s33, 0x33800000
	v_pk_add_f32 v[26:27], v[22:23], v[22:23] op_sel:[0,1] op_sel_hi:[1,0]
	s_nop 0
	v_pk_add_f32 v[18:19], v[18:19], v[26:27] op_sel:[1,0] op_sel_hi:[0,1]
	v_mov_b32_e32 v23, v18
	v_pk_add_f32 v[28:29], v[22:23], v[34:35] neg_lo:[0,1] neg_hi:[0,1]
	v_mov_b32_e32 v21, v26
	v_sub_f32_e32 v19, v22, v28
	v_pk_add_f32 v[20:21], v[20:21], v[28:29] neg_lo:[0,1] neg_hi:[0,1]
	v_sub_f32_e32 v19, v34, v19
	v_add_f32_e32 v19, v20, v19
	v_add_f32_e32 v19, v19, v21
	v_add_f32_e32 v18, v18, v19
	v_cndmask_b32_e64 v18, v25, v18, s[34:35]
	v_cmp_lt_f32_e64 s[34:35], |v30|, s33
	s_nop 1
	v_cndmask_b32_e64 v18, v18, v30, s[34:35]
	v_add_f32_e32 v35, v15, v18
.LBB143_32:
	s_or_b64 exec, exec, s[36:37]
	v_max_f32_e32 v18, v35, v35
	v_max_f32_e32 v15, v5, v5
	v_min_f32_e32 v19, v18, v15
	v_cmp_u_f32_e64 s[36:37], v35, v35
	v_max_f32_e32 v18, v18, v15
	v_cmp_u_f32_e64 s[34:35], v5, v5
	v_cndmask_b32_e64 v19, v19, v35, s[36:37]
	v_cndmask_b32_e64 v18, v18, v35, s[36:37]
	;; [unrolled: 1-line block ×4, first 2 shown]
	s_movk_i32 s33, 0x1f8
	v_cmp_neq_f32_e64 s[36:37], v19, v18
	v_cmp_class_f32_e64 s[38:39], v19, s33
	s_or_b64 s[36:37], s[36:37], s[38:39]
	s_and_saveexec_b64 s[38:39], s[36:37]
	s_cbranch_execz .LBB143_34
; %bb.33:
	v_sub_f32_e32 v19, v19, v18
	s_mov_b32 s36, 0x3fb8aa3b
	v_mul_f32_e32 v20, 0x3fb8aa3b, v19
	v_fma_f32 v21, v19, s36, -v20
	v_rndne_f32_e32 v22, v20
	v_fmamk_f32 v21, v19, 0x32a5705f, v21
	v_sub_f32_e32 v20, v20, v22
	v_add_f32_e32 v20, v20, v21
	v_exp_f32_e32 v20, v20
	v_cvt_i32_f32_e32 v21, v22
	s_mov_b32 s36, 0xc2ce8ed0
	v_cmp_ngt_f32_e64 s[36:37], s36, v19
	v_mov_b32_e32 v25, 0x7f800000
	v_ldexp_f32 v20, v20, v21
	v_cndmask_b32_e64 v20, 0, v20, s[36:37]
	s_mov_b32 s36, 0x42b17218
	v_cmp_nlt_f32_e64 s[36:37], s36, v19
	s_mov_b32 s40, 0x7f800000
	s_nop 0
	v_cndmask_b32_e64 v19, v25, v20, s[36:37]
	v_add_f32_e32 v22, 1.0, v19
	v_add_f32_e32 v20, -1.0, v22
	v_sub_f32_e32 v21, v20, v22
	v_add_f32_e32 v21, 1.0, v21
	v_sub_f32_e32 v20, v19, v20
	v_add_f32_e32 v23, v20, v21
	v_frexp_mant_f32_e32 v26, v22
	s_mov_b32 s36, 0x3f2aaaab
	v_cvt_f64_f32_e32 v[20:21], v22
	v_frexp_exp_i32_f64_e32 v20, v[20:21]
	v_cmp_gt_f32_e64 s[36:37], s36, v26
	s_nop 1
	v_subbrev_co_u32_e64 v30, s[36:37], 0, v20, s[36:37]
	v_sub_u32_e32 v20, 0, v30
	v_ldexp_f32 v21, v22, v20
	v_add_f32_e32 v22, -1.0, v21
	v_add_f32_e32 v26, 1.0, v21
	v_ldexp_f32 v20, v23, v20
	v_add_f32_e32 v23, 1.0, v22
	v_add_f32_e32 v27, -1.0, v26
	v_sub_f32_e32 v23, v21, v23
	v_sub_f32_e32 v21, v21, v27
	v_add_f32_e32 v23, v20, v23
	v_add_f32_e32 v20, v20, v21
	;; [unrolled: 1-line block ×3, first 2 shown]
	v_rcp_f32_e32 v36, v34
	v_sub_f32_e32 v21, v26, v34
	v_add_f32_e32 v35, v20, v21
	v_add_f32_e32 v21, v22, v23
	v_mul_f32_e32 v38, v21, v36
	v_sub_f32_e32 v20, v22, v21
	v_mul_f32_e32 v22, v34, v38
	v_fma_f32 v26, v38, v34, -v22
	v_fmac_f32_e32 v26, v38, v35
	v_add_f32_e32 v37, v23, v20
	v_add_f32_e32 v20, v22, v26
	v_sub_f32_e32 v23, v21, v20
	v_pk_add_f32 v[28:29], v[20:21], v[22:23] neg_lo:[0,1] neg_hi:[0,1]
	v_mov_b32_e32 v27, v20
	v_pk_add_f32 v[20:21], v[28:29], v[26:27] neg_lo:[0,1] neg_hi:[0,1]
	s_mov_b32 s36, 0x3f317218
	v_add_f32_e32 v21, v37, v21
	v_add_f32_e32 v20, v20, v21
	;; [unrolled: 1-line block ×3, first 2 shown]
	v_mul_f32_e32 v37, v36, v21
	v_mul_f32_e32 v22, v34, v37
	v_fma_f32 v26, v37, v34, -v22
	v_fmac_f32_e32 v26, v37, v35
	v_sub_f32_e32 v23, v23, v21
	v_add_f32_e32 v34, v20, v23
	v_add_f32_e32 v20, v22, v26
	v_sub_f32_e32 v23, v21, v20
	v_pk_add_f32 v[28:29], v[20:21], v[22:23] neg_lo:[0,1] neg_hi:[0,1]
	v_mov_b32_e32 v27, v20
	v_pk_add_f32 v[20:21], v[28:29], v[26:27] neg_lo:[0,1] neg_hi:[0,1]
	v_cvt_f32_i32_e32 v22, v30
	v_add_f32_e32 v21, v34, v21
	v_add_f32_e32 v20, v20, v21
	;; [unrolled: 1-line block ×4, first 2 shown]
	v_sub_f32_e32 v21, v23, v38
	v_mul_f32_e32 v20, v36, v20
	v_sub_f32_e32 v21, v37, v21
	v_add_f32_e32 v20, v21, v20
	v_add_f32_e32 v26, v23, v20
	v_mul_f32_e32 v28, v26, v26
	v_mov_b32_e32 v21, 0x3ecc95a3
	v_sub_f32_e32 v23, v26, v23
	v_fmac_f32_e32 v21, 0x3e9b6dac, v28
	v_sub_f32_e32 v20, v20, v23
	v_fmaak_f32 v21, v28, v21, 0x3f2aaada
	v_ldexp_f32 v29, v20, 1
	v_mul_f32_e32 v23, v26, v28
	v_mov_b32_e32 v20, 0x3f317218
	v_pk_mul_f32 v[20:21], v[22:23], v[20:21]
	v_ldexp_f32 v27, v26, 1
	v_fma_f32 v23, v22, s36, -v20
	v_fmamk_f32 v26, v22, 0xb102e308, v23
	v_pk_add_f32 v[22:23], v[20:21], v[26:27]
	v_mov_b32_e32 v28, v20
	v_sub_f32_e32 v27, v23, v27
	v_sub_f32_e32 v27, v21, v27
	v_add_f32_e32 v29, v29, v27
	v_pk_add_f32 v[20:21], v[22:23], v[20:21] neg_lo:[0,1] neg_hi:[0,1]
	v_pk_add_f32 v[34:35], v[22:23], v[28:29]
	v_mov_b32_e32 v27, v22
	v_mov_b32_e32 v21, v35
	v_pk_add_f32 v[36:37], v[26:27], v[20:21] neg_lo:[0,1] neg_hi:[0,1]
	v_pk_add_f32 v[20:21], v[26:27], v[20:21]
	v_mov_b32_e32 v28, v29
	v_pk_add_f32 v[26:27], v[20:21], v[22:23] op_sel:[1,0] op_sel_hi:[0,1] neg_lo:[0,1] neg_hi:[0,1]
	v_pk_add_f32 v[38:39], v[34:35], v[26:27] op_sel_hi:[1,0] neg_lo:[0,1] neg_hi:[0,1]
	v_mov_b32_e32 v34, v35
	v_mov_b32_e32 v35, v21
	v_pk_mov_b32 v[26:27], v[22:23], v[26:27] op_sel:[1,0]
	v_mov_b32_e32 v29, v22
	v_pk_add_f32 v[26:27], v[34:35], v[26:27] neg_lo:[0,1] neg_hi:[0,1]
	v_mov_b32_e32 v38, v36
	v_pk_add_f32 v[22:23], v[28:29], v[26:27] neg_lo:[0,1] neg_hi:[0,1]
	v_mov_b32_e32 v37, v21
	v_pk_add_f32 v[26:27], v[38:39], v[22:23]
	v_cmp_neq_f32_e64 s[36:37], s40, v19
	v_pk_add_f32 v[28:29], v[26:27], v[26:27] op_sel:[0,1] op_sel_hi:[1,0]
	s_nop 0
	v_pk_add_f32 v[20:21], v[20:21], v[28:29] op_sel:[1,0] op_sel_hi:[0,1]
	v_mov_b32_e32 v27, v20
	v_pk_add_f32 v[34:35], v[26:27], v[36:37] neg_lo:[0,1] neg_hi:[0,1]
	v_mov_b32_e32 v23, v28
	v_sub_f32_e32 v21, v26, v34
	v_pk_add_f32 v[22:23], v[22:23], v[34:35] neg_lo:[0,1] neg_hi:[0,1]
	v_sub_f32_e32 v21, v36, v21
	v_add_f32_e32 v21, v22, v21
	v_add_f32_e32 v21, v21, v23
	;; [unrolled: 1-line block ×3, first 2 shown]
	v_cndmask_b32_e64 v20, v25, v20, s[36:37]
	s_mov_b32 s36, 0x33800000
	v_cmp_lt_f32_e64 s[36:37], |v19|, s36
	s_nop 1
	v_cndmask_b32_e64 v19, v20, v19, s[36:37]
	v_add_f32_e32 v35, v18, v19
.LBB143_34:
	s_or_b64 exec, exec, s[38:39]
	v_max_f32_e32 v18, v35, v35
	v_max_f32_e32 v20, v10, v10
	v_min_f32_e32 v19, v18, v20
	v_cmp_u_f32_e64 s[38:39], v35, v35
	v_max_f32_e32 v18, v18, v20
	v_cmp_u_f32_e64 s[36:37], v10, v10
	v_cndmask_b32_e64 v19, v19, v35, s[38:39]
	v_cndmask_b32_e64 v18, v18, v35, s[38:39]
	v_cndmask_b32_e64 v19, v19, v10, s[36:37]
	v_cndmask_b32_e64 v18, v18, v10, s[36:37]
	v_cmp_neq_f32_e64 s[38:39], v19, v18
	v_cmp_class_f32_e64 s[40:41], v19, s33
	s_or_b64 s[38:39], s[38:39], s[40:41]
	s_and_saveexec_b64 s[40:41], s[38:39]
	s_cbranch_execz .LBB143_36
; %bb.35:
	v_sub_f32_e32 v19, v19, v18
	s_mov_b32 s33, 0x3fb8aa3b
	v_mul_f32_e32 v21, 0x3fb8aa3b, v19
	v_fma_f32 v22, v19, s33, -v21
	v_rndne_f32_e32 v23, v21
	v_fmamk_f32 v22, v19, 0x32a5705f, v22
	v_sub_f32_e32 v21, v21, v23
	v_add_f32_e32 v21, v21, v22
	v_exp_f32_e32 v21, v21
	v_cvt_i32_f32_e32 v22, v23
	s_mov_b32 s33, 0xc2ce8ed0
	v_cmp_ngt_f32_e64 s[38:39], s33, v19
	s_mov_b32 s33, 0x42b17218
	v_ldexp_f32 v21, v21, v22
	v_cndmask_b32_e64 v21, 0, v21, s[38:39]
	v_mov_b32_e32 v25, 0x7f800000
	v_cmp_nlt_f32_e64 s[38:39], s33, v19
	s_mov_b32 s33, 0x3f2aaaab
	s_mov_b32 s42, 0x7f800000
	v_cndmask_b32_e64 v19, v25, v21, s[38:39]
	v_add_f32_e32 v21, 1.0, v19
	v_add_f32_e32 v22, -1.0, v21
	v_sub_f32_e32 v23, v22, v21
	v_add_f32_e32 v23, 1.0, v23
	v_sub_f32_e32 v22, v19, v22
	v_add_f32_e32 v26, v22, v23
	v_frexp_mant_f32_e32 v27, v21
	v_cvt_f64_f32_e32 v[22:23], v21
	v_frexp_exp_i32_f64_e32 v22, v[22:23]
	v_cmp_gt_f32_e64 s[38:39], s33, v27
	s_mov_b32 s33, 0x3f317218
	s_nop 0
	v_subbrev_co_u32_e64 v30, s[38:39], 0, v22, s[38:39]
	v_sub_u32_e32 v22, 0, v30
	v_ldexp_f32 v21, v21, v22
	v_ldexp_f32 v22, v26, v22
	v_add_f32_e32 v26, -1.0, v21
	v_add_f32_e32 v23, 1.0, v26
	v_sub_f32_e32 v23, v21, v23
	v_add_f32_e32 v27, v22, v23
	v_add_f32_e32 v23, 1.0, v21
	v_add_f32_e32 v28, -1.0, v23
	v_sub_f32_e32 v21, v21, v28
	v_add_f32_e32 v21, v22, v21
	v_add_f32_e32 v36, v23, v21
	v_rcp_f32_e32 v37, v36
	v_sub_f32_e32 v22, v23, v36
	v_add_f32_e32 v23, v26, v27
	v_add_f32_e32 v21, v21, v22
	v_mul_f32_e32 v39, v23, v37
	v_sub_f32_e32 v22, v26, v23
	v_mul_f32_e32 v26, v36, v39
	v_fma_f32 v28, v39, v36, -v26
	v_fmac_f32_e32 v28, v39, v21
	v_add_f32_e32 v38, v27, v22
	v_add_f32_e32 v22, v26, v28
	v_sub_f32_e32 v27, v23, v22
	v_pk_add_f32 v[34:35], v[22:23], v[26:27] neg_lo:[0,1] neg_hi:[0,1]
	v_mov_b32_e32 v29, v22
	v_pk_add_f32 v[22:23], v[34:35], v[28:29] neg_lo:[0,1] neg_hi:[0,1]
	v_cmp_neq_f32_e64 s[38:39], s42, v19
	v_add_f32_e32 v23, v38, v23
	v_add_f32_e32 v22, v22, v23
	;; [unrolled: 1-line block ×3, first 2 shown]
	v_mul_f32_e32 v38, v37, v23
	v_mul_f32_e32 v26, v36, v38
	v_fma_f32 v28, v38, v36, -v26
	v_fmac_f32_e32 v28, v38, v21
	v_sub_f32_e32 v21, v27, v23
	v_add_f32_e32 v21, v22, v21
	v_add_f32_e32 v22, v26, v28
	v_sub_f32_e32 v27, v23, v22
	v_pk_add_f32 v[34:35], v[22:23], v[26:27] neg_lo:[0,1] neg_hi:[0,1]
	v_mov_b32_e32 v29, v22
	v_pk_add_f32 v[22:23], v[34:35], v[28:29] neg_lo:[0,1] neg_hi:[0,1]
	v_cvt_f32_i32_e32 v26, v30
	v_add_f32_e32 v21, v21, v23
	v_add_f32_e32 v21, v22, v21
	;; [unrolled: 1-line block ×4, first 2 shown]
	v_sub_f32_e32 v23, v22, v39
	v_mul_f32_e32 v21, v37, v21
	v_sub_f32_e32 v23, v38, v23
	v_add_f32_e32 v21, v23, v21
	v_add_f32_e32 v27, v22, v21
	v_mul_f32_e32 v28, v27, v27
	v_mov_b32_e32 v23, 0x3ecc95a3
	v_fmac_f32_e32 v23, 0x3e9b6dac, v28
	v_sub_f32_e32 v22, v27, v22
	v_fmaak_f32 v23, v28, v23, 0x3f2aaada
	v_sub_f32_e32 v21, v21, v22
	v_ldexp_f32 v29, v27, 1
	v_mul_f32_e32 v27, v27, v28
	v_mov_b32_e32 v22, 0x3f317218
	v_pk_mul_f32 v[22:23], v[26:27], v[22:23]
	v_ldexp_f32 v21, v21, 1
	v_fma_f32 v27, v26, s33, -v22
	v_fmamk_f32 v28, v26, 0xb102e308, v27
	v_pk_add_f32 v[26:27], v[22:23], v[28:29]
	v_mov_b32_e32 v34, v22
	v_sub_f32_e32 v29, v27, v29
	v_sub_f32_e32 v29, v23, v29
	v_add_f32_e32 v35, v21, v29
	v_pk_add_f32 v[22:23], v[26:27], v[22:23] neg_lo:[0,1] neg_hi:[0,1]
	v_pk_add_f32 v[36:37], v[26:27], v[34:35]
	v_mov_b32_e32 v29, v26
	v_mov_b32_e32 v23, v37
	v_pk_add_f32 v[38:39], v[28:29], v[22:23] neg_lo:[0,1] neg_hi:[0,1]
	v_pk_add_f32 v[22:23], v[28:29], v[22:23]
	v_mov_b32_e32 v34, v35
	v_pk_add_f32 v[28:29], v[22:23], v[26:27] op_sel:[1,0] op_sel_hi:[0,1] neg_lo:[0,1] neg_hi:[0,1]
	v_pk_add_f32 v[40:41], v[36:37], v[28:29] op_sel_hi:[1,0] neg_lo:[0,1] neg_hi:[0,1]
	v_mov_b32_e32 v36, v37
	v_mov_b32_e32 v37, v23
	v_pk_mov_b32 v[28:29], v[26:27], v[28:29] op_sel:[1,0]
	v_mov_b32_e32 v35, v26
	v_pk_add_f32 v[28:29], v[36:37], v[28:29] neg_lo:[0,1] neg_hi:[0,1]
	v_mov_b32_e32 v40, v38
	v_pk_add_f32 v[26:27], v[34:35], v[28:29] neg_lo:[0,1] neg_hi:[0,1]
	v_mov_b32_e32 v39, v23
	v_pk_add_f32 v[28:29], v[40:41], v[26:27]
	s_mov_b32 s33, 0x33800000
	v_pk_add_f32 v[34:35], v[28:29], v[28:29] op_sel:[0,1] op_sel_hi:[1,0]
	s_nop 0
	v_pk_add_f32 v[22:23], v[22:23], v[34:35] op_sel:[1,0] op_sel_hi:[0,1]
	v_mov_b32_e32 v29, v22
	v_pk_add_f32 v[36:37], v[28:29], v[38:39] neg_lo:[0,1] neg_hi:[0,1]
	v_mov_b32_e32 v27, v34
	v_sub_f32_e32 v21, v28, v36
	v_pk_add_f32 v[26:27], v[26:27], v[36:37] neg_lo:[0,1] neg_hi:[0,1]
	v_sub_f32_e32 v21, v38, v21
	v_add_f32_e32 v21, v26, v21
	v_add_f32_e32 v21, v21, v27
	;; [unrolled: 1-line block ×3, first 2 shown]
	v_cndmask_b32_e64 v21, v25, v21, s[38:39]
	v_cmp_lt_f32_e64 s[38:39], |v19|, s33
	s_nop 1
	v_cndmask_b32_e64 v19, v21, v19, s[38:39]
	v_add_f32_e32 v35, v18, v19
.LBB143_36:
	s_or_b64 exec, exec, s[40:41]
	v_max_f32_e32 v18, v35, v35
	v_max_f32_e32 v21, v11, v11
	v_min_f32_e32 v19, v18, v21
	v_cmp_u_f32_e64 s[40:41], v35, v35
	v_max_f32_e32 v18, v18, v21
	v_cmp_u_f32_e64 s[38:39], v11, v11
	v_cndmask_b32_e64 v19, v19, v35, s[40:41]
	v_cndmask_b32_e64 v18, v18, v35, s[40:41]
	;; [unrolled: 1-line block ×4, first 2 shown]
	s_movk_i32 s33, 0x1f8
	v_cmp_neq_f32_e64 s[40:41], v19, v18
	v_cmp_class_f32_e64 s[42:43], v19, s33
	s_or_b64 s[40:41], s[40:41], s[42:43]
	s_and_saveexec_b64 s[42:43], s[40:41]
	s_cbranch_execz .LBB143_38
; %bb.37:
	v_sub_f32_e32 v19, v19, v18
	s_mov_b32 s40, 0x3fb8aa3b
	v_mul_f32_e32 v22, 0x3fb8aa3b, v19
	v_fma_f32 v23, v19, s40, -v22
	v_rndne_f32_e32 v25, v22
	v_fmamk_f32 v23, v19, 0x32a5705f, v23
	v_sub_f32_e32 v22, v22, v25
	v_add_f32_e32 v22, v22, v23
	v_exp_f32_e32 v22, v22
	v_cvt_i32_f32_e32 v23, v25
	s_mov_b32 s40, 0xc2ce8ed0
	v_cmp_ngt_f32_e64 s[40:41], s40, v19
	v_mov_b32_e32 v25, 0x7f800000
	v_ldexp_f32 v22, v22, v23
	v_cndmask_b32_e64 v22, 0, v22, s[40:41]
	s_mov_b32 s40, 0x42b17218
	v_cmp_nlt_f32_e64 s[40:41], s40, v19
	s_mov_b32 s44, 0x7f800000
	s_nop 0
	v_cndmask_b32_e64 v19, v25, v22, s[40:41]
	v_add_f32_e32 v26, 1.0, v19
	v_add_f32_e32 v22, -1.0, v26
	v_sub_f32_e32 v23, v22, v26
	v_add_f32_e32 v23, 1.0, v23
	v_sub_f32_e32 v22, v19, v22
	v_add_f32_e32 v27, v22, v23
	v_frexp_mant_f32_e32 v28, v26
	s_mov_b32 s40, 0x3f2aaaab
	v_cvt_f64_f32_e32 v[22:23], v26
	v_frexp_exp_i32_f64_e32 v22, v[22:23]
	v_cmp_gt_f32_e64 s[40:41], s40, v28
	s_nop 1
	v_subbrev_co_u32_e64 v30, s[40:41], 0, v22, s[40:41]
	v_sub_u32_e32 v22, 0, v30
	v_ldexp_f32 v23, v26, v22
	v_add_f32_e32 v26, -1.0, v23
	v_add_f32_e32 v28, 1.0, v23
	v_ldexp_f32 v22, v27, v22
	v_add_f32_e32 v27, 1.0, v26
	v_add_f32_e32 v29, -1.0, v28
	v_sub_f32_e32 v27, v23, v27
	v_sub_f32_e32 v23, v23, v29
	v_add_f32_e32 v27, v22, v27
	v_add_f32_e32 v22, v22, v23
	;; [unrolled: 1-line block ×3, first 2 shown]
	v_rcp_f32_e32 v38, v36
	v_sub_f32_e32 v23, v28, v36
	v_add_f32_e32 v37, v22, v23
	v_add_f32_e32 v23, v26, v27
	v_mul_f32_e32 v40, v23, v38
	v_sub_f32_e32 v22, v26, v23
	v_mul_f32_e32 v26, v36, v40
	v_fma_f32 v28, v40, v36, -v26
	v_fmac_f32_e32 v28, v40, v37
	v_add_f32_e32 v39, v27, v22
	v_add_f32_e32 v22, v26, v28
	v_sub_f32_e32 v27, v23, v22
	v_pk_add_f32 v[34:35], v[22:23], v[26:27] neg_lo:[0,1] neg_hi:[0,1]
	v_mov_b32_e32 v29, v22
	v_pk_add_f32 v[22:23], v[34:35], v[28:29] neg_lo:[0,1] neg_hi:[0,1]
	s_mov_b32 s40, 0x3f317218
	v_add_f32_e32 v23, v39, v23
	v_add_f32_e32 v22, v22, v23
	;; [unrolled: 1-line block ×3, first 2 shown]
	v_mul_f32_e32 v39, v38, v23
	v_mul_f32_e32 v26, v36, v39
	v_fma_f32 v28, v39, v36, -v26
	v_fmac_f32_e32 v28, v39, v37
	v_sub_f32_e32 v27, v27, v23
	v_add_f32_e32 v36, v22, v27
	v_add_f32_e32 v22, v26, v28
	v_sub_f32_e32 v27, v23, v22
	v_pk_add_f32 v[34:35], v[22:23], v[26:27] neg_lo:[0,1] neg_hi:[0,1]
	v_mov_b32_e32 v29, v22
	v_pk_add_f32 v[22:23], v[34:35], v[28:29] neg_lo:[0,1] neg_hi:[0,1]
	v_cvt_f32_i32_e32 v26, v30
	v_add_f32_e32 v23, v36, v23
	v_add_f32_e32 v22, v22, v23
	;; [unrolled: 1-line block ×4, first 2 shown]
	v_sub_f32_e32 v23, v27, v40
	v_mul_f32_e32 v22, v38, v22
	v_sub_f32_e32 v23, v39, v23
	v_add_f32_e32 v22, v23, v22
	v_add_f32_e32 v28, v27, v22
	v_mul_f32_e32 v34, v28, v28
	v_mov_b32_e32 v23, 0x3ecc95a3
	v_sub_f32_e32 v27, v28, v27
	v_fmac_f32_e32 v23, 0x3e9b6dac, v34
	v_sub_f32_e32 v22, v22, v27
	v_fmaak_f32 v23, v34, v23, 0x3f2aaada
	v_ldexp_f32 v30, v22, 1
	v_mul_f32_e32 v27, v28, v34
	v_mov_b32_e32 v22, 0x3f317218
	v_pk_mul_f32 v[22:23], v[26:27], v[22:23]
	v_ldexp_f32 v29, v28, 1
	v_fma_f32 v27, v26, s40, -v22
	v_fmamk_f32 v28, v26, 0xb102e308, v27
	v_pk_add_f32 v[26:27], v[22:23], v[28:29]
	v_mov_b32_e32 v34, v22
	v_sub_f32_e32 v29, v27, v29
	v_sub_f32_e32 v29, v23, v29
	v_add_f32_e32 v35, v30, v29
	v_pk_add_f32 v[22:23], v[26:27], v[22:23] neg_lo:[0,1] neg_hi:[0,1]
	v_pk_add_f32 v[36:37], v[26:27], v[34:35]
	v_mov_b32_e32 v29, v26
	v_mov_b32_e32 v23, v37
	v_pk_add_f32 v[38:39], v[28:29], v[22:23] neg_lo:[0,1] neg_hi:[0,1]
	v_pk_add_f32 v[22:23], v[28:29], v[22:23]
	v_mov_b32_e32 v34, v35
	v_pk_add_f32 v[28:29], v[22:23], v[26:27] op_sel:[1,0] op_sel_hi:[0,1] neg_lo:[0,1] neg_hi:[0,1]
	v_pk_add_f32 v[40:41], v[36:37], v[28:29] op_sel_hi:[1,0] neg_lo:[0,1] neg_hi:[0,1]
	v_mov_b32_e32 v36, v37
	v_mov_b32_e32 v37, v23
	v_pk_mov_b32 v[28:29], v[26:27], v[28:29] op_sel:[1,0]
	v_mov_b32_e32 v35, v26
	v_pk_add_f32 v[28:29], v[36:37], v[28:29] neg_lo:[0,1] neg_hi:[0,1]
	v_mov_b32_e32 v40, v38
	v_pk_add_f32 v[26:27], v[34:35], v[28:29] neg_lo:[0,1] neg_hi:[0,1]
	v_mov_b32_e32 v39, v23
	v_pk_add_f32 v[28:29], v[40:41], v[26:27]
	v_cmp_neq_f32_e64 s[40:41], s44, v19
	v_pk_add_f32 v[34:35], v[28:29], v[28:29] op_sel:[0,1] op_sel_hi:[1,0]
	s_nop 0
	v_pk_add_f32 v[22:23], v[22:23], v[34:35] op_sel:[1,0] op_sel_hi:[0,1]
	v_mov_b32_e32 v29, v22
	v_pk_add_f32 v[36:37], v[28:29], v[38:39] neg_lo:[0,1] neg_hi:[0,1]
	v_mov_b32_e32 v27, v34
	v_sub_f32_e32 v23, v28, v36
	v_pk_add_f32 v[26:27], v[26:27], v[36:37] neg_lo:[0,1] neg_hi:[0,1]
	v_sub_f32_e32 v23, v38, v23
	v_add_f32_e32 v23, v26, v23
	v_add_f32_e32 v23, v23, v27
	;; [unrolled: 1-line block ×3, first 2 shown]
	v_cndmask_b32_e64 v22, v25, v22, s[40:41]
	s_mov_b32 s40, 0x33800000
	v_cmp_lt_f32_e64 s[40:41], |v19|, s40
	s_nop 1
	v_cndmask_b32_e64 v19, v22, v19, s[40:41]
	v_add_f32_e32 v35, v18, v19
.LBB143_38:
	s_or_b64 exec, exec, s[42:43]
	v_max_f32_e32 v18, v35, v35
	v_max_f32_e32 v22, v12, v12
	v_min_f32_e32 v19, v18, v22
	v_cmp_u_f32_e64 s[42:43], v35, v35
	v_max_f32_e32 v18, v18, v22
	v_cmp_u_f32_e64 s[40:41], v12, v12
	v_cndmask_b32_e64 v19, v19, v35, s[42:43]
	v_cndmask_b32_e64 v18, v18, v35, s[42:43]
	;; [unrolled: 1-line block ×4, first 2 shown]
	v_cmp_neq_f32_e64 s[42:43], v19, v18
	v_cmp_class_f32_e64 s[44:45], v19, s33
	s_or_b64 s[42:43], s[42:43], s[44:45]
	s_and_saveexec_b64 s[44:45], s[42:43]
	s_cbranch_execz .LBB143_40
; %bb.39:
	v_sub_f32_e32 v19, v19, v18
	s_mov_b32 s33, 0x3fb8aa3b
	v_mul_f32_e32 v23, 0x3fb8aa3b, v19
	v_fma_f32 v25, v19, s33, -v23
	v_rndne_f32_e32 v26, v23
	v_fmamk_f32 v25, v19, 0x32a5705f, v25
	v_sub_f32_e32 v23, v23, v26
	v_add_f32_e32 v23, v23, v25
	v_exp_f32_e32 v23, v23
	v_cvt_i32_f32_e32 v25, v26
	s_mov_b32 s33, 0xc2ce8ed0
	v_cmp_ngt_f32_e64 s[42:43], s33, v19
	s_mov_b32 s33, 0x42b17218
	v_ldexp_f32 v23, v23, v25
	v_cndmask_b32_e64 v23, 0, v23, s[42:43]
	v_mov_b32_e32 v25, 0x7f800000
	v_cmp_nlt_f32_e64 s[42:43], s33, v19
	s_mov_b32 s33, 0x3f2aaaab
	s_mov_b32 s46, 0x7f800000
	v_cndmask_b32_e64 v19, v25, v23, s[42:43]
	v_add_f32_e32 v23, 1.0, v19
	v_add_f32_e32 v26, -1.0, v23
	v_sub_f32_e32 v27, v26, v23
	v_add_f32_e32 v27, 1.0, v27
	v_sub_f32_e32 v26, v19, v26
	v_add_f32_e32 v28, v26, v27
	v_frexp_mant_f32_e32 v29, v23
	v_cvt_f64_f32_e32 v[26:27], v23
	v_frexp_exp_i32_f64_e32 v26, v[26:27]
	v_cmp_gt_f32_e64 s[42:43], s33, v29
	s_mov_b32 s33, 0x3f317218
	s_nop 0
	v_subbrev_co_u32_e64 v30, s[42:43], 0, v26, s[42:43]
	v_sub_u32_e32 v26, 0, v30
	v_ldexp_f32 v23, v23, v26
	v_ldexp_f32 v26, v28, v26
	v_add_f32_e32 v28, -1.0, v23
	v_add_f32_e32 v27, 1.0, v28
	v_sub_f32_e32 v27, v23, v27
	v_add_f32_e32 v29, v26, v27
	v_add_f32_e32 v27, 1.0, v23
	v_add_f32_e32 v34, -1.0, v27
	v_sub_f32_e32 v23, v23, v34
	v_add_f32_e32 v23, v26, v23
	v_add_f32_e32 v38, v27, v23
	v_rcp_f32_e32 v39, v38
	v_sub_f32_e32 v26, v27, v38
	v_add_f32_e32 v27, v28, v29
	v_add_f32_e32 v23, v23, v26
	v_mul_f32_e32 v41, v27, v39
	v_sub_f32_e32 v26, v28, v27
	v_mul_f32_e32 v28, v38, v41
	v_fma_f32 v34, v41, v38, -v28
	v_fmac_f32_e32 v34, v41, v23
	v_add_f32_e32 v40, v29, v26
	v_add_f32_e32 v26, v28, v34
	v_sub_f32_e32 v29, v27, v26
	v_pk_add_f32 v[36:37], v[26:27], v[28:29] neg_lo:[0,1] neg_hi:[0,1]
	v_mov_b32_e32 v35, v26
	v_pk_add_f32 v[26:27], v[36:37], v[34:35] neg_lo:[0,1] neg_hi:[0,1]
	v_cmp_neq_f32_e64 s[42:43], s46, v19
	v_add_f32_e32 v27, v40, v27
	v_add_f32_e32 v26, v26, v27
	;; [unrolled: 1-line block ×3, first 2 shown]
	v_mul_f32_e32 v40, v39, v27
	v_mul_f32_e32 v28, v38, v40
	v_fma_f32 v34, v40, v38, -v28
	v_fmac_f32_e32 v34, v40, v23
	v_sub_f32_e32 v23, v29, v27
	v_add_f32_e32 v23, v26, v23
	v_add_f32_e32 v26, v28, v34
	v_sub_f32_e32 v29, v27, v26
	v_pk_add_f32 v[36:37], v[26:27], v[28:29] neg_lo:[0,1] neg_hi:[0,1]
	v_mov_b32_e32 v35, v26
	v_pk_add_f32 v[26:27], v[36:37], v[34:35] neg_lo:[0,1] neg_hi:[0,1]
	v_cvt_f32_i32_e32 v28, v30
	v_add_f32_e32 v23, v23, v27
	v_add_f32_e32 v23, v26, v23
	;; [unrolled: 1-line block ×4, first 2 shown]
	v_sub_f32_e32 v27, v26, v41
	v_mul_f32_e32 v23, v39, v23
	v_sub_f32_e32 v27, v40, v27
	v_add_f32_e32 v23, v27, v23
	v_add_f32_e32 v29, v26, v23
	v_mul_f32_e32 v34, v29, v29
	v_mov_b32_e32 v27, 0x3ecc95a3
	v_fmac_f32_e32 v27, 0x3e9b6dac, v34
	v_sub_f32_e32 v26, v29, v26
	v_fmaak_f32 v27, v34, v27, 0x3f2aaada
	v_sub_f32_e32 v23, v23, v26
	v_ldexp_f32 v35, v29, 1
	v_mul_f32_e32 v29, v29, v34
	v_mov_b32_e32 v26, 0x3f317218
	v_pk_mul_f32 v[26:27], v[28:29], v[26:27]
	v_ldexp_f32 v23, v23, 1
	v_fma_f32 v29, v28, s33, -v26
	v_fmamk_f32 v34, v28, 0xb102e308, v29
	v_pk_add_f32 v[28:29], v[26:27], v[34:35]
	v_mov_b32_e32 v36, v26
	v_sub_f32_e32 v30, v29, v35
	v_sub_f32_e32 v30, v27, v30
	v_add_f32_e32 v37, v23, v30
	v_pk_add_f32 v[26:27], v[28:29], v[26:27] neg_lo:[0,1] neg_hi:[0,1]
	v_pk_add_f32 v[38:39], v[28:29], v[36:37]
	v_mov_b32_e32 v35, v28
	v_mov_b32_e32 v27, v39
	v_pk_add_f32 v[40:41], v[34:35], v[26:27] neg_lo:[0,1] neg_hi:[0,1]
	v_pk_add_f32 v[26:27], v[34:35], v[26:27]
	v_mov_b32_e32 v36, v37
	v_pk_add_f32 v[34:35], v[26:27], v[28:29] op_sel:[1,0] op_sel_hi:[0,1] neg_lo:[0,1] neg_hi:[0,1]
	v_pk_add_f32 v[42:43], v[38:39], v[34:35] op_sel_hi:[1,0] neg_lo:[0,1] neg_hi:[0,1]
	v_mov_b32_e32 v38, v39
	v_mov_b32_e32 v39, v27
	v_pk_mov_b32 v[34:35], v[28:29], v[34:35] op_sel:[1,0]
	v_mov_b32_e32 v37, v28
	v_pk_add_f32 v[34:35], v[38:39], v[34:35] neg_lo:[0,1] neg_hi:[0,1]
	v_mov_b32_e32 v42, v40
	v_pk_add_f32 v[28:29], v[36:37], v[34:35] neg_lo:[0,1] neg_hi:[0,1]
	v_mov_b32_e32 v41, v27
	v_pk_add_f32 v[34:35], v[42:43], v[28:29]
	s_mov_b32 s33, 0x33800000
	v_pk_add_f32 v[36:37], v[34:35], v[34:35] op_sel:[0,1] op_sel_hi:[1,0]
	s_nop 0
	v_pk_add_f32 v[26:27], v[26:27], v[36:37] op_sel:[1,0] op_sel_hi:[0,1]
	v_mov_b32_e32 v35, v26
	v_pk_add_f32 v[38:39], v[34:35], v[40:41] neg_lo:[0,1] neg_hi:[0,1]
	v_mov_b32_e32 v29, v36
	v_sub_f32_e32 v23, v34, v38
	v_pk_add_f32 v[28:29], v[28:29], v[38:39] neg_lo:[0,1] neg_hi:[0,1]
	v_sub_f32_e32 v23, v40, v23
	v_add_f32_e32 v23, v28, v23
	v_add_f32_e32 v23, v23, v29
	;; [unrolled: 1-line block ×3, first 2 shown]
	v_cndmask_b32_e64 v23, v25, v23, s[42:43]
	v_cmp_lt_f32_e64 s[42:43], |v19|, s33
	s_nop 1
	v_cndmask_b32_e64 v19, v23, v19, s[42:43]
	v_add_f32_e32 v35, v18, v19
.LBB143_40:
	s_or_b64 exec, exec, s[44:45]
	v_max_f32_e32 v18, v35, v35
	v_max_f32_e32 v23, v13, v13
	v_min_f32_e32 v19, v18, v23
	v_cmp_u_f32_e64 s[44:45], v35, v35
	v_max_f32_e32 v18, v18, v23
	v_cmp_u_f32_e64 s[42:43], v13, v13
	v_cndmask_b32_e64 v19, v19, v35, s[44:45]
	v_cndmask_b32_e64 v18, v18, v35, s[44:45]
	;; [unrolled: 1-line block ×4, first 2 shown]
	s_movk_i32 s33, 0x1f8
	v_cmp_neq_f32_e64 s[44:45], v19, v18
	v_cmp_class_f32_e64 s[46:47], v19, s33
	s_or_b64 s[44:45], s[44:45], s[46:47]
	s_and_saveexec_b64 s[46:47], s[44:45]
	s_cbranch_execz .LBB143_42
; %bb.41:
	v_sub_f32_e32 v19, v19, v18
	s_mov_b32 s44, 0x3fb8aa3b
	v_mul_f32_e32 v25, 0x3fb8aa3b, v19
	v_fma_f32 v26, v19, s44, -v25
	v_rndne_f32_e32 v27, v25
	v_fmamk_f32 v26, v19, 0x32a5705f, v26
	v_sub_f32_e32 v25, v25, v27
	v_add_f32_e32 v25, v25, v26
	v_exp_f32_e32 v25, v25
	v_cvt_i32_f32_e32 v26, v27
	s_mov_b32 s44, 0xc2ce8ed0
	v_cmp_ngt_f32_e64 s[44:45], s44, v19
	v_mov_b32_e32 v30, 0x7f800000
	v_ldexp_f32 v25, v25, v26
	v_cndmask_b32_e64 v25, 0, v25, s[44:45]
	s_mov_b32 s44, 0x42b17218
	v_cmp_nlt_f32_e64 s[44:45], s44, v19
	s_mov_b32 s48, 0x7f800000
	s_nop 0
	v_cndmask_b32_e64 v19, v30, v25, s[44:45]
	v_add_f32_e32 v25, 1.0, v19
	v_add_f32_e32 v26, -1.0, v25
	v_sub_f32_e32 v27, v26, v25
	v_add_f32_e32 v27, 1.0, v27
	v_sub_f32_e32 v26, v19, v26
	v_add_f32_e32 v28, v26, v27
	v_frexp_mant_f32_e32 v29, v25
	s_mov_b32 s44, 0x3f2aaaab
	v_cvt_f64_f32_e32 v[26:27], v25
	v_frexp_exp_i32_f64_e32 v26, v[26:27]
	v_cmp_gt_f32_e64 s[44:45], s44, v29
	s_nop 1
	v_subbrev_co_u32_e64 v38, s[44:45], 0, v26, s[44:45]
	v_sub_u32_e32 v26, 0, v38
	v_ldexp_f32 v25, v25, v26
	v_ldexp_f32 v26, v28, v26
	v_add_f32_e32 v28, -1.0, v25
	v_add_f32_e32 v27, 1.0, v28
	v_sub_f32_e32 v27, v25, v27
	v_add_f32_e32 v29, v26, v27
	v_add_f32_e32 v27, 1.0, v25
	v_add_f32_e32 v34, -1.0, v27
	v_sub_f32_e32 v25, v25, v34
	v_add_f32_e32 v25, v26, v25
	v_add_f32_e32 v39, v27, v25
	v_rcp_f32_e32 v40, v39
	v_sub_f32_e32 v26, v27, v39
	v_add_f32_e32 v27, v28, v29
	v_add_f32_e32 v25, v25, v26
	v_mul_f32_e32 v42, v27, v40
	v_sub_f32_e32 v26, v28, v27
	v_mul_f32_e32 v28, v39, v42
	v_fma_f32 v34, v42, v39, -v28
	v_fmac_f32_e32 v34, v42, v25
	v_add_f32_e32 v41, v29, v26
	v_add_f32_e32 v26, v28, v34
	v_sub_f32_e32 v29, v27, v26
	v_pk_add_f32 v[36:37], v[26:27], v[28:29] neg_lo:[0,1] neg_hi:[0,1]
	v_mov_b32_e32 v35, v26
	v_pk_add_f32 v[26:27], v[36:37], v[34:35] neg_lo:[0,1] neg_hi:[0,1]
	s_mov_b32 s44, 0x3f317218
	v_add_f32_e32 v27, v41, v27
	v_add_f32_e32 v26, v26, v27
	;; [unrolled: 1-line block ×3, first 2 shown]
	v_mul_f32_e32 v41, v40, v27
	v_mul_f32_e32 v28, v39, v41
	v_fma_f32 v34, v41, v39, -v28
	v_fmac_f32_e32 v34, v41, v25
	v_sub_f32_e32 v25, v29, v27
	v_add_f32_e32 v25, v26, v25
	v_add_f32_e32 v26, v28, v34
	v_sub_f32_e32 v29, v27, v26
	v_pk_add_f32 v[36:37], v[26:27], v[28:29] neg_lo:[0,1] neg_hi:[0,1]
	v_mov_b32_e32 v35, v26
	v_pk_add_f32 v[26:27], v[36:37], v[34:35] neg_lo:[0,1] neg_hi:[0,1]
	v_cvt_f32_i32_e32 v28, v38
	v_add_f32_e32 v25, v25, v27
	v_add_f32_e32 v25, v26, v25
	;; [unrolled: 1-line block ×4, first 2 shown]
	v_sub_f32_e32 v27, v26, v42
	v_mul_f32_e32 v25, v40, v25
	v_sub_f32_e32 v27, v41, v27
	v_add_f32_e32 v25, v27, v25
	v_add_f32_e32 v29, v26, v25
	v_mul_f32_e32 v34, v29, v29
	v_mov_b32_e32 v27, 0x3ecc95a3
	v_fmac_f32_e32 v27, 0x3e9b6dac, v34
	v_sub_f32_e32 v26, v29, v26
	v_fmaak_f32 v27, v34, v27, 0x3f2aaada
	v_sub_f32_e32 v25, v25, v26
	v_ldexp_f32 v35, v29, 1
	v_mul_f32_e32 v29, v29, v34
	v_mov_b32_e32 v26, 0x3f317218
	v_pk_mul_f32 v[26:27], v[28:29], v[26:27]
	v_ldexp_f32 v25, v25, 1
	v_fma_f32 v29, v28, s44, -v26
	v_fmamk_f32 v34, v28, 0xb102e308, v29
	v_pk_add_f32 v[28:29], v[26:27], v[34:35]
	v_mov_b32_e32 v36, v26
	v_sub_f32_e32 v35, v29, v35
	v_sub_f32_e32 v35, v27, v35
	v_add_f32_e32 v37, v25, v35
	v_pk_add_f32 v[26:27], v[28:29], v[26:27] neg_lo:[0,1] neg_hi:[0,1]
	v_pk_add_f32 v[38:39], v[28:29], v[36:37]
	v_mov_b32_e32 v35, v28
	v_mov_b32_e32 v27, v39
	v_pk_add_f32 v[40:41], v[34:35], v[26:27] neg_lo:[0,1] neg_hi:[0,1]
	v_pk_add_f32 v[26:27], v[34:35], v[26:27]
	v_mov_b32_e32 v36, v37
	v_pk_add_f32 v[34:35], v[26:27], v[28:29] op_sel:[1,0] op_sel_hi:[0,1] neg_lo:[0,1] neg_hi:[0,1]
	v_pk_add_f32 v[42:43], v[38:39], v[34:35] op_sel_hi:[1,0] neg_lo:[0,1] neg_hi:[0,1]
	v_mov_b32_e32 v38, v39
	v_mov_b32_e32 v39, v27
	v_pk_mov_b32 v[34:35], v[28:29], v[34:35] op_sel:[1,0]
	v_mov_b32_e32 v37, v28
	v_pk_add_f32 v[34:35], v[38:39], v[34:35] neg_lo:[0,1] neg_hi:[0,1]
	v_mov_b32_e32 v42, v40
	v_pk_add_f32 v[28:29], v[36:37], v[34:35] neg_lo:[0,1] neg_hi:[0,1]
	v_mov_b32_e32 v41, v27
	v_pk_add_f32 v[34:35], v[42:43], v[28:29]
	v_cmp_neq_f32_e64 s[44:45], s48, v19
	v_pk_add_f32 v[36:37], v[34:35], v[34:35] op_sel:[0,1] op_sel_hi:[1,0]
	s_nop 0
	v_pk_add_f32 v[26:27], v[26:27], v[36:37] op_sel:[1,0] op_sel_hi:[0,1]
	v_mov_b32_e32 v35, v26
	v_pk_add_f32 v[38:39], v[34:35], v[40:41] neg_lo:[0,1] neg_hi:[0,1]
	v_mov_b32_e32 v29, v36
	v_sub_f32_e32 v25, v34, v38
	v_pk_add_f32 v[28:29], v[28:29], v[38:39] neg_lo:[0,1] neg_hi:[0,1]
	v_sub_f32_e32 v25, v40, v25
	v_add_f32_e32 v25, v28, v25
	v_add_f32_e32 v25, v25, v29
	;; [unrolled: 1-line block ×3, first 2 shown]
	v_cndmask_b32_e64 v25, v30, v25, s[44:45]
	s_mov_b32 s44, 0x33800000
	v_cmp_lt_f32_e64 s[44:45], |v19|, s44
	s_nop 1
	v_cndmask_b32_e64 v19, v25, v19, s[44:45]
	v_add_f32_e32 v35, v18, v19
.LBB143_42:
	s_or_b64 exec, exec, s[46:47]
	v_max_f32_e32 v18, v35, v35
	v_max_f32_e32 v25, v6, v6
	v_min_f32_e32 v19, v18, v25
	v_cmp_u_f32_e64 s[46:47], v35, v35
	v_max_f32_e32 v18, v18, v25
	v_cmp_u_f32_e64 s[44:45], v6, v6
	v_cndmask_b32_e64 v19, v19, v35, s[46:47]
	v_cndmask_b32_e64 v18, v18, v35, s[46:47]
	;; [unrolled: 1-line block ×4, first 2 shown]
	v_cmp_neq_f32_e64 s[46:47], v19, v18
	v_cmp_class_f32_e64 s[48:49], v19, s33
	s_or_b64 s[46:47], s[46:47], s[48:49]
	s_and_saveexec_b64 s[48:49], s[46:47]
	s_cbranch_execz .LBB143_44
; %bb.43:
	v_sub_f32_e32 v19, v19, v18
	s_mov_b32 s33, 0x3fb8aa3b
	v_mul_f32_e32 v26, 0x3fb8aa3b, v19
	v_fma_f32 v27, v19, s33, -v26
	v_rndne_f32_e32 v28, v26
	v_fmamk_f32 v27, v19, 0x32a5705f, v27
	v_sub_f32_e32 v26, v26, v28
	v_add_f32_e32 v26, v26, v27
	v_exp_f32_e32 v26, v26
	v_cvt_i32_f32_e32 v27, v28
	s_mov_b32 s33, 0xc2ce8ed0
	v_cmp_ngt_f32_e64 s[46:47], s33, v19
	s_mov_b32 s33, 0x42b17218
	v_ldexp_f32 v26, v26, v27
	v_cndmask_b32_e64 v26, 0, v26, s[46:47]
	v_mov_b32_e32 v30, 0x7f800000
	v_cmp_nlt_f32_e64 s[46:47], s33, v19
	s_mov_b32 s33, 0x3f2aaaab
	s_mov_b32 s50, 0x7f800000
	v_cndmask_b32_e64 v19, v30, v26, s[46:47]
	v_add_f32_e32 v28, 1.0, v19
	v_add_f32_e32 v26, -1.0, v28
	v_sub_f32_e32 v27, v26, v28
	v_add_f32_e32 v27, 1.0, v27
	v_sub_f32_e32 v26, v19, v26
	v_add_f32_e32 v29, v26, v27
	v_frexp_mant_f32_e32 v34, v28
	v_cvt_f64_f32_e32 v[26:27], v28
	v_frexp_exp_i32_f64_e32 v26, v[26:27]
	v_cmp_gt_f32_e64 s[46:47], s33, v34
	s_mov_b32 s33, 0x3f317218
	s_nop 0
	v_subbrev_co_u32_e64 v38, s[46:47], 0, v26, s[46:47]
	v_sub_u32_e32 v26, 0, v38
	v_ldexp_f32 v27, v28, v26
	v_add_f32_e32 v28, -1.0, v27
	v_add_f32_e32 v34, 1.0, v27
	v_ldexp_f32 v26, v29, v26
	v_add_f32_e32 v29, 1.0, v28
	v_add_f32_e32 v35, -1.0, v34
	v_sub_f32_e32 v29, v27, v29
	v_sub_f32_e32 v27, v27, v35
	v_add_f32_e32 v29, v26, v29
	v_add_f32_e32 v26, v26, v27
	;; [unrolled: 1-line block ×3, first 2 shown]
	v_rcp_f32_e32 v41, v39
	v_sub_f32_e32 v27, v34, v39
	v_add_f32_e32 v40, v26, v27
	v_add_f32_e32 v27, v28, v29
	v_mul_f32_e32 v43, v27, v41
	v_sub_f32_e32 v26, v28, v27
	v_mul_f32_e32 v28, v39, v43
	v_fma_f32 v34, v43, v39, -v28
	v_fmac_f32_e32 v34, v43, v40
	v_add_f32_e32 v42, v29, v26
	v_add_f32_e32 v26, v28, v34
	v_sub_f32_e32 v29, v27, v26
	v_pk_add_f32 v[36:37], v[26:27], v[28:29] neg_lo:[0,1] neg_hi:[0,1]
	v_mov_b32_e32 v35, v26
	v_pk_add_f32 v[26:27], v[36:37], v[34:35] neg_lo:[0,1] neg_hi:[0,1]
	v_cmp_neq_f32_e64 s[46:47], s50, v19
	v_add_f32_e32 v27, v42, v27
	v_add_f32_e32 v26, v26, v27
	;; [unrolled: 1-line block ×3, first 2 shown]
	v_mul_f32_e32 v42, v41, v27
	v_mul_f32_e32 v28, v39, v42
	v_fma_f32 v34, v42, v39, -v28
	v_fmac_f32_e32 v34, v42, v40
	v_sub_f32_e32 v29, v29, v27
	v_add_f32_e32 v39, v26, v29
	v_add_f32_e32 v26, v28, v34
	v_sub_f32_e32 v29, v27, v26
	v_pk_add_f32 v[36:37], v[26:27], v[28:29] neg_lo:[0,1] neg_hi:[0,1]
	v_mov_b32_e32 v35, v26
	v_pk_add_f32 v[26:27], v[36:37], v[34:35] neg_lo:[0,1] neg_hi:[0,1]
	v_cvt_f32_i32_e32 v28, v38
	v_add_f32_e32 v27, v39, v27
	v_add_f32_e32 v26, v26, v27
	;; [unrolled: 1-line block ×4, first 2 shown]
	v_sub_f32_e32 v27, v29, v43
	v_mul_f32_e32 v26, v41, v26
	v_sub_f32_e32 v27, v42, v27
	v_add_f32_e32 v26, v27, v26
	v_add_f32_e32 v34, v29, v26
	v_mul_f32_e32 v36, v34, v34
	v_mov_b32_e32 v27, 0x3ecc95a3
	v_sub_f32_e32 v29, v34, v29
	v_fmac_f32_e32 v27, 0x3e9b6dac, v36
	v_sub_f32_e32 v26, v26, v29
	v_fmaak_f32 v27, v36, v27, 0x3f2aaada
	v_ldexp_f32 v37, v26, 1
	v_mul_f32_e32 v29, v34, v36
	v_mov_b32_e32 v26, 0x3f317218
	v_pk_mul_f32 v[26:27], v[28:29], v[26:27]
	v_ldexp_f32 v35, v34, 1
	v_fma_f32 v29, v28, s33, -v26
	v_fmamk_f32 v34, v28, 0xb102e308, v29
	v_pk_add_f32 v[28:29], v[26:27], v[34:35]
	v_mov_b32_e32 v36, v26
	v_sub_f32_e32 v35, v29, v35
	v_sub_f32_e32 v35, v27, v35
	v_add_f32_e32 v37, v37, v35
	v_pk_add_f32 v[26:27], v[28:29], v[26:27] neg_lo:[0,1] neg_hi:[0,1]
	v_pk_add_f32 v[38:39], v[28:29], v[36:37]
	v_mov_b32_e32 v35, v28
	v_mov_b32_e32 v27, v39
	v_pk_add_f32 v[40:41], v[34:35], v[26:27] neg_lo:[0,1] neg_hi:[0,1]
	v_pk_add_f32 v[26:27], v[34:35], v[26:27]
	v_mov_b32_e32 v36, v37
	v_pk_add_f32 v[34:35], v[26:27], v[28:29] op_sel:[1,0] op_sel_hi:[0,1] neg_lo:[0,1] neg_hi:[0,1]
	v_pk_add_f32 v[42:43], v[38:39], v[34:35] op_sel_hi:[1,0] neg_lo:[0,1] neg_hi:[0,1]
	v_mov_b32_e32 v38, v39
	v_mov_b32_e32 v39, v27
	v_pk_mov_b32 v[34:35], v[28:29], v[34:35] op_sel:[1,0]
	v_mov_b32_e32 v37, v28
	v_pk_add_f32 v[34:35], v[38:39], v[34:35] neg_lo:[0,1] neg_hi:[0,1]
	v_mov_b32_e32 v42, v40
	v_pk_add_f32 v[28:29], v[36:37], v[34:35] neg_lo:[0,1] neg_hi:[0,1]
	v_mov_b32_e32 v41, v27
	v_pk_add_f32 v[34:35], v[42:43], v[28:29]
	s_mov_b32 s33, 0x33800000
	v_pk_add_f32 v[36:37], v[34:35], v[34:35] op_sel:[0,1] op_sel_hi:[1,0]
	s_nop 0
	v_pk_add_f32 v[26:27], v[26:27], v[36:37] op_sel:[1,0] op_sel_hi:[0,1]
	v_mov_b32_e32 v35, v26
	v_pk_add_f32 v[38:39], v[34:35], v[40:41] neg_lo:[0,1] neg_hi:[0,1]
	v_mov_b32_e32 v29, v36
	v_sub_f32_e32 v27, v34, v38
	v_pk_add_f32 v[28:29], v[28:29], v[38:39] neg_lo:[0,1] neg_hi:[0,1]
	v_sub_f32_e32 v27, v40, v27
	v_add_f32_e32 v27, v28, v27
	v_add_f32_e32 v27, v27, v29
	;; [unrolled: 1-line block ×3, first 2 shown]
	v_cndmask_b32_e64 v26, v30, v26, s[46:47]
	v_cmp_lt_f32_e64 s[46:47], |v19|, s33
	s_nop 1
	v_cndmask_b32_e64 v19, v26, v19, s[46:47]
	v_add_f32_e32 v35, v18, v19
.LBB143_44:
	s_or_b64 exec, exec, s[48:49]
	v_max_f32_e32 v18, v35, v35
	v_max_f32_e32 v26, v7, v7
	v_min_f32_e32 v19, v18, v26
	v_cmp_u_f32_e64 s[48:49], v35, v35
	v_max_f32_e32 v18, v18, v26
	v_cmp_u_f32_e64 s[46:47], v7, v7
	v_cndmask_b32_e64 v19, v19, v35, s[48:49]
	v_cndmask_b32_e64 v18, v18, v35, s[48:49]
	;; [unrolled: 1-line block ×4, first 2 shown]
	s_movk_i32 s33, 0x1f8
	v_cmp_neq_f32_e64 s[48:49], v19, v18
	v_cmp_class_f32_e64 s[50:51], v19, s33
	s_or_b64 s[48:49], s[48:49], s[50:51]
	s_and_saveexec_b64 s[50:51], s[48:49]
	s_cbranch_execz .LBB143_46
; %bb.45:
	v_sub_f32_e32 v19, v19, v18
	s_mov_b32 s48, 0x3fb8aa3b
	v_mul_f32_e32 v27, 0x3fb8aa3b, v19
	v_fma_f32 v28, v19, s48, -v27
	v_rndne_f32_e32 v29, v27
	v_fmamk_f32 v28, v19, 0x32a5705f, v28
	v_sub_f32_e32 v27, v27, v29
	v_add_f32_e32 v27, v27, v28
	v_exp_f32_e32 v27, v27
	v_cvt_i32_f32_e32 v28, v29
	s_mov_b32 s48, 0xc2ce8ed0
	v_cmp_ngt_f32_e64 s[48:49], s48, v19
	v_mov_b32_e32 v30, 0x7f800000
	v_ldexp_f32 v27, v27, v28
	v_cndmask_b32_e64 v27, 0, v27, s[48:49]
	s_mov_b32 s48, 0x42b17218
	v_cmp_nlt_f32_e64 s[48:49], s48, v19
	s_mov_b32 s52, 0x7f800000
	s_nop 0
	v_cndmask_b32_e64 v19, v30, v27, s[48:49]
	v_add_f32_e32 v27, 1.0, v19
	v_add_f32_e32 v28, -1.0, v27
	v_sub_f32_e32 v29, v28, v27
	v_add_f32_e32 v29, 1.0, v29
	v_sub_f32_e32 v28, v19, v28
	v_add_f32_e32 v34, v28, v29
	v_frexp_mant_f32_e32 v35, v27
	s_mov_b32 s48, 0x3f2aaaab
	v_cvt_f64_f32_e32 v[28:29], v27
	v_frexp_exp_i32_f64_e32 v28, v[28:29]
	v_cmp_gt_f32_e64 s[48:49], s48, v35
	s_nop 1
	v_subbrev_co_u32_e64 v40, s[48:49], 0, v28, s[48:49]
	v_sub_u32_e32 v28, 0, v40
	v_ldexp_f32 v27, v27, v28
	v_ldexp_f32 v28, v34, v28
	v_add_f32_e32 v34, -1.0, v27
	v_add_f32_e32 v29, 1.0, v34
	v_sub_f32_e32 v29, v27, v29
	v_add_f32_e32 v35, v28, v29
	v_add_f32_e32 v29, 1.0, v27
	v_add_f32_e32 v36, -1.0, v29
	v_sub_f32_e32 v27, v27, v36
	v_add_f32_e32 v27, v28, v27
	v_add_f32_e32 v41, v29, v27
	v_rcp_f32_e32 v42, v41
	v_sub_f32_e32 v28, v29, v41
	v_add_f32_e32 v29, v34, v35
	v_add_f32_e32 v27, v27, v28
	v_mul_f32_e32 v44, v29, v42
	v_sub_f32_e32 v28, v34, v29
	v_mul_f32_e32 v34, v41, v44
	v_fma_f32 v36, v44, v41, -v34
	v_fmac_f32_e32 v36, v44, v27
	v_add_f32_e32 v43, v35, v28
	v_add_f32_e32 v28, v34, v36
	v_sub_f32_e32 v35, v29, v28
	v_pk_add_f32 v[38:39], v[28:29], v[34:35] neg_lo:[0,1] neg_hi:[0,1]
	v_mov_b32_e32 v37, v28
	v_pk_add_f32 v[28:29], v[38:39], v[36:37] neg_lo:[0,1] neg_hi:[0,1]
	s_mov_b32 s48, 0x3f317218
	v_add_f32_e32 v29, v43, v29
	v_add_f32_e32 v28, v28, v29
	;; [unrolled: 1-line block ×3, first 2 shown]
	v_mul_f32_e32 v43, v42, v29
	v_mul_f32_e32 v34, v41, v43
	v_fma_f32 v36, v43, v41, -v34
	v_fmac_f32_e32 v36, v43, v27
	v_sub_f32_e32 v27, v35, v29
	v_add_f32_e32 v27, v28, v27
	v_add_f32_e32 v28, v34, v36
	v_sub_f32_e32 v35, v29, v28
	v_pk_add_f32 v[38:39], v[28:29], v[34:35] neg_lo:[0,1] neg_hi:[0,1]
	v_mov_b32_e32 v37, v28
	v_pk_add_f32 v[28:29], v[38:39], v[36:37] neg_lo:[0,1] neg_hi:[0,1]
	v_cvt_f32_i32_e32 v34, v40
	v_add_f32_e32 v27, v27, v29
	v_add_f32_e32 v27, v28, v27
	;; [unrolled: 1-line block ×4, first 2 shown]
	v_sub_f32_e32 v29, v28, v44
	v_mul_f32_e32 v27, v42, v27
	v_sub_f32_e32 v29, v43, v29
	v_add_f32_e32 v27, v29, v27
	v_add_f32_e32 v35, v28, v27
	v_mul_f32_e32 v36, v35, v35
	v_mov_b32_e32 v29, 0x3ecc95a3
	v_fmac_f32_e32 v29, 0x3e9b6dac, v36
	v_sub_f32_e32 v28, v35, v28
	v_fmaak_f32 v29, v36, v29, 0x3f2aaada
	v_sub_f32_e32 v27, v27, v28
	v_ldexp_f32 v37, v35, 1
	v_mul_f32_e32 v35, v35, v36
	v_mov_b32_e32 v28, 0x3f317218
	v_pk_mul_f32 v[28:29], v[34:35], v[28:29]
	v_ldexp_f32 v27, v27, 1
	v_fma_f32 v35, v34, s48, -v28
	v_fmamk_f32 v36, v34, 0xb102e308, v35
	v_pk_add_f32 v[34:35], v[28:29], v[36:37]
	v_mov_b32_e32 v38, v28
	v_sub_f32_e32 v37, v35, v37
	v_sub_f32_e32 v37, v29, v37
	v_add_f32_e32 v39, v27, v37
	v_pk_add_f32 v[28:29], v[34:35], v[28:29] neg_lo:[0,1] neg_hi:[0,1]
	v_pk_add_f32 v[40:41], v[34:35], v[38:39]
	v_mov_b32_e32 v37, v34
	v_mov_b32_e32 v29, v41
	v_pk_add_f32 v[42:43], v[36:37], v[28:29] neg_lo:[0,1] neg_hi:[0,1]
	v_pk_add_f32 v[28:29], v[36:37], v[28:29]
	v_mov_b32_e32 v38, v39
	v_pk_add_f32 v[36:37], v[28:29], v[34:35] op_sel:[1,0] op_sel_hi:[0,1] neg_lo:[0,1] neg_hi:[0,1]
	v_pk_add_f32 v[44:45], v[40:41], v[36:37] op_sel_hi:[1,0] neg_lo:[0,1] neg_hi:[0,1]
	v_mov_b32_e32 v40, v41
	v_mov_b32_e32 v41, v29
	v_pk_mov_b32 v[36:37], v[34:35], v[36:37] op_sel:[1,0]
	v_mov_b32_e32 v39, v34
	v_pk_add_f32 v[36:37], v[40:41], v[36:37] neg_lo:[0,1] neg_hi:[0,1]
	v_mov_b32_e32 v44, v42
	v_pk_add_f32 v[34:35], v[38:39], v[36:37] neg_lo:[0,1] neg_hi:[0,1]
	v_mov_b32_e32 v43, v29
	v_pk_add_f32 v[36:37], v[44:45], v[34:35]
	v_cmp_neq_f32_e64 s[48:49], s52, v19
	v_pk_add_f32 v[38:39], v[36:37], v[36:37] op_sel:[0,1] op_sel_hi:[1,0]
	s_nop 0
	v_pk_add_f32 v[28:29], v[28:29], v[38:39] op_sel:[1,0] op_sel_hi:[0,1]
	v_mov_b32_e32 v37, v28
	v_pk_add_f32 v[40:41], v[36:37], v[42:43] neg_lo:[0,1] neg_hi:[0,1]
	v_mov_b32_e32 v35, v38
	v_sub_f32_e32 v27, v36, v40
	v_pk_add_f32 v[34:35], v[34:35], v[40:41] neg_lo:[0,1] neg_hi:[0,1]
	v_sub_f32_e32 v27, v42, v27
	v_add_f32_e32 v27, v34, v27
	v_add_f32_e32 v27, v27, v35
	;; [unrolled: 1-line block ×3, first 2 shown]
	v_cndmask_b32_e64 v27, v30, v27, s[48:49]
	s_mov_b32 s48, 0x33800000
	v_cmp_lt_f32_e64 s[48:49], |v19|, s48
	s_nop 1
	v_cndmask_b32_e64 v19, v27, v19, s[48:49]
	v_add_f32_e32 v35, v18, v19
.LBB143_46:
	s_or_b64 exec, exec, s[50:51]
	v_max_f32_e32 v18, v35, v35
	v_max_f32_e32 v27, v8, v8
	v_min_f32_e32 v19, v18, v27
	v_cmp_u_f32_e64 s[50:51], v35, v35
	v_max_f32_e32 v18, v18, v27
	v_cmp_u_f32_e64 s[48:49], v8, v8
	v_cndmask_b32_e64 v19, v19, v35, s[50:51]
	v_cndmask_b32_e64 v18, v18, v35, s[50:51]
	;; [unrolled: 1-line block ×4, first 2 shown]
	v_cmp_neq_f32_e64 s[50:51], v19, v18
	v_cmp_class_f32_e64 s[52:53], v19, s33
	s_or_b64 s[50:51], s[50:51], s[52:53]
	s_and_saveexec_b64 s[52:53], s[50:51]
	s_cbranch_execz .LBB143_48
; %bb.47:
	v_sub_f32_e32 v19, v19, v18
	s_mov_b32 s33, 0x3fb8aa3b
	v_mul_f32_e32 v28, 0x3fb8aa3b, v19
	v_fma_f32 v29, v19, s33, -v28
	v_rndne_f32_e32 v30, v28
	v_fmamk_f32 v29, v19, 0x32a5705f, v29
	v_sub_f32_e32 v28, v28, v30
	v_add_f32_e32 v28, v28, v29
	v_exp_f32_e32 v28, v28
	v_cvt_i32_f32_e32 v29, v30
	s_mov_b32 s33, 0xc2ce8ed0
	v_cmp_ngt_f32_e64 s[50:51], s33, v19
	s_mov_b32 s33, 0x42b17218
	v_ldexp_f32 v28, v28, v29
	v_cndmask_b32_e64 v28, 0, v28, s[50:51]
	v_mov_b32_e32 v30, 0x7f800000
	v_cmp_nlt_f32_e64 s[50:51], s33, v19
	s_mov_b32 s33, 0x3f2aaaab
	s_mov_b32 s54, 0x7f800000
	v_cndmask_b32_e64 v19, v30, v28, s[50:51]
	v_add_f32_e32 v34, 1.0, v19
	v_add_f32_e32 v28, -1.0, v34
	v_sub_f32_e32 v29, v28, v34
	v_add_f32_e32 v29, 1.0, v29
	v_sub_f32_e32 v28, v19, v28
	v_add_f32_e32 v35, v28, v29
	v_frexp_mant_f32_e32 v36, v34
	v_cvt_f64_f32_e32 v[28:29], v34
	v_frexp_exp_i32_f64_e32 v28, v[28:29]
	v_cmp_gt_f32_e64 s[50:51], s33, v36
	s_mov_b32 s33, 0x3f317218
	s_nop 0
	v_subbrev_co_u32_e64 v40, s[50:51], 0, v28, s[50:51]
	v_sub_u32_e32 v28, 0, v40
	v_ldexp_f32 v29, v34, v28
	v_add_f32_e32 v34, -1.0, v29
	v_add_f32_e32 v36, 1.0, v29
	v_ldexp_f32 v28, v35, v28
	v_add_f32_e32 v35, 1.0, v34
	v_add_f32_e32 v37, -1.0, v36
	v_sub_f32_e32 v35, v29, v35
	v_sub_f32_e32 v29, v29, v37
	v_add_f32_e32 v35, v28, v35
	v_add_f32_e32 v28, v28, v29
	;; [unrolled: 1-line block ×3, first 2 shown]
	v_rcp_f32_e32 v43, v41
	v_sub_f32_e32 v29, v36, v41
	v_add_f32_e32 v42, v28, v29
	v_add_f32_e32 v29, v34, v35
	v_mul_f32_e32 v45, v29, v43
	v_sub_f32_e32 v28, v34, v29
	v_mul_f32_e32 v34, v41, v45
	v_fma_f32 v36, v45, v41, -v34
	v_fmac_f32_e32 v36, v45, v42
	v_add_f32_e32 v44, v35, v28
	v_add_f32_e32 v28, v34, v36
	v_sub_f32_e32 v35, v29, v28
	v_pk_add_f32 v[38:39], v[28:29], v[34:35] neg_lo:[0,1] neg_hi:[0,1]
	v_mov_b32_e32 v37, v28
	v_pk_add_f32 v[28:29], v[38:39], v[36:37] neg_lo:[0,1] neg_hi:[0,1]
	v_cmp_neq_f32_e64 s[50:51], s54, v19
	v_add_f32_e32 v29, v44, v29
	v_add_f32_e32 v28, v28, v29
	;; [unrolled: 1-line block ×3, first 2 shown]
	v_mul_f32_e32 v44, v43, v29
	v_mul_f32_e32 v34, v41, v44
	v_fma_f32 v36, v44, v41, -v34
	v_fmac_f32_e32 v36, v44, v42
	v_sub_f32_e32 v35, v35, v29
	v_add_f32_e32 v41, v28, v35
	v_add_f32_e32 v28, v34, v36
	v_sub_f32_e32 v35, v29, v28
	v_pk_add_f32 v[38:39], v[28:29], v[34:35] neg_lo:[0,1] neg_hi:[0,1]
	v_mov_b32_e32 v37, v28
	v_pk_add_f32 v[28:29], v[38:39], v[36:37] neg_lo:[0,1] neg_hi:[0,1]
	v_cvt_f32_i32_e32 v34, v40
	v_add_f32_e32 v29, v41, v29
	v_add_f32_e32 v28, v28, v29
	;; [unrolled: 1-line block ×4, first 2 shown]
	v_sub_f32_e32 v29, v35, v45
	v_mul_f32_e32 v28, v43, v28
	v_sub_f32_e32 v29, v44, v29
	v_add_f32_e32 v28, v29, v28
	v_add_f32_e32 v36, v35, v28
	v_mul_f32_e32 v38, v36, v36
	v_mov_b32_e32 v29, 0x3ecc95a3
	v_sub_f32_e32 v35, v36, v35
	v_fmac_f32_e32 v29, 0x3e9b6dac, v38
	v_sub_f32_e32 v28, v28, v35
	v_fmaak_f32 v29, v38, v29, 0x3f2aaada
	v_ldexp_f32 v39, v28, 1
	v_mul_f32_e32 v35, v36, v38
	v_mov_b32_e32 v28, 0x3f317218
	v_pk_mul_f32 v[28:29], v[34:35], v[28:29]
	v_ldexp_f32 v37, v36, 1
	v_fma_f32 v35, v34, s33, -v28
	v_fmamk_f32 v36, v34, 0xb102e308, v35
	v_pk_add_f32 v[34:35], v[28:29], v[36:37]
	v_mov_b32_e32 v38, v28
	v_sub_f32_e32 v37, v35, v37
	v_sub_f32_e32 v37, v29, v37
	v_add_f32_e32 v39, v39, v37
	v_pk_add_f32 v[28:29], v[34:35], v[28:29] neg_lo:[0,1] neg_hi:[0,1]
	v_pk_add_f32 v[40:41], v[34:35], v[38:39]
	v_mov_b32_e32 v37, v34
	v_mov_b32_e32 v29, v41
	v_pk_add_f32 v[42:43], v[36:37], v[28:29] neg_lo:[0,1] neg_hi:[0,1]
	v_pk_add_f32 v[28:29], v[36:37], v[28:29]
	v_mov_b32_e32 v38, v39
	v_pk_add_f32 v[36:37], v[28:29], v[34:35] op_sel:[1,0] op_sel_hi:[0,1] neg_lo:[0,1] neg_hi:[0,1]
	v_pk_add_f32 v[44:45], v[40:41], v[36:37] op_sel_hi:[1,0] neg_lo:[0,1] neg_hi:[0,1]
	v_mov_b32_e32 v40, v41
	v_mov_b32_e32 v41, v29
	v_pk_mov_b32 v[36:37], v[34:35], v[36:37] op_sel:[1,0]
	v_mov_b32_e32 v39, v34
	v_pk_add_f32 v[36:37], v[40:41], v[36:37] neg_lo:[0,1] neg_hi:[0,1]
	v_mov_b32_e32 v44, v42
	v_pk_add_f32 v[34:35], v[38:39], v[36:37] neg_lo:[0,1] neg_hi:[0,1]
	v_mov_b32_e32 v43, v29
	v_pk_add_f32 v[36:37], v[44:45], v[34:35]
	s_mov_b32 s33, 0x33800000
	v_pk_add_f32 v[38:39], v[36:37], v[36:37] op_sel:[0,1] op_sel_hi:[1,0]
	s_nop 0
	v_pk_add_f32 v[28:29], v[28:29], v[38:39] op_sel:[1,0] op_sel_hi:[0,1]
	v_mov_b32_e32 v37, v28
	v_pk_add_f32 v[40:41], v[36:37], v[42:43] neg_lo:[0,1] neg_hi:[0,1]
	v_mov_b32_e32 v35, v38
	v_sub_f32_e32 v29, v36, v40
	v_pk_add_f32 v[34:35], v[34:35], v[40:41] neg_lo:[0,1] neg_hi:[0,1]
	v_sub_f32_e32 v29, v42, v29
	v_add_f32_e32 v29, v34, v29
	v_add_f32_e32 v29, v29, v35
	;; [unrolled: 1-line block ×3, first 2 shown]
	v_cndmask_b32_e64 v28, v30, v28, s[50:51]
	v_cmp_lt_f32_e64 s[50:51], |v19|, s33
	s_nop 1
	v_cndmask_b32_e64 v19, v28, v19, s[50:51]
	v_add_f32_e32 v35, v18, v19
.LBB143_48:
	s_or_b64 exec, exec, s[52:53]
	v_max_f32_e32 v18, v35, v35
	v_max_f32_e32 v28, v9, v9
	v_min_f32_e32 v19, v18, v28
	v_cmp_u_f32_e64 s[52:53], v35, v35
	v_max_f32_e32 v18, v18, v28
	v_cmp_u_f32_e64 s[50:51], v9, v9
	v_cndmask_b32_e64 v19, v19, v35, s[52:53]
	v_cndmask_b32_e64 v18, v18, v35, s[52:53]
	;; [unrolled: 1-line block ×4, first 2 shown]
	s_movk_i32 s33, 0x1f8
	v_cmp_neq_f32_e64 s[52:53], v19, v18
	v_cmp_class_f32_e64 s[54:55], v19, s33
	s_or_b64 s[52:53], s[52:53], s[54:55]
	s_and_saveexec_b64 s[54:55], s[52:53]
	s_cbranch_execz .LBB143_50
; %bb.49:
	v_sub_f32_e32 v19, v19, v18
	s_mov_b32 s52, 0x3fb8aa3b
	v_mul_f32_e32 v29, 0x3fb8aa3b, v19
	v_fma_f32 v30, v19, s52, -v29
	v_rndne_f32_e32 v34, v29
	v_fmamk_f32 v30, v19, 0x32a5705f, v30
	v_sub_f32_e32 v29, v29, v34
	v_add_f32_e32 v29, v29, v30
	v_exp_f32_e32 v29, v29
	v_cvt_i32_f32_e32 v30, v34
	s_mov_b32 s52, 0xc2ce8ed0
	v_cmp_ngt_f32_e64 s[52:53], s52, v19
	s_mov_b32 s58, 0x7f800000
	v_ldexp_f32 v29, v29, v30
	v_cndmask_b32_e64 v29, 0, v29, s[52:53]
	s_mov_b32 s52, 0x42b17218
	v_mov_b32_e32 v30, 0x7f800000
	v_cmp_nlt_f32_e64 s[52:53], s52, v19
	s_nop 1
	v_cndmask_b32_e64 v19, v30, v29, s[52:53]
	v_add_f32_e32 v29, 1.0, v19
	v_add_f32_e32 v34, -1.0, v29
	v_sub_f32_e32 v35, v34, v29
	v_add_f32_e32 v35, 1.0, v35
	v_sub_f32_e32 v34, v19, v34
	v_add_f32_e32 v36, v34, v35
	v_frexp_mant_f32_e32 v37, v29
	s_mov_b32 s52, 0x3f2aaaab
	v_cvt_f64_f32_e32 v[34:35], v29
	v_frexp_exp_i32_f64_e32 v34, v[34:35]
	v_cmp_gt_f32_e64 s[52:53], s52, v37
	s_nop 1
	v_subbrev_co_u32_e64 v42, s[52:53], 0, v34, s[52:53]
	v_sub_u32_e32 v34, 0, v42
	v_ldexp_f32 v29, v29, v34
	v_ldexp_f32 v34, v36, v34
	v_add_f32_e32 v36, -1.0, v29
	v_add_f32_e32 v35, 1.0, v36
	v_sub_f32_e32 v35, v29, v35
	v_add_f32_e32 v37, v34, v35
	v_add_f32_e32 v35, 1.0, v29
	v_add_f32_e32 v38, -1.0, v35
	v_sub_f32_e32 v29, v29, v38
	v_add_f32_e32 v29, v34, v29
	v_add_f32_e32 v43, v35, v29
	v_rcp_f32_e32 v44, v43
	v_sub_f32_e32 v34, v35, v43
	v_add_f32_e32 v35, v36, v37
	v_add_f32_e32 v29, v29, v34
	v_mul_f32_e32 v46, v35, v44
	v_sub_f32_e32 v34, v36, v35
	v_mul_f32_e32 v36, v43, v46
	v_fma_f32 v38, v46, v43, -v36
	v_fmac_f32_e32 v38, v46, v29
	v_add_f32_e32 v45, v37, v34
	v_add_f32_e32 v34, v36, v38
	v_sub_f32_e32 v37, v35, v34
	v_pk_add_f32 v[40:41], v[34:35], v[36:37] neg_lo:[0,1] neg_hi:[0,1]
	v_mov_b32_e32 v39, v34
	v_pk_add_f32 v[34:35], v[40:41], v[38:39] neg_lo:[0,1] neg_hi:[0,1]
	s_mov_b32 s52, 0x3f317218
	v_add_f32_e32 v35, v45, v35
	v_add_f32_e32 v34, v34, v35
	;; [unrolled: 1-line block ×3, first 2 shown]
	v_mul_f32_e32 v45, v44, v35
	v_mul_f32_e32 v36, v43, v45
	v_fma_f32 v38, v45, v43, -v36
	v_fmac_f32_e32 v38, v45, v29
	v_sub_f32_e32 v29, v37, v35
	v_add_f32_e32 v29, v34, v29
	v_add_f32_e32 v34, v36, v38
	v_sub_f32_e32 v37, v35, v34
	v_pk_add_f32 v[40:41], v[34:35], v[36:37] neg_lo:[0,1] neg_hi:[0,1]
	v_mov_b32_e32 v39, v34
	v_pk_add_f32 v[34:35], v[40:41], v[38:39] neg_lo:[0,1] neg_hi:[0,1]
	v_cvt_f32_i32_e32 v36, v42
	v_add_f32_e32 v29, v29, v35
	v_add_f32_e32 v29, v34, v29
	;; [unrolled: 1-line block ×4, first 2 shown]
	v_sub_f32_e32 v35, v34, v46
	v_mul_f32_e32 v29, v44, v29
	v_sub_f32_e32 v35, v45, v35
	v_add_f32_e32 v29, v35, v29
	v_add_f32_e32 v37, v34, v29
	v_mul_f32_e32 v38, v37, v37
	v_mov_b32_e32 v35, 0x3ecc95a3
	v_fmac_f32_e32 v35, 0x3e9b6dac, v38
	v_sub_f32_e32 v34, v37, v34
	v_fmaak_f32 v35, v38, v35, 0x3f2aaada
	v_sub_f32_e32 v29, v29, v34
	v_ldexp_f32 v39, v37, 1
	v_mul_f32_e32 v37, v37, v38
	v_mov_b32_e32 v34, 0x3f317218
	v_pk_mul_f32 v[34:35], v[36:37], v[34:35]
	v_ldexp_f32 v29, v29, 1
	v_fma_f32 v37, v36, s52, -v34
	v_fmamk_f32 v38, v36, 0xb102e308, v37
	v_pk_add_f32 v[36:37], v[34:35], v[38:39]
	v_mov_b32_e32 v40, v34
	v_sub_f32_e32 v39, v37, v39
	v_sub_f32_e32 v39, v35, v39
	v_add_f32_e32 v41, v29, v39
	v_pk_add_f32 v[34:35], v[36:37], v[34:35] neg_lo:[0,1] neg_hi:[0,1]
	v_pk_add_f32 v[42:43], v[36:37], v[40:41]
	v_mov_b32_e32 v39, v36
	v_mov_b32_e32 v35, v43
	v_pk_add_f32 v[44:45], v[38:39], v[34:35] neg_lo:[0,1] neg_hi:[0,1]
	v_pk_add_f32 v[34:35], v[38:39], v[34:35]
	v_mov_b32_e32 v40, v41
	v_pk_add_f32 v[38:39], v[34:35], v[36:37] op_sel:[1,0] op_sel_hi:[0,1] neg_lo:[0,1] neg_hi:[0,1]
	v_pk_add_f32 v[46:47], v[42:43], v[38:39] op_sel_hi:[1,0] neg_lo:[0,1] neg_hi:[0,1]
	v_mov_b32_e32 v42, v43
	v_mov_b32_e32 v43, v35
	v_pk_mov_b32 v[38:39], v[36:37], v[38:39] op_sel:[1,0]
	v_mov_b32_e32 v41, v36
	v_pk_add_f32 v[38:39], v[42:43], v[38:39] neg_lo:[0,1] neg_hi:[0,1]
	v_mov_b32_e32 v46, v44
	v_pk_add_f32 v[36:37], v[40:41], v[38:39] neg_lo:[0,1] neg_hi:[0,1]
	v_mov_b32_e32 v45, v35
	v_pk_add_f32 v[38:39], v[46:47], v[36:37]
	v_cmp_neq_f32_e64 s[52:53], s58, v19
	v_pk_add_f32 v[40:41], v[38:39], v[38:39] op_sel:[0,1] op_sel_hi:[1,0]
	s_nop 0
	v_pk_add_f32 v[34:35], v[34:35], v[40:41] op_sel:[1,0] op_sel_hi:[0,1]
	v_mov_b32_e32 v39, v34
	v_pk_add_f32 v[42:43], v[38:39], v[44:45] neg_lo:[0,1] neg_hi:[0,1]
	v_mov_b32_e32 v37, v40
	v_sub_f32_e32 v29, v38, v42
	v_pk_add_f32 v[36:37], v[36:37], v[42:43] neg_lo:[0,1] neg_hi:[0,1]
	v_sub_f32_e32 v29, v44, v29
	v_add_f32_e32 v29, v36, v29
	v_add_f32_e32 v29, v29, v37
	;; [unrolled: 1-line block ×3, first 2 shown]
	v_cndmask_b32_e64 v29, v30, v29, s[52:53]
	s_mov_b32 s52, 0x33800000
	v_cmp_lt_f32_e64 s[52:53], |v19|, s52
	s_nop 1
	v_cndmask_b32_e64 v19, v29, v19, s[52:53]
	v_add_f32_e32 v35, v18, v19
.LBB143_50:
	s_or_b64 exec, exec, s[54:55]
	v_max_f32_e32 v18, v35, v35
	v_max_f32_e32 v29, v16, v16
	v_min_f32_e32 v19, v18, v29
	v_cmp_u_f32_e64 s[54:55], v35, v35
	v_max_f32_e32 v18, v18, v29
	v_cmp_u_f32_e64 s[52:53], v16, v16
	v_cndmask_b32_e64 v19, v19, v35, s[54:55]
	v_cndmask_b32_e64 v18, v18, v35, s[54:55]
	;; [unrolled: 1-line block ×4, first 2 shown]
	v_cmp_neq_f32_e64 s[54:55], v19, v18
	v_cmp_class_f32_e64 s[58:59], v19, s33
	s_or_b64 s[54:55], s[54:55], s[58:59]
	s_and_saveexec_b64 s[58:59], s[54:55]
	s_cbranch_execz .LBB143_52
; %bb.51:
	v_sub_f32_e32 v19, v19, v18
	s_mov_b32 s33, 0x3fb8aa3b
	v_mul_f32_e32 v30, 0x3fb8aa3b, v19
	v_fma_f32 v34, v19, s33, -v30
	v_rndne_f32_e32 v35, v30
	v_fmamk_f32 v34, v19, 0x32a5705f, v34
	v_sub_f32_e32 v30, v30, v35
	v_add_f32_e32 v30, v30, v34
	v_exp_f32_e32 v30, v30
	v_cvt_i32_f32_e32 v34, v35
	s_mov_b32 s33, 0xc2ce8ed0
	v_cmp_ngt_f32_e64 s[54:55], s33, v19
	s_mov_b32 s33, 0x42b17218
	v_ldexp_f32 v30, v30, v34
	v_cndmask_b32_e64 v30, 0, v30, s[54:55]
	v_mov_b32_e32 v48, 0x7f800000
	v_cmp_nlt_f32_e64 s[54:55], s33, v19
	s_mov_b32 s33, 0x3f2aaaab
	s_mov_b32 s60, 0x7f800000
	v_cndmask_b32_e64 v19, v48, v30, s[54:55]
	v_add_f32_e32 v30, 1.0, v19
	v_add_f32_e32 v34, -1.0, v30
	v_sub_f32_e32 v35, v34, v30
	v_add_f32_e32 v35, 1.0, v35
	v_sub_f32_e32 v34, v19, v34
	v_add_f32_e32 v36, v34, v35
	v_frexp_mant_f32_e32 v37, v30
	v_cvt_f64_f32_e32 v[34:35], v30
	v_frexp_exp_i32_f64_e32 v34, v[34:35]
	v_cmp_gt_f32_e64 s[54:55], s33, v37
	s_mov_b32 s33, 0x3f317218
	s_nop 0
	v_subbrev_co_u32_e64 v42, s[54:55], 0, v34, s[54:55]
	v_sub_u32_e32 v34, 0, v42
	v_ldexp_f32 v30, v30, v34
	v_ldexp_f32 v34, v36, v34
	v_add_f32_e32 v36, -1.0, v30
	v_add_f32_e32 v35, 1.0, v36
	v_sub_f32_e32 v35, v30, v35
	v_add_f32_e32 v37, v34, v35
	v_add_f32_e32 v35, 1.0, v30
	v_add_f32_e32 v38, -1.0, v35
	v_sub_f32_e32 v30, v30, v38
	v_add_f32_e32 v30, v34, v30
	v_add_f32_e32 v43, v35, v30
	v_rcp_f32_e32 v44, v43
	v_sub_f32_e32 v34, v35, v43
	v_add_f32_e32 v35, v36, v37
	v_add_f32_e32 v30, v30, v34
	v_mul_f32_e32 v46, v35, v44
	v_sub_f32_e32 v34, v36, v35
	v_mul_f32_e32 v36, v43, v46
	v_fma_f32 v38, v46, v43, -v36
	v_fmac_f32_e32 v38, v46, v30
	v_add_f32_e32 v45, v37, v34
	v_add_f32_e32 v34, v36, v38
	v_sub_f32_e32 v37, v35, v34
	v_pk_add_f32 v[40:41], v[34:35], v[36:37] neg_lo:[0,1] neg_hi:[0,1]
	v_mov_b32_e32 v39, v34
	v_pk_add_f32 v[34:35], v[40:41], v[38:39] neg_lo:[0,1] neg_hi:[0,1]
	v_cmp_neq_f32_e64 s[54:55], s60, v19
	v_add_f32_e32 v35, v45, v35
	v_add_f32_e32 v34, v34, v35
	;; [unrolled: 1-line block ×3, first 2 shown]
	v_mul_f32_e32 v45, v44, v35
	v_mul_f32_e32 v36, v43, v45
	v_fma_f32 v38, v45, v43, -v36
	v_fmac_f32_e32 v38, v45, v30
	v_sub_f32_e32 v30, v37, v35
	v_add_f32_e32 v30, v34, v30
	v_add_f32_e32 v34, v36, v38
	v_sub_f32_e32 v37, v35, v34
	v_pk_add_f32 v[40:41], v[34:35], v[36:37] neg_lo:[0,1] neg_hi:[0,1]
	v_mov_b32_e32 v39, v34
	v_pk_add_f32 v[34:35], v[40:41], v[38:39] neg_lo:[0,1] neg_hi:[0,1]
	v_cvt_f32_i32_e32 v36, v42
	v_add_f32_e32 v30, v30, v35
	v_add_f32_e32 v30, v34, v30
	;; [unrolled: 1-line block ×4, first 2 shown]
	v_sub_f32_e32 v35, v34, v46
	v_mul_f32_e32 v30, v44, v30
	v_sub_f32_e32 v35, v45, v35
	v_add_f32_e32 v30, v35, v30
	v_add_f32_e32 v37, v34, v30
	v_mul_f32_e32 v38, v37, v37
	v_mov_b32_e32 v35, 0x3ecc95a3
	v_fmac_f32_e32 v35, 0x3e9b6dac, v38
	v_sub_f32_e32 v34, v37, v34
	v_fmaak_f32 v35, v38, v35, 0x3f2aaada
	v_sub_f32_e32 v30, v30, v34
	v_ldexp_f32 v39, v37, 1
	v_mul_f32_e32 v37, v37, v38
	v_mov_b32_e32 v34, 0x3f317218
	v_pk_mul_f32 v[34:35], v[36:37], v[34:35]
	v_ldexp_f32 v30, v30, 1
	v_fma_f32 v37, v36, s33, -v34
	v_fmamk_f32 v38, v36, 0xb102e308, v37
	v_pk_add_f32 v[36:37], v[34:35], v[38:39]
	v_mov_b32_e32 v40, v34
	v_sub_f32_e32 v39, v37, v39
	v_sub_f32_e32 v39, v35, v39
	v_add_f32_e32 v41, v30, v39
	v_pk_add_f32 v[34:35], v[36:37], v[34:35] neg_lo:[0,1] neg_hi:[0,1]
	v_pk_add_f32 v[42:43], v[36:37], v[40:41]
	v_mov_b32_e32 v39, v36
	v_mov_b32_e32 v35, v43
	v_pk_add_f32 v[44:45], v[38:39], v[34:35] neg_lo:[0,1] neg_hi:[0,1]
	v_pk_add_f32 v[34:35], v[38:39], v[34:35]
	v_mov_b32_e32 v40, v41
	v_pk_add_f32 v[38:39], v[34:35], v[36:37] op_sel:[1,0] op_sel_hi:[0,1] neg_lo:[0,1] neg_hi:[0,1]
	v_pk_add_f32 v[46:47], v[42:43], v[38:39] op_sel_hi:[1,0] neg_lo:[0,1] neg_hi:[0,1]
	v_mov_b32_e32 v42, v43
	v_mov_b32_e32 v43, v35
	v_pk_mov_b32 v[38:39], v[36:37], v[38:39] op_sel:[1,0]
	v_mov_b32_e32 v41, v36
	v_pk_add_f32 v[38:39], v[42:43], v[38:39] neg_lo:[0,1] neg_hi:[0,1]
	v_mov_b32_e32 v46, v44
	v_pk_add_f32 v[36:37], v[40:41], v[38:39] neg_lo:[0,1] neg_hi:[0,1]
	v_mov_b32_e32 v45, v35
	v_pk_add_f32 v[38:39], v[46:47], v[36:37]
	s_mov_b32 s33, 0x33800000
	v_pk_add_f32 v[40:41], v[38:39], v[38:39] op_sel:[0,1] op_sel_hi:[1,0]
	s_nop 0
	v_pk_add_f32 v[34:35], v[34:35], v[40:41] op_sel:[1,0] op_sel_hi:[0,1]
	v_mov_b32_e32 v39, v34
	v_pk_add_f32 v[42:43], v[38:39], v[44:45] neg_lo:[0,1] neg_hi:[0,1]
	v_mov_b32_e32 v37, v40
	v_sub_f32_e32 v30, v38, v42
	v_pk_add_f32 v[36:37], v[36:37], v[42:43] neg_lo:[0,1] neg_hi:[0,1]
	v_sub_f32_e32 v30, v44, v30
	v_add_f32_e32 v30, v36, v30
	v_add_f32_e32 v30, v30, v37
	;; [unrolled: 1-line block ×3, first 2 shown]
	v_cndmask_b32_e64 v30, v48, v30, s[54:55]
	v_cmp_lt_f32_e64 s[54:55], |v19|, s33
	s_nop 1
	v_cndmask_b32_e64 v19, v30, v19, s[54:55]
	v_add_f32_e32 v35, v18, v19
.LBB143_52:
	s_or_b64 exec, exec, s[58:59]
	v_max_f32_e32 v18, v35, v35
	v_max_f32_e32 v30, v17, v17
	v_min_f32_e32 v19, v18, v30
	v_cmp_u_f32_e64 s[58:59], v35, v35
	v_max_f32_e32 v18, v18, v30
	v_cmp_u_f32_e64 s[54:55], v17, v17
	v_cndmask_b32_e64 v19, v19, v35, s[58:59]
	v_cndmask_b32_e64 v18, v18, v35, s[58:59]
	v_cndmask_b32_e64 v19, v19, v17, s[54:55]
	v_cndmask_b32_e64 v18, v18, v17, s[54:55]
	s_movk_i32 s33, 0x1f8
	v_cmp_neq_f32_e64 s[58:59], v19, v18
	v_cmp_class_f32_e64 s[60:61], v19, s33
	s_or_b64 s[58:59], s[58:59], s[60:61]
	s_and_saveexec_b64 s[60:61], s[58:59]
	s_cbranch_execz .LBB143_54
; %bb.53:
	v_sub_f32_e32 v19, v19, v18
	s_mov_b32 s33, 0x3fb8aa3b
	v_mul_f32_e32 v34, 0x3fb8aa3b, v19
	v_fma_f32 v35, v19, s33, -v34
	v_rndne_f32_e32 v36, v34
	v_fmamk_f32 v35, v19, 0x32a5705f, v35
	v_sub_f32_e32 v34, v34, v36
	v_add_f32_e32 v34, v34, v35
	v_exp_f32_e32 v34, v34
	v_cvt_i32_f32_e32 v35, v36
	s_mov_b32 s33, 0xc2ce8ed0
	v_cmp_ngt_f32_e64 s[58:59], s33, v19
	s_mov_b32 s33, 0x42b17218
	v_ldexp_f32 v34, v34, v35
	v_cndmask_b32_e64 v34, 0, v34, s[58:59]
	v_mov_b32_e32 v48, 0x7f800000
	v_cmp_nlt_f32_e64 s[58:59], s33, v19
	s_mov_b32 s33, 0x3f2aaaab
	s_mov_b32 s62, 0x7f800000
	v_cndmask_b32_e64 v19, v48, v34, s[58:59]
	v_add_f32_e32 v36, 1.0, v19
	v_add_f32_e32 v34, -1.0, v36
	v_sub_f32_e32 v35, v34, v36
	v_add_f32_e32 v35, 1.0, v35
	v_sub_f32_e32 v34, v19, v34
	v_add_f32_e32 v37, v34, v35
	v_frexp_mant_f32_e32 v38, v36
	v_cvt_f64_f32_e32 v[34:35], v36
	v_frexp_exp_i32_f64_e32 v34, v[34:35]
	v_cmp_gt_f32_e64 s[58:59], s33, v38
	s_mov_b32 s33, 0x3f317218
	s_nop 0
	v_subbrev_co_u32_e64 v42, s[58:59], 0, v34, s[58:59]
	v_sub_u32_e32 v34, 0, v42
	v_ldexp_f32 v35, v36, v34
	v_add_f32_e32 v36, -1.0, v35
	v_add_f32_e32 v38, 1.0, v35
	v_ldexp_f32 v34, v37, v34
	v_add_f32_e32 v37, 1.0, v36
	v_add_f32_e32 v39, -1.0, v38
	v_sub_f32_e32 v37, v35, v37
	v_sub_f32_e32 v35, v35, v39
	v_add_f32_e32 v37, v34, v37
	v_add_f32_e32 v34, v34, v35
	;; [unrolled: 1-line block ×3, first 2 shown]
	v_rcp_f32_e32 v45, v43
	v_sub_f32_e32 v35, v38, v43
	v_add_f32_e32 v44, v34, v35
	v_add_f32_e32 v35, v36, v37
	v_mul_f32_e32 v47, v35, v45
	v_sub_f32_e32 v34, v36, v35
	v_mul_f32_e32 v36, v43, v47
	v_fma_f32 v38, v47, v43, -v36
	v_fmac_f32_e32 v38, v47, v44
	v_add_f32_e32 v46, v37, v34
	v_add_f32_e32 v34, v36, v38
	v_sub_f32_e32 v37, v35, v34
	v_pk_add_f32 v[40:41], v[34:35], v[36:37] neg_lo:[0,1] neg_hi:[0,1]
	v_mov_b32_e32 v39, v34
	v_pk_add_f32 v[34:35], v[40:41], v[38:39] neg_lo:[0,1] neg_hi:[0,1]
	v_cmp_neq_f32_e64 s[58:59], s62, v19
	v_add_f32_e32 v35, v46, v35
	v_add_f32_e32 v34, v34, v35
	;; [unrolled: 1-line block ×3, first 2 shown]
	v_mul_f32_e32 v46, v45, v35
	v_mul_f32_e32 v36, v43, v46
	v_fma_f32 v38, v46, v43, -v36
	v_fmac_f32_e32 v38, v46, v44
	v_sub_f32_e32 v37, v37, v35
	v_add_f32_e32 v43, v34, v37
	v_add_f32_e32 v34, v36, v38
	v_sub_f32_e32 v37, v35, v34
	v_pk_add_f32 v[40:41], v[34:35], v[36:37] neg_lo:[0,1] neg_hi:[0,1]
	v_mov_b32_e32 v39, v34
	v_pk_add_f32 v[34:35], v[40:41], v[38:39] neg_lo:[0,1] neg_hi:[0,1]
	v_cvt_f32_i32_e32 v36, v42
	v_add_f32_e32 v35, v43, v35
	v_add_f32_e32 v34, v34, v35
	;; [unrolled: 1-line block ×4, first 2 shown]
	v_sub_f32_e32 v35, v37, v47
	v_mul_f32_e32 v34, v45, v34
	v_sub_f32_e32 v35, v46, v35
	v_add_f32_e32 v34, v35, v34
	v_add_f32_e32 v38, v37, v34
	v_mul_f32_e32 v40, v38, v38
	v_mov_b32_e32 v35, 0x3ecc95a3
	v_sub_f32_e32 v37, v38, v37
	v_fmac_f32_e32 v35, 0x3e9b6dac, v40
	v_sub_f32_e32 v34, v34, v37
	v_fmaak_f32 v35, v40, v35, 0x3f2aaada
	v_ldexp_f32 v41, v34, 1
	v_mul_f32_e32 v37, v38, v40
	v_mov_b32_e32 v34, 0x3f317218
	v_pk_mul_f32 v[34:35], v[36:37], v[34:35]
	v_ldexp_f32 v39, v38, 1
	v_fma_f32 v37, v36, s33, -v34
	v_fmamk_f32 v38, v36, 0xb102e308, v37
	v_pk_add_f32 v[36:37], v[34:35], v[38:39]
	v_mov_b32_e32 v40, v34
	v_sub_f32_e32 v39, v37, v39
	v_sub_f32_e32 v39, v35, v39
	v_add_f32_e32 v41, v41, v39
	v_pk_add_f32 v[34:35], v[36:37], v[34:35] neg_lo:[0,1] neg_hi:[0,1]
	v_pk_add_f32 v[42:43], v[36:37], v[40:41]
	v_mov_b32_e32 v39, v36
	v_mov_b32_e32 v35, v43
	v_pk_add_f32 v[44:45], v[38:39], v[34:35] neg_lo:[0,1] neg_hi:[0,1]
	v_pk_add_f32 v[34:35], v[38:39], v[34:35]
	v_mov_b32_e32 v40, v41
	v_pk_add_f32 v[38:39], v[34:35], v[36:37] op_sel:[1,0] op_sel_hi:[0,1] neg_lo:[0,1] neg_hi:[0,1]
	v_pk_add_f32 v[46:47], v[42:43], v[38:39] op_sel_hi:[1,0] neg_lo:[0,1] neg_hi:[0,1]
	v_mov_b32_e32 v42, v43
	v_mov_b32_e32 v43, v35
	v_pk_mov_b32 v[38:39], v[36:37], v[38:39] op_sel:[1,0]
	v_mov_b32_e32 v41, v36
	v_pk_add_f32 v[38:39], v[42:43], v[38:39] neg_lo:[0,1] neg_hi:[0,1]
	v_mov_b32_e32 v46, v44
	v_pk_add_f32 v[36:37], v[40:41], v[38:39] neg_lo:[0,1] neg_hi:[0,1]
	v_mov_b32_e32 v45, v35
	v_pk_add_f32 v[38:39], v[46:47], v[36:37]
	s_mov_b32 s33, 0x33800000
	v_pk_add_f32 v[40:41], v[38:39], v[38:39] op_sel:[0,1] op_sel_hi:[1,0]
	s_nop 0
	v_pk_add_f32 v[34:35], v[34:35], v[40:41] op_sel:[1,0] op_sel_hi:[0,1]
	v_mov_b32_e32 v39, v34
	v_pk_add_f32 v[42:43], v[38:39], v[44:45] neg_lo:[0,1] neg_hi:[0,1]
	v_mov_b32_e32 v37, v40
	v_sub_f32_e32 v35, v38, v42
	v_pk_add_f32 v[36:37], v[36:37], v[42:43] neg_lo:[0,1] neg_hi:[0,1]
	v_sub_f32_e32 v35, v44, v35
	v_add_f32_e32 v35, v36, v35
	v_add_f32_e32 v35, v35, v37
	;; [unrolled: 1-line block ×3, first 2 shown]
	v_cndmask_b32_e64 v34, v48, v34, s[58:59]
	v_cmp_lt_f32_e64 s[58:59], |v19|, s33
	s_nop 1
	v_cndmask_b32_e64 v19, v34, v19, s[58:59]
	v_add_f32_e32 v35, v18, v19
.LBB143_54:
	s_or_b64 exec, exec, s[60:61]
	v_lshrrev_b32_e32 v18, 3, v0
	v_and_b32_e32 v18, 28, v18
	v_lshl_add_u32 v18, v0, 2, v18
	v_cmp_gt_u32_e64 s[58:59], 64, v0
	ds_write_b32 v18, v35
	s_waitcnt lgkmcnt(0)
	s_barrier
	s_and_saveexec_b64 s[64:65], s[58:59]
	s_cbranch_execz .LBB143_94
; %bb.55:
	v_lshrrev_b32_e32 v18, 1, v0
	v_and_b32_e32 v18, 0x7c, v18
	v_lshlrev_b32_e32 v19, 4, v0
	v_add_u32_e32 v34, v18, v19
	ds_read2_b32 v[18:19], v34 offset1:1
	s_movk_i32 s33, 0x1f8
	s_waitcnt lgkmcnt(0)
	v_max_f32_e32 v38, v19, v19
	v_max_f32_e32 v36, v18, v18
	v_min_f32_e32 v37, v36, v38
	v_cmp_u_f32_e64 s[58:59], v18, v18
	v_max_f32_e32 v38, v36, v38
	v_cmp_u_f32_e64 s[60:61], v19, v19
	v_cndmask_b32_e64 v37, v37, v18, s[58:59]
	v_cndmask_b32_e64 v38, v38, v18, s[58:59]
	;; [unrolled: 1-line block ×4, first 2 shown]
	v_cmp_neq_f32_e64 s[60:61], v37, v19
	v_cmp_class_f32_e64 s[62:63], v37, s33
	s_or_b64 s[60:61], s[60:61], s[62:63]
	v_mov_b32_e32 v38, v18
	s_and_saveexec_b64 s[62:63], s[60:61]
	s_cbranch_execz .LBB143_57
; %bb.56:
	v_sub_f32_e32 v37, v37, v19
	s_mov_b32 s60, 0x3fb8aa3b
	v_mul_f32_e32 v38, 0x3fb8aa3b, v37
	v_fma_f32 v39, v37, s60, -v38
	v_rndne_f32_e32 v40, v38
	v_fmamk_f32 v39, v37, 0x32a5705f, v39
	v_sub_f32_e32 v38, v38, v40
	v_add_f32_e32 v38, v38, v39
	v_exp_f32_e32 v38, v38
	v_cvt_i32_f32_e32 v39, v40
	s_mov_b32 s60, 0xc2ce8ed0
	v_cmp_ngt_f32_e64 s[60:61], s60, v37
	v_mov_b32_e32 v52, 0x7f800000
	v_ldexp_f32 v38, v38, v39
	v_cndmask_b32_e64 v38, 0, v38, s[60:61]
	s_mov_b32 s60, 0x42b17218
	v_cmp_nlt_f32_e64 s[60:61], s60, v37
	s_mov_b32 s66, 0x7f800000
	s_nop 0
	v_cndmask_b32_e64 v37, v52, v38, s[60:61]
	v_add_f32_e32 v40, 1.0, v37
	v_add_f32_e32 v38, -1.0, v40
	v_sub_f32_e32 v39, v38, v40
	v_add_f32_e32 v39, 1.0, v39
	v_sub_f32_e32 v38, v37, v38
	v_add_f32_e32 v41, v38, v39
	v_frexp_mant_f32_e32 v42, v40
	s_mov_b32 s60, 0x3f2aaaab
	v_cvt_f64_f32_e32 v[38:39], v40
	v_frexp_exp_i32_f64_e32 v38, v[38:39]
	v_cmp_gt_f32_e64 s[60:61], s60, v42
	s_nop 1
	v_subbrev_co_u32_e64 v46, s[60:61], 0, v38, s[60:61]
	v_sub_u32_e32 v38, 0, v46
	v_ldexp_f32 v39, v40, v38
	v_add_f32_e32 v40, -1.0, v39
	v_add_f32_e32 v42, 1.0, v39
	v_ldexp_f32 v38, v41, v38
	v_add_f32_e32 v41, 1.0, v40
	v_add_f32_e32 v43, -1.0, v42
	v_sub_f32_e32 v41, v39, v41
	v_sub_f32_e32 v39, v39, v43
	v_add_f32_e32 v41, v38, v41
	v_add_f32_e32 v38, v38, v39
	;; [unrolled: 1-line block ×3, first 2 shown]
	v_rcp_f32_e32 v49, v47
	v_sub_f32_e32 v39, v42, v47
	v_add_f32_e32 v48, v38, v39
	v_add_f32_e32 v39, v40, v41
	v_mul_f32_e32 v51, v39, v49
	v_sub_f32_e32 v38, v40, v39
	v_mul_f32_e32 v40, v47, v51
	v_fma_f32 v42, v51, v47, -v40
	v_fmac_f32_e32 v42, v51, v48
	v_add_f32_e32 v50, v41, v38
	v_add_f32_e32 v38, v40, v42
	v_sub_f32_e32 v41, v39, v38
	v_pk_add_f32 v[44:45], v[38:39], v[40:41] neg_lo:[0,1] neg_hi:[0,1]
	v_mov_b32_e32 v43, v38
	v_pk_add_f32 v[38:39], v[44:45], v[42:43] neg_lo:[0,1] neg_hi:[0,1]
	s_mov_b32 s60, 0x3f317218
	v_add_f32_e32 v39, v50, v39
	v_add_f32_e32 v38, v38, v39
	;; [unrolled: 1-line block ×3, first 2 shown]
	v_mul_f32_e32 v50, v49, v39
	v_mul_f32_e32 v40, v47, v50
	v_fma_f32 v42, v50, v47, -v40
	v_fmac_f32_e32 v42, v50, v48
	v_sub_f32_e32 v41, v41, v39
	v_add_f32_e32 v47, v38, v41
	v_add_f32_e32 v38, v40, v42
	v_sub_f32_e32 v41, v39, v38
	v_pk_add_f32 v[44:45], v[38:39], v[40:41] neg_lo:[0,1] neg_hi:[0,1]
	v_mov_b32_e32 v43, v38
	v_pk_add_f32 v[38:39], v[44:45], v[42:43] neg_lo:[0,1] neg_hi:[0,1]
	v_cvt_f32_i32_e32 v40, v46
	v_add_f32_e32 v39, v47, v39
	v_add_f32_e32 v38, v38, v39
	;; [unrolled: 1-line block ×4, first 2 shown]
	v_sub_f32_e32 v39, v41, v51
	v_mul_f32_e32 v38, v49, v38
	v_sub_f32_e32 v39, v50, v39
	v_add_f32_e32 v38, v39, v38
	v_add_f32_e32 v42, v41, v38
	v_mul_f32_e32 v44, v42, v42
	v_mov_b32_e32 v39, 0x3ecc95a3
	v_sub_f32_e32 v41, v42, v41
	v_fmac_f32_e32 v39, 0x3e9b6dac, v44
	v_sub_f32_e32 v38, v38, v41
	v_fmaak_f32 v39, v44, v39, 0x3f2aaada
	v_ldexp_f32 v45, v38, 1
	v_mul_f32_e32 v41, v42, v44
	v_mov_b32_e32 v38, 0x3f317218
	v_pk_mul_f32 v[38:39], v[40:41], v[38:39]
	v_ldexp_f32 v43, v42, 1
	v_fma_f32 v41, v40, s60, -v38
	v_fmamk_f32 v42, v40, 0xb102e308, v41
	v_pk_add_f32 v[40:41], v[38:39], v[42:43]
	v_mov_b32_e32 v44, v38
	v_sub_f32_e32 v43, v41, v43
	v_sub_f32_e32 v43, v39, v43
	v_add_f32_e32 v45, v45, v43
	v_pk_add_f32 v[38:39], v[40:41], v[38:39] neg_lo:[0,1] neg_hi:[0,1]
	v_pk_add_f32 v[46:47], v[40:41], v[44:45]
	v_mov_b32_e32 v43, v40
	v_mov_b32_e32 v39, v47
	v_pk_add_f32 v[48:49], v[42:43], v[38:39] neg_lo:[0,1] neg_hi:[0,1]
	v_pk_add_f32 v[38:39], v[42:43], v[38:39]
	v_mov_b32_e32 v44, v45
	v_pk_add_f32 v[42:43], v[38:39], v[40:41] op_sel:[1,0] op_sel_hi:[0,1] neg_lo:[0,1] neg_hi:[0,1]
	v_pk_add_f32 v[50:51], v[46:47], v[42:43] op_sel_hi:[1,0] neg_lo:[0,1] neg_hi:[0,1]
	v_mov_b32_e32 v46, v47
	v_mov_b32_e32 v47, v39
	v_pk_mov_b32 v[42:43], v[40:41], v[42:43] op_sel:[1,0]
	v_mov_b32_e32 v45, v40
	v_pk_add_f32 v[42:43], v[46:47], v[42:43] neg_lo:[0,1] neg_hi:[0,1]
	v_mov_b32_e32 v50, v48
	v_pk_add_f32 v[40:41], v[44:45], v[42:43] neg_lo:[0,1] neg_hi:[0,1]
	v_mov_b32_e32 v49, v39
	v_pk_add_f32 v[42:43], v[50:51], v[40:41]
	v_cmp_neq_f32_e64 s[60:61], s66, v37
	v_pk_add_f32 v[44:45], v[42:43], v[42:43] op_sel:[0,1] op_sel_hi:[1,0]
	s_nop 0
	v_pk_add_f32 v[38:39], v[38:39], v[44:45] op_sel:[1,0] op_sel_hi:[0,1]
	v_mov_b32_e32 v43, v38
	v_pk_add_f32 v[46:47], v[42:43], v[48:49] neg_lo:[0,1] neg_hi:[0,1]
	v_mov_b32_e32 v41, v44
	v_sub_f32_e32 v39, v42, v46
	v_pk_add_f32 v[40:41], v[40:41], v[46:47] neg_lo:[0,1] neg_hi:[0,1]
	v_sub_f32_e32 v39, v48, v39
	v_add_f32_e32 v39, v40, v39
	v_add_f32_e32 v39, v39, v41
	;; [unrolled: 1-line block ×3, first 2 shown]
	v_cndmask_b32_e64 v38, v52, v38, s[60:61]
	s_mov_b32 s60, 0x33800000
	v_cmp_lt_f32_e64 s[60:61], |v37|, s60
	s_nop 1
	v_cndmask_b32_e64 v37, v38, v37, s[60:61]
	v_add_f32_e32 v38, v19, v37
.LBB143_57:
	s_or_b64 exec, exec, s[62:63]
	ds_read_b32 v19, v34 offset:8
	v_max_f32_e32 v37, v38, v38
	v_cmp_u_f32_e64 s[60:61], v38, v38
	s_waitcnt lgkmcnt(0)
	v_max_f32_e32 v39, v19, v19
	v_min_f32_e32 v40, v37, v39
	v_max_f32_e32 v39, v37, v39
	v_cndmask_b32_e64 v37, v40, v38, s[60:61]
	v_cmp_u_f32_e64 s[62:63], v19, v19
	v_cndmask_b32_e64 v39, v39, v38, s[60:61]
	s_nop 0
	v_cndmask_b32_e64 v37, v37, v19, s[62:63]
	v_cndmask_b32_e64 v19, v39, v19, s[62:63]
	v_cmp_neq_f32_e64 s[60:61], v37, v19
	v_cmp_class_f32_e64 s[62:63], v37, s33
	s_or_b64 s[60:61], s[60:61], s[62:63]
	s_and_saveexec_b64 s[62:63], s[60:61]
	s_cbranch_execz .LBB143_59
; %bb.58:
	v_sub_f32_e32 v37, v37, v19
	s_mov_b32 s33, 0x3fb8aa3b
	v_mul_f32_e32 v38, 0x3fb8aa3b, v37
	v_fma_f32 v39, v37, s33, -v38
	v_rndne_f32_e32 v40, v38
	v_fmamk_f32 v39, v37, 0x32a5705f, v39
	v_sub_f32_e32 v38, v38, v40
	v_add_f32_e32 v38, v38, v39
	v_exp_f32_e32 v38, v38
	v_cvt_i32_f32_e32 v39, v40
	s_mov_b32 s33, 0xc2ce8ed0
	v_cmp_ngt_f32_e64 s[60:61], s33, v37
	s_mov_b32 s33, 0x42b17218
	v_ldexp_f32 v38, v38, v39
	v_cndmask_b32_e64 v38, 0, v38, s[60:61]
	v_mov_b32_e32 v52, 0x7f800000
	v_cmp_nlt_f32_e64 s[60:61], s33, v37
	s_mov_b32 s33, 0x3f2aaaab
	s_mov_b32 s66, 0x7f800000
	v_cndmask_b32_e64 v37, v52, v38, s[60:61]
	v_add_f32_e32 v40, 1.0, v37
	v_add_f32_e32 v38, -1.0, v40
	v_sub_f32_e32 v39, v38, v40
	v_add_f32_e32 v39, 1.0, v39
	v_sub_f32_e32 v38, v37, v38
	v_add_f32_e32 v41, v38, v39
	v_frexp_mant_f32_e32 v42, v40
	v_cvt_f64_f32_e32 v[38:39], v40
	v_frexp_exp_i32_f64_e32 v38, v[38:39]
	v_cmp_gt_f32_e64 s[60:61], s33, v42
	s_mov_b32 s33, 0x3f317218
	s_nop 0
	v_subbrev_co_u32_e64 v46, s[60:61], 0, v38, s[60:61]
	v_sub_u32_e32 v38, 0, v46
	v_ldexp_f32 v39, v40, v38
	v_add_f32_e32 v40, -1.0, v39
	v_add_f32_e32 v42, 1.0, v39
	v_ldexp_f32 v38, v41, v38
	v_add_f32_e32 v41, 1.0, v40
	v_add_f32_e32 v43, -1.0, v42
	v_sub_f32_e32 v41, v39, v41
	v_sub_f32_e32 v39, v39, v43
	v_add_f32_e32 v41, v38, v41
	v_add_f32_e32 v38, v38, v39
	;; [unrolled: 1-line block ×3, first 2 shown]
	v_rcp_f32_e32 v49, v47
	v_sub_f32_e32 v39, v42, v47
	v_add_f32_e32 v48, v38, v39
	v_add_f32_e32 v39, v40, v41
	v_mul_f32_e32 v51, v39, v49
	v_sub_f32_e32 v38, v40, v39
	v_mul_f32_e32 v40, v47, v51
	v_fma_f32 v42, v51, v47, -v40
	v_fmac_f32_e32 v42, v51, v48
	v_add_f32_e32 v50, v41, v38
	v_add_f32_e32 v38, v40, v42
	v_sub_f32_e32 v41, v39, v38
	v_pk_add_f32 v[44:45], v[38:39], v[40:41] neg_lo:[0,1] neg_hi:[0,1]
	v_mov_b32_e32 v43, v38
	v_pk_add_f32 v[38:39], v[44:45], v[42:43] neg_lo:[0,1] neg_hi:[0,1]
	v_cmp_neq_f32_e64 s[60:61], s66, v37
	v_add_f32_e32 v39, v50, v39
	v_add_f32_e32 v38, v38, v39
	v_add_f32_e32 v39, v41, v38
	v_mul_f32_e32 v50, v49, v39
	v_mul_f32_e32 v40, v47, v50
	v_fma_f32 v42, v50, v47, -v40
	v_fmac_f32_e32 v42, v50, v48
	v_sub_f32_e32 v41, v41, v39
	v_add_f32_e32 v47, v38, v41
	v_add_f32_e32 v38, v40, v42
	v_sub_f32_e32 v41, v39, v38
	v_pk_add_f32 v[44:45], v[38:39], v[40:41] neg_lo:[0,1] neg_hi:[0,1]
	v_mov_b32_e32 v43, v38
	v_pk_add_f32 v[38:39], v[44:45], v[42:43] neg_lo:[0,1] neg_hi:[0,1]
	v_cvt_f32_i32_e32 v40, v46
	v_add_f32_e32 v39, v47, v39
	v_add_f32_e32 v38, v38, v39
	;; [unrolled: 1-line block ×4, first 2 shown]
	v_sub_f32_e32 v39, v41, v51
	v_mul_f32_e32 v38, v49, v38
	v_sub_f32_e32 v39, v50, v39
	v_add_f32_e32 v38, v39, v38
	v_add_f32_e32 v42, v41, v38
	v_mul_f32_e32 v44, v42, v42
	v_mov_b32_e32 v39, 0x3ecc95a3
	v_sub_f32_e32 v41, v42, v41
	v_fmac_f32_e32 v39, 0x3e9b6dac, v44
	v_sub_f32_e32 v38, v38, v41
	v_fmaak_f32 v39, v44, v39, 0x3f2aaada
	v_ldexp_f32 v45, v38, 1
	v_mul_f32_e32 v41, v42, v44
	v_mov_b32_e32 v38, 0x3f317218
	v_pk_mul_f32 v[38:39], v[40:41], v[38:39]
	v_ldexp_f32 v43, v42, 1
	v_fma_f32 v41, v40, s33, -v38
	v_fmamk_f32 v42, v40, 0xb102e308, v41
	v_pk_add_f32 v[40:41], v[38:39], v[42:43]
	v_mov_b32_e32 v44, v38
	v_sub_f32_e32 v43, v41, v43
	v_sub_f32_e32 v43, v39, v43
	v_add_f32_e32 v45, v45, v43
	v_pk_add_f32 v[38:39], v[40:41], v[38:39] neg_lo:[0,1] neg_hi:[0,1]
	v_pk_add_f32 v[46:47], v[40:41], v[44:45]
	v_mov_b32_e32 v43, v40
	v_mov_b32_e32 v39, v47
	v_pk_add_f32 v[48:49], v[42:43], v[38:39] neg_lo:[0,1] neg_hi:[0,1]
	v_pk_add_f32 v[38:39], v[42:43], v[38:39]
	v_mov_b32_e32 v44, v45
	v_pk_add_f32 v[42:43], v[38:39], v[40:41] op_sel:[1,0] op_sel_hi:[0,1] neg_lo:[0,1] neg_hi:[0,1]
	v_pk_add_f32 v[50:51], v[46:47], v[42:43] op_sel_hi:[1,0] neg_lo:[0,1] neg_hi:[0,1]
	v_mov_b32_e32 v46, v47
	v_mov_b32_e32 v47, v39
	v_pk_mov_b32 v[42:43], v[40:41], v[42:43] op_sel:[1,0]
	v_mov_b32_e32 v45, v40
	v_pk_add_f32 v[42:43], v[46:47], v[42:43] neg_lo:[0,1] neg_hi:[0,1]
	v_mov_b32_e32 v50, v48
	v_pk_add_f32 v[40:41], v[44:45], v[42:43] neg_lo:[0,1] neg_hi:[0,1]
	v_mov_b32_e32 v49, v39
	v_pk_add_f32 v[42:43], v[50:51], v[40:41]
	s_mov_b32 s33, 0x33800000
	v_pk_add_f32 v[44:45], v[42:43], v[42:43] op_sel:[0,1] op_sel_hi:[1,0]
	s_nop 0
	v_pk_add_f32 v[38:39], v[38:39], v[44:45] op_sel:[1,0] op_sel_hi:[0,1]
	v_mov_b32_e32 v43, v38
	v_pk_add_f32 v[46:47], v[42:43], v[48:49] neg_lo:[0,1] neg_hi:[0,1]
	v_mov_b32_e32 v41, v44
	v_sub_f32_e32 v39, v42, v46
	v_pk_add_f32 v[40:41], v[40:41], v[46:47] neg_lo:[0,1] neg_hi:[0,1]
	v_sub_f32_e32 v39, v48, v39
	v_add_f32_e32 v39, v40, v39
	v_add_f32_e32 v39, v39, v41
	;; [unrolled: 1-line block ×3, first 2 shown]
	v_cndmask_b32_e64 v38, v52, v38, s[60:61]
	v_cmp_lt_f32_e64 s[60:61], |v37|, s33
	s_nop 1
	v_cndmask_b32_e64 v37, v38, v37, s[60:61]
	v_add_f32_e32 v38, v19, v37
.LBB143_59:
	s_or_b64 exec, exec, s[62:63]
	ds_read_b32 v19, v34 offset:12
	v_max_f32_e32 v37, v38, v38
	v_cmp_u_f32_e64 s[60:61], v38, v38
	s_movk_i32 s33, 0x1f8
	s_waitcnt lgkmcnt(0)
	v_max_f32_e32 v39, v19, v19
	v_min_f32_e32 v40, v37, v39
	v_max_f32_e32 v39, v37, v39
	v_cndmask_b32_e64 v37, v40, v38, s[60:61]
	v_cmp_u_f32_e64 s[62:63], v19, v19
	v_cndmask_b32_e64 v39, v39, v38, s[60:61]
	s_nop 0
	v_cndmask_b32_e64 v37, v37, v19, s[62:63]
	v_cndmask_b32_e64 v19, v39, v19, s[62:63]
	v_cmp_neq_f32_e64 s[60:61], v37, v19
	v_cmp_class_f32_e64 s[62:63], v37, s33
	s_or_b64 s[60:61], s[60:61], s[62:63]
	s_and_saveexec_b64 s[62:63], s[60:61]
	s_cbranch_execz .LBB143_61
; %bb.60:
	v_sub_f32_e32 v37, v37, v19
	s_mov_b32 s33, 0x3fb8aa3b
	v_mul_f32_e32 v38, 0x3fb8aa3b, v37
	v_fma_f32 v39, v37, s33, -v38
	v_rndne_f32_e32 v40, v38
	v_fmamk_f32 v39, v37, 0x32a5705f, v39
	v_sub_f32_e32 v38, v38, v40
	v_add_f32_e32 v38, v38, v39
	v_exp_f32_e32 v38, v38
	v_cvt_i32_f32_e32 v39, v40
	s_mov_b32 s33, 0xc2ce8ed0
	v_cmp_ngt_f32_e64 s[60:61], s33, v37
	s_mov_b32 s33, 0x42b17218
	v_ldexp_f32 v38, v38, v39
	v_cndmask_b32_e64 v38, 0, v38, s[60:61]
	v_mov_b32_e32 v52, 0x7f800000
	v_cmp_nlt_f32_e64 s[60:61], s33, v37
	s_mov_b32 s33, 0x3f2aaaab
	s_mov_b32 s66, 0x7f800000
	v_cndmask_b32_e64 v37, v52, v38, s[60:61]
	v_add_f32_e32 v40, 1.0, v37
	v_add_f32_e32 v38, -1.0, v40
	v_sub_f32_e32 v39, v38, v40
	v_add_f32_e32 v39, 1.0, v39
	v_sub_f32_e32 v38, v37, v38
	v_add_f32_e32 v41, v38, v39
	v_frexp_mant_f32_e32 v42, v40
	v_cvt_f64_f32_e32 v[38:39], v40
	v_frexp_exp_i32_f64_e32 v38, v[38:39]
	v_cmp_gt_f32_e64 s[60:61], s33, v42
	s_mov_b32 s33, 0x3f317218
	s_nop 0
	v_subbrev_co_u32_e64 v46, s[60:61], 0, v38, s[60:61]
	v_sub_u32_e32 v38, 0, v46
	v_ldexp_f32 v39, v40, v38
	v_add_f32_e32 v40, -1.0, v39
	v_add_f32_e32 v42, 1.0, v39
	v_ldexp_f32 v38, v41, v38
	v_add_f32_e32 v41, 1.0, v40
	v_add_f32_e32 v43, -1.0, v42
	v_sub_f32_e32 v41, v39, v41
	v_sub_f32_e32 v39, v39, v43
	v_add_f32_e32 v41, v38, v41
	v_add_f32_e32 v38, v38, v39
	;; [unrolled: 1-line block ×3, first 2 shown]
	v_rcp_f32_e32 v49, v47
	v_sub_f32_e32 v39, v42, v47
	v_add_f32_e32 v48, v38, v39
	v_add_f32_e32 v39, v40, v41
	v_mul_f32_e32 v51, v39, v49
	v_sub_f32_e32 v38, v40, v39
	v_mul_f32_e32 v40, v47, v51
	v_fma_f32 v42, v51, v47, -v40
	v_fmac_f32_e32 v42, v51, v48
	v_add_f32_e32 v50, v41, v38
	v_add_f32_e32 v38, v40, v42
	v_sub_f32_e32 v41, v39, v38
	v_pk_add_f32 v[44:45], v[38:39], v[40:41] neg_lo:[0,1] neg_hi:[0,1]
	v_mov_b32_e32 v43, v38
	v_pk_add_f32 v[38:39], v[44:45], v[42:43] neg_lo:[0,1] neg_hi:[0,1]
	v_cmp_neq_f32_e64 s[60:61], s66, v37
	v_add_f32_e32 v39, v50, v39
	v_add_f32_e32 v38, v38, v39
	v_add_f32_e32 v39, v41, v38
	v_mul_f32_e32 v50, v49, v39
	v_mul_f32_e32 v40, v47, v50
	v_fma_f32 v42, v50, v47, -v40
	v_fmac_f32_e32 v42, v50, v48
	v_sub_f32_e32 v41, v41, v39
	v_add_f32_e32 v47, v38, v41
	v_add_f32_e32 v38, v40, v42
	v_sub_f32_e32 v41, v39, v38
	v_pk_add_f32 v[44:45], v[38:39], v[40:41] neg_lo:[0,1] neg_hi:[0,1]
	v_mov_b32_e32 v43, v38
	v_pk_add_f32 v[38:39], v[44:45], v[42:43] neg_lo:[0,1] neg_hi:[0,1]
	v_cvt_f32_i32_e32 v40, v46
	v_add_f32_e32 v39, v47, v39
	v_add_f32_e32 v38, v38, v39
	;; [unrolled: 1-line block ×4, first 2 shown]
	v_sub_f32_e32 v39, v41, v51
	v_mul_f32_e32 v38, v49, v38
	v_sub_f32_e32 v39, v50, v39
	v_add_f32_e32 v38, v39, v38
	v_add_f32_e32 v42, v41, v38
	v_mul_f32_e32 v44, v42, v42
	v_mov_b32_e32 v39, 0x3ecc95a3
	v_sub_f32_e32 v41, v42, v41
	v_fmac_f32_e32 v39, 0x3e9b6dac, v44
	v_sub_f32_e32 v38, v38, v41
	v_fmaak_f32 v39, v44, v39, 0x3f2aaada
	v_ldexp_f32 v45, v38, 1
	v_mul_f32_e32 v41, v42, v44
	v_mov_b32_e32 v38, 0x3f317218
	v_pk_mul_f32 v[38:39], v[40:41], v[38:39]
	v_ldexp_f32 v43, v42, 1
	v_fma_f32 v41, v40, s33, -v38
	v_fmamk_f32 v42, v40, 0xb102e308, v41
	v_pk_add_f32 v[40:41], v[38:39], v[42:43]
	v_mov_b32_e32 v44, v38
	v_sub_f32_e32 v43, v41, v43
	v_sub_f32_e32 v43, v39, v43
	v_add_f32_e32 v45, v45, v43
	v_pk_add_f32 v[38:39], v[40:41], v[38:39] neg_lo:[0,1] neg_hi:[0,1]
	v_pk_add_f32 v[46:47], v[40:41], v[44:45]
	v_mov_b32_e32 v43, v40
	v_mov_b32_e32 v39, v47
	v_pk_add_f32 v[48:49], v[42:43], v[38:39] neg_lo:[0,1] neg_hi:[0,1]
	v_pk_add_f32 v[38:39], v[42:43], v[38:39]
	v_mov_b32_e32 v44, v45
	v_pk_add_f32 v[42:43], v[38:39], v[40:41] op_sel:[1,0] op_sel_hi:[0,1] neg_lo:[0,1] neg_hi:[0,1]
	v_pk_add_f32 v[50:51], v[46:47], v[42:43] op_sel_hi:[1,0] neg_lo:[0,1] neg_hi:[0,1]
	v_mov_b32_e32 v46, v47
	v_mov_b32_e32 v47, v39
	v_pk_mov_b32 v[42:43], v[40:41], v[42:43] op_sel:[1,0]
	v_mov_b32_e32 v45, v40
	v_pk_add_f32 v[42:43], v[46:47], v[42:43] neg_lo:[0,1] neg_hi:[0,1]
	v_mov_b32_e32 v50, v48
	v_pk_add_f32 v[40:41], v[44:45], v[42:43] neg_lo:[0,1] neg_hi:[0,1]
	v_mov_b32_e32 v49, v39
	v_pk_add_f32 v[42:43], v[50:51], v[40:41]
	s_mov_b32 s33, 0x33800000
	v_pk_add_f32 v[44:45], v[42:43], v[42:43] op_sel:[0,1] op_sel_hi:[1,0]
	s_nop 0
	v_pk_add_f32 v[38:39], v[38:39], v[44:45] op_sel:[1,0] op_sel_hi:[0,1]
	v_mov_b32_e32 v43, v38
	v_pk_add_f32 v[46:47], v[42:43], v[48:49] neg_lo:[0,1] neg_hi:[0,1]
	v_mov_b32_e32 v41, v44
	v_sub_f32_e32 v39, v42, v46
	v_pk_add_f32 v[40:41], v[40:41], v[46:47] neg_lo:[0,1] neg_hi:[0,1]
	v_sub_f32_e32 v39, v48, v39
	v_add_f32_e32 v39, v40, v39
	v_add_f32_e32 v39, v39, v41
	;; [unrolled: 1-line block ×3, first 2 shown]
	v_cndmask_b32_e64 v38, v52, v38, s[60:61]
	v_cmp_lt_f32_e64 s[60:61], |v37|, s33
	s_nop 1
	v_cndmask_b32_e64 v37, v38, v37, s[60:61]
	v_add_f32_e32 v38, v19, v37
.LBB143_61:
	s_or_b64 exec, exec, s[62:63]
	v_mbcnt_lo_u32_b32 v19, -1, 0
	v_mbcnt_hi_u32_b32 v19, -1, v19
	v_and_b32_e32 v37, 15, v19
	v_mov_b32_dpp v39, v38 row_shr:1 row_mask:0xf bank_mask:0xf
	v_cmp_ne_u32_e64 s[60:61], 0, v37
	s_and_saveexec_b64 s[62:63], s[60:61]
	s_xor_b64 s[66:67], exec, s[62:63]
	s_cbranch_execz .LBB143_65
; %bb.62:
	v_max_f32_e32 v41, v38, v38
	v_max_f32_e32 v42, v39, v39
	v_min_f32_e32 v40, v42, v41
	v_cmp_u_f32_e64 s[60:61], v39, v39
	v_max_f32_e32 v41, v42, v41
	v_cmp_u_f32_e64 s[62:63], v38, v38
	v_cndmask_b32_e64 v40, v40, v39, s[60:61]
	v_cndmask_b32_e64 v41, v41, v39, s[60:61]
	;; [unrolled: 1-line block ×4, first 2 shown]
	s_movk_i32 s33, 0x1f8
	v_cmp_neq_f32_e64 s[60:61], v40, v38
	v_cmp_class_f32_e64 s[62:63], v40, s33
	s_or_b64 s[60:61], s[60:61], s[62:63]
	s_and_saveexec_b64 s[62:63], s[60:61]
	s_cbranch_execz .LBB143_64
; %bb.63:
	v_sub_f32_e32 v39, v40, v38
	s_mov_b32 s33, 0x3fb8aa3b
	v_mul_f32_e32 v40, 0x3fb8aa3b, v39
	v_fma_f32 v41, v39, s33, -v40
	v_rndne_f32_e32 v42, v40
	v_fmamk_f32 v41, v39, 0x32a5705f, v41
	v_sub_f32_e32 v40, v40, v42
	v_add_f32_e32 v40, v40, v41
	v_exp_f32_e32 v40, v40
	v_cvt_i32_f32_e32 v41, v42
	s_mov_b32 s33, 0xc2ce8ed0
	v_cmp_ngt_f32_e64 s[60:61], s33, v39
	s_mov_b32 s33, 0x42b17218
	v_ldexp_f32 v40, v40, v41
	v_cndmask_b32_e64 v40, 0, v40, s[60:61]
	v_mov_b32_e32 v54, 0x7f800000
	v_cmp_nlt_f32_e64 s[60:61], s33, v39
	s_mov_b32 s33, 0x3f2aaaab
	s_mov_b32 s68, 0x7f800000
	v_cndmask_b32_e64 v39, v54, v40, s[60:61]
	v_add_f32_e32 v42, 1.0, v39
	v_add_f32_e32 v40, -1.0, v42
	v_sub_f32_e32 v41, v40, v42
	v_add_f32_e32 v41, 1.0, v41
	v_sub_f32_e32 v40, v39, v40
	v_add_f32_e32 v43, v40, v41
	v_frexp_mant_f32_e32 v44, v42
	v_cvt_f64_f32_e32 v[40:41], v42
	v_frexp_exp_i32_f64_e32 v40, v[40:41]
	v_cmp_gt_f32_e64 s[60:61], s33, v44
	s_mov_b32 s33, 0x3f317218
	s_nop 0
	v_subbrev_co_u32_e64 v48, s[60:61], 0, v40, s[60:61]
	v_sub_u32_e32 v40, 0, v48
	v_ldexp_f32 v41, v42, v40
	v_add_f32_e32 v42, -1.0, v41
	v_add_f32_e32 v44, 1.0, v41
	v_ldexp_f32 v40, v43, v40
	v_add_f32_e32 v43, 1.0, v42
	v_add_f32_e32 v45, -1.0, v44
	v_sub_f32_e32 v43, v41, v43
	v_sub_f32_e32 v41, v41, v45
	v_add_f32_e32 v43, v40, v43
	v_add_f32_e32 v40, v40, v41
	;; [unrolled: 1-line block ×3, first 2 shown]
	v_rcp_f32_e32 v51, v49
	v_sub_f32_e32 v41, v44, v49
	v_add_f32_e32 v50, v40, v41
	v_add_f32_e32 v41, v42, v43
	v_mul_f32_e32 v53, v41, v51
	v_sub_f32_e32 v40, v42, v41
	v_mul_f32_e32 v42, v49, v53
	v_fma_f32 v44, v53, v49, -v42
	v_fmac_f32_e32 v44, v53, v50
	v_add_f32_e32 v52, v43, v40
	v_add_f32_e32 v40, v42, v44
	v_sub_f32_e32 v43, v41, v40
	v_pk_add_f32 v[46:47], v[40:41], v[42:43] neg_lo:[0,1] neg_hi:[0,1]
	v_mov_b32_e32 v45, v40
	v_pk_add_f32 v[40:41], v[46:47], v[44:45] neg_lo:[0,1] neg_hi:[0,1]
	v_cmp_neq_f32_e64 s[60:61], s68, v39
	v_add_f32_e32 v41, v52, v41
	v_add_f32_e32 v40, v40, v41
	;; [unrolled: 1-line block ×3, first 2 shown]
	v_mul_f32_e32 v52, v51, v41
	v_mul_f32_e32 v42, v49, v52
	v_fma_f32 v44, v52, v49, -v42
	v_fmac_f32_e32 v44, v52, v50
	v_sub_f32_e32 v43, v43, v41
	v_add_f32_e32 v49, v40, v43
	v_add_f32_e32 v40, v42, v44
	v_sub_f32_e32 v43, v41, v40
	v_pk_add_f32 v[46:47], v[40:41], v[42:43] neg_lo:[0,1] neg_hi:[0,1]
	v_mov_b32_e32 v45, v40
	v_pk_add_f32 v[40:41], v[46:47], v[44:45] neg_lo:[0,1] neg_hi:[0,1]
	v_cvt_f32_i32_e32 v42, v48
	v_add_f32_e32 v41, v49, v41
	v_add_f32_e32 v40, v40, v41
	;; [unrolled: 1-line block ×4, first 2 shown]
	v_sub_f32_e32 v41, v43, v53
	v_mul_f32_e32 v40, v51, v40
	v_sub_f32_e32 v41, v52, v41
	v_add_f32_e32 v40, v41, v40
	v_add_f32_e32 v44, v43, v40
	v_mul_f32_e32 v46, v44, v44
	v_mov_b32_e32 v41, 0x3ecc95a3
	v_sub_f32_e32 v43, v44, v43
	v_fmac_f32_e32 v41, 0x3e9b6dac, v46
	v_sub_f32_e32 v40, v40, v43
	v_fmaak_f32 v41, v46, v41, 0x3f2aaada
	v_ldexp_f32 v47, v40, 1
	v_mul_f32_e32 v43, v44, v46
	v_mov_b32_e32 v40, 0x3f317218
	v_pk_mul_f32 v[40:41], v[42:43], v[40:41]
	v_ldexp_f32 v45, v44, 1
	v_fma_f32 v43, v42, s33, -v40
	v_fmamk_f32 v44, v42, 0xb102e308, v43
	v_pk_add_f32 v[42:43], v[40:41], v[44:45]
	v_mov_b32_e32 v46, v40
	v_sub_f32_e32 v45, v43, v45
	v_sub_f32_e32 v45, v41, v45
	v_add_f32_e32 v47, v47, v45
	v_pk_add_f32 v[40:41], v[42:43], v[40:41] neg_lo:[0,1] neg_hi:[0,1]
	v_pk_add_f32 v[48:49], v[42:43], v[46:47]
	v_mov_b32_e32 v45, v42
	v_mov_b32_e32 v41, v49
	v_pk_add_f32 v[50:51], v[44:45], v[40:41] neg_lo:[0,1] neg_hi:[0,1]
	v_pk_add_f32 v[40:41], v[44:45], v[40:41]
	v_mov_b32_e32 v46, v47
	v_pk_add_f32 v[44:45], v[40:41], v[42:43] op_sel:[1,0] op_sel_hi:[0,1] neg_lo:[0,1] neg_hi:[0,1]
	v_pk_add_f32 v[52:53], v[48:49], v[44:45] op_sel_hi:[1,0] neg_lo:[0,1] neg_hi:[0,1]
	v_mov_b32_e32 v48, v49
	v_mov_b32_e32 v49, v41
	v_pk_mov_b32 v[44:45], v[42:43], v[44:45] op_sel:[1,0]
	v_mov_b32_e32 v47, v42
	v_pk_add_f32 v[44:45], v[48:49], v[44:45] neg_lo:[0,1] neg_hi:[0,1]
	v_mov_b32_e32 v52, v50
	v_pk_add_f32 v[42:43], v[46:47], v[44:45] neg_lo:[0,1] neg_hi:[0,1]
	v_mov_b32_e32 v51, v41
	v_pk_add_f32 v[44:45], v[52:53], v[42:43]
	s_mov_b32 s33, 0x33800000
	v_pk_add_f32 v[46:47], v[44:45], v[44:45] op_sel:[0,1] op_sel_hi:[1,0]
	s_nop 0
	v_pk_add_f32 v[40:41], v[40:41], v[46:47] op_sel:[1,0] op_sel_hi:[0,1]
	v_mov_b32_e32 v45, v40
	v_pk_add_f32 v[48:49], v[44:45], v[50:51] neg_lo:[0,1] neg_hi:[0,1]
	v_mov_b32_e32 v43, v46
	v_sub_f32_e32 v41, v44, v48
	v_pk_add_f32 v[42:43], v[42:43], v[48:49] neg_lo:[0,1] neg_hi:[0,1]
	v_sub_f32_e32 v41, v50, v41
	v_add_f32_e32 v41, v42, v41
	v_add_f32_e32 v41, v41, v43
	v_add_f32_e32 v40, v40, v41
	v_cndmask_b32_e64 v40, v54, v40, s[60:61]
	v_cmp_lt_f32_e64 s[60:61], |v39|, s33
	s_nop 1
	v_cndmask_b32_e64 v39, v40, v39, s[60:61]
	v_add_f32_e32 v39, v38, v39
.LBB143_64:
	s_or_b64 exec, exec, s[62:63]
	v_mov_b32_e32 v38, v39
.LBB143_65:
	s_or_b64 exec, exec, s[66:67]
	s_nop 0
	v_mov_b32_dpp v39, v38 row_shr:2 row_mask:0xf bank_mask:0xf
	v_cmp_lt_u32_e64 s[60:61], 1, v37
	s_and_saveexec_b64 s[66:67], s[60:61]
	s_cbranch_execz .LBB143_69
; %bb.66:
	v_max_f32_e32 v41, v38, v38
	v_max_f32_e32 v42, v39, v39
	v_min_f32_e32 v40, v42, v41
	v_cmp_u_f32_e64 s[60:61], v39, v39
	v_max_f32_e32 v41, v42, v41
	v_cmp_u_f32_e64 s[62:63], v38, v38
	v_cndmask_b32_e64 v40, v40, v39, s[60:61]
	v_cndmask_b32_e64 v41, v41, v39, s[60:61]
	v_cndmask_b32_e64 v40, v40, v38, s[62:63]
	v_cndmask_b32_e64 v38, v41, v38, s[62:63]
	s_movk_i32 s33, 0x1f8
	v_cmp_neq_f32_e64 s[60:61], v40, v38
	v_cmp_class_f32_e64 s[62:63], v40, s33
	s_or_b64 s[60:61], s[60:61], s[62:63]
	s_and_saveexec_b64 s[62:63], s[60:61]
	s_cbranch_execz .LBB143_68
; %bb.67:
	v_sub_f32_e32 v39, v40, v38
	s_mov_b32 s33, 0x3fb8aa3b
	v_mul_f32_e32 v40, 0x3fb8aa3b, v39
	v_fma_f32 v41, v39, s33, -v40
	v_rndne_f32_e32 v42, v40
	v_fmamk_f32 v41, v39, 0x32a5705f, v41
	v_sub_f32_e32 v40, v40, v42
	v_add_f32_e32 v40, v40, v41
	v_exp_f32_e32 v40, v40
	v_cvt_i32_f32_e32 v41, v42
	s_mov_b32 s33, 0xc2ce8ed0
	v_cmp_ngt_f32_e64 s[60:61], s33, v39
	s_mov_b32 s33, 0x42b17218
	v_ldexp_f32 v40, v40, v41
	v_cndmask_b32_e64 v40, 0, v40, s[60:61]
	v_mov_b32_e32 v54, 0x7f800000
	v_cmp_nlt_f32_e64 s[60:61], s33, v39
	s_mov_b32 s33, 0x3f2aaaab
	s_mov_b32 s68, 0x7f800000
	v_cndmask_b32_e64 v39, v54, v40, s[60:61]
	v_add_f32_e32 v42, 1.0, v39
	v_add_f32_e32 v40, -1.0, v42
	v_sub_f32_e32 v41, v40, v42
	v_add_f32_e32 v41, 1.0, v41
	v_sub_f32_e32 v40, v39, v40
	v_add_f32_e32 v43, v40, v41
	v_frexp_mant_f32_e32 v44, v42
	v_cvt_f64_f32_e32 v[40:41], v42
	v_frexp_exp_i32_f64_e32 v40, v[40:41]
	v_cmp_gt_f32_e64 s[60:61], s33, v44
	s_mov_b32 s33, 0x3f317218
	s_nop 0
	v_subbrev_co_u32_e64 v48, s[60:61], 0, v40, s[60:61]
	v_sub_u32_e32 v40, 0, v48
	v_ldexp_f32 v41, v42, v40
	v_add_f32_e32 v42, -1.0, v41
	v_add_f32_e32 v44, 1.0, v41
	v_ldexp_f32 v40, v43, v40
	v_add_f32_e32 v43, 1.0, v42
	v_add_f32_e32 v45, -1.0, v44
	v_sub_f32_e32 v43, v41, v43
	v_sub_f32_e32 v41, v41, v45
	v_add_f32_e32 v43, v40, v43
	v_add_f32_e32 v40, v40, v41
	;; [unrolled: 1-line block ×3, first 2 shown]
	v_rcp_f32_e32 v51, v49
	v_sub_f32_e32 v41, v44, v49
	v_add_f32_e32 v50, v40, v41
	v_add_f32_e32 v41, v42, v43
	v_mul_f32_e32 v53, v41, v51
	v_sub_f32_e32 v40, v42, v41
	v_mul_f32_e32 v42, v49, v53
	v_fma_f32 v44, v53, v49, -v42
	v_fmac_f32_e32 v44, v53, v50
	v_add_f32_e32 v52, v43, v40
	v_add_f32_e32 v40, v42, v44
	v_sub_f32_e32 v43, v41, v40
	v_pk_add_f32 v[46:47], v[40:41], v[42:43] neg_lo:[0,1] neg_hi:[0,1]
	v_mov_b32_e32 v45, v40
	v_pk_add_f32 v[40:41], v[46:47], v[44:45] neg_lo:[0,1] neg_hi:[0,1]
	v_cmp_neq_f32_e64 s[60:61], s68, v39
	v_add_f32_e32 v41, v52, v41
	v_add_f32_e32 v40, v40, v41
	;; [unrolled: 1-line block ×3, first 2 shown]
	v_mul_f32_e32 v52, v51, v41
	v_mul_f32_e32 v42, v49, v52
	v_fma_f32 v44, v52, v49, -v42
	v_fmac_f32_e32 v44, v52, v50
	v_sub_f32_e32 v43, v43, v41
	v_add_f32_e32 v49, v40, v43
	v_add_f32_e32 v40, v42, v44
	v_sub_f32_e32 v43, v41, v40
	v_pk_add_f32 v[46:47], v[40:41], v[42:43] neg_lo:[0,1] neg_hi:[0,1]
	v_mov_b32_e32 v45, v40
	v_pk_add_f32 v[40:41], v[46:47], v[44:45] neg_lo:[0,1] neg_hi:[0,1]
	v_cvt_f32_i32_e32 v42, v48
	v_add_f32_e32 v41, v49, v41
	v_add_f32_e32 v40, v40, v41
	;; [unrolled: 1-line block ×4, first 2 shown]
	v_sub_f32_e32 v41, v43, v53
	v_mul_f32_e32 v40, v51, v40
	v_sub_f32_e32 v41, v52, v41
	v_add_f32_e32 v40, v41, v40
	v_add_f32_e32 v44, v43, v40
	v_mul_f32_e32 v46, v44, v44
	v_mov_b32_e32 v41, 0x3ecc95a3
	v_sub_f32_e32 v43, v44, v43
	v_fmac_f32_e32 v41, 0x3e9b6dac, v46
	v_sub_f32_e32 v40, v40, v43
	v_fmaak_f32 v41, v46, v41, 0x3f2aaada
	v_ldexp_f32 v47, v40, 1
	v_mul_f32_e32 v43, v44, v46
	v_mov_b32_e32 v40, 0x3f317218
	v_pk_mul_f32 v[40:41], v[42:43], v[40:41]
	v_ldexp_f32 v45, v44, 1
	v_fma_f32 v43, v42, s33, -v40
	v_fmamk_f32 v44, v42, 0xb102e308, v43
	v_pk_add_f32 v[42:43], v[40:41], v[44:45]
	v_mov_b32_e32 v46, v40
	v_sub_f32_e32 v45, v43, v45
	v_sub_f32_e32 v45, v41, v45
	v_add_f32_e32 v47, v47, v45
	v_pk_add_f32 v[40:41], v[42:43], v[40:41] neg_lo:[0,1] neg_hi:[0,1]
	v_pk_add_f32 v[48:49], v[42:43], v[46:47]
	v_mov_b32_e32 v45, v42
	v_mov_b32_e32 v41, v49
	v_pk_add_f32 v[50:51], v[44:45], v[40:41] neg_lo:[0,1] neg_hi:[0,1]
	v_pk_add_f32 v[40:41], v[44:45], v[40:41]
	v_mov_b32_e32 v46, v47
	v_pk_add_f32 v[44:45], v[40:41], v[42:43] op_sel:[1,0] op_sel_hi:[0,1] neg_lo:[0,1] neg_hi:[0,1]
	v_pk_add_f32 v[52:53], v[48:49], v[44:45] op_sel_hi:[1,0] neg_lo:[0,1] neg_hi:[0,1]
	v_mov_b32_e32 v48, v49
	v_mov_b32_e32 v49, v41
	v_pk_mov_b32 v[44:45], v[42:43], v[44:45] op_sel:[1,0]
	v_mov_b32_e32 v47, v42
	v_pk_add_f32 v[44:45], v[48:49], v[44:45] neg_lo:[0,1] neg_hi:[0,1]
	v_mov_b32_e32 v52, v50
	v_pk_add_f32 v[42:43], v[46:47], v[44:45] neg_lo:[0,1] neg_hi:[0,1]
	v_mov_b32_e32 v51, v41
	v_pk_add_f32 v[44:45], v[52:53], v[42:43]
	s_mov_b32 s33, 0x33800000
	v_pk_add_f32 v[46:47], v[44:45], v[44:45] op_sel:[0,1] op_sel_hi:[1,0]
	s_nop 0
	v_pk_add_f32 v[40:41], v[40:41], v[46:47] op_sel:[1,0] op_sel_hi:[0,1]
	v_mov_b32_e32 v45, v40
	v_pk_add_f32 v[48:49], v[44:45], v[50:51] neg_lo:[0,1] neg_hi:[0,1]
	v_mov_b32_e32 v43, v46
	v_sub_f32_e32 v41, v44, v48
	v_pk_add_f32 v[42:43], v[42:43], v[48:49] neg_lo:[0,1] neg_hi:[0,1]
	v_sub_f32_e32 v41, v50, v41
	v_add_f32_e32 v41, v42, v41
	v_add_f32_e32 v41, v41, v43
	v_add_f32_e32 v40, v40, v41
	v_cndmask_b32_e64 v40, v54, v40, s[60:61]
	v_cmp_lt_f32_e64 s[60:61], |v39|, s33
	s_nop 1
	v_cndmask_b32_e64 v39, v40, v39, s[60:61]
	v_add_f32_e32 v39, v38, v39
.LBB143_68:
	s_or_b64 exec, exec, s[62:63]
	v_mov_b32_e32 v38, v39
.LBB143_69:
	s_or_b64 exec, exec, s[66:67]
	s_nop 0
	v_mov_b32_dpp v39, v38 row_shr:4 row_mask:0xf bank_mask:0xf
	v_cmp_lt_u32_e64 s[60:61], 3, v37
	s_and_saveexec_b64 s[66:67], s[60:61]
	s_cbranch_execz .LBB143_73
; %bb.70:
	v_max_f32_e32 v41, v38, v38
	v_max_f32_e32 v42, v39, v39
	v_min_f32_e32 v40, v42, v41
	v_cmp_u_f32_e64 s[60:61], v39, v39
	v_max_f32_e32 v41, v42, v41
	v_cmp_u_f32_e64 s[62:63], v38, v38
	v_cndmask_b32_e64 v40, v40, v39, s[60:61]
	v_cndmask_b32_e64 v41, v41, v39, s[60:61]
	;; [unrolled: 1-line block ×4, first 2 shown]
	s_movk_i32 s33, 0x1f8
	v_cmp_neq_f32_e64 s[60:61], v40, v38
	v_cmp_class_f32_e64 s[62:63], v40, s33
	s_or_b64 s[60:61], s[60:61], s[62:63]
	s_and_saveexec_b64 s[62:63], s[60:61]
	s_cbranch_execz .LBB143_72
; %bb.71:
	v_sub_f32_e32 v39, v40, v38
	s_mov_b32 s33, 0x3fb8aa3b
	v_mul_f32_e32 v40, 0x3fb8aa3b, v39
	v_fma_f32 v41, v39, s33, -v40
	v_rndne_f32_e32 v42, v40
	v_fmamk_f32 v41, v39, 0x32a5705f, v41
	v_sub_f32_e32 v40, v40, v42
	v_add_f32_e32 v40, v40, v41
	v_exp_f32_e32 v40, v40
	v_cvt_i32_f32_e32 v41, v42
	s_mov_b32 s33, 0xc2ce8ed0
	v_cmp_ngt_f32_e64 s[60:61], s33, v39
	s_mov_b32 s33, 0x42b17218
	v_ldexp_f32 v40, v40, v41
	v_cndmask_b32_e64 v40, 0, v40, s[60:61]
	v_mov_b32_e32 v54, 0x7f800000
	v_cmp_nlt_f32_e64 s[60:61], s33, v39
	s_mov_b32 s33, 0x3f2aaaab
	s_mov_b32 s68, 0x7f800000
	v_cndmask_b32_e64 v39, v54, v40, s[60:61]
	v_add_f32_e32 v42, 1.0, v39
	v_add_f32_e32 v40, -1.0, v42
	v_sub_f32_e32 v41, v40, v42
	v_add_f32_e32 v41, 1.0, v41
	v_sub_f32_e32 v40, v39, v40
	v_add_f32_e32 v43, v40, v41
	v_frexp_mant_f32_e32 v44, v42
	v_cvt_f64_f32_e32 v[40:41], v42
	v_frexp_exp_i32_f64_e32 v40, v[40:41]
	v_cmp_gt_f32_e64 s[60:61], s33, v44
	s_mov_b32 s33, 0x3f317218
	s_nop 0
	v_subbrev_co_u32_e64 v48, s[60:61], 0, v40, s[60:61]
	v_sub_u32_e32 v40, 0, v48
	v_ldexp_f32 v41, v42, v40
	v_add_f32_e32 v42, -1.0, v41
	v_add_f32_e32 v44, 1.0, v41
	v_ldexp_f32 v40, v43, v40
	v_add_f32_e32 v43, 1.0, v42
	v_add_f32_e32 v45, -1.0, v44
	v_sub_f32_e32 v43, v41, v43
	v_sub_f32_e32 v41, v41, v45
	v_add_f32_e32 v43, v40, v43
	v_add_f32_e32 v40, v40, v41
	;; [unrolled: 1-line block ×3, first 2 shown]
	v_rcp_f32_e32 v51, v49
	v_sub_f32_e32 v41, v44, v49
	v_add_f32_e32 v50, v40, v41
	v_add_f32_e32 v41, v42, v43
	v_mul_f32_e32 v53, v41, v51
	v_sub_f32_e32 v40, v42, v41
	v_mul_f32_e32 v42, v49, v53
	v_fma_f32 v44, v53, v49, -v42
	v_fmac_f32_e32 v44, v53, v50
	v_add_f32_e32 v52, v43, v40
	v_add_f32_e32 v40, v42, v44
	v_sub_f32_e32 v43, v41, v40
	v_pk_add_f32 v[46:47], v[40:41], v[42:43] neg_lo:[0,1] neg_hi:[0,1]
	v_mov_b32_e32 v45, v40
	v_pk_add_f32 v[40:41], v[46:47], v[44:45] neg_lo:[0,1] neg_hi:[0,1]
	v_cmp_neq_f32_e64 s[60:61], s68, v39
	v_add_f32_e32 v41, v52, v41
	v_add_f32_e32 v40, v40, v41
	;; [unrolled: 1-line block ×3, first 2 shown]
	v_mul_f32_e32 v52, v51, v41
	v_mul_f32_e32 v42, v49, v52
	v_fma_f32 v44, v52, v49, -v42
	v_fmac_f32_e32 v44, v52, v50
	v_sub_f32_e32 v43, v43, v41
	v_add_f32_e32 v49, v40, v43
	v_add_f32_e32 v40, v42, v44
	v_sub_f32_e32 v43, v41, v40
	v_pk_add_f32 v[46:47], v[40:41], v[42:43] neg_lo:[0,1] neg_hi:[0,1]
	v_mov_b32_e32 v45, v40
	v_pk_add_f32 v[40:41], v[46:47], v[44:45] neg_lo:[0,1] neg_hi:[0,1]
	v_cvt_f32_i32_e32 v42, v48
	v_add_f32_e32 v41, v49, v41
	v_add_f32_e32 v40, v40, v41
	;; [unrolled: 1-line block ×4, first 2 shown]
	v_sub_f32_e32 v41, v43, v53
	v_mul_f32_e32 v40, v51, v40
	v_sub_f32_e32 v41, v52, v41
	v_add_f32_e32 v40, v41, v40
	v_add_f32_e32 v44, v43, v40
	v_mul_f32_e32 v46, v44, v44
	v_mov_b32_e32 v41, 0x3ecc95a3
	v_sub_f32_e32 v43, v44, v43
	v_fmac_f32_e32 v41, 0x3e9b6dac, v46
	v_sub_f32_e32 v40, v40, v43
	v_fmaak_f32 v41, v46, v41, 0x3f2aaada
	v_ldexp_f32 v47, v40, 1
	v_mul_f32_e32 v43, v44, v46
	v_mov_b32_e32 v40, 0x3f317218
	v_pk_mul_f32 v[40:41], v[42:43], v[40:41]
	v_ldexp_f32 v45, v44, 1
	v_fma_f32 v43, v42, s33, -v40
	v_fmamk_f32 v44, v42, 0xb102e308, v43
	v_pk_add_f32 v[42:43], v[40:41], v[44:45]
	v_mov_b32_e32 v46, v40
	v_sub_f32_e32 v45, v43, v45
	v_sub_f32_e32 v45, v41, v45
	v_add_f32_e32 v47, v47, v45
	v_pk_add_f32 v[40:41], v[42:43], v[40:41] neg_lo:[0,1] neg_hi:[0,1]
	v_pk_add_f32 v[48:49], v[42:43], v[46:47]
	v_mov_b32_e32 v45, v42
	v_mov_b32_e32 v41, v49
	v_pk_add_f32 v[50:51], v[44:45], v[40:41] neg_lo:[0,1] neg_hi:[0,1]
	v_pk_add_f32 v[40:41], v[44:45], v[40:41]
	v_mov_b32_e32 v46, v47
	v_pk_add_f32 v[44:45], v[40:41], v[42:43] op_sel:[1,0] op_sel_hi:[0,1] neg_lo:[0,1] neg_hi:[0,1]
	v_pk_add_f32 v[52:53], v[48:49], v[44:45] op_sel_hi:[1,0] neg_lo:[0,1] neg_hi:[0,1]
	v_mov_b32_e32 v48, v49
	v_mov_b32_e32 v49, v41
	v_pk_mov_b32 v[44:45], v[42:43], v[44:45] op_sel:[1,0]
	v_mov_b32_e32 v47, v42
	v_pk_add_f32 v[44:45], v[48:49], v[44:45] neg_lo:[0,1] neg_hi:[0,1]
	v_mov_b32_e32 v52, v50
	v_pk_add_f32 v[42:43], v[46:47], v[44:45] neg_lo:[0,1] neg_hi:[0,1]
	v_mov_b32_e32 v51, v41
	v_pk_add_f32 v[44:45], v[52:53], v[42:43]
	s_mov_b32 s33, 0x33800000
	v_pk_add_f32 v[46:47], v[44:45], v[44:45] op_sel:[0,1] op_sel_hi:[1,0]
	s_nop 0
	v_pk_add_f32 v[40:41], v[40:41], v[46:47] op_sel:[1,0] op_sel_hi:[0,1]
	v_mov_b32_e32 v45, v40
	v_pk_add_f32 v[48:49], v[44:45], v[50:51] neg_lo:[0,1] neg_hi:[0,1]
	v_mov_b32_e32 v43, v46
	v_sub_f32_e32 v41, v44, v48
	v_pk_add_f32 v[42:43], v[42:43], v[48:49] neg_lo:[0,1] neg_hi:[0,1]
	v_sub_f32_e32 v41, v50, v41
	v_add_f32_e32 v41, v42, v41
	v_add_f32_e32 v41, v41, v43
	;; [unrolled: 1-line block ×3, first 2 shown]
	v_cndmask_b32_e64 v40, v54, v40, s[60:61]
	v_cmp_lt_f32_e64 s[60:61], |v39|, s33
	s_nop 1
	v_cndmask_b32_e64 v39, v40, v39, s[60:61]
	v_add_f32_e32 v39, v38, v39
.LBB143_72:
	s_or_b64 exec, exec, s[62:63]
	v_mov_b32_e32 v38, v39
.LBB143_73:
	s_or_b64 exec, exec, s[66:67]
	s_nop 0
	v_mov_b32_dpp v39, v38 row_shr:8 row_mask:0xf bank_mask:0xf
	v_cmp_lt_u32_e64 s[60:61], 7, v37
	s_and_saveexec_b64 s[66:67], s[60:61]
	s_cbranch_execz .LBB143_77
; %bb.74:
	v_max_f32_e32 v37, v38, v38
	v_max_f32_e32 v41, v39, v39
	v_min_f32_e32 v40, v41, v37
	v_cmp_u_f32_e64 s[60:61], v39, v39
	v_max_f32_e32 v37, v41, v37
	v_cmp_u_f32_e64 s[62:63], v38, v38
	v_cndmask_b32_e64 v40, v40, v39, s[60:61]
	v_cndmask_b32_e64 v37, v37, v39, s[60:61]
	;; [unrolled: 1-line block ×4, first 2 shown]
	s_movk_i32 s33, 0x1f8
	v_cmp_neq_f32_e64 s[60:61], v40, v37
	v_cmp_class_f32_e64 s[62:63], v40, s33
	s_or_b64 s[60:61], s[60:61], s[62:63]
	s_and_saveexec_b64 s[62:63], s[60:61]
	s_cbranch_execz .LBB143_76
; %bb.75:
	v_sub_f32_e32 v38, v40, v37
	s_mov_b32 s33, 0x3fb8aa3b
	v_mul_f32_e32 v39, 0x3fb8aa3b, v38
	v_fma_f32 v40, v38, s33, -v39
	v_rndne_f32_e32 v41, v39
	v_fmamk_f32 v40, v38, 0x32a5705f, v40
	v_sub_f32_e32 v39, v39, v41
	v_add_f32_e32 v39, v39, v40
	v_exp_f32_e32 v39, v39
	v_cvt_i32_f32_e32 v40, v41
	s_mov_b32 s33, 0xc2ce8ed0
	v_cmp_ngt_f32_e64 s[60:61], s33, v38
	s_mov_b32 s33, 0x42b17218
	v_ldexp_f32 v39, v39, v40
	v_cndmask_b32_e64 v39, 0, v39, s[60:61]
	v_mov_b32_e32 v52, 0x7f800000
	v_cmp_nlt_f32_e64 s[60:61], s33, v38
	s_mov_b32 s33, 0x3f2aaaab
	s_mov_b32 s68, 0x7f800000
	v_cndmask_b32_e64 v53, v52, v39, s[60:61]
	v_add_f32_e32 v40, 1.0, v53
	v_add_f32_e32 v38, -1.0, v40
	v_sub_f32_e32 v39, v38, v40
	v_add_f32_e32 v39, 1.0, v39
	v_sub_f32_e32 v38, v53, v38
	v_add_f32_e32 v41, v38, v39
	v_frexp_mant_f32_e32 v42, v40
	v_cvt_f64_f32_e32 v[38:39], v40
	v_frexp_exp_i32_f64_e32 v38, v[38:39]
	v_cmp_gt_f32_e64 s[60:61], s33, v42
	s_mov_b32 s33, 0x3f317218
	s_nop 0
	v_subbrev_co_u32_e64 v46, s[60:61], 0, v38, s[60:61]
	v_sub_u32_e32 v38, 0, v46
	v_ldexp_f32 v39, v40, v38
	v_add_f32_e32 v40, -1.0, v39
	v_add_f32_e32 v42, 1.0, v39
	v_ldexp_f32 v38, v41, v38
	v_add_f32_e32 v41, 1.0, v40
	v_add_f32_e32 v43, -1.0, v42
	v_sub_f32_e32 v41, v39, v41
	v_sub_f32_e32 v39, v39, v43
	v_add_f32_e32 v41, v38, v41
	v_add_f32_e32 v38, v38, v39
	;; [unrolled: 1-line block ×3, first 2 shown]
	v_rcp_f32_e32 v49, v47
	v_sub_f32_e32 v39, v42, v47
	v_add_f32_e32 v48, v38, v39
	v_add_f32_e32 v39, v40, v41
	v_mul_f32_e32 v51, v39, v49
	v_sub_f32_e32 v38, v40, v39
	v_mul_f32_e32 v40, v47, v51
	v_fma_f32 v42, v51, v47, -v40
	v_fmac_f32_e32 v42, v51, v48
	v_add_f32_e32 v50, v41, v38
	v_add_f32_e32 v38, v40, v42
	v_sub_f32_e32 v41, v39, v38
	v_pk_add_f32 v[44:45], v[38:39], v[40:41] neg_lo:[0,1] neg_hi:[0,1]
	v_mov_b32_e32 v43, v38
	v_pk_add_f32 v[38:39], v[44:45], v[42:43] neg_lo:[0,1] neg_hi:[0,1]
	v_cmp_neq_f32_e64 s[60:61], s68, v53
	v_add_f32_e32 v39, v50, v39
	v_add_f32_e32 v38, v38, v39
	;; [unrolled: 1-line block ×3, first 2 shown]
	v_mul_f32_e32 v50, v49, v39
	v_mul_f32_e32 v40, v47, v50
	v_fma_f32 v42, v50, v47, -v40
	v_fmac_f32_e32 v42, v50, v48
	v_sub_f32_e32 v41, v41, v39
	v_add_f32_e32 v47, v38, v41
	v_add_f32_e32 v38, v40, v42
	v_sub_f32_e32 v41, v39, v38
	v_pk_add_f32 v[44:45], v[38:39], v[40:41] neg_lo:[0,1] neg_hi:[0,1]
	v_mov_b32_e32 v43, v38
	v_pk_add_f32 v[38:39], v[44:45], v[42:43] neg_lo:[0,1] neg_hi:[0,1]
	v_cvt_f32_i32_e32 v40, v46
	v_add_f32_e32 v39, v47, v39
	v_add_f32_e32 v38, v38, v39
	;; [unrolled: 1-line block ×4, first 2 shown]
	v_sub_f32_e32 v39, v41, v51
	v_mul_f32_e32 v38, v49, v38
	v_sub_f32_e32 v39, v50, v39
	v_add_f32_e32 v38, v39, v38
	v_add_f32_e32 v42, v41, v38
	v_mul_f32_e32 v44, v42, v42
	v_mov_b32_e32 v39, 0x3ecc95a3
	v_sub_f32_e32 v41, v42, v41
	v_fmac_f32_e32 v39, 0x3e9b6dac, v44
	v_sub_f32_e32 v38, v38, v41
	v_fmaak_f32 v39, v44, v39, 0x3f2aaada
	v_ldexp_f32 v45, v38, 1
	v_mul_f32_e32 v41, v42, v44
	v_mov_b32_e32 v38, 0x3f317218
	v_pk_mul_f32 v[38:39], v[40:41], v[38:39]
	v_ldexp_f32 v43, v42, 1
	v_fma_f32 v41, v40, s33, -v38
	v_fmamk_f32 v42, v40, 0xb102e308, v41
	v_pk_add_f32 v[40:41], v[38:39], v[42:43]
	v_mov_b32_e32 v44, v38
	v_sub_f32_e32 v43, v41, v43
	v_sub_f32_e32 v43, v39, v43
	v_add_f32_e32 v45, v45, v43
	v_pk_add_f32 v[38:39], v[40:41], v[38:39] neg_lo:[0,1] neg_hi:[0,1]
	v_pk_add_f32 v[46:47], v[40:41], v[44:45]
	v_mov_b32_e32 v43, v40
	v_mov_b32_e32 v39, v47
	v_pk_add_f32 v[48:49], v[42:43], v[38:39] neg_lo:[0,1] neg_hi:[0,1]
	v_pk_add_f32 v[38:39], v[42:43], v[38:39]
	v_mov_b32_e32 v44, v45
	v_pk_add_f32 v[42:43], v[38:39], v[40:41] op_sel:[1,0] op_sel_hi:[0,1] neg_lo:[0,1] neg_hi:[0,1]
	v_pk_add_f32 v[50:51], v[46:47], v[42:43] op_sel_hi:[1,0] neg_lo:[0,1] neg_hi:[0,1]
	v_mov_b32_e32 v46, v47
	v_mov_b32_e32 v47, v39
	v_pk_mov_b32 v[42:43], v[40:41], v[42:43] op_sel:[1,0]
	v_mov_b32_e32 v45, v40
	v_pk_add_f32 v[42:43], v[46:47], v[42:43] neg_lo:[0,1] neg_hi:[0,1]
	v_mov_b32_e32 v50, v48
	v_pk_add_f32 v[40:41], v[44:45], v[42:43] neg_lo:[0,1] neg_hi:[0,1]
	v_mov_b32_e32 v49, v39
	v_pk_add_f32 v[42:43], v[50:51], v[40:41]
	s_mov_b32 s33, 0x33800000
	v_pk_add_f32 v[44:45], v[42:43], v[42:43] op_sel:[0,1] op_sel_hi:[1,0]
	s_nop 0
	v_pk_add_f32 v[38:39], v[38:39], v[44:45] op_sel:[1,0] op_sel_hi:[0,1]
	v_mov_b32_e32 v43, v38
	v_pk_add_f32 v[46:47], v[42:43], v[48:49] neg_lo:[0,1] neg_hi:[0,1]
	v_mov_b32_e32 v41, v44
	v_sub_f32_e32 v39, v42, v46
	v_pk_add_f32 v[40:41], v[40:41], v[46:47] neg_lo:[0,1] neg_hi:[0,1]
	v_sub_f32_e32 v39, v48, v39
	v_add_f32_e32 v39, v40, v39
	v_add_f32_e32 v39, v39, v41
	;; [unrolled: 1-line block ×3, first 2 shown]
	v_cndmask_b32_e64 v38, v52, v38, s[60:61]
	v_cmp_lt_f32_e64 s[60:61], |v53|, s33
	s_nop 1
	v_cndmask_b32_e64 v38, v38, v53, s[60:61]
	v_add_f32_e32 v39, v37, v38
.LBB143_76:
	s_or_b64 exec, exec, s[62:63]
	v_mov_b32_e32 v38, v39
.LBB143_77:
	s_or_b64 exec, exec, s[66:67]
	v_and_b32_e32 v37, 16, v19
	v_mov_b32_dpp v39, v38 row_bcast:15 row_mask:0xf bank_mask:0xf
	v_cmp_ne_u32_e64 s[60:61], 0, v37
	s_and_saveexec_b64 s[66:67], s[60:61]
	s_cbranch_execz .LBB143_81
; %bb.78:
	v_max_f32_e32 v37, v38, v38
	v_max_f32_e32 v41, v39, v39
	v_min_f32_e32 v40, v41, v37
	v_cmp_u_f32_e64 s[60:61], v39, v39
	v_max_f32_e32 v37, v41, v37
	v_cmp_u_f32_e64 s[62:63], v38, v38
	v_cndmask_b32_e64 v40, v40, v39, s[60:61]
	v_cndmask_b32_e64 v37, v37, v39, s[60:61]
	;; [unrolled: 1-line block ×4, first 2 shown]
	s_movk_i32 s33, 0x1f8
	v_cmp_neq_f32_e64 s[60:61], v40, v37
	v_cmp_class_f32_e64 s[62:63], v40, s33
	s_or_b64 s[60:61], s[60:61], s[62:63]
	s_and_saveexec_b64 s[62:63], s[60:61]
	s_cbranch_execz .LBB143_80
; %bb.79:
	v_sub_f32_e32 v38, v40, v37
	s_mov_b32 s33, 0x3fb8aa3b
	v_mul_f32_e32 v39, 0x3fb8aa3b, v38
	v_fma_f32 v40, v38, s33, -v39
	v_rndne_f32_e32 v41, v39
	v_fmamk_f32 v40, v38, 0x32a5705f, v40
	v_sub_f32_e32 v39, v39, v41
	v_add_f32_e32 v39, v39, v40
	v_exp_f32_e32 v39, v39
	v_cvt_i32_f32_e32 v40, v41
	s_mov_b32 s33, 0xc2ce8ed0
	v_cmp_ngt_f32_e64 s[60:61], s33, v38
	s_mov_b32 s33, 0x42b17218
	v_ldexp_f32 v39, v39, v40
	v_cndmask_b32_e64 v39, 0, v39, s[60:61]
	v_mov_b32_e32 v52, 0x7f800000
	v_cmp_nlt_f32_e64 s[60:61], s33, v38
	s_mov_b32 s33, 0x3f2aaaab
	s_mov_b32 s68, 0x7f800000
	v_cndmask_b32_e64 v53, v52, v39, s[60:61]
	v_add_f32_e32 v40, 1.0, v53
	v_add_f32_e32 v38, -1.0, v40
	v_sub_f32_e32 v39, v38, v40
	v_add_f32_e32 v39, 1.0, v39
	v_sub_f32_e32 v38, v53, v38
	v_add_f32_e32 v41, v38, v39
	v_frexp_mant_f32_e32 v42, v40
	v_cvt_f64_f32_e32 v[38:39], v40
	v_frexp_exp_i32_f64_e32 v38, v[38:39]
	v_cmp_gt_f32_e64 s[60:61], s33, v42
	s_mov_b32 s33, 0x3f317218
	s_nop 0
	v_subbrev_co_u32_e64 v46, s[60:61], 0, v38, s[60:61]
	v_sub_u32_e32 v38, 0, v46
	v_ldexp_f32 v39, v40, v38
	v_add_f32_e32 v40, -1.0, v39
	v_add_f32_e32 v42, 1.0, v39
	v_ldexp_f32 v38, v41, v38
	v_add_f32_e32 v41, 1.0, v40
	v_add_f32_e32 v43, -1.0, v42
	v_sub_f32_e32 v41, v39, v41
	v_sub_f32_e32 v39, v39, v43
	v_add_f32_e32 v41, v38, v41
	v_add_f32_e32 v38, v38, v39
	;; [unrolled: 1-line block ×3, first 2 shown]
	v_rcp_f32_e32 v49, v47
	v_sub_f32_e32 v39, v42, v47
	v_add_f32_e32 v48, v38, v39
	v_add_f32_e32 v39, v40, v41
	v_mul_f32_e32 v51, v39, v49
	v_sub_f32_e32 v38, v40, v39
	v_mul_f32_e32 v40, v47, v51
	v_fma_f32 v42, v51, v47, -v40
	v_fmac_f32_e32 v42, v51, v48
	v_add_f32_e32 v50, v41, v38
	v_add_f32_e32 v38, v40, v42
	v_sub_f32_e32 v41, v39, v38
	v_pk_add_f32 v[44:45], v[38:39], v[40:41] neg_lo:[0,1] neg_hi:[0,1]
	v_mov_b32_e32 v43, v38
	v_pk_add_f32 v[38:39], v[44:45], v[42:43] neg_lo:[0,1] neg_hi:[0,1]
	v_cmp_neq_f32_e64 s[60:61], s68, v53
	v_add_f32_e32 v39, v50, v39
	v_add_f32_e32 v38, v38, v39
	;; [unrolled: 1-line block ×3, first 2 shown]
	v_mul_f32_e32 v50, v49, v39
	v_mul_f32_e32 v40, v47, v50
	v_fma_f32 v42, v50, v47, -v40
	v_fmac_f32_e32 v42, v50, v48
	v_sub_f32_e32 v41, v41, v39
	v_add_f32_e32 v47, v38, v41
	v_add_f32_e32 v38, v40, v42
	v_sub_f32_e32 v41, v39, v38
	v_pk_add_f32 v[44:45], v[38:39], v[40:41] neg_lo:[0,1] neg_hi:[0,1]
	v_mov_b32_e32 v43, v38
	v_pk_add_f32 v[38:39], v[44:45], v[42:43] neg_lo:[0,1] neg_hi:[0,1]
	v_cvt_f32_i32_e32 v40, v46
	v_add_f32_e32 v39, v47, v39
	v_add_f32_e32 v38, v38, v39
	;; [unrolled: 1-line block ×4, first 2 shown]
	v_sub_f32_e32 v39, v41, v51
	v_mul_f32_e32 v38, v49, v38
	v_sub_f32_e32 v39, v50, v39
	v_add_f32_e32 v38, v39, v38
	v_add_f32_e32 v42, v41, v38
	v_mul_f32_e32 v44, v42, v42
	v_mov_b32_e32 v39, 0x3ecc95a3
	v_sub_f32_e32 v41, v42, v41
	v_fmac_f32_e32 v39, 0x3e9b6dac, v44
	v_sub_f32_e32 v38, v38, v41
	v_fmaak_f32 v39, v44, v39, 0x3f2aaada
	v_ldexp_f32 v45, v38, 1
	v_mul_f32_e32 v41, v42, v44
	v_mov_b32_e32 v38, 0x3f317218
	v_pk_mul_f32 v[38:39], v[40:41], v[38:39]
	v_ldexp_f32 v43, v42, 1
	v_fma_f32 v41, v40, s33, -v38
	v_fmamk_f32 v42, v40, 0xb102e308, v41
	v_pk_add_f32 v[40:41], v[38:39], v[42:43]
	v_mov_b32_e32 v44, v38
	v_sub_f32_e32 v43, v41, v43
	v_sub_f32_e32 v43, v39, v43
	v_add_f32_e32 v45, v45, v43
	v_pk_add_f32 v[38:39], v[40:41], v[38:39] neg_lo:[0,1] neg_hi:[0,1]
	v_pk_add_f32 v[46:47], v[40:41], v[44:45]
	v_mov_b32_e32 v43, v40
	v_mov_b32_e32 v39, v47
	v_pk_add_f32 v[48:49], v[42:43], v[38:39] neg_lo:[0,1] neg_hi:[0,1]
	v_pk_add_f32 v[38:39], v[42:43], v[38:39]
	v_mov_b32_e32 v44, v45
	v_pk_add_f32 v[42:43], v[38:39], v[40:41] op_sel:[1,0] op_sel_hi:[0,1] neg_lo:[0,1] neg_hi:[0,1]
	v_pk_add_f32 v[50:51], v[46:47], v[42:43] op_sel_hi:[1,0] neg_lo:[0,1] neg_hi:[0,1]
	v_mov_b32_e32 v46, v47
	v_mov_b32_e32 v47, v39
	v_pk_mov_b32 v[42:43], v[40:41], v[42:43] op_sel:[1,0]
	v_mov_b32_e32 v45, v40
	v_pk_add_f32 v[42:43], v[46:47], v[42:43] neg_lo:[0,1] neg_hi:[0,1]
	v_mov_b32_e32 v50, v48
	v_pk_add_f32 v[40:41], v[44:45], v[42:43] neg_lo:[0,1] neg_hi:[0,1]
	v_mov_b32_e32 v49, v39
	v_pk_add_f32 v[42:43], v[50:51], v[40:41]
	s_mov_b32 s33, 0x33800000
	v_pk_add_f32 v[44:45], v[42:43], v[42:43] op_sel:[0,1] op_sel_hi:[1,0]
	s_nop 0
	v_pk_add_f32 v[38:39], v[38:39], v[44:45] op_sel:[1,0] op_sel_hi:[0,1]
	v_mov_b32_e32 v43, v38
	v_pk_add_f32 v[46:47], v[42:43], v[48:49] neg_lo:[0,1] neg_hi:[0,1]
	v_mov_b32_e32 v41, v44
	v_sub_f32_e32 v39, v42, v46
	v_pk_add_f32 v[40:41], v[40:41], v[46:47] neg_lo:[0,1] neg_hi:[0,1]
	v_sub_f32_e32 v39, v48, v39
	v_add_f32_e32 v39, v40, v39
	v_add_f32_e32 v39, v39, v41
	;; [unrolled: 1-line block ×3, first 2 shown]
	v_cndmask_b32_e64 v38, v52, v38, s[60:61]
	v_cmp_lt_f32_e64 s[60:61], |v53|, s33
	s_nop 1
	v_cndmask_b32_e64 v38, v38, v53, s[60:61]
	v_add_f32_e32 v39, v37, v38
.LBB143_80:
	s_or_b64 exec, exec, s[62:63]
	v_mov_b32_e32 v38, v39
.LBB143_81:
	s_or_b64 exec, exec, s[66:67]
	s_nop 0
	v_mov_b32_dpp v39, v38 row_bcast:31 row_mask:0xf bank_mask:0xf
	v_cmp_lt_u32_e64 s[60:61], 31, v19
	s_and_saveexec_b64 s[66:67], s[60:61]
	s_cbranch_execz .LBB143_85
; %bb.82:
	v_max_f32_e32 v37, v38, v38
	v_max_f32_e32 v41, v39, v39
	v_min_f32_e32 v40, v41, v37
	v_cmp_u_f32_e64 s[60:61], v39, v39
	v_max_f32_e32 v37, v41, v37
	v_cmp_u_f32_e64 s[62:63], v38, v38
	v_cndmask_b32_e64 v40, v40, v39, s[60:61]
	v_cndmask_b32_e64 v37, v37, v39, s[60:61]
	v_cndmask_b32_e64 v40, v40, v38, s[62:63]
	v_cndmask_b32_e64 v37, v37, v38, s[62:63]
	s_movk_i32 s33, 0x1f8
	v_cmp_neq_f32_e64 s[60:61], v40, v37
	v_cmp_class_f32_e64 s[62:63], v40, s33
	s_or_b64 s[60:61], s[60:61], s[62:63]
	s_and_saveexec_b64 s[62:63], s[60:61]
	s_cbranch_execz .LBB143_84
; %bb.83:
	v_sub_f32_e32 v38, v40, v37
	s_mov_b32 s33, 0x3fb8aa3b
	v_mul_f32_e32 v39, 0x3fb8aa3b, v38
	v_fma_f32 v40, v38, s33, -v39
	v_rndne_f32_e32 v41, v39
	v_fmamk_f32 v40, v38, 0x32a5705f, v40
	v_sub_f32_e32 v39, v39, v41
	v_add_f32_e32 v39, v39, v40
	v_exp_f32_e32 v39, v39
	v_cvt_i32_f32_e32 v40, v41
	s_mov_b32 s33, 0xc2ce8ed0
	v_cmp_ngt_f32_e64 s[60:61], s33, v38
	s_mov_b32 s33, 0x42b17218
	v_ldexp_f32 v39, v39, v40
	v_cndmask_b32_e64 v39, 0, v39, s[60:61]
	v_mov_b32_e32 v52, 0x7f800000
	v_cmp_nlt_f32_e64 s[60:61], s33, v38
	s_mov_b32 s33, 0x3f2aaaab
	s_mov_b32 s68, 0x7f800000
	v_cndmask_b32_e64 v53, v52, v39, s[60:61]
	v_add_f32_e32 v40, 1.0, v53
	v_add_f32_e32 v38, -1.0, v40
	v_sub_f32_e32 v39, v38, v40
	v_add_f32_e32 v39, 1.0, v39
	v_sub_f32_e32 v38, v53, v38
	v_add_f32_e32 v41, v38, v39
	v_frexp_mant_f32_e32 v42, v40
	v_cvt_f64_f32_e32 v[38:39], v40
	v_frexp_exp_i32_f64_e32 v38, v[38:39]
	v_cmp_gt_f32_e64 s[60:61], s33, v42
	s_mov_b32 s33, 0x3f317218
	s_nop 0
	v_subbrev_co_u32_e64 v46, s[60:61], 0, v38, s[60:61]
	v_sub_u32_e32 v38, 0, v46
	v_ldexp_f32 v39, v40, v38
	v_add_f32_e32 v40, -1.0, v39
	v_add_f32_e32 v42, 1.0, v39
	v_ldexp_f32 v38, v41, v38
	v_add_f32_e32 v41, 1.0, v40
	v_add_f32_e32 v43, -1.0, v42
	v_sub_f32_e32 v41, v39, v41
	v_sub_f32_e32 v39, v39, v43
	v_add_f32_e32 v41, v38, v41
	v_add_f32_e32 v38, v38, v39
	;; [unrolled: 1-line block ×3, first 2 shown]
	v_rcp_f32_e32 v49, v47
	v_sub_f32_e32 v39, v42, v47
	v_add_f32_e32 v48, v38, v39
	v_add_f32_e32 v39, v40, v41
	v_mul_f32_e32 v51, v39, v49
	v_sub_f32_e32 v38, v40, v39
	v_mul_f32_e32 v40, v47, v51
	v_fma_f32 v42, v51, v47, -v40
	v_fmac_f32_e32 v42, v51, v48
	v_add_f32_e32 v50, v41, v38
	v_add_f32_e32 v38, v40, v42
	v_sub_f32_e32 v41, v39, v38
	v_pk_add_f32 v[44:45], v[38:39], v[40:41] neg_lo:[0,1] neg_hi:[0,1]
	v_mov_b32_e32 v43, v38
	v_pk_add_f32 v[38:39], v[44:45], v[42:43] neg_lo:[0,1] neg_hi:[0,1]
	v_cmp_neq_f32_e64 s[60:61], s68, v53
	v_add_f32_e32 v39, v50, v39
	v_add_f32_e32 v38, v38, v39
	;; [unrolled: 1-line block ×3, first 2 shown]
	v_mul_f32_e32 v50, v49, v39
	v_mul_f32_e32 v40, v47, v50
	v_fma_f32 v42, v50, v47, -v40
	v_fmac_f32_e32 v42, v50, v48
	v_sub_f32_e32 v41, v41, v39
	v_add_f32_e32 v47, v38, v41
	v_add_f32_e32 v38, v40, v42
	v_sub_f32_e32 v41, v39, v38
	v_pk_add_f32 v[44:45], v[38:39], v[40:41] neg_lo:[0,1] neg_hi:[0,1]
	v_mov_b32_e32 v43, v38
	v_pk_add_f32 v[38:39], v[44:45], v[42:43] neg_lo:[0,1] neg_hi:[0,1]
	v_cvt_f32_i32_e32 v40, v46
	v_add_f32_e32 v39, v47, v39
	v_add_f32_e32 v38, v38, v39
	;; [unrolled: 1-line block ×4, first 2 shown]
	v_sub_f32_e32 v39, v41, v51
	v_mul_f32_e32 v38, v49, v38
	v_sub_f32_e32 v39, v50, v39
	v_add_f32_e32 v38, v39, v38
	v_add_f32_e32 v42, v41, v38
	v_mul_f32_e32 v44, v42, v42
	v_mov_b32_e32 v39, 0x3ecc95a3
	v_sub_f32_e32 v41, v42, v41
	v_fmac_f32_e32 v39, 0x3e9b6dac, v44
	v_sub_f32_e32 v38, v38, v41
	v_fmaak_f32 v39, v44, v39, 0x3f2aaada
	v_ldexp_f32 v45, v38, 1
	v_mul_f32_e32 v41, v42, v44
	v_mov_b32_e32 v38, 0x3f317218
	v_pk_mul_f32 v[38:39], v[40:41], v[38:39]
	v_ldexp_f32 v43, v42, 1
	v_fma_f32 v41, v40, s33, -v38
	v_fmamk_f32 v42, v40, 0xb102e308, v41
	v_pk_add_f32 v[40:41], v[38:39], v[42:43]
	v_mov_b32_e32 v44, v38
	v_sub_f32_e32 v43, v41, v43
	v_sub_f32_e32 v43, v39, v43
	v_add_f32_e32 v45, v45, v43
	v_pk_add_f32 v[38:39], v[40:41], v[38:39] neg_lo:[0,1] neg_hi:[0,1]
	v_pk_add_f32 v[46:47], v[40:41], v[44:45]
	v_mov_b32_e32 v43, v40
	v_mov_b32_e32 v39, v47
	v_pk_add_f32 v[48:49], v[42:43], v[38:39] neg_lo:[0,1] neg_hi:[0,1]
	v_pk_add_f32 v[38:39], v[42:43], v[38:39]
	v_mov_b32_e32 v44, v45
	v_pk_add_f32 v[42:43], v[38:39], v[40:41] op_sel:[1,0] op_sel_hi:[0,1] neg_lo:[0,1] neg_hi:[0,1]
	v_pk_add_f32 v[50:51], v[46:47], v[42:43] op_sel_hi:[1,0] neg_lo:[0,1] neg_hi:[0,1]
	v_mov_b32_e32 v46, v47
	v_mov_b32_e32 v47, v39
	v_pk_mov_b32 v[42:43], v[40:41], v[42:43] op_sel:[1,0]
	v_mov_b32_e32 v45, v40
	v_pk_add_f32 v[42:43], v[46:47], v[42:43] neg_lo:[0,1] neg_hi:[0,1]
	v_mov_b32_e32 v50, v48
	v_pk_add_f32 v[40:41], v[44:45], v[42:43] neg_lo:[0,1] neg_hi:[0,1]
	v_mov_b32_e32 v49, v39
	v_pk_add_f32 v[42:43], v[50:51], v[40:41]
	s_mov_b32 s33, 0x33800000
	v_pk_add_f32 v[44:45], v[42:43], v[42:43] op_sel:[0,1] op_sel_hi:[1,0]
	s_nop 0
	v_pk_add_f32 v[38:39], v[38:39], v[44:45] op_sel:[1,0] op_sel_hi:[0,1]
	v_mov_b32_e32 v43, v38
	v_pk_add_f32 v[46:47], v[42:43], v[48:49] neg_lo:[0,1] neg_hi:[0,1]
	v_mov_b32_e32 v41, v44
	v_sub_f32_e32 v39, v42, v46
	v_pk_add_f32 v[40:41], v[40:41], v[46:47] neg_lo:[0,1] neg_hi:[0,1]
	v_sub_f32_e32 v39, v48, v39
	v_add_f32_e32 v39, v40, v39
	v_add_f32_e32 v39, v39, v41
	;; [unrolled: 1-line block ×3, first 2 shown]
	v_cndmask_b32_e64 v38, v52, v38, s[60:61]
	v_cmp_lt_f32_e64 s[60:61], |v53|, s33
	s_nop 1
	v_cndmask_b32_e64 v38, v38, v53, s[60:61]
	v_add_f32_e32 v39, v37, v38
.LBB143_84:
	s_or_b64 exec, exec, s[62:63]
	v_mov_b32_e32 v38, v39
.LBB143_85:
	s_or_b64 exec, exec, s[66:67]
	v_add_u32_e32 v37, -1, v19
	v_and_b32_e32 v39, 64, v19
	v_cmp_lt_i32_e64 s[60:61], v37, v39
	s_movk_i32 s33, 0x1f8
	s_nop 0
	v_cndmask_b32_e64 v19, v37, v19, s[60:61]
	v_lshlrev_b32_e32 v19, 2, v19
	ds_bpermute_b32 v19, v19, v38
	s_waitcnt lgkmcnt(0)
	v_max_f32_e32 v37, v19, v19
	v_min_f32_e32 v38, v37, v36
	v_max_f32_e32 v37, v37, v36
	v_cmp_u_f32_e64 s[60:61], v19, v19
	s_nop 1
	v_cndmask_b32_e64 v36, v38, v19, s[60:61]
	v_cndmask_b32_e64 v37, v37, v19, s[60:61]
	;; [unrolled: 1-line block ×4, first 2 shown]
	v_cmp_neq_f32_e64 s[58:59], v36, v18
	v_cmp_class_f32_e64 s[60:61], v36, s33
	s_or_b64 s[58:59], s[58:59], s[60:61]
	s_and_saveexec_b64 s[60:61], s[58:59]
	s_cbranch_execz .LBB143_87
; %bb.86:
	v_sub_f32_e32 v19, v36, v18
	s_mov_b32 s58, 0x3fb8aa3b
	v_mul_f32_e32 v36, 0x3fb8aa3b, v19
	v_fma_f32 v37, v19, s58, -v36
	v_rndne_f32_e32 v38, v36
	v_fmamk_f32 v37, v19, 0x32a5705f, v37
	v_sub_f32_e32 v36, v36, v38
	v_add_f32_e32 v36, v36, v37
	v_exp_f32_e32 v36, v36
	v_cvt_i32_f32_e32 v37, v38
	s_mov_b32 s58, 0xc2ce8ed0
	v_cmp_ngt_f32_e64 s[58:59], s58, v19
	v_mov_b32_e32 v50, 0x7f800000
	v_ldexp_f32 v36, v36, v37
	v_cndmask_b32_e64 v36, 0, v36, s[58:59]
	s_mov_b32 s58, 0x42b17218
	v_cmp_nlt_f32_e64 s[58:59], s58, v19
	s_mov_b32 s62, 0x7f800000
	s_nop 0
	v_cndmask_b32_e64 v19, v50, v36, s[58:59]
	v_add_f32_e32 v38, 1.0, v19
	v_add_f32_e32 v36, -1.0, v38
	v_sub_f32_e32 v37, v36, v38
	v_add_f32_e32 v37, 1.0, v37
	v_sub_f32_e32 v36, v19, v36
	v_add_f32_e32 v39, v36, v37
	v_frexp_mant_f32_e32 v40, v38
	s_mov_b32 s58, 0x3f2aaaab
	v_cvt_f64_f32_e32 v[36:37], v38
	v_frexp_exp_i32_f64_e32 v36, v[36:37]
	v_cmp_gt_f32_e64 s[58:59], s58, v40
	s_nop 1
	v_subbrev_co_u32_e64 v44, s[58:59], 0, v36, s[58:59]
	v_sub_u32_e32 v36, 0, v44
	v_ldexp_f32 v37, v38, v36
	v_add_f32_e32 v38, -1.0, v37
	v_add_f32_e32 v40, 1.0, v37
	v_ldexp_f32 v36, v39, v36
	v_add_f32_e32 v39, 1.0, v38
	v_add_f32_e32 v41, -1.0, v40
	v_sub_f32_e32 v39, v37, v39
	v_sub_f32_e32 v37, v37, v41
	v_add_f32_e32 v39, v36, v39
	v_add_f32_e32 v36, v36, v37
	;; [unrolled: 1-line block ×3, first 2 shown]
	v_rcp_f32_e32 v47, v45
	v_sub_f32_e32 v37, v40, v45
	v_add_f32_e32 v46, v36, v37
	v_add_f32_e32 v37, v38, v39
	v_mul_f32_e32 v49, v37, v47
	v_sub_f32_e32 v36, v38, v37
	v_mul_f32_e32 v38, v45, v49
	v_fma_f32 v40, v49, v45, -v38
	v_fmac_f32_e32 v40, v49, v46
	v_add_f32_e32 v48, v39, v36
	v_add_f32_e32 v36, v38, v40
	v_sub_f32_e32 v39, v37, v36
	v_pk_add_f32 v[42:43], v[36:37], v[38:39] neg_lo:[0,1] neg_hi:[0,1]
	v_mov_b32_e32 v41, v36
	v_pk_add_f32 v[36:37], v[42:43], v[40:41] neg_lo:[0,1] neg_hi:[0,1]
	s_mov_b32 s58, 0x3f317218
	v_add_f32_e32 v37, v48, v37
	v_add_f32_e32 v36, v36, v37
	;; [unrolled: 1-line block ×3, first 2 shown]
	v_mul_f32_e32 v48, v47, v37
	v_mul_f32_e32 v38, v45, v48
	v_fma_f32 v40, v48, v45, -v38
	v_fmac_f32_e32 v40, v48, v46
	v_sub_f32_e32 v39, v39, v37
	v_add_f32_e32 v45, v36, v39
	v_add_f32_e32 v36, v38, v40
	v_sub_f32_e32 v39, v37, v36
	v_pk_add_f32 v[42:43], v[36:37], v[38:39] neg_lo:[0,1] neg_hi:[0,1]
	v_mov_b32_e32 v41, v36
	v_pk_add_f32 v[36:37], v[42:43], v[40:41] neg_lo:[0,1] neg_hi:[0,1]
	v_cvt_f32_i32_e32 v38, v44
	v_add_f32_e32 v37, v45, v37
	v_add_f32_e32 v36, v36, v37
	;; [unrolled: 1-line block ×4, first 2 shown]
	v_sub_f32_e32 v37, v39, v49
	v_mul_f32_e32 v36, v47, v36
	v_sub_f32_e32 v37, v48, v37
	v_add_f32_e32 v36, v37, v36
	v_add_f32_e32 v40, v39, v36
	v_mul_f32_e32 v42, v40, v40
	v_mov_b32_e32 v37, 0x3ecc95a3
	v_sub_f32_e32 v39, v40, v39
	v_fmac_f32_e32 v37, 0x3e9b6dac, v42
	v_sub_f32_e32 v36, v36, v39
	v_fmaak_f32 v37, v42, v37, 0x3f2aaada
	v_ldexp_f32 v43, v36, 1
	v_mul_f32_e32 v39, v40, v42
	v_mov_b32_e32 v36, 0x3f317218
	v_pk_mul_f32 v[36:37], v[38:39], v[36:37]
	v_ldexp_f32 v41, v40, 1
	v_fma_f32 v39, v38, s58, -v36
	v_fmamk_f32 v40, v38, 0xb102e308, v39
	v_pk_add_f32 v[38:39], v[36:37], v[40:41]
	v_mov_b32_e32 v42, v36
	v_sub_f32_e32 v41, v39, v41
	v_sub_f32_e32 v41, v37, v41
	v_add_f32_e32 v43, v43, v41
	v_pk_add_f32 v[36:37], v[38:39], v[36:37] neg_lo:[0,1] neg_hi:[0,1]
	v_pk_add_f32 v[44:45], v[38:39], v[42:43]
	v_mov_b32_e32 v41, v38
	v_mov_b32_e32 v37, v45
	v_pk_add_f32 v[46:47], v[40:41], v[36:37] neg_lo:[0,1] neg_hi:[0,1]
	v_pk_add_f32 v[36:37], v[40:41], v[36:37]
	v_mov_b32_e32 v42, v43
	v_pk_add_f32 v[40:41], v[36:37], v[38:39] op_sel:[1,0] op_sel_hi:[0,1] neg_lo:[0,1] neg_hi:[0,1]
	v_pk_add_f32 v[48:49], v[44:45], v[40:41] op_sel_hi:[1,0] neg_lo:[0,1] neg_hi:[0,1]
	v_mov_b32_e32 v44, v45
	v_mov_b32_e32 v45, v37
	v_pk_mov_b32 v[40:41], v[38:39], v[40:41] op_sel:[1,0]
	v_mov_b32_e32 v43, v38
	v_pk_add_f32 v[40:41], v[44:45], v[40:41] neg_lo:[0,1] neg_hi:[0,1]
	v_mov_b32_e32 v48, v46
	v_pk_add_f32 v[38:39], v[42:43], v[40:41] neg_lo:[0,1] neg_hi:[0,1]
	v_mov_b32_e32 v47, v37
	v_pk_add_f32 v[40:41], v[48:49], v[38:39]
	v_cmp_neq_f32_e64 s[58:59], s62, v19
	v_pk_add_f32 v[42:43], v[40:41], v[40:41] op_sel:[0,1] op_sel_hi:[1,0]
	s_nop 0
	v_pk_add_f32 v[36:37], v[36:37], v[42:43] op_sel:[1,0] op_sel_hi:[0,1]
	v_mov_b32_e32 v41, v36
	v_pk_add_f32 v[44:45], v[40:41], v[46:47] neg_lo:[0,1] neg_hi:[0,1]
	v_mov_b32_e32 v39, v42
	v_sub_f32_e32 v37, v40, v44
	v_pk_add_f32 v[38:39], v[38:39], v[44:45] neg_lo:[0,1] neg_hi:[0,1]
	v_sub_f32_e32 v37, v46, v37
	v_add_f32_e32 v37, v38, v37
	v_add_f32_e32 v37, v37, v39
	;; [unrolled: 1-line block ×3, first 2 shown]
	v_cndmask_b32_e64 v36, v50, v36, s[58:59]
	s_mov_b32 s58, 0x33800000
	v_cmp_lt_f32_e64 s[58:59], |v19|, s58
	s_nop 1
	v_cndmask_b32_e64 v19, v36, v19, s[58:59]
	v_add_f32_e32 v19, v18, v19
.LBB143_87:
	s_or_b64 exec, exec, s[60:61]
	v_cmp_eq_u32_e64 s[58:59], 0, v0
	; wave barrier
	s_nop 1
	v_cndmask_b32_e64 v19, v19, v35, s[58:59]
	ds_write_b32 v34, v19
	; wave barrier
	ds_read_b32 v18, v34 offset:4
	v_max_f32_e32 v36, v19, v19
	v_cmp_u_f32_e64 s[58:59], v19, v19
	s_waitcnt lgkmcnt(0)
	v_max_f32_e32 v37, v18, v18
	v_min_f32_e32 v35, v36, v37
	v_max_f32_e32 v36, v36, v37
	v_cndmask_b32_e64 v35, v35, v19, s[58:59]
	v_cmp_u_f32_e64 s[60:61], v18, v18
	v_cndmask_b32_e64 v36, v36, v19, s[58:59]
	s_nop 0
	v_cndmask_b32_e64 v35, v35, v18, s[60:61]
	v_cndmask_b32_e64 v18, v36, v18, s[60:61]
	v_cmp_neq_f32_e64 s[58:59], v35, v18
	v_cmp_class_f32_e64 s[60:61], v35, s33
	s_or_b64 s[58:59], s[58:59], s[60:61]
	s_and_saveexec_b64 s[60:61], s[58:59]
	s_cbranch_execz .LBB143_89
; %bb.88:
	v_sub_f32_e32 v19, v35, v18
	s_mov_b32 s33, 0x3fb8aa3b
	v_mul_f32_e32 v35, 0x3fb8aa3b, v19
	v_fma_f32 v36, v19, s33, -v35
	v_rndne_f32_e32 v37, v35
	v_fmamk_f32 v36, v19, 0x32a5705f, v36
	v_sub_f32_e32 v35, v35, v37
	v_add_f32_e32 v35, v35, v36
	v_exp_f32_e32 v35, v35
	v_cvt_i32_f32_e32 v36, v37
	s_mov_b32 s33, 0xc2ce8ed0
	v_cmp_ngt_f32_e64 s[58:59], s33, v19
	s_mov_b32 s33, 0x42b17218
	v_ldexp_f32 v35, v35, v36
	v_cndmask_b32_e64 v35, 0, v35, s[58:59]
	v_mov_b32_e32 v50, 0x7f800000
	v_cmp_nlt_f32_e64 s[58:59], s33, v19
	s_mov_b32 s33, 0x3f2aaaab
	s_mov_b32 s62, 0x7f800000
	v_cndmask_b32_e64 v19, v50, v35, s[58:59]
	v_add_f32_e32 v35, 1.0, v19
	v_add_f32_e32 v36, -1.0, v35
	v_sub_f32_e32 v37, v36, v35
	v_add_f32_e32 v37, 1.0, v37
	v_sub_f32_e32 v36, v19, v36
	v_add_f32_e32 v38, v36, v37
	v_frexp_mant_f32_e32 v39, v35
	v_cvt_f64_f32_e32 v[36:37], v35
	v_frexp_exp_i32_f64_e32 v36, v[36:37]
	v_cmp_gt_f32_e64 s[58:59], s33, v39
	s_mov_b32 s33, 0x3f317218
	s_nop 0
	v_subbrev_co_u32_e64 v44, s[58:59], 0, v36, s[58:59]
	v_sub_u32_e32 v36, 0, v44
	v_ldexp_f32 v35, v35, v36
	v_ldexp_f32 v36, v38, v36
	v_add_f32_e32 v38, -1.0, v35
	v_add_f32_e32 v37, 1.0, v38
	v_sub_f32_e32 v37, v35, v37
	v_add_f32_e32 v39, v36, v37
	v_add_f32_e32 v37, 1.0, v35
	v_add_f32_e32 v40, -1.0, v37
	v_sub_f32_e32 v35, v35, v40
	v_add_f32_e32 v35, v36, v35
	v_add_f32_e32 v45, v37, v35
	v_rcp_f32_e32 v46, v45
	v_sub_f32_e32 v36, v37, v45
	v_add_f32_e32 v37, v38, v39
	v_add_f32_e32 v35, v35, v36
	v_mul_f32_e32 v48, v37, v46
	v_sub_f32_e32 v36, v38, v37
	v_mul_f32_e32 v38, v45, v48
	v_fma_f32 v40, v48, v45, -v38
	v_fmac_f32_e32 v40, v48, v35
	v_add_f32_e32 v47, v39, v36
	v_add_f32_e32 v36, v38, v40
	v_sub_f32_e32 v39, v37, v36
	v_pk_add_f32 v[42:43], v[36:37], v[38:39] neg_lo:[0,1] neg_hi:[0,1]
	v_mov_b32_e32 v41, v36
	v_pk_add_f32 v[36:37], v[42:43], v[40:41] neg_lo:[0,1] neg_hi:[0,1]
	v_cmp_neq_f32_e64 s[58:59], s62, v19
	v_add_f32_e32 v37, v47, v37
	v_add_f32_e32 v36, v36, v37
	;; [unrolled: 1-line block ×3, first 2 shown]
	v_mul_f32_e32 v47, v46, v37
	v_mul_f32_e32 v38, v45, v47
	v_fma_f32 v40, v47, v45, -v38
	v_fmac_f32_e32 v40, v47, v35
	v_sub_f32_e32 v35, v39, v37
	v_add_f32_e32 v35, v36, v35
	v_add_f32_e32 v36, v38, v40
	v_sub_f32_e32 v39, v37, v36
	v_pk_add_f32 v[42:43], v[36:37], v[38:39] neg_lo:[0,1] neg_hi:[0,1]
	v_mov_b32_e32 v41, v36
	v_pk_add_f32 v[36:37], v[42:43], v[40:41] neg_lo:[0,1] neg_hi:[0,1]
	v_cvt_f32_i32_e32 v38, v44
	v_add_f32_e32 v35, v35, v37
	v_add_f32_e32 v35, v36, v35
	;; [unrolled: 1-line block ×4, first 2 shown]
	v_sub_f32_e32 v37, v36, v48
	v_mul_f32_e32 v35, v46, v35
	v_sub_f32_e32 v37, v47, v37
	v_add_f32_e32 v35, v37, v35
	v_add_f32_e32 v39, v36, v35
	v_mul_f32_e32 v40, v39, v39
	v_mov_b32_e32 v37, 0x3ecc95a3
	v_fmac_f32_e32 v37, 0x3e9b6dac, v40
	v_sub_f32_e32 v36, v39, v36
	v_fmaak_f32 v37, v40, v37, 0x3f2aaada
	v_sub_f32_e32 v35, v35, v36
	v_ldexp_f32 v41, v39, 1
	v_mul_f32_e32 v39, v39, v40
	v_mov_b32_e32 v36, 0x3f317218
	v_pk_mul_f32 v[36:37], v[38:39], v[36:37]
	v_ldexp_f32 v35, v35, 1
	v_fma_f32 v39, v38, s33, -v36
	v_fmamk_f32 v40, v38, 0xb102e308, v39
	v_pk_add_f32 v[38:39], v[36:37], v[40:41]
	v_mov_b32_e32 v42, v36
	v_sub_f32_e32 v41, v39, v41
	v_sub_f32_e32 v41, v37, v41
	v_add_f32_e32 v43, v35, v41
	v_pk_add_f32 v[36:37], v[38:39], v[36:37] neg_lo:[0,1] neg_hi:[0,1]
	v_pk_add_f32 v[44:45], v[38:39], v[42:43]
	v_mov_b32_e32 v41, v38
	v_mov_b32_e32 v37, v45
	v_pk_add_f32 v[46:47], v[40:41], v[36:37] neg_lo:[0,1] neg_hi:[0,1]
	v_pk_add_f32 v[36:37], v[40:41], v[36:37]
	v_mov_b32_e32 v42, v43
	v_pk_add_f32 v[40:41], v[36:37], v[38:39] op_sel:[1,0] op_sel_hi:[0,1] neg_lo:[0,1] neg_hi:[0,1]
	v_pk_add_f32 v[48:49], v[44:45], v[40:41] op_sel_hi:[1,0] neg_lo:[0,1] neg_hi:[0,1]
	v_mov_b32_e32 v44, v45
	v_mov_b32_e32 v45, v37
	v_pk_mov_b32 v[40:41], v[38:39], v[40:41] op_sel:[1,0]
	v_mov_b32_e32 v43, v38
	v_pk_add_f32 v[40:41], v[44:45], v[40:41] neg_lo:[0,1] neg_hi:[0,1]
	v_mov_b32_e32 v48, v46
	v_pk_add_f32 v[38:39], v[42:43], v[40:41] neg_lo:[0,1] neg_hi:[0,1]
	v_mov_b32_e32 v47, v37
	v_pk_add_f32 v[40:41], v[48:49], v[38:39]
	s_mov_b32 s33, 0x33800000
	v_pk_add_f32 v[42:43], v[40:41], v[40:41] op_sel:[0,1] op_sel_hi:[1,0]
	s_nop 0
	v_pk_add_f32 v[36:37], v[36:37], v[42:43] op_sel:[1,0] op_sel_hi:[0,1]
	v_mov_b32_e32 v41, v36
	v_pk_add_f32 v[44:45], v[40:41], v[46:47] neg_lo:[0,1] neg_hi:[0,1]
	v_mov_b32_e32 v39, v42
	v_sub_f32_e32 v35, v40, v44
	v_pk_add_f32 v[38:39], v[38:39], v[44:45] neg_lo:[0,1] neg_hi:[0,1]
	v_sub_f32_e32 v35, v46, v35
	v_add_f32_e32 v35, v38, v35
	v_add_f32_e32 v35, v35, v39
	v_add_f32_e32 v35, v36, v35
	v_cndmask_b32_e64 v35, v50, v35, s[58:59]
	v_cmp_lt_f32_e64 s[58:59], |v19|, s33
	s_nop 1
	v_cndmask_b32_e64 v19, v35, v19, s[58:59]
	v_add_f32_e32 v19, v18, v19
.LBB143_89:
	s_or_b64 exec, exec, s[60:61]
	ds_read_b32 v18, v34 offset:8
	v_max_f32_e32 v36, v19, v19
	v_cmp_u_f32_e64 s[58:59], v19, v19
	s_movk_i32 s33, 0x1f8
	ds_write_b32 v34, v19 offset:4
	s_waitcnt lgkmcnt(1)
	v_max_f32_e32 v37, v18, v18
	v_min_f32_e32 v35, v36, v37
	v_max_f32_e32 v36, v36, v37
	v_cndmask_b32_e64 v35, v35, v19, s[58:59]
	v_cmp_u_f32_e64 s[60:61], v18, v18
	v_cndmask_b32_e64 v36, v36, v19, s[58:59]
	s_nop 0
	v_cndmask_b32_e64 v35, v35, v18, s[60:61]
	v_cndmask_b32_e64 v18, v36, v18, s[60:61]
	v_cmp_neq_f32_e64 s[58:59], v35, v18
	v_cmp_class_f32_e64 s[60:61], v35, s33
	s_or_b64 s[58:59], s[58:59], s[60:61]
	s_and_saveexec_b64 s[60:61], s[58:59]
	s_cbranch_execz .LBB143_91
; %bb.90:
	v_sub_f32_e32 v19, v35, v18
	s_mov_b32 s58, 0x3fb8aa3b
	v_mul_f32_e32 v35, 0x3fb8aa3b, v19
	v_fma_f32 v36, v19, s58, -v35
	v_rndne_f32_e32 v37, v35
	v_fmamk_f32 v36, v19, 0x32a5705f, v36
	v_sub_f32_e32 v35, v35, v37
	v_add_f32_e32 v35, v35, v36
	v_exp_f32_e32 v35, v35
	v_cvt_i32_f32_e32 v36, v37
	s_mov_b32 s58, 0xc2ce8ed0
	v_cmp_ngt_f32_e64 s[58:59], s58, v19
	v_mov_b32_e32 v50, 0x7f800000
	v_ldexp_f32 v35, v35, v36
	v_cndmask_b32_e64 v35, 0, v35, s[58:59]
	s_mov_b32 s58, 0x42b17218
	v_cmp_nlt_f32_e64 s[58:59], s58, v19
	s_mov_b32 s62, 0x7f800000
	s_nop 0
	v_cndmask_b32_e64 v19, v50, v35, s[58:59]
	v_add_f32_e32 v35, 1.0, v19
	v_add_f32_e32 v36, -1.0, v35
	v_sub_f32_e32 v37, v36, v35
	v_add_f32_e32 v37, 1.0, v37
	v_sub_f32_e32 v36, v19, v36
	v_add_f32_e32 v38, v36, v37
	v_frexp_mant_f32_e32 v39, v35
	s_mov_b32 s58, 0x3f2aaaab
	v_cvt_f64_f32_e32 v[36:37], v35
	v_frexp_exp_i32_f64_e32 v36, v[36:37]
	v_cmp_gt_f32_e64 s[58:59], s58, v39
	s_nop 1
	v_subbrev_co_u32_e64 v44, s[58:59], 0, v36, s[58:59]
	v_sub_u32_e32 v36, 0, v44
	v_ldexp_f32 v35, v35, v36
	v_ldexp_f32 v36, v38, v36
	v_add_f32_e32 v38, -1.0, v35
	v_add_f32_e32 v37, 1.0, v38
	v_sub_f32_e32 v37, v35, v37
	v_add_f32_e32 v39, v36, v37
	v_add_f32_e32 v37, 1.0, v35
	v_add_f32_e32 v40, -1.0, v37
	v_sub_f32_e32 v35, v35, v40
	v_add_f32_e32 v35, v36, v35
	v_add_f32_e32 v45, v37, v35
	v_rcp_f32_e32 v46, v45
	v_sub_f32_e32 v36, v37, v45
	v_add_f32_e32 v37, v38, v39
	v_add_f32_e32 v35, v35, v36
	v_mul_f32_e32 v48, v37, v46
	v_sub_f32_e32 v36, v38, v37
	v_mul_f32_e32 v38, v45, v48
	v_fma_f32 v40, v48, v45, -v38
	v_fmac_f32_e32 v40, v48, v35
	v_add_f32_e32 v47, v39, v36
	v_add_f32_e32 v36, v38, v40
	v_sub_f32_e32 v39, v37, v36
	v_pk_add_f32 v[42:43], v[36:37], v[38:39] neg_lo:[0,1] neg_hi:[0,1]
	v_mov_b32_e32 v41, v36
	v_pk_add_f32 v[36:37], v[42:43], v[40:41] neg_lo:[0,1] neg_hi:[0,1]
	s_mov_b32 s58, 0x3f317218
	v_add_f32_e32 v37, v47, v37
	v_add_f32_e32 v36, v36, v37
	;; [unrolled: 1-line block ×3, first 2 shown]
	v_mul_f32_e32 v47, v46, v37
	v_mul_f32_e32 v38, v45, v47
	v_fma_f32 v40, v47, v45, -v38
	v_fmac_f32_e32 v40, v47, v35
	v_sub_f32_e32 v35, v39, v37
	v_add_f32_e32 v35, v36, v35
	v_add_f32_e32 v36, v38, v40
	v_sub_f32_e32 v39, v37, v36
	v_pk_add_f32 v[42:43], v[36:37], v[38:39] neg_lo:[0,1] neg_hi:[0,1]
	v_mov_b32_e32 v41, v36
	v_pk_add_f32 v[36:37], v[42:43], v[40:41] neg_lo:[0,1] neg_hi:[0,1]
	v_cvt_f32_i32_e32 v38, v44
	v_add_f32_e32 v35, v35, v37
	v_add_f32_e32 v35, v36, v35
	;; [unrolled: 1-line block ×4, first 2 shown]
	v_sub_f32_e32 v37, v36, v48
	v_mul_f32_e32 v35, v46, v35
	v_sub_f32_e32 v37, v47, v37
	v_add_f32_e32 v35, v37, v35
	v_add_f32_e32 v39, v36, v35
	v_mul_f32_e32 v40, v39, v39
	v_mov_b32_e32 v37, 0x3ecc95a3
	v_fmac_f32_e32 v37, 0x3e9b6dac, v40
	v_sub_f32_e32 v36, v39, v36
	v_fmaak_f32 v37, v40, v37, 0x3f2aaada
	v_sub_f32_e32 v35, v35, v36
	v_ldexp_f32 v41, v39, 1
	v_mul_f32_e32 v39, v39, v40
	v_mov_b32_e32 v36, 0x3f317218
	v_pk_mul_f32 v[36:37], v[38:39], v[36:37]
	v_ldexp_f32 v35, v35, 1
	v_fma_f32 v39, v38, s58, -v36
	v_fmamk_f32 v40, v38, 0xb102e308, v39
	v_pk_add_f32 v[38:39], v[36:37], v[40:41]
	v_mov_b32_e32 v42, v36
	v_sub_f32_e32 v41, v39, v41
	v_sub_f32_e32 v41, v37, v41
	v_add_f32_e32 v43, v35, v41
	v_pk_add_f32 v[36:37], v[38:39], v[36:37] neg_lo:[0,1] neg_hi:[0,1]
	v_pk_add_f32 v[44:45], v[38:39], v[42:43]
	v_mov_b32_e32 v41, v38
	v_mov_b32_e32 v37, v45
	v_pk_add_f32 v[46:47], v[40:41], v[36:37] neg_lo:[0,1] neg_hi:[0,1]
	v_pk_add_f32 v[36:37], v[40:41], v[36:37]
	v_mov_b32_e32 v42, v43
	v_pk_add_f32 v[40:41], v[36:37], v[38:39] op_sel:[1,0] op_sel_hi:[0,1] neg_lo:[0,1] neg_hi:[0,1]
	v_pk_add_f32 v[48:49], v[44:45], v[40:41] op_sel_hi:[1,0] neg_lo:[0,1] neg_hi:[0,1]
	v_mov_b32_e32 v44, v45
	v_mov_b32_e32 v45, v37
	v_pk_mov_b32 v[40:41], v[38:39], v[40:41] op_sel:[1,0]
	v_mov_b32_e32 v43, v38
	v_pk_add_f32 v[40:41], v[44:45], v[40:41] neg_lo:[0,1] neg_hi:[0,1]
	v_mov_b32_e32 v48, v46
	v_pk_add_f32 v[38:39], v[42:43], v[40:41] neg_lo:[0,1] neg_hi:[0,1]
	v_mov_b32_e32 v47, v37
	v_pk_add_f32 v[40:41], v[48:49], v[38:39]
	v_cmp_neq_f32_e64 s[58:59], s62, v19
	v_pk_add_f32 v[42:43], v[40:41], v[40:41] op_sel:[0,1] op_sel_hi:[1,0]
	s_nop 0
	v_pk_add_f32 v[36:37], v[36:37], v[42:43] op_sel:[1,0] op_sel_hi:[0,1]
	v_mov_b32_e32 v41, v36
	v_pk_add_f32 v[44:45], v[40:41], v[46:47] neg_lo:[0,1] neg_hi:[0,1]
	v_mov_b32_e32 v39, v42
	v_sub_f32_e32 v35, v40, v44
	v_pk_add_f32 v[38:39], v[38:39], v[44:45] neg_lo:[0,1] neg_hi:[0,1]
	v_sub_f32_e32 v35, v46, v35
	v_add_f32_e32 v35, v38, v35
	v_add_f32_e32 v35, v35, v39
	;; [unrolled: 1-line block ×3, first 2 shown]
	v_cndmask_b32_e64 v35, v50, v35, s[58:59]
	s_mov_b32 s58, 0x33800000
	v_cmp_lt_f32_e64 s[58:59], |v19|, s58
	s_nop 1
	v_cndmask_b32_e64 v19, v35, v19, s[58:59]
	v_add_f32_e32 v19, v18, v19
.LBB143_91:
	s_or_b64 exec, exec, s[60:61]
	ds_read_b32 v18, v34 offset:12
	v_max_f32_e32 v36, v19, v19
	v_cmp_u_f32_e64 s[58:59], v19, v19
	ds_write_b32 v34, v19 offset:8
	s_waitcnt lgkmcnt(1)
	v_max_f32_e32 v37, v18, v18
	v_min_f32_e32 v35, v36, v37
	v_max_f32_e32 v36, v36, v37
	v_cndmask_b32_e64 v35, v35, v19, s[58:59]
	v_cmp_u_f32_e64 s[60:61], v18, v18
	v_cndmask_b32_e64 v36, v36, v19, s[58:59]
	s_nop 0
	v_cndmask_b32_e64 v35, v35, v18, s[60:61]
	v_cndmask_b32_e64 v18, v36, v18, s[60:61]
	v_cmp_neq_f32_e64 s[58:59], v35, v18
	v_cmp_class_f32_e64 s[60:61], v35, s33
	s_or_b64 s[58:59], s[58:59], s[60:61]
	s_and_saveexec_b64 s[60:61], s[58:59]
	s_cbranch_execz .LBB143_93
; %bb.92:
	v_sub_f32_e32 v19, v35, v18
	s_mov_b32 s33, 0x3fb8aa3b
	v_mul_f32_e32 v35, 0x3fb8aa3b, v19
	v_fma_f32 v36, v19, s33, -v35
	v_rndne_f32_e32 v37, v35
	v_fmamk_f32 v36, v19, 0x32a5705f, v36
	v_sub_f32_e32 v35, v35, v37
	v_add_f32_e32 v35, v35, v36
	v_exp_f32_e32 v35, v35
	v_cvt_i32_f32_e32 v36, v37
	s_mov_b32 s33, 0xc2ce8ed0
	v_cmp_ngt_f32_e64 s[58:59], s33, v19
	s_mov_b32 s33, 0x42b17218
	v_ldexp_f32 v35, v35, v36
	v_cndmask_b32_e64 v35, 0, v35, s[58:59]
	v_mov_b32_e32 v50, 0x7f800000
	v_cmp_nlt_f32_e64 s[58:59], s33, v19
	s_mov_b32 s33, 0x3f2aaaab
	s_mov_b32 s62, 0x7f800000
	v_cndmask_b32_e64 v19, v50, v35, s[58:59]
	v_add_f32_e32 v35, 1.0, v19
	v_add_f32_e32 v36, -1.0, v35
	v_sub_f32_e32 v37, v36, v35
	v_add_f32_e32 v37, 1.0, v37
	v_sub_f32_e32 v36, v19, v36
	v_add_f32_e32 v38, v36, v37
	v_frexp_mant_f32_e32 v39, v35
	v_cvt_f64_f32_e32 v[36:37], v35
	v_frexp_exp_i32_f64_e32 v36, v[36:37]
	v_cmp_gt_f32_e64 s[58:59], s33, v39
	s_mov_b32 s33, 0x3f317218
	s_nop 0
	v_subbrev_co_u32_e64 v44, s[58:59], 0, v36, s[58:59]
	v_sub_u32_e32 v36, 0, v44
	v_ldexp_f32 v35, v35, v36
	v_ldexp_f32 v36, v38, v36
	v_add_f32_e32 v38, -1.0, v35
	v_add_f32_e32 v37, 1.0, v38
	v_sub_f32_e32 v37, v35, v37
	v_add_f32_e32 v39, v36, v37
	v_add_f32_e32 v37, 1.0, v35
	v_add_f32_e32 v40, -1.0, v37
	v_sub_f32_e32 v35, v35, v40
	v_add_f32_e32 v35, v36, v35
	v_add_f32_e32 v45, v37, v35
	v_rcp_f32_e32 v46, v45
	v_sub_f32_e32 v36, v37, v45
	v_add_f32_e32 v37, v38, v39
	v_add_f32_e32 v35, v35, v36
	v_mul_f32_e32 v48, v37, v46
	v_sub_f32_e32 v36, v38, v37
	v_mul_f32_e32 v38, v45, v48
	v_fma_f32 v40, v48, v45, -v38
	v_fmac_f32_e32 v40, v48, v35
	v_add_f32_e32 v47, v39, v36
	v_add_f32_e32 v36, v38, v40
	v_sub_f32_e32 v39, v37, v36
	v_pk_add_f32 v[42:43], v[36:37], v[38:39] neg_lo:[0,1] neg_hi:[0,1]
	v_mov_b32_e32 v41, v36
	v_pk_add_f32 v[36:37], v[42:43], v[40:41] neg_lo:[0,1] neg_hi:[0,1]
	v_cmp_neq_f32_e64 s[58:59], s62, v19
	v_add_f32_e32 v37, v47, v37
	v_add_f32_e32 v36, v36, v37
	;; [unrolled: 1-line block ×3, first 2 shown]
	v_mul_f32_e32 v47, v46, v37
	v_mul_f32_e32 v38, v45, v47
	v_fma_f32 v40, v47, v45, -v38
	v_fmac_f32_e32 v40, v47, v35
	v_sub_f32_e32 v35, v39, v37
	v_add_f32_e32 v35, v36, v35
	v_add_f32_e32 v36, v38, v40
	v_sub_f32_e32 v39, v37, v36
	v_pk_add_f32 v[42:43], v[36:37], v[38:39] neg_lo:[0,1] neg_hi:[0,1]
	v_mov_b32_e32 v41, v36
	v_pk_add_f32 v[36:37], v[42:43], v[40:41] neg_lo:[0,1] neg_hi:[0,1]
	v_cvt_f32_i32_e32 v38, v44
	v_add_f32_e32 v35, v35, v37
	v_add_f32_e32 v35, v36, v35
	;; [unrolled: 1-line block ×4, first 2 shown]
	v_sub_f32_e32 v37, v36, v48
	v_mul_f32_e32 v35, v46, v35
	v_sub_f32_e32 v37, v47, v37
	v_add_f32_e32 v35, v37, v35
	v_add_f32_e32 v39, v36, v35
	v_mul_f32_e32 v40, v39, v39
	v_mov_b32_e32 v37, 0x3ecc95a3
	v_fmac_f32_e32 v37, 0x3e9b6dac, v40
	v_sub_f32_e32 v36, v39, v36
	v_fmaak_f32 v37, v40, v37, 0x3f2aaada
	v_sub_f32_e32 v35, v35, v36
	v_ldexp_f32 v41, v39, 1
	v_mul_f32_e32 v39, v39, v40
	v_mov_b32_e32 v36, 0x3f317218
	v_pk_mul_f32 v[36:37], v[38:39], v[36:37]
	v_ldexp_f32 v35, v35, 1
	v_fma_f32 v39, v38, s33, -v36
	v_fmamk_f32 v40, v38, 0xb102e308, v39
	v_pk_add_f32 v[38:39], v[36:37], v[40:41]
	v_mov_b32_e32 v42, v36
	v_sub_f32_e32 v41, v39, v41
	v_sub_f32_e32 v41, v37, v41
	v_add_f32_e32 v43, v35, v41
	v_pk_add_f32 v[36:37], v[38:39], v[36:37] neg_lo:[0,1] neg_hi:[0,1]
	v_pk_add_f32 v[44:45], v[38:39], v[42:43]
	v_mov_b32_e32 v41, v38
	v_mov_b32_e32 v37, v45
	v_pk_add_f32 v[46:47], v[40:41], v[36:37] neg_lo:[0,1] neg_hi:[0,1]
	v_pk_add_f32 v[36:37], v[40:41], v[36:37]
	v_mov_b32_e32 v42, v43
	v_pk_add_f32 v[40:41], v[36:37], v[38:39] op_sel:[1,0] op_sel_hi:[0,1] neg_lo:[0,1] neg_hi:[0,1]
	v_pk_add_f32 v[48:49], v[44:45], v[40:41] op_sel_hi:[1,0] neg_lo:[0,1] neg_hi:[0,1]
	v_mov_b32_e32 v44, v45
	v_mov_b32_e32 v45, v37
	v_pk_mov_b32 v[40:41], v[38:39], v[40:41] op_sel:[1,0]
	v_mov_b32_e32 v43, v38
	v_pk_add_f32 v[40:41], v[44:45], v[40:41] neg_lo:[0,1] neg_hi:[0,1]
	v_mov_b32_e32 v48, v46
	v_pk_add_f32 v[38:39], v[42:43], v[40:41] neg_lo:[0,1] neg_hi:[0,1]
	v_mov_b32_e32 v47, v37
	v_pk_add_f32 v[40:41], v[48:49], v[38:39]
	s_mov_b32 s33, 0x33800000
	v_pk_add_f32 v[42:43], v[40:41], v[40:41] op_sel:[0,1] op_sel_hi:[1,0]
	s_nop 0
	v_pk_add_f32 v[36:37], v[36:37], v[42:43] op_sel:[1,0] op_sel_hi:[0,1]
	v_mov_b32_e32 v41, v36
	v_pk_add_f32 v[44:45], v[40:41], v[46:47] neg_lo:[0,1] neg_hi:[0,1]
	v_mov_b32_e32 v39, v42
	v_sub_f32_e32 v35, v40, v44
	v_pk_add_f32 v[38:39], v[38:39], v[44:45] neg_lo:[0,1] neg_hi:[0,1]
	v_sub_f32_e32 v35, v46, v35
	v_add_f32_e32 v35, v38, v35
	v_add_f32_e32 v35, v35, v39
	;; [unrolled: 1-line block ×3, first 2 shown]
	v_cndmask_b32_e64 v35, v50, v35, s[58:59]
	v_cmp_lt_f32_e64 s[58:59], |v19|, s33
	s_nop 1
	v_cndmask_b32_e64 v19, v35, v19, s[58:59]
	v_add_f32_e32 v19, v18, v19
.LBB143_93:
	s_or_b64 exec, exec, s[60:61]
	ds_write_b32 v34, v19 offset:12
.LBB143_94:
	s_or_b64 exec, exec, s[64:65]
	s_load_dwordx2 s[58:59], s[0:1], 0x18
	v_mul_u32_u24_e32 v18, 52, v0
	v_cmp_ne_u32_e64 s[0:1], 0, v0
	s_waitcnt lgkmcnt(0)
	s_barrier
	s_and_saveexec_b64 s[60:61], s[0:1]
	s_cbranch_execz .LBB143_98
; %bb.95:
	v_add_u32_e32 v0, -1, v0
	v_lshrrev_b32_e32 v19, 3, v0
	v_and_b32_e32 v19, 0x1ffffffc, v19
	v_lshl_add_u32 v0, v0, 2, v19
	ds_read_b32 v19, v0
	s_movk_i32 s33, 0x1f8
	s_waitcnt lgkmcnt(0)
	v_max_f32_e32 v0, v19, v19
	v_min_f32_e32 v31, v0, v32
	v_max_f32_e32 v0, v0, v32
	v_cmp_u_f32_e64 s[0:1], v19, v19
	s_nop 1
	v_cndmask_b32_e64 v31, v31, v19, s[0:1]
	v_cndmask_b32_e64 v0, v0, v19, s[0:1]
	;; [unrolled: 1-line block ×4, first 2 shown]
	v_cmp_neq_f32_e64 s[0:1], v31, v0
	v_cmp_class_f32_e64 s[56:57], v31, s33
	s_or_b64 s[0:1], s[0:1], s[56:57]
	s_and_saveexec_b64 s[56:57], s[0:1]
	s_cbranch_execz .LBB143_97
; %bb.96:
	v_sub_f32_e32 v2, v31, v0
	s_mov_b32 s0, 0x3fb8aa3b
	v_mul_f32_e32 v19, 0x3fb8aa3b, v2
	v_fma_f32 v31, v2, s0, -v19
	v_rndne_f32_e32 v32, v19
	v_fmamk_f32 v31, v2, 0x32a5705f, v31
	v_sub_f32_e32 v19, v19, v32
	v_add_f32_e32 v19, v19, v31
	v_exp_f32_e32 v19, v19
	v_cvt_i32_f32_e32 v31, v32
	s_mov_b32 s0, 0xc2ce8ed0
	v_cmp_ngt_f32_e64 s[0:1], s0, v2
	s_mov_b32 s33, 0x7f800000
	v_ldexp_f32 v19, v19, v31
	v_cndmask_b32_e64 v19, 0, v19, s[0:1]
	s_mov_b32 s0, 0x42b17218
	v_mov_b32_e32 v31, 0x7f800000
	v_cmp_nlt_f32_e64 s[0:1], s0, v2
	s_nop 1
	v_cndmask_b32_e64 v2, v31, v19, s[0:1]
	v_add_f32_e32 v19, 1.0, v2
	v_add_f32_e32 v32, -1.0, v19
	v_sub_f32_e32 v33, v32, v19
	v_add_f32_e32 v33, 1.0, v33
	v_sub_f32_e32 v32, v2, v32
	v_add_f32_e32 v34, v32, v33
	v_frexp_mant_f32_e32 v35, v19
	s_mov_b32 s0, 0x3f2aaaab
	v_cvt_f64_f32_e32 v[32:33], v19
	v_frexp_exp_i32_f64_e32 v32, v[32:33]
	v_cmp_gt_f32_e64 s[0:1], s0, v35
	s_nop 1
	v_subbrev_co_u32_e64 v40, s[0:1], 0, v32, s[0:1]
	v_sub_u32_e32 v32, 0, v40
	v_ldexp_f32 v19, v19, v32
	v_ldexp_f32 v32, v34, v32
	v_add_f32_e32 v34, -1.0, v19
	v_add_f32_e32 v33, 1.0, v34
	v_sub_f32_e32 v33, v19, v33
	v_add_f32_e32 v35, v32, v33
	v_add_f32_e32 v33, 1.0, v19
	v_add_f32_e32 v36, -1.0, v33
	v_sub_f32_e32 v19, v19, v36
	v_add_f32_e32 v19, v32, v19
	v_add_f32_e32 v41, v33, v19
	v_rcp_f32_e32 v42, v41
	v_sub_f32_e32 v32, v33, v41
	v_add_f32_e32 v33, v34, v35
	v_add_f32_e32 v19, v19, v32
	v_mul_f32_e32 v44, v33, v42
	v_sub_f32_e32 v32, v34, v33
	v_mul_f32_e32 v34, v41, v44
	v_fma_f32 v36, v44, v41, -v34
	v_fmac_f32_e32 v36, v44, v19
	v_add_f32_e32 v43, v35, v32
	v_add_f32_e32 v32, v34, v36
	v_sub_f32_e32 v35, v33, v32
	v_pk_add_f32 v[38:39], v[32:33], v[34:35] neg_lo:[0,1] neg_hi:[0,1]
	v_mov_b32_e32 v37, v32
	v_pk_add_f32 v[32:33], v[38:39], v[36:37] neg_lo:[0,1] neg_hi:[0,1]
	s_mov_b32 s0, 0x3f317218
	v_add_f32_e32 v33, v43, v33
	v_add_f32_e32 v32, v32, v33
	;; [unrolled: 1-line block ×3, first 2 shown]
	v_mul_f32_e32 v43, v42, v33
	v_mul_f32_e32 v34, v41, v43
	v_fma_f32 v36, v43, v41, -v34
	v_fmac_f32_e32 v36, v43, v19
	v_sub_f32_e32 v19, v35, v33
	v_add_f32_e32 v19, v32, v19
	v_add_f32_e32 v32, v34, v36
	v_sub_f32_e32 v35, v33, v32
	v_pk_add_f32 v[38:39], v[32:33], v[34:35] neg_lo:[0,1] neg_hi:[0,1]
	v_mov_b32_e32 v37, v32
	v_pk_add_f32 v[32:33], v[38:39], v[36:37] neg_lo:[0,1] neg_hi:[0,1]
	v_cvt_f32_i32_e32 v34, v40
	v_add_f32_e32 v19, v19, v33
	v_add_f32_e32 v19, v32, v19
	;; [unrolled: 1-line block ×4, first 2 shown]
	v_sub_f32_e32 v33, v32, v44
	v_mul_f32_e32 v19, v42, v19
	v_sub_f32_e32 v33, v43, v33
	v_add_f32_e32 v19, v33, v19
	v_add_f32_e32 v35, v32, v19
	v_mul_f32_e32 v36, v35, v35
	v_mov_b32_e32 v33, 0x3ecc95a3
	v_fmac_f32_e32 v33, 0x3e9b6dac, v36
	v_sub_f32_e32 v32, v35, v32
	v_fmaak_f32 v33, v36, v33, 0x3f2aaada
	v_sub_f32_e32 v19, v19, v32
	v_ldexp_f32 v37, v35, 1
	v_mul_f32_e32 v35, v35, v36
	v_mov_b32_e32 v32, 0x3f317218
	v_pk_mul_f32 v[32:33], v[34:35], v[32:33]
	v_ldexp_f32 v19, v19, 1
	v_fma_f32 v35, v34, s0, -v32
	v_fmamk_f32 v36, v34, 0xb102e308, v35
	v_pk_add_f32 v[34:35], v[32:33], v[36:37]
	v_mov_b32_e32 v38, v32
	v_sub_f32_e32 v37, v35, v37
	v_sub_f32_e32 v37, v33, v37
	v_add_f32_e32 v39, v19, v37
	v_pk_add_f32 v[32:33], v[34:35], v[32:33] neg_lo:[0,1] neg_hi:[0,1]
	v_pk_add_f32 v[40:41], v[34:35], v[38:39]
	v_mov_b32_e32 v37, v34
	v_mov_b32_e32 v33, v41
	v_pk_add_f32 v[42:43], v[36:37], v[32:33] neg_lo:[0,1] neg_hi:[0,1]
	v_pk_add_f32 v[32:33], v[36:37], v[32:33]
	v_mov_b32_e32 v38, v39
	v_pk_add_f32 v[36:37], v[32:33], v[34:35] op_sel:[1,0] op_sel_hi:[0,1] neg_lo:[0,1] neg_hi:[0,1]
	v_pk_add_f32 v[44:45], v[40:41], v[36:37] op_sel_hi:[1,0] neg_lo:[0,1] neg_hi:[0,1]
	v_mov_b32_e32 v40, v41
	v_mov_b32_e32 v41, v33
	v_pk_mov_b32 v[36:37], v[34:35], v[36:37] op_sel:[1,0]
	v_mov_b32_e32 v39, v34
	v_pk_add_f32 v[36:37], v[40:41], v[36:37] neg_lo:[0,1] neg_hi:[0,1]
	v_mov_b32_e32 v44, v42
	v_pk_add_f32 v[34:35], v[38:39], v[36:37] neg_lo:[0,1] neg_hi:[0,1]
	v_mov_b32_e32 v43, v33
	v_pk_add_f32 v[36:37], v[44:45], v[34:35]
	v_cmp_neq_f32_e64 s[0:1], s33, v2
	v_pk_add_f32 v[38:39], v[36:37], v[36:37] op_sel:[0,1] op_sel_hi:[1,0]
	s_nop 0
	v_pk_add_f32 v[32:33], v[32:33], v[38:39] op_sel:[1,0] op_sel_hi:[0,1]
	v_mov_b32_e32 v37, v32
	v_pk_add_f32 v[40:41], v[36:37], v[42:43] neg_lo:[0,1] neg_hi:[0,1]
	v_mov_b32_e32 v35, v38
	v_sub_f32_e32 v19, v36, v40
	v_pk_add_f32 v[34:35], v[34:35], v[40:41] neg_lo:[0,1] neg_hi:[0,1]
	v_sub_f32_e32 v19, v42, v19
	v_add_f32_e32 v19, v34, v19
	v_add_f32_e32 v19, v19, v35
	;; [unrolled: 1-line block ×3, first 2 shown]
	v_cndmask_b32_e64 v19, v31, v19, s[0:1]
	s_mov_b32 s0, 0x33800000
	v_cmp_lt_f32_e64 s[0:1], |v2|, s0
	s_nop 1
	v_cndmask_b32_e64 v2, v19, v2, s[0:1]
	v_add_f32_e32 v19, v0, v2
.LBB143_97:
	s_or_b64 exec, exec, s[56:57]
	v_max_f32_e32 v0, v19, v19
	v_min_f32_e32 v31, v0, v24
	v_max_f32_e32 v33, v0, v24
	v_mov_b32_e32 v2, v19
	;;#ASMSTART
	;;#ASMEND
.LBB143_98:
	s_or_b64 exec, exec, s[60:61]
	v_cmp_u_f32_e64 s[0:1], v2, v2
	s_movk_i32 s33, 0x1f8
	s_nop 0
	v_cndmask_b32_e64 v0, v31, v2, s[0:1]
	v_cndmask_b32_e64 v19, v0, v3, s[28:29]
	;; [unrolled: 1-line block ×4, first 2 shown]
	v_cmp_neq_f32_e64 s[0:1], v19, v0
	v_cmp_class_f32_e64 s[28:29], v19, s33
	s_or_b64 s[0:1], s[0:1], s[28:29]
	v_mov_b32_e32 v3, v2
	s_and_saveexec_b64 s[28:29], s[0:1]
	s_cbranch_execz .LBB143_100
; %bb.99:
	v_sub_f32_e32 v3, v19, v0
	s_mov_b32 s0, 0x3fb8aa3b
	v_mul_f32_e32 v19, 0x3fb8aa3b, v3
	v_fma_f32 v24, v3, s0, -v19
	v_rndne_f32_e32 v31, v19
	v_fmamk_f32 v24, v3, 0x32a5705f, v24
	v_sub_f32_e32 v19, v19, v31
	v_add_f32_e32 v19, v19, v24
	v_exp_f32_e32 v19, v19
	v_cvt_i32_f32_e32 v24, v31
	s_mov_b32 s0, 0xc2ce8ed0
	v_cmp_ngt_f32_e64 s[0:1], s0, v3
	s_mov_b32 s56, 0x7f800000
	v_ldexp_f32 v19, v19, v24
	v_cndmask_b32_e64 v19, 0, v19, s[0:1]
	s_mov_b32 s0, 0x42b17218
	v_mov_b32_e32 v24, 0x7f800000
	v_cmp_nlt_f32_e64 s[0:1], s0, v3
	s_nop 1
	v_cndmask_b32_e64 v3, v24, v19, s[0:1]
	v_add_f32_e32 v19, 1.0, v3
	v_add_f32_e32 v31, -1.0, v19
	v_sub_f32_e32 v32, v31, v19
	v_add_f32_e32 v32, 1.0, v32
	v_sub_f32_e32 v31, v3, v31
	v_add_f32_e32 v31, v31, v32
	v_frexp_mant_f32_e32 v34, v19
	s_mov_b32 s0, 0x3f2aaaab
	v_cvt_f64_f32_e32 v[32:33], v19
	v_frexp_exp_i32_f64_e32 v32, v[32:33]
	v_cmp_gt_f32_e64 s[0:1], s0, v34
	s_nop 1
	v_subbrev_co_u32_e64 v40, s[0:1], 0, v32, s[0:1]
	v_sub_u32_e32 v32, 0, v40
	v_ldexp_f32 v19, v19, v32
	v_ldexp_f32 v31, v31, v32
	v_add_f32_e32 v32, -1.0, v19
	v_add_f32_e32 v33, 1.0, v32
	v_sub_f32_e32 v33, v19, v33
	v_add_f32_e32 v34, v31, v33
	v_add_f32_e32 v33, 1.0, v19
	v_add_f32_e32 v35, -1.0, v33
	v_sub_f32_e32 v19, v19, v35
	v_add_f32_e32 v19, v31, v19
	v_add_f32_e32 v31, v33, v19
	v_rcp_f32_e32 v41, v31
	v_sub_f32_e32 v33, v33, v31
	v_add_f32_e32 v19, v19, v33
	v_add_f32_e32 v33, v32, v34
	v_sub_f32_e32 v32, v32, v33
	v_mul_f32_e32 v43, v33, v41
	v_add_f32_e32 v42, v34, v32
	v_mul_f32_e32 v34, v31, v43
	v_fma_f32 v36, v43, v31, -v34
	v_fmac_f32_e32 v36, v43, v19
	v_add_f32_e32 v32, v34, v36
	v_sub_f32_e32 v35, v33, v32
	v_pk_add_f32 v[38:39], v[32:33], v[34:35] neg_lo:[0,1] neg_hi:[0,1]
	v_mov_b32_e32 v37, v32
	v_pk_add_f32 v[32:33], v[38:39], v[36:37] neg_lo:[0,1] neg_hi:[0,1]
	s_mov_b32 s0, 0x3f317218
	v_add_f32_e32 v33, v42, v33
	v_add_f32_e32 v32, v32, v33
	;; [unrolled: 1-line block ×3, first 2 shown]
	v_mul_f32_e32 v42, v41, v33
	v_mul_f32_e32 v34, v31, v42
	v_fma_f32 v36, v42, v31, -v34
	v_fmac_f32_e32 v36, v42, v19
	v_sub_f32_e32 v19, v35, v33
	v_add_f32_e32 v19, v32, v19
	v_add_f32_e32 v32, v34, v36
	v_sub_f32_e32 v35, v33, v32
	v_pk_add_f32 v[38:39], v[32:33], v[34:35] neg_lo:[0,1] neg_hi:[0,1]
	v_mov_b32_e32 v37, v32
	v_pk_add_f32 v[32:33], v[38:39], v[36:37] neg_lo:[0,1] neg_hi:[0,1]
	v_add_f32_e32 v31, v43, v42
	v_add_f32_e32 v19, v19, v33
	v_add_f32_e32 v19, v32, v19
	v_add_f32_e32 v19, v35, v19
	v_sub_f32_e32 v32, v31, v43
	v_mul_f32_e32 v19, v41, v19
	v_sub_f32_e32 v32, v42, v32
	v_add_f32_e32 v19, v32, v19
	v_add_f32_e32 v32, v31, v19
	v_cvt_f32_i32_e32 v34, v40
	v_mul_f32_e32 v35, v32, v32
	v_mov_b32_e32 v33, 0x3ecc95a3
	v_fmac_f32_e32 v33, 0x3e9b6dac, v35
	v_fmaak_f32 v33, v35, v33, 0x3f2aaada
	v_sub_f32_e32 v31, v32, v31
	v_ldexp_f32 v37, v32, 1
	v_mul_f32_e32 v35, v32, v35
	v_mov_b32_e32 v32, 0x3f317218
	v_pk_mul_f32 v[32:33], v[34:35], v[32:33]
	v_sub_f32_e32 v19, v19, v31
	v_fma_f32 v31, v34, s0, -v32
	v_fmamk_f32 v36, v34, 0xb102e308, v31
	v_pk_add_f32 v[34:35], v[32:33], v[36:37]
	v_ldexp_f32 v19, v19, 1
	v_sub_f32_e32 v31, v35, v37
	v_sub_f32_e32 v31, v33, v31
	v_add_f32_e32 v39, v19, v31
	v_mov_b32_e32 v38, v32
	v_pk_add_f32 v[32:33], v[34:35], v[32:33] neg_lo:[0,1] neg_hi:[0,1]
	v_pk_add_f32 v[40:41], v[34:35], v[38:39]
	v_mov_b32_e32 v37, v34
	v_mov_b32_e32 v33, v41
	v_pk_add_f32 v[42:43], v[36:37], v[32:33] neg_lo:[0,1] neg_hi:[0,1]
	v_pk_add_f32 v[32:33], v[36:37], v[32:33]
	v_mov_b32_e32 v38, v39
	v_pk_add_f32 v[36:37], v[32:33], v[34:35] op_sel:[1,0] op_sel_hi:[0,1] neg_lo:[0,1] neg_hi:[0,1]
	v_pk_add_f32 v[44:45], v[40:41], v[36:37] op_sel_hi:[1,0] neg_lo:[0,1] neg_hi:[0,1]
	v_mov_b32_e32 v40, v41
	v_mov_b32_e32 v41, v33
	v_pk_mov_b32 v[36:37], v[34:35], v[36:37] op_sel:[1,0]
	v_mov_b32_e32 v39, v34
	v_pk_add_f32 v[36:37], v[40:41], v[36:37] neg_lo:[0,1] neg_hi:[0,1]
	v_mov_b32_e32 v44, v42
	v_pk_add_f32 v[34:35], v[38:39], v[36:37] neg_lo:[0,1] neg_hi:[0,1]
	v_mov_b32_e32 v43, v33
	v_pk_add_f32 v[36:37], v[44:45], v[34:35]
	v_cmp_neq_f32_e64 s[0:1], s56, v3
	v_pk_add_f32 v[38:39], v[36:37], v[36:37] op_sel:[0,1] op_sel_hi:[1,0]
	s_nop 0
	v_pk_add_f32 v[32:33], v[32:33], v[38:39] op_sel:[1,0] op_sel_hi:[0,1]
	v_mov_b32_e32 v37, v32
	v_pk_add_f32 v[40:41], v[36:37], v[42:43] neg_lo:[0,1] neg_hi:[0,1]
	v_mov_b32_e32 v35, v38
	v_sub_f32_e32 v19, v36, v40
	v_pk_add_f32 v[34:35], v[34:35], v[40:41] neg_lo:[0,1] neg_hi:[0,1]
	v_sub_f32_e32 v19, v42, v19
	v_add_f32_e32 v19, v34, v19
	v_add_f32_e32 v19, v19, v35
	;; [unrolled: 1-line block ×3, first 2 shown]
	v_cndmask_b32_e64 v19, v24, v19, s[0:1]
	s_mov_b32 s0, 0x33800000
	v_cmp_lt_f32_e64 s[0:1], |v3|, s0
	s_nop 1
	v_cndmask_b32_e64 v3, v19, v3, s[0:1]
	v_add_f32_e32 v3, v0, v3
.LBB143_100:
	s_or_b64 exec, exec, s[28:29]
	v_max_f32_e32 v0, v3, v3
	v_min_f32_e32 v19, v0, v1
	v_cmp_u_f32_e64 s[0:1], v3, v3
	v_max_f32_e32 v0, v0, v1
	s_nop 0
	v_cndmask_b32_e64 v19, v19, v3, s[0:1]
	v_cndmask_b32_e64 v0, v0, v3, s[0:1]
	;; [unrolled: 1-line block ×4, first 2 shown]
	v_cmp_neq_f32_e64 s[0:1], v19, v1
	v_cmp_class_f32_e64 s[28:29], v19, s33
	s_or_b64 s[0:1], s[0:1], s[28:29]
	v_mov_b32_e32 v0, v3
	s_and_saveexec_b64 s[28:29], s[0:1]
	s_cbranch_execz .LBB143_102
; %bb.101:
	v_sub_f32_e32 v0, v19, v1
	s_mov_b32 s0, 0x3fb8aa3b
	v_mul_f32_e32 v4, 0x3fb8aa3b, v0
	v_fma_f32 v19, v0, s0, -v4
	v_rndne_f32_e32 v24, v4
	v_fmamk_f32 v19, v0, 0x32a5705f, v19
	v_sub_f32_e32 v4, v4, v24
	v_add_f32_e32 v4, v4, v19
	v_exp_f32_e32 v4, v4
	v_cvt_i32_f32_e32 v19, v24
	s_mov_b32 s0, 0xc2ce8ed0
	v_cmp_ngt_f32_e64 s[0:1], s0, v0
	s_mov_b32 s30, 0x7f800000
	v_ldexp_f32 v4, v4, v19
	v_cndmask_b32_e64 v4, 0, v4, s[0:1]
	s_mov_b32 s0, 0x42b17218
	v_mov_b32_e32 v19, 0x7f800000
	v_cmp_nlt_f32_e64 s[0:1], s0, v0
	s_nop 1
	v_cndmask_b32_e64 v0, v19, v4, s[0:1]
	v_add_f32_e32 v4, 1.0, v0
	v_add_f32_e32 v24, -1.0, v4
	v_sub_f32_e32 v31, v24, v4
	v_add_f32_e32 v31, 1.0, v31
	v_sub_f32_e32 v24, v0, v24
	v_add_f32_e32 v24, v24, v31
	v_frexp_mant_f32_e32 v31, v4
	s_mov_b32 s0, 0x3f2aaaab
	v_cvt_f64_f32_e32 v[32:33], v4
	v_frexp_exp_i32_f64_e32 v32, v[32:33]
	v_cmp_gt_f32_e64 s[0:1], s0, v31
	s_nop 1
	v_subbrev_co_u32_e64 v31, s[0:1], 0, v32, s[0:1]
	v_sub_u32_e32 v32, 0, v31
	v_ldexp_f32 v4, v4, v32
	v_ldexp_f32 v24, v24, v32
	v_add_f32_e32 v32, -1.0, v4
	v_add_f32_e32 v33, 1.0, v32
	v_sub_f32_e32 v33, v4, v33
	v_add_f32_e32 v34, v24, v33
	v_add_f32_e32 v33, 1.0, v4
	v_add_f32_e32 v35, -1.0, v33
	v_sub_f32_e32 v4, v4, v35
	v_add_f32_e32 v4, v24, v4
	v_add_f32_e32 v24, v33, v4
	v_rcp_f32_e32 v40, v24
	v_sub_f32_e32 v33, v33, v24
	v_add_f32_e32 v4, v4, v33
	v_add_f32_e32 v33, v32, v34
	v_sub_f32_e32 v32, v32, v33
	v_mul_f32_e32 v42, v33, v40
	v_add_f32_e32 v41, v34, v32
	v_mul_f32_e32 v34, v24, v42
	v_fma_f32 v36, v42, v24, -v34
	v_fmac_f32_e32 v36, v42, v4
	v_add_f32_e32 v32, v34, v36
	v_sub_f32_e32 v35, v33, v32
	v_pk_add_f32 v[38:39], v[32:33], v[34:35] neg_lo:[0,1] neg_hi:[0,1]
	v_mov_b32_e32 v37, v32
	v_pk_add_f32 v[32:33], v[38:39], v[36:37] neg_lo:[0,1] neg_hi:[0,1]
	s_mov_b32 s0, 0x3f317218
	v_add_f32_e32 v33, v41, v33
	v_add_f32_e32 v32, v32, v33
	;; [unrolled: 1-line block ×3, first 2 shown]
	v_mul_f32_e32 v41, v40, v33
	v_mul_f32_e32 v34, v24, v41
	v_fma_f32 v36, v41, v24, -v34
	v_fmac_f32_e32 v36, v41, v4
	v_sub_f32_e32 v4, v35, v33
	v_add_f32_e32 v4, v32, v4
	v_add_f32_e32 v32, v34, v36
	v_sub_f32_e32 v35, v33, v32
	v_pk_add_f32 v[38:39], v[32:33], v[34:35] neg_lo:[0,1] neg_hi:[0,1]
	v_mov_b32_e32 v37, v32
	v_pk_add_f32 v[32:33], v[38:39], v[36:37] neg_lo:[0,1] neg_hi:[0,1]
	v_add_f32_e32 v24, v42, v41
	v_add_f32_e32 v4, v4, v33
	;; [unrolled: 1-line block ×4, first 2 shown]
	v_sub_f32_e32 v32, v24, v42
	v_mul_f32_e32 v4, v40, v4
	v_sub_f32_e32 v32, v41, v32
	v_add_f32_e32 v4, v32, v4
	v_add_f32_e32 v32, v24, v4
	v_cvt_f32_i32_e32 v34, v31
	v_mul_f32_e32 v35, v32, v32
	v_mov_b32_e32 v33, 0x3ecc95a3
	v_fmac_f32_e32 v33, 0x3e9b6dac, v35
	v_fmaak_f32 v33, v35, v33, 0x3f2aaada
	v_sub_f32_e32 v24, v32, v24
	v_ldexp_f32 v37, v32, 1
	v_mul_f32_e32 v35, v32, v35
	v_mov_b32_e32 v32, 0x3f317218
	v_pk_mul_f32 v[32:33], v[34:35], v[32:33]
	v_sub_f32_e32 v4, v4, v24
	v_fma_f32 v24, v34, s0, -v32
	v_fmamk_f32 v36, v34, 0xb102e308, v24
	v_pk_add_f32 v[34:35], v[32:33], v[36:37]
	v_ldexp_f32 v4, v4, 1
	v_sub_f32_e32 v24, v35, v37
	v_sub_f32_e32 v24, v33, v24
	v_add_f32_e32 v39, v4, v24
	v_mov_b32_e32 v38, v32
	v_pk_add_f32 v[32:33], v[34:35], v[32:33] neg_lo:[0,1] neg_hi:[0,1]
	v_pk_add_f32 v[40:41], v[34:35], v[38:39]
	v_mov_b32_e32 v37, v34
	v_mov_b32_e32 v33, v41
	v_pk_add_f32 v[42:43], v[36:37], v[32:33] neg_lo:[0,1] neg_hi:[0,1]
	v_pk_add_f32 v[32:33], v[36:37], v[32:33]
	v_mov_b32_e32 v38, v39
	v_pk_add_f32 v[36:37], v[32:33], v[34:35] op_sel:[1,0] op_sel_hi:[0,1] neg_lo:[0,1] neg_hi:[0,1]
	v_pk_add_f32 v[44:45], v[40:41], v[36:37] op_sel_hi:[1,0] neg_lo:[0,1] neg_hi:[0,1]
	v_mov_b32_e32 v40, v41
	v_mov_b32_e32 v41, v33
	v_pk_mov_b32 v[36:37], v[34:35], v[36:37] op_sel:[1,0]
	v_mov_b32_e32 v39, v34
	v_pk_add_f32 v[36:37], v[40:41], v[36:37] neg_lo:[0,1] neg_hi:[0,1]
	v_mov_b32_e32 v44, v42
	v_pk_add_f32 v[34:35], v[38:39], v[36:37] neg_lo:[0,1] neg_hi:[0,1]
	v_mov_b32_e32 v43, v33
	v_pk_add_f32 v[36:37], v[44:45], v[34:35]
	v_cmp_neq_f32_e64 s[0:1], s30, v0
	v_pk_add_f32 v[38:39], v[36:37], v[36:37] op_sel:[0,1] op_sel_hi:[1,0]
	s_nop 0
	v_pk_add_f32 v[32:33], v[32:33], v[38:39] op_sel:[1,0] op_sel_hi:[0,1]
	v_mov_b32_e32 v37, v32
	v_pk_add_f32 v[40:41], v[36:37], v[42:43] neg_lo:[0,1] neg_hi:[0,1]
	v_mov_b32_e32 v35, v38
	v_sub_f32_e32 v4, v36, v40
	v_pk_add_f32 v[34:35], v[34:35], v[40:41] neg_lo:[0,1] neg_hi:[0,1]
	v_sub_f32_e32 v4, v42, v4
	v_add_f32_e32 v4, v34, v4
	v_add_f32_e32 v4, v4, v35
	;; [unrolled: 1-line block ×3, first 2 shown]
	v_cndmask_b32_e64 v4, v19, v4, s[0:1]
	s_mov_b32 s0, 0x33800000
	v_cmp_lt_f32_e64 s[0:1], |v0|, s0
	s_nop 1
	v_cndmask_b32_e64 v0, v4, v0, s[0:1]
	v_add_f32_e32 v0, v1, v0
.LBB143_102:
	s_or_b64 exec, exec, s[28:29]
	v_max_f32_e32 v1, v0, v0
	v_min_f32_e32 v4, v1, v15
	v_cmp_u_f32_e64 s[0:1], v0, v0
	v_max_f32_e32 v1, v1, v15
	s_movk_i32 s30, 0x1f8
	v_cndmask_b32_e64 v4, v4, v0, s[0:1]
	v_cndmask_b32_e64 v1, v1, v0, s[0:1]
	v_cndmask_b32_e64 v19, v4, v5, s[34:35]
	v_cndmask_b32_e64 v4, v1, v5, s[34:35]
	v_cmp_neq_f32_e64 s[0:1], v19, v4
	v_cmp_class_f32_e64 s[28:29], v19, s30
	s_or_b64 s[0:1], s[0:1], s[28:29]
	v_mov_b32_e32 v1, v0
	s_and_saveexec_b64 s[28:29], s[0:1]
	s_cbranch_execz .LBB143_104
; %bb.103:
	v_sub_f32_e32 v1, v19, v4
	s_mov_b32 s0, 0x3fb8aa3b
	v_mul_f32_e32 v5, 0x3fb8aa3b, v1
	v_fma_f32 v15, v1, s0, -v5
	v_rndne_f32_e32 v19, v5
	v_fmamk_f32 v15, v1, 0x32a5705f, v15
	v_sub_f32_e32 v5, v5, v19
	v_add_f32_e32 v5, v5, v15
	v_exp_f32_e32 v5, v5
	v_cvt_i32_f32_e32 v15, v19
	s_mov_b32 s0, 0xc2ce8ed0
	v_cmp_ngt_f32_e64 s[0:1], s0, v1
	s_mov_b32 s31, 0x7f800000
	v_ldexp_f32 v5, v5, v15
	v_cndmask_b32_e64 v5, 0, v5, s[0:1]
	s_mov_b32 s0, 0x42b17218
	v_mov_b32_e32 v15, 0x7f800000
	v_cmp_nlt_f32_e64 s[0:1], s0, v1
	s_nop 1
	v_cndmask_b32_e64 v1, v15, v5, s[0:1]
	v_add_f32_e32 v5, 1.0, v1
	v_add_f32_e32 v19, -1.0, v5
	v_sub_f32_e32 v24, v19, v5
	v_add_f32_e32 v24, 1.0, v24
	v_sub_f32_e32 v19, v1, v19
	v_add_f32_e32 v19, v19, v24
	v_frexp_mant_f32_e32 v24, v5
	s_mov_b32 s0, 0x3f2aaaab
	v_cvt_f64_f32_e32 v[32:33], v5
	v_frexp_exp_i32_f64_e32 v31, v[32:33]
	v_cmp_gt_f32_e64 s[0:1], s0, v24
	s_nop 1
	v_subbrev_co_u32_e64 v24, s[0:1], 0, v31, s[0:1]
	v_sub_u32_e32 v31, 0, v24
	v_ldexp_f32 v5, v5, v31
	v_ldexp_f32 v19, v19, v31
	v_add_f32_e32 v31, -1.0, v5
	v_add_f32_e32 v33, 1.0, v5
	v_add_f32_e32 v32, 1.0, v31
	v_add_f32_e32 v34, -1.0, v33
	v_sub_f32_e32 v32, v5, v32
	v_sub_f32_e32 v5, v5, v34
	v_add_f32_e32 v5, v19, v5
	v_add_f32_e32 v32, v19, v32
	;; [unrolled: 1-line block ×3, first 2 shown]
	v_rcp_f32_e32 v40, v19
	v_sub_f32_e32 v33, v33, v19
	v_add_f32_e32 v5, v5, v33
	v_add_f32_e32 v33, v31, v32
	v_mul_f32_e32 v41, v33, v40
	v_mul_f32_e32 v34, v19, v41
	v_fma_f32 v36, v41, v19, -v34
	v_sub_f32_e32 v31, v31, v33
	v_fmac_f32_e32 v36, v41, v5
	v_add_f32_e32 v31, v32, v31
	v_add_f32_e32 v32, v34, v36
	v_sub_f32_e32 v35, v33, v32
	v_pk_add_f32 v[38:39], v[32:33], v[34:35] neg_lo:[0,1] neg_hi:[0,1]
	v_mov_b32_e32 v37, v32
	v_pk_add_f32 v[32:33], v[38:39], v[36:37] neg_lo:[0,1] neg_hi:[0,1]
	s_mov_b32 s0, 0x3f317218
	v_add_f32_e32 v31, v31, v33
	v_add_f32_e32 v31, v32, v31
	;; [unrolled: 1-line block ×3, first 2 shown]
	v_mul_f32_e32 v42, v40, v33
	v_mul_f32_e32 v34, v19, v42
	v_fma_f32 v36, v42, v19, -v34
	v_fmac_f32_e32 v36, v42, v5
	v_add_f32_e32 v32, v34, v36
	v_sub_f32_e32 v5, v35, v33
	v_sub_f32_e32 v35, v33, v32
	v_pk_add_f32 v[38:39], v[32:33], v[34:35] neg_lo:[0,1] neg_hi:[0,1]
	v_mov_b32_e32 v37, v32
	v_add_f32_e32 v5, v31, v5
	v_pk_add_f32 v[32:33], v[38:39], v[36:37] neg_lo:[0,1] neg_hi:[0,1]
	v_add_f32_e32 v19, v41, v42
	v_add_f32_e32 v5, v5, v33
	;; [unrolled: 1-line block ×4, first 2 shown]
	v_sub_f32_e32 v31, v19, v41
	v_mul_f32_e32 v5, v40, v5
	v_sub_f32_e32 v31, v42, v31
	v_add_f32_e32 v5, v31, v5
	v_add_f32_e32 v31, v19, v5
	v_cvt_f32_i32_e32 v34, v24
	v_mul_f32_e32 v32, v31, v31
	v_mov_b32_e32 v33, 0x3ecc95a3
	v_fmac_f32_e32 v33, 0x3e9b6dac, v32
	v_fmaak_f32 v33, v32, v33, 0x3f2aaada
	v_mul_f32_e32 v35, v31, v32
	v_mov_b32_e32 v32, 0x3f317218
	v_sub_f32_e32 v19, v31, v19
	v_pk_mul_f32 v[32:33], v[34:35], v[32:33]
	v_sub_f32_e32 v5, v5, v19
	v_fma_f32 v19, v34, s0, -v32
	v_ldexp_f32 v37, v31, 1
	v_fmamk_f32 v36, v34, 0xb102e308, v19
	v_pk_add_f32 v[34:35], v[32:33], v[36:37]
	v_ldexp_f32 v5, v5, 1
	v_sub_f32_e32 v19, v35, v37
	v_sub_f32_e32 v19, v33, v19
	v_add_f32_e32 v39, v5, v19
	v_mov_b32_e32 v38, v32
	v_pk_add_f32 v[32:33], v[34:35], v[32:33] neg_lo:[0,1] neg_hi:[0,1]
	v_pk_add_f32 v[40:41], v[34:35], v[38:39]
	v_mov_b32_e32 v37, v34
	v_mov_b32_e32 v33, v41
	v_pk_add_f32 v[42:43], v[36:37], v[32:33] neg_lo:[0,1] neg_hi:[0,1]
	v_pk_add_f32 v[32:33], v[36:37], v[32:33]
	v_mov_b32_e32 v38, v39
	v_pk_add_f32 v[36:37], v[32:33], v[34:35] op_sel:[1,0] op_sel_hi:[0,1] neg_lo:[0,1] neg_hi:[0,1]
	v_pk_add_f32 v[44:45], v[40:41], v[36:37] op_sel_hi:[1,0] neg_lo:[0,1] neg_hi:[0,1]
	v_mov_b32_e32 v40, v41
	v_mov_b32_e32 v41, v33
	v_pk_mov_b32 v[36:37], v[34:35], v[36:37] op_sel:[1,0]
	v_mov_b32_e32 v39, v34
	v_pk_add_f32 v[36:37], v[40:41], v[36:37] neg_lo:[0,1] neg_hi:[0,1]
	v_mov_b32_e32 v44, v42
	v_pk_add_f32 v[34:35], v[38:39], v[36:37] neg_lo:[0,1] neg_hi:[0,1]
	v_mov_b32_e32 v43, v33
	v_pk_add_f32 v[36:37], v[44:45], v[34:35]
	v_cmp_neq_f32_e64 s[0:1], s31, v1
	v_pk_add_f32 v[38:39], v[36:37], v[36:37] op_sel:[0,1] op_sel_hi:[1,0]
	s_nop 0
	v_pk_add_f32 v[32:33], v[32:33], v[38:39] op_sel:[1,0] op_sel_hi:[0,1]
	v_mov_b32_e32 v37, v32
	v_pk_add_f32 v[40:41], v[36:37], v[42:43] neg_lo:[0,1] neg_hi:[0,1]
	v_mov_b32_e32 v35, v38
	v_sub_f32_e32 v5, v36, v40
	v_pk_add_f32 v[34:35], v[34:35], v[40:41] neg_lo:[0,1] neg_hi:[0,1]
	v_sub_f32_e32 v5, v42, v5
	v_add_f32_e32 v5, v34, v5
	v_add_f32_e32 v5, v5, v35
	;; [unrolled: 1-line block ×3, first 2 shown]
	v_cndmask_b32_e64 v5, v15, v5, s[0:1]
	s_mov_b32 s0, 0x33800000
	v_cmp_lt_f32_e64 s[0:1], |v1|, s0
	s_nop 1
	v_cndmask_b32_e64 v1, v5, v1, s[0:1]
	v_add_f32_e32 v1, v4, v1
.LBB143_104:
	s_or_b64 exec, exec, s[28:29]
	v_max_f32_e32 v4, v1, v1
	v_min_f32_e32 v5, v4, v20
	v_cmp_u_f32_e64 s[0:1], v1, v1
	v_max_f32_e32 v4, v4, v20
	s_nop 0
	v_cndmask_b32_e64 v5, v5, v1, s[0:1]
	v_cndmask_b32_e64 v4, v4, v1, s[0:1]
	;; [unrolled: 1-line block ×4, first 2 shown]
	v_cmp_neq_f32_e64 s[0:1], v15, v5
	v_cmp_class_f32_e64 s[28:29], v15, s30
	s_or_b64 s[0:1], s[0:1], s[28:29]
	v_mov_b32_e32 v4, v1
	s_and_saveexec_b64 s[28:29], s[0:1]
	s_cbranch_execz .LBB143_106
; %bb.105:
	v_sub_f32_e32 v4, v15, v5
	s_mov_b32 s0, 0x3fb8aa3b
	v_mul_f32_e32 v10, 0x3fb8aa3b, v4
	v_fma_f32 v15, v4, s0, -v10
	v_rndne_f32_e32 v19, v10
	v_fmamk_f32 v15, v4, 0x32a5705f, v15
	v_sub_f32_e32 v10, v10, v19
	v_add_f32_e32 v10, v10, v15
	v_exp_f32_e32 v10, v10
	v_cvt_i32_f32_e32 v15, v19
	s_mov_b32 s0, 0xc2ce8ed0
	v_cmp_ngt_f32_e64 s[0:1], s0, v4
	s_mov_b32 s30, 0x7f800000
	v_ldexp_f32 v10, v10, v15
	v_cndmask_b32_e64 v10, 0, v10, s[0:1]
	s_mov_b32 s0, 0x42b17218
	v_mov_b32_e32 v15, 0x7f800000
	v_cmp_nlt_f32_e64 s[0:1], s0, v4
	s_nop 1
	v_cndmask_b32_e64 v4, v15, v10, s[0:1]
	v_add_f32_e32 v10, 1.0, v4
	v_add_f32_e32 v19, -1.0, v10
	v_sub_f32_e32 v20, v19, v10
	v_add_f32_e32 v20, 1.0, v20
	v_sub_f32_e32 v19, v4, v19
	v_add_f32_e32 v19, v19, v20
	v_frexp_mant_f32_e32 v20, v10
	s_mov_b32 s0, 0x3f2aaaab
	v_cvt_f64_f32_e32 v[32:33], v10
	v_frexp_exp_i32_f64_e32 v24, v[32:33]
	v_cmp_gt_f32_e64 s[0:1], s0, v20
	s_nop 1
	v_subbrev_co_u32_e64 v20, s[0:1], 0, v24, s[0:1]
	v_sub_u32_e32 v24, 0, v20
	v_ldexp_f32 v10, v10, v24
	v_ldexp_f32 v19, v19, v24
	v_add_f32_e32 v24, -1.0, v10
	v_add_f32_e32 v32, 1.0, v10
	v_add_f32_e32 v31, 1.0, v24
	v_add_f32_e32 v33, -1.0, v32
	v_sub_f32_e32 v31, v10, v31
	v_sub_f32_e32 v10, v10, v33
	v_add_f32_e32 v10, v19, v10
	v_add_f32_e32 v31, v19, v31
	;; [unrolled: 1-line block ×3, first 2 shown]
	v_rcp_f32_e32 v40, v19
	v_add_f32_e32 v33, v24, v31
	v_sub_f32_e32 v24, v24, v33
	v_add_f32_e32 v24, v31, v24
	v_mul_f32_e32 v31, v33, v40
	v_sub_f32_e32 v32, v32, v19
	v_mul_f32_e32 v34, v19, v31
	v_add_f32_e32 v10, v10, v32
	v_fma_f32 v36, v31, v19, -v34
	v_fmac_f32_e32 v36, v31, v10
	v_add_f32_e32 v32, v34, v36
	v_sub_f32_e32 v35, v33, v32
	v_pk_add_f32 v[38:39], v[32:33], v[34:35] neg_lo:[0,1] neg_hi:[0,1]
	v_mov_b32_e32 v37, v32
	v_pk_add_f32 v[32:33], v[38:39], v[36:37] neg_lo:[0,1] neg_hi:[0,1]
	s_mov_b32 s0, 0x3f317218
	v_add_f32_e32 v24, v24, v33
	v_add_f32_e32 v24, v32, v24
	;; [unrolled: 1-line block ×3, first 2 shown]
	v_mul_f32_e32 v41, v40, v33
	v_mul_f32_e32 v34, v19, v41
	v_fma_f32 v36, v41, v19, -v34
	v_fmac_f32_e32 v36, v41, v10
	v_add_f32_e32 v32, v34, v36
	v_sub_f32_e32 v10, v35, v33
	v_sub_f32_e32 v35, v33, v32
	v_pk_add_f32 v[38:39], v[32:33], v[34:35] neg_lo:[0,1] neg_hi:[0,1]
	v_mov_b32_e32 v37, v32
	v_add_f32_e32 v10, v24, v10
	v_pk_add_f32 v[32:33], v[38:39], v[36:37] neg_lo:[0,1] neg_hi:[0,1]
	v_add_f32_e32 v19, v31, v41
	v_add_f32_e32 v10, v10, v33
	;; [unrolled: 1-line block ×4, first 2 shown]
	v_sub_f32_e32 v24, v19, v31
	v_mul_f32_e32 v10, v40, v10
	v_sub_f32_e32 v24, v41, v24
	v_add_f32_e32 v10, v24, v10
	v_add_f32_e32 v24, v19, v10
	v_cvt_f32_i32_e32 v34, v20
	v_mul_f32_e32 v31, v24, v24
	v_mov_b32_e32 v32, 0x3ecc95a3
	v_fmac_f32_e32 v32, 0x3e9b6dac, v31
	v_fmaak_f32 v33, v31, v32, 0x3f2aaada
	v_mul_f32_e32 v35, v24, v31
	v_mov_b32_e32 v32, 0x3f317218
	v_sub_f32_e32 v19, v24, v19
	v_pk_mul_f32 v[32:33], v[34:35], v[32:33]
	v_sub_f32_e32 v10, v10, v19
	v_fma_f32 v19, v34, s0, -v32
	v_ldexp_f32 v37, v24, 1
	v_fmamk_f32 v36, v34, 0xb102e308, v19
	v_pk_add_f32 v[34:35], v[32:33], v[36:37]
	v_ldexp_f32 v10, v10, 1
	v_sub_f32_e32 v19, v35, v37
	v_sub_f32_e32 v19, v33, v19
	v_add_f32_e32 v39, v10, v19
	v_mov_b32_e32 v38, v32
	v_pk_add_f32 v[32:33], v[34:35], v[32:33] neg_lo:[0,1] neg_hi:[0,1]
	v_pk_add_f32 v[40:41], v[34:35], v[38:39]
	v_mov_b32_e32 v37, v34
	v_mov_b32_e32 v33, v41
	v_pk_add_f32 v[42:43], v[36:37], v[32:33] neg_lo:[0,1] neg_hi:[0,1]
	v_pk_add_f32 v[32:33], v[36:37], v[32:33]
	v_mov_b32_e32 v38, v39
	v_pk_add_f32 v[36:37], v[32:33], v[34:35] op_sel:[1,0] op_sel_hi:[0,1] neg_lo:[0,1] neg_hi:[0,1]
	v_pk_add_f32 v[44:45], v[40:41], v[36:37] op_sel_hi:[1,0] neg_lo:[0,1] neg_hi:[0,1]
	v_mov_b32_e32 v40, v41
	v_mov_b32_e32 v41, v33
	v_pk_mov_b32 v[36:37], v[34:35], v[36:37] op_sel:[1,0]
	v_mov_b32_e32 v39, v34
	v_pk_add_f32 v[36:37], v[40:41], v[36:37] neg_lo:[0,1] neg_hi:[0,1]
	v_mov_b32_e32 v44, v42
	v_pk_add_f32 v[34:35], v[38:39], v[36:37] neg_lo:[0,1] neg_hi:[0,1]
	v_mov_b32_e32 v43, v33
	v_pk_add_f32 v[36:37], v[44:45], v[34:35]
	v_cmp_neq_f32_e64 s[0:1], s30, v4
	v_pk_add_f32 v[38:39], v[36:37], v[36:37] op_sel:[0,1] op_sel_hi:[1,0]
	s_nop 0
	v_pk_add_f32 v[32:33], v[32:33], v[38:39] op_sel:[1,0] op_sel_hi:[0,1]
	v_mov_b32_e32 v37, v32
	v_pk_add_f32 v[40:41], v[36:37], v[42:43] neg_lo:[0,1] neg_hi:[0,1]
	v_mov_b32_e32 v35, v38
	v_sub_f32_e32 v10, v36, v40
	v_pk_add_f32 v[34:35], v[34:35], v[40:41] neg_lo:[0,1] neg_hi:[0,1]
	v_sub_f32_e32 v10, v42, v10
	v_add_f32_e32 v10, v34, v10
	v_add_f32_e32 v10, v10, v35
	;; [unrolled: 1-line block ×3, first 2 shown]
	v_cndmask_b32_e64 v10, v15, v10, s[0:1]
	s_mov_b32 s0, 0x33800000
	v_cmp_lt_f32_e64 s[0:1], |v4|, s0
	s_nop 1
	v_cndmask_b32_e64 v4, v10, v4, s[0:1]
	v_add_f32_e32 v4, v5, v4
.LBB143_106:
	s_or_b64 exec, exec, s[28:29]
	v_max_f32_e32 v5, v4, v4
	v_min_f32_e32 v10, v5, v21
	v_cmp_u_f32_e64 s[0:1], v4, v4
	v_max_f32_e32 v5, v5, v21
	s_movk_i32 s30, 0x1f8
	v_cndmask_b32_e64 v10, v10, v4, s[0:1]
	v_cndmask_b32_e64 v5, v5, v4, s[0:1]
	;; [unrolled: 1-line block ×4, first 2 shown]
	v_cmp_neq_f32_e64 s[0:1], v15, v10
	v_cmp_class_f32_e64 s[28:29], v15, s30
	s_or_b64 s[0:1], s[0:1], s[28:29]
	v_mov_b32_e32 v5, v4
	s_and_saveexec_b64 s[28:29], s[0:1]
	s_cbranch_execz .LBB143_108
; %bb.107:
	v_sub_f32_e32 v5, v15, v10
	s_mov_b32 s0, 0x3fb8aa3b
	v_mul_f32_e32 v11, 0x3fb8aa3b, v5
	v_fma_f32 v15, v5, s0, -v11
	v_rndne_f32_e32 v19, v11
	v_fmamk_f32 v15, v5, 0x32a5705f, v15
	v_sub_f32_e32 v11, v11, v19
	v_add_f32_e32 v11, v11, v15
	v_exp_f32_e32 v11, v11
	v_cvt_i32_f32_e32 v15, v19
	s_mov_b32 s0, 0xc2ce8ed0
	v_cmp_ngt_f32_e64 s[0:1], s0, v5
	s_mov_b32 s31, 0x7f800000
	v_ldexp_f32 v11, v11, v15
	v_cndmask_b32_e64 v11, 0, v11, s[0:1]
	s_mov_b32 s0, 0x42b17218
	v_mov_b32_e32 v15, 0x7f800000
	v_cmp_nlt_f32_e64 s[0:1], s0, v5
	s_nop 1
	v_cndmask_b32_e64 v5, v15, v11, s[0:1]
	v_add_f32_e32 v11, 1.0, v5
	v_add_f32_e32 v19, -1.0, v11
	v_sub_f32_e32 v20, v19, v11
	v_add_f32_e32 v20, 1.0, v20
	v_sub_f32_e32 v19, v5, v19
	v_add_f32_e32 v19, v19, v20
	v_frexp_mant_f32_e32 v24, v11
	s_mov_b32 s0, 0x3f2aaaab
	v_cvt_f64_f32_e32 v[20:21], v11
	v_frexp_exp_i32_f64_e32 v20, v[20:21]
	v_cmp_gt_f32_e64 s[0:1], s0, v24
	s_nop 1
	v_subbrev_co_u32_e64 v24, s[0:1], 0, v20, s[0:1]
	v_sub_u32_e32 v20, 0, v24
	v_ldexp_f32 v11, v11, v20
	v_ldexp_f32 v19, v19, v20
	v_add_f32_e32 v20, -1.0, v11
	v_add_f32_e32 v21, 1.0, v20
	v_sub_f32_e32 v21, v11, v21
	v_add_f32_e32 v31, v19, v21
	v_add_f32_e32 v21, 1.0, v11
	v_add_f32_e32 v32, -1.0, v21
	v_sub_f32_e32 v11, v11, v32
	v_add_f32_e32 v11, v19, v11
	v_add_f32_e32 v19, v21, v11
	v_rcp_f32_e32 v38, v19
	v_sub_f32_e32 v21, v21, v19
	v_add_f32_e32 v11, v11, v21
	v_add_f32_e32 v21, v20, v31
	v_mul_f32_e32 v39, v21, v38
	v_mul_f32_e32 v32, v19, v39
	v_fma_f32 v34, v39, v19, -v32
	v_sub_f32_e32 v20, v20, v21
	v_fmac_f32_e32 v34, v39, v11
	v_add_f32_e32 v31, v31, v20
	v_add_f32_e32 v20, v32, v34
	v_sub_f32_e32 v33, v21, v20
	v_pk_add_f32 v[36:37], v[20:21], v[32:33] neg_lo:[0,1] neg_hi:[0,1]
	v_mov_b32_e32 v35, v20
	v_pk_add_f32 v[20:21], v[36:37], v[34:35] neg_lo:[0,1] neg_hi:[0,1]
	s_mov_b32 s0, 0x3f317218
	v_add_f32_e32 v21, v31, v21
	v_add_f32_e32 v20, v20, v21
	;; [unrolled: 1-line block ×3, first 2 shown]
	v_mul_f32_e32 v31, v38, v21
	v_mul_f32_e32 v32, v19, v31
	v_fma_f32 v34, v31, v19, -v32
	v_fmac_f32_e32 v34, v31, v11
	v_sub_f32_e32 v11, v33, v21
	v_add_f32_e32 v11, v20, v11
	v_add_f32_e32 v20, v32, v34
	v_sub_f32_e32 v33, v21, v20
	v_pk_add_f32 v[36:37], v[20:21], v[32:33] neg_lo:[0,1] neg_hi:[0,1]
	v_mov_b32_e32 v35, v20
	v_pk_add_f32 v[20:21], v[36:37], v[34:35] neg_lo:[0,1] neg_hi:[0,1]
	v_add_f32_e32 v19, v39, v31
	v_add_f32_e32 v11, v11, v21
	;; [unrolled: 1-line block ×4, first 2 shown]
	v_sub_f32_e32 v20, v19, v39
	v_mul_f32_e32 v11, v38, v11
	v_sub_f32_e32 v20, v31, v20
	v_add_f32_e32 v11, v20, v11
	v_add_f32_e32 v20, v19, v11
	v_cvt_f32_i32_e32 v32, v24
	v_mul_f32_e32 v31, v20, v20
	v_mov_b32_e32 v21, 0x3ecc95a3
	v_fmac_f32_e32 v21, 0x3e9b6dac, v31
	v_fmaak_f32 v21, v31, v21, 0x3f2aaada
	v_sub_f32_e32 v19, v20, v19
	v_ldexp_f32 v35, v20, 1
	v_mul_f32_e32 v33, v20, v31
	v_mov_b32_e32 v20, 0x3f317218
	v_pk_mul_f32 v[20:21], v[32:33], v[20:21]
	v_sub_f32_e32 v11, v11, v19
	v_fma_f32 v19, v32, s0, -v20
	v_fmamk_f32 v34, v32, 0xb102e308, v19
	v_pk_add_f32 v[32:33], v[20:21], v[34:35]
	v_ldexp_f32 v11, v11, 1
	v_sub_f32_e32 v19, v33, v35
	v_sub_f32_e32 v19, v21, v19
	v_add_f32_e32 v37, v11, v19
	v_mov_b32_e32 v36, v20
	v_pk_add_f32 v[20:21], v[32:33], v[20:21] neg_lo:[0,1] neg_hi:[0,1]
	v_pk_add_f32 v[38:39], v[32:33], v[36:37]
	v_mov_b32_e32 v35, v32
	v_mov_b32_e32 v21, v39
	v_pk_add_f32 v[40:41], v[34:35], v[20:21] neg_lo:[0,1] neg_hi:[0,1]
	v_pk_add_f32 v[20:21], v[34:35], v[20:21]
	v_mov_b32_e32 v36, v37
	v_pk_add_f32 v[34:35], v[20:21], v[32:33] op_sel:[1,0] op_sel_hi:[0,1] neg_lo:[0,1] neg_hi:[0,1]
	v_pk_add_f32 v[42:43], v[38:39], v[34:35] op_sel_hi:[1,0] neg_lo:[0,1] neg_hi:[0,1]
	v_mov_b32_e32 v38, v39
	v_mov_b32_e32 v39, v21
	v_pk_mov_b32 v[34:35], v[32:33], v[34:35] op_sel:[1,0]
	v_mov_b32_e32 v37, v32
	v_pk_add_f32 v[34:35], v[38:39], v[34:35] neg_lo:[0,1] neg_hi:[0,1]
	v_mov_b32_e32 v42, v40
	v_pk_add_f32 v[32:33], v[36:37], v[34:35] neg_lo:[0,1] neg_hi:[0,1]
	v_mov_b32_e32 v41, v21
	v_pk_add_f32 v[34:35], v[42:43], v[32:33]
	v_cmp_neq_f32_e64 s[0:1], s31, v5
	v_pk_add_f32 v[36:37], v[34:35], v[34:35] op_sel:[0,1] op_sel_hi:[1,0]
	s_nop 0
	v_pk_add_f32 v[20:21], v[20:21], v[36:37] op_sel:[1,0] op_sel_hi:[0,1]
	v_mov_b32_e32 v35, v20
	v_pk_add_f32 v[38:39], v[34:35], v[40:41] neg_lo:[0,1] neg_hi:[0,1]
	v_mov_b32_e32 v33, v36
	v_sub_f32_e32 v11, v34, v38
	v_pk_add_f32 v[32:33], v[32:33], v[38:39] neg_lo:[0,1] neg_hi:[0,1]
	v_sub_f32_e32 v11, v40, v11
	v_add_f32_e32 v11, v32, v11
	v_add_f32_e32 v11, v11, v33
	;; [unrolled: 1-line block ×3, first 2 shown]
	v_cndmask_b32_e64 v11, v15, v11, s[0:1]
	s_mov_b32 s0, 0x33800000
	v_cmp_lt_f32_e64 s[0:1], |v5|, s0
	s_nop 1
	v_cndmask_b32_e64 v5, v11, v5, s[0:1]
	v_add_f32_e32 v5, v10, v5
.LBB143_108:
	s_or_b64 exec, exec, s[28:29]
	v_max_f32_e32 v10, v5, v5
	v_min_f32_e32 v11, v10, v22
	v_cmp_u_f32_e64 s[0:1], v5, v5
	v_max_f32_e32 v10, v10, v22
	s_nop 0
	v_cndmask_b32_e64 v11, v11, v5, s[0:1]
	v_cndmask_b32_e64 v10, v10, v5, s[0:1]
	v_cndmask_b32_e64 v15, v11, v12, s[40:41]
	v_cndmask_b32_e64 v11, v10, v12, s[40:41]
	v_cmp_neq_f32_e64 s[0:1], v15, v11
	v_cmp_class_f32_e64 s[28:29], v15, s30
	s_or_b64 s[0:1], s[0:1], s[28:29]
	v_mov_b32_e32 v10, v5
	s_and_saveexec_b64 s[28:29], s[0:1]
	s_cbranch_execz .LBB143_110
; %bb.109:
	v_sub_f32_e32 v10, v15, v11
	s_mov_b32 s0, 0x3fb8aa3b
	v_mul_f32_e32 v12, 0x3fb8aa3b, v10
	v_fma_f32 v15, v10, s0, -v12
	v_rndne_f32_e32 v19, v12
	v_fmamk_f32 v15, v10, 0x32a5705f, v15
	v_sub_f32_e32 v12, v12, v19
	v_add_f32_e32 v12, v12, v15
	v_exp_f32_e32 v12, v12
	v_cvt_i32_f32_e32 v15, v19
	s_mov_b32 s0, 0xc2ce8ed0
	v_cmp_ngt_f32_e64 s[0:1], s0, v10
	s_mov_b32 s30, 0x7f800000
	v_ldexp_f32 v12, v12, v15
	v_cndmask_b32_e64 v12, 0, v12, s[0:1]
	s_mov_b32 s0, 0x42b17218
	v_mov_b32_e32 v15, 0x7f800000
	v_cmp_nlt_f32_e64 s[0:1], s0, v10
	s_nop 1
	v_cndmask_b32_e64 v10, v15, v12, s[0:1]
	v_add_f32_e32 v12, 1.0, v10
	v_add_f32_e32 v19, -1.0, v12
	v_sub_f32_e32 v20, v19, v12
	v_add_f32_e32 v20, 1.0, v20
	v_sub_f32_e32 v19, v10, v19
	v_add_f32_e32 v19, v19, v20
	v_frexp_mant_f32_e32 v22, v12
	s_mov_b32 s0, 0x3f2aaaab
	v_cvt_f64_f32_e32 v[20:21], v12
	v_frexp_exp_i32_f64_e32 v20, v[20:21]
	v_cmp_gt_f32_e64 s[0:1], s0, v22
	s_nop 1
	v_subbrev_co_u32_e64 v22, s[0:1], 0, v20, s[0:1]
	v_sub_u32_e32 v20, 0, v22
	v_ldexp_f32 v12, v12, v20
	v_ldexp_f32 v19, v19, v20
	v_add_f32_e32 v20, -1.0, v12
	v_add_f32_e32 v21, 1.0, v20
	v_sub_f32_e32 v21, v12, v21
	v_add_f32_e32 v24, v19, v21
	v_add_f32_e32 v21, 1.0, v12
	v_add_f32_e32 v31, -1.0, v21
	v_sub_f32_e32 v12, v12, v31
	v_add_f32_e32 v12, v19, v12
	v_add_f32_e32 v19, v21, v12
	v_rcp_f32_e32 v31, v19
	v_sub_f32_e32 v21, v21, v19
	v_add_f32_e32 v12, v12, v21
	v_add_f32_e32 v21, v20, v24
	v_mul_f32_e32 v38, v21, v31
	v_mul_f32_e32 v32, v19, v38
	v_fma_f32 v34, v38, v19, -v32
	v_sub_f32_e32 v20, v20, v21
	v_fmac_f32_e32 v34, v38, v12
	v_add_f32_e32 v24, v24, v20
	v_add_f32_e32 v20, v32, v34
	v_sub_f32_e32 v33, v21, v20
	v_pk_add_f32 v[36:37], v[20:21], v[32:33] neg_lo:[0,1] neg_hi:[0,1]
	v_mov_b32_e32 v35, v20
	v_pk_add_f32 v[20:21], v[36:37], v[34:35] neg_lo:[0,1] neg_hi:[0,1]
	s_mov_b32 s0, 0x3f317218
	v_add_f32_e32 v21, v24, v21
	v_add_f32_e32 v20, v20, v21
	;; [unrolled: 1-line block ×3, first 2 shown]
	v_mul_f32_e32 v24, v31, v21
	v_mul_f32_e32 v32, v19, v24
	v_fma_f32 v34, v24, v19, -v32
	v_fmac_f32_e32 v34, v24, v12
	v_sub_f32_e32 v12, v33, v21
	v_add_f32_e32 v12, v20, v12
	v_add_f32_e32 v20, v32, v34
	v_sub_f32_e32 v33, v21, v20
	v_pk_add_f32 v[36:37], v[20:21], v[32:33] neg_lo:[0,1] neg_hi:[0,1]
	v_mov_b32_e32 v35, v20
	v_pk_add_f32 v[20:21], v[36:37], v[34:35] neg_lo:[0,1] neg_hi:[0,1]
	v_add_f32_e32 v19, v38, v24
	v_add_f32_e32 v12, v12, v21
	;; [unrolled: 1-line block ×4, first 2 shown]
	v_sub_f32_e32 v20, v19, v38
	v_mul_f32_e32 v12, v31, v12
	v_sub_f32_e32 v20, v24, v20
	v_add_f32_e32 v12, v20, v12
	v_add_f32_e32 v20, v19, v12
	v_cvt_f32_i32_e32 v32, v22
	v_mul_f32_e32 v24, v20, v20
	v_mov_b32_e32 v21, 0x3ecc95a3
	v_fmac_f32_e32 v21, 0x3e9b6dac, v24
	v_fmaak_f32 v21, v24, v21, 0x3f2aaada
	v_sub_f32_e32 v19, v20, v19
	v_ldexp_f32 v35, v20, 1
	v_mul_f32_e32 v33, v20, v24
	v_mov_b32_e32 v20, 0x3f317218
	v_pk_mul_f32 v[20:21], v[32:33], v[20:21]
	v_sub_f32_e32 v12, v12, v19
	v_fma_f32 v19, v32, s0, -v20
	v_fmamk_f32 v34, v32, 0xb102e308, v19
	v_pk_add_f32 v[32:33], v[20:21], v[34:35]
	v_ldexp_f32 v12, v12, 1
	v_sub_f32_e32 v19, v33, v35
	v_sub_f32_e32 v19, v21, v19
	v_add_f32_e32 v37, v12, v19
	v_mov_b32_e32 v36, v20
	v_pk_add_f32 v[20:21], v[32:33], v[20:21] neg_lo:[0,1] neg_hi:[0,1]
	v_pk_add_f32 v[38:39], v[32:33], v[36:37]
	v_mov_b32_e32 v35, v32
	v_mov_b32_e32 v21, v39
	v_pk_add_f32 v[40:41], v[34:35], v[20:21] neg_lo:[0,1] neg_hi:[0,1]
	v_pk_add_f32 v[20:21], v[34:35], v[20:21]
	v_mov_b32_e32 v36, v37
	v_pk_add_f32 v[34:35], v[20:21], v[32:33] op_sel:[1,0] op_sel_hi:[0,1] neg_lo:[0,1] neg_hi:[0,1]
	v_pk_add_f32 v[42:43], v[38:39], v[34:35] op_sel_hi:[1,0] neg_lo:[0,1] neg_hi:[0,1]
	v_mov_b32_e32 v38, v39
	v_mov_b32_e32 v39, v21
	v_pk_mov_b32 v[34:35], v[32:33], v[34:35] op_sel:[1,0]
	v_mov_b32_e32 v37, v32
	v_pk_add_f32 v[34:35], v[38:39], v[34:35] neg_lo:[0,1] neg_hi:[0,1]
	v_mov_b32_e32 v42, v40
	v_pk_add_f32 v[32:33], v[36:37], v[34:35] neg_lo:[0,1] neg_hi:[0,1]
	v_mov_b32_e32 v41, v21
	v_pk_add_f32 v[34:35], v[42:43], v[32:33]
	v_cmp_neq_f32_e64 s[0:1], s30, v10
	v_pk_add_f32 v[36:37], v[34:35], v[34:35] op_sel:[0,1] op_sel_hi:[1,0]
	s_nop 0
	v_pk_add_f32 v[20:21], v[20:21], v[36:37] op_sel:[1,0] op_sel_hi:[0,1]
	v_mov_b32_e32 v35, v20
	v_pk_add_f32 v[38:39], v[34:35], v[40:41] neg_lo:[0,1] neg_hi:[0,1]
	v_mov_b32_e32 v33, v36
	v_sub_f32_e32 v12, v34, v38
	v_pk_add_f32 v[32:33], v[32:33], v[38:39] neg_lo:[0,1] neg_hi:[0,1]
	v_sub_f32_e32 v12, v40, v12
	v_add_f32_e32 v12, v32, v12
	v_add_f32_e32 v12, v12, v33
	;; [unrolled: 1-line block ×3, first 2 shown]
	v_cndmask_b32_e64 v12, v15, v12, s[0:1]
	s_mov_b32 s0, 0x33800000
	v_cmp_lt_f32_e64 s[0:1], |v10|, s0
	s_nop 1
	v_cndmask_b32_e64 v10, v12, v10, s[0:1]
	v_add_f32_e32 v10, v11, v10
.LBB143_110:
	s_or_b64 exec, exec, s[28:29]
	v_max_f32_e32 v11, v10, v10
	v_min_f32_e32 v12, v11, v23
	v_cmp_u_f32_e64 s[0:1], v10, v10
	v_max_f32_e32 v11, v11, v23
	s_movk_i32 s30, 0x1f8
	v_cndmask_b32_e64 v12, v12, v10, s[0:1]
	v_cndmask_b32_e64 v11, v11, v10, s[0:1]
	v_cndmask_b32_e64 v15, v12, v13, s[42:43]
	v_cndmask_b32_e64 v12, v11, v13, s[42:43]
	v_cmp_neq_f32_e64 s[0:1], v15, v12
	v_cmp_class_f32_e64 s[28:29], v15, s30
	s_or_b64 s[0:1], s[0:1], s[28:29]
	v_mov_b32_e32 v11, v10
	s_and_saveexec_b64 s[28:29], s[0:1]
	s_cbranch_execz .LBB143_112
; %bb.111:
	v_sub_f32_e32 v11, v15, v12
	s_mov_b32 s0, 0x3fb8aa3b
	v_mul_f32_e32 v13, 0x3fb8aa3b, v11
	v_fma_f32 v15, v11, s0, -v13
	v_rndne_f32_e32 v19, v13
	v_fmamk_f32 v15, v11, 0x32a5705f, v15
	v_sub_f32_e32 v13, v13, v19
	v_add_f32_e32 v13, v13, v15
	v_exp_f32_e32 v13, v13
	v_cvt_i32_f32_e32 v15, v19
	s_mov_b32 s0, 0xc2ce8ed0
	v_cmp_ngt_f32_e64 s[0:1], s0, v11
	s_mov_b32 s31, 0x7f800000
	v_ldexp_f32 v13, v13, v15
	v_cndmask_b32_e64 v13, 0, v13, s[0:1]
	s_mov_b32 s0, 0x42b17218
	v_mov_b32_e32 v15, 0x7f800000
	v_cmp_nlt_f32_e64 s[0:1], s0, v11
	s_nop 1
	v_cndmask_b32_e64 v11, v15, v13, s[0:1]
	v_add_f32_e32 v13, 1.0, v11
	v_add_f32_e32 v19, -1.0, v13
	v_sub_f32_e32 v20, v19, v13
	v_add_f32_e32 v20, 1.0, v20
	v_sub_f32_e32 v19, v11, v19
	v_add_f32_e32 v19, v19, v20
	v_frexp_mant_f32_e32 v22, v13
	s_mov_b32 s0, 0x3f2aaaab
	v_cvt_f64_f32_e32 v[20:21], v13
	v_frexp_exp_i32_f64_e32 v20, v[20:21]
	v_cmp_gt_f32_e64 s[0:1], s0, v22
	s_nop 1
	v_subbrev_co_u32_e64 v24, s[0:1], 0, v20, s[0:1]
	v_sub_u32_e32 v20, 0, v24
	v_ldexp_f32 v13, v13, v20
	v_ldexp_f32 v19, v19, v20
	v_add_f32_e32 v20, -1.0, v13
	v_add_f32_e32 v21, 1.0, v20
	v_sub_f32_e32 v21, v13, v21
	v_add_f32_e32 v22, v19, v21
	v_add_f32_e32 v21, 1.0, v13
	v_add_f32_e32 v23, -1.0, v21
	v_sub_f32_e32 v13, v13, v23
	v_add_f32_e32 v13, v19, v13
	v_add_f32_e32 v19, v21, v13
	v_rcp_f32_e32 v31, v19
	v_sub_f32_e32 v21, v21, v19
	v_add_f32_e32 v13, v13, v21
	v_add_f32_e32 v21, v20, v22
	v_sub_f32_e32 v20, v20, v21
	v_mul_f32_e32 v37, v21, v31
	v_add_f32_e32 v36, v22, v20
	v_mul_f32_e32 v22, v19, v37
	v_fma_f32 v32, v37, v19, -v22
	v_fmac_f32_e32 v32, v37, v13
	v_add_f32_e32 v20, v22, v32
	v_sub_f32_e32 v23, v21, v20
	v_pk_add_f32 v[34:35], v[20:21], v[22:23] neg_lo:[0,1] neg_hi:[0,1]
	v_mov_b32_e32 v33, v20
	v_pk_add_f32 v[20:21], v[34:35], v[32:33] neg_lo:[0,1] neg_hi:[0,1]
	s_mov_b32 s0, 0x3f317218
	v_add_f32_e32 v21, v36, v21
	v_add_f32_e32 v20, v20, v21
	;; [unrolled: 1-line block ×3, first 2 shown]
	v_mul_f32_e32 v36, v31, v21
	v_mul_f32_e32 v22, v19, v36
	v_fma_f32 v32, v36, v19, -v22
	v_fmac_f32_e32 v32, v36, v13
	v_sub_f32_e32 v13, v23, v21
	v_add_f32_e32 v13, v20, v13
	v_add_f32_e32 v20, v22, v32
	v_sub_f32_e32 v23, v21, v20
	v_pk_add_f32 v[34:35], v[20:21], v[22:23] neg_lo:[0,1] neg_hi:[0,1]
	v_mov_b32_e32 v33, v20
	v_pk_add_f32 v[20:21], v[34:35], v[32:33] neg_lo:[0,1] neg_hi:[0,1]
	v_add_f32_e32 v19, v37, v36
	v_add_f32_e32 v13, v13, v21
	v_add_f32_e32 v13, v20, v13
	v_add_f32_e32 v13, v23, v13
	v_sub_f32_e32 v20, v19, v37
	v_mul_f32_e32 v13, v31, v13
	v_sub_f32_e32 v20, v36, v20
	v_add_f32_e32 v13, v20, v13
	v_add_f32_e32 v20, v19, v13
	v_cvt_f32_i32_e32 v22, v24
	v_mul_f32_e32 v23, v20, v20
	v_mov_b32_e32 v21, 0x3ecc95a3
	v_fmac_f32_e32 v21, 0x3e9b6dac, v23
	v_fmaak_f32 v21, v23, v21, 0x3f2aaada
	v_sub_f32_e32 v19, v20, v19
	v_ldexp_f32 v33, v20, 1
	v_mul_f32_e32 v23, v20, v23
	v_mov_b32_e32 v20, 0x3f317218
	v_pk_mul_f32 v[20:21], v[22:23], v[20:21]
	v_sub_f32_e32 v13, v13, v19
	v_fma_f32 v19, v22, s0, -v20
	v_fmamk_f32 v32, v22, 0xb102e308, v19
	v_pk_add_f32 v[22:23], v[20:21], v[32:33]
	v_ldexp_f32 v13, v13, 1
	v_sub_f32_e32 v19, v23, v33
	v_sub_f32_e32 v19, v21, v19
	v_add_f32_e32 v35, v13, v19
	v_mov_b32_e32 v34, v20
	v_pk_add_f32 v[20:21], v[22:23], v[20:21] neg_lo:[0,1] neg_hi:[0,1]
	v_pk_add_f32 v[36:37], v[22:23], v[34:35]
	v_mov_b32_e32 v33, v22
	v_mov_b32_e32 v21, v37
	v_pk_add_f32 v[38:39], v[32:33], v[20:21] neg_lo:[0,1] neg_hi:[0,1]
	v_pk_add_f32 v[20:21], v[32:33], v[20:21]
	v_mov_b32_e32 v34, v35
	v_pk_add_f32 v[32:33], v[20:21], v[22:23] op_sel:[1,0] op_sel_hi:[0,1] neg_lo:[0,1] neg_hi:[0,1]
	v_pk_add_f32 v[40:41], v[36:37], v[32:33] op_sel_hi:[1,0] neg_lo:[0,1] neg_hi:[0,1]
	v_mov_b32_e32 v36, v37
	v_mov_b32_e32 v37, v21
	v_pk_mov_b32 v[32:33], v[22:23], v[32:33] op_sel:[1,0]
	v_mov_b32_e32 v35, v22
	v_pk_add_f32 v[32:33], v[36:37], v[32:33] neg_lo:[0,1] neg_hi:[0,1]
	v_mov_b32_e32 v40, v38
	v_pk_add_f32 v[22:23], v[34:35], v[32:33] neg_lo:[0,1] neg_hi:[0,1]
	v_mov_b32_e32 v39, v21
	v_pk_add_f32 v[32:33], v[40:41], v[22:23]
	v_cmp_neq_f32_e64 s[0:1], s31, v11
	v_pk_add_f32 v[34:35], v[32:33], v[32:33] op_sel:[0,1] op_sel_hi:[1,0]
	s_nop 0
	v_pk_add_f32 v[20:21], v[20:21], v[34:35] op_sel:[1,0] op_sel_hi:[0,1]
	v_mov_b32_e32 v33, v20
	v_pk_add_f32 v[36:37], v[32:33], v[38:39] neg_lo:[0,1] neg_hi:[0,1]
	v_mov_b32_e32 v23, v34
	v_sub_f32_e32 v13, v32, v36
	v_pk_add_f32 v[22:23], v[22:23], v[36:37] neg_lo:[0,1] neg_hi:[0,1]
	v_sub_f32_e32 v13, v38, v13
	v_add_f32_e32 v13, v22, v13
	v_add_f32_e32 v13, v13, v23
	;; [unrolled: 1-line block ×3, first 2 shown]
	v_cndmask_b32_e64 v13, v15, v13, s[0:1]
	s_mov_b32 s0, 0x33800000
	v_cmp_lt_f32_e64 s[0:1], |v11|, s0
	s_nop 1
	v_cndmask_b32_e64 v11, v13, v11, s[0:1]
	v_add_f32_e32 v11, v12, v11
.LBB143_112:
	s_or_b64 exec, exec, s[28:29]
	v_max_f32_e32 v12, v11, v11
	v_min_f32_e32 v13, v12, v25
	v_cmp_u_f32_e64 s[0:1], v11, v11
	v_max_f32_e32 v12, v12, v25
	s_nop 0
	v_cndmask_b32_e64 v13, v13, v11, s[0:1]
	v_cndmask_b32_e64 v12, v12, v11, s[0:1]
	v_cndmask_b32_e64 v13, v13, v6, s[44:45]
	v_cndmask_b32_e64 v12, v12, v6, s[44:45]
	v_cmp_neq_f32_e64 s[0:1], v13, v12
	v_cmp_class_f32_e64 s[28:29], v13, s30
	s_or_b64 s[0:1], s[0:1], s[28:29]
	v_mov_b32_e32 v6, v11
	s_and_saveexec_b64 s[28:29], s[0:1]
	s_cbranch_execz .LBB143_114
; %bb.113:
	v_sub_f32_e32 v6, v13, v12
	s_mov_b32 s0, 0x3fb8aa3b
	v_mul_f32_e32 v13, 0x3fb8aa3b, v6
	v_fma_f32 v15, v6, s0, -v13
	v_rndne_f32_e32 v19, v13
	v_fmamk_f32 v15, v6, 0x32a5705f, v15
	v_sub_f32_e32 v13, v13, v19
	v_add_f32_e32 v13, v13, v15
	v_exp_f32_e32 v13, v13
	v_cvt_i32_f32_e32 v15, v19
	s_mov_b32 s0, 0xc2ce8ed0
	v_cmp_ngt_f32_e64 s[0:1], s0, v6
	s_mov_b32 s30, 0x7f800000
	v_ldexp_f32 v13, v13, v15
	v_cndmask_b32_e64 v13, 0, v13, s[0:1]
	s_mov_b32 s0, 0x42b17218
	v_mov_b32_e32 v15, 0x7f800000
	v_cmp_nlt_f32_e64 s[0:1], s0, v6
	s_nop 1
	v_cndmask_b32_e64 v6, v15, v13, s[0:1]
	v_add_f32_e32 v13, 1.0, v6
	v_add_f32_e32 v19, -1.0, v13
	v_sub_f32_e32 v20, v19, v13
	v_add_f32_e32 v20, 1.0, v20
	v_sub_f32_e32 v19, v6, v19
	v_add_f32_e32 v19, v19, v20
	v_frexp_mant_f32_e32 v22, v13
	s_mov_b32 s0, 0x3f2aaaab
	v_cvt_f64_f32_e32 v[20:21], v13
	v_frexp_exp_i32_f64_e32 v20, v[20:21]
	v_cmp_gt_f32_e64 s[0:1], s0, v22
	s_nop 1
	v_subbrev_co_u32_e64 v31, s[0:1], 0, v20, s[0:1]
	v_sub_u32_e32 v20, 0, v31
	v_ldexp_f32 v13, v13, v20
	v_ldexp_f32 v19, v19, v20
	v_add_f32_e32 v20, -1.0, v13
	v_add_f32_e32 v21, 1.0, v20
	v_sub_f32_e32 v21, v13, v21
	v_add_f32_e32 v22, v19, v21
	v_add_f32_e32 v21, 1.0, v13
	v_add_f32_e32 v23, -1.0, v21
	v_sub_f32_e32 v13, v13, v23
	v_add_f32_e32 v13, v19, v13
	v_add_f32_e32 v19, v21, v13
	v_rcp_f32_e32 v34, v19
	v_sub_f32_e32 v21, v21, v19
	v_add_f32_e32 v13, v13, v21
	v_add_f32_e32 v21, v20, v22
	v_sub_f32_e32 v20, v20, v21
	v_mul_f32_e32 v36, v21, v34
	v_add_f32_e32 v35, v22, v20
	v_mul_f32_e32 v22, v19, v36
	v_fma_f32 v24, v36, v19, -v22
	v_fmac_f32_e32 v24, v36, v13
	v_add_f32_e32 v20, v22, v24
	v_sub_f32_e32 v23, v21, v20
	v_pk_add_f32 v[32:33], v[20:21], v[22:23] neg_lo:[0,1] neg_hi:[0,1]
	v_mov_b32_e32 v25, v20
	v_pk_add_f32 v[20:21], v[32:33], v[24:25] neg_lo:[0,1] neg_hi:[0,1]
	s_mov_b32 s0, 0x3f317218
	v_add_f32_e32 v21, v35, v21
	v_add_f32_e32 v20, v20, v21
	;; [unrolled: 1-line block ×3, first 2 shown]
	v_mul_f32_e32 v35, v34, v21
	v_mul_f32_e32 v22, v19, v35
	v_fma_f32 v24, v35, v19, -v22
	v_fmac_f32_e32 v24, v35, v13
	v_sub_f32_e32 v13, v23, v21
	v_add_f32_e32 v13, v20, v13
	v_add_f32_e32 v20, v22, v24
	v_sub_f32_e32 v23, v21, v20
	v_pk_add_f32 v[32:33], v[20:21], v[22:23] neg_lo:[0,1] neg_hi:[0,1]
	v_mov_b32_e32 v25, v20
	v_pk_add_f32 v[20:21], v[32:33], v[24:25] neg_lo:[0,1] neg_hi:[0,1]
	v_add_f32_e32 v19, v36, v35
	v_add_f32_e32 v13, v13, v21
	;; [unrolled: 1-line block ×4, first 2 shown]
	v_sub_f32_e32 v20, v19, v36
	v_mul_f32_e32 v13, v34, v13
	v_sub_f32_e32 v20, v35, v20
	v_add_f32_e32 v13, v20, v13
	v_add_f32_e32 v20, v19, v13
	v_cvt_f32_i32_e32 v22, v31
	v_mul_f32_e32 v23, v20, v20
	v_mov_b32_e32 v21, 0x3ecc95a3
	v_fmac_f32_e32 v21, 0x3e9b6dac, v23
	v_fmaak_f32 v21, v23, v21, 0x3f2aaada
	v_sub_f32_e32 v19, v20, v19
	v_ldexp_f32 v25, v20, 1
	v_mul_f32_e32 v23, v20, v23
	v_mov_b32_e32 v20, 0x3f317218
	v_pk_mul_f32 v[20:21], v[22:23], v[20:21]
	v_sub_f32_e32 v13, v13, v19
	v_fma_f32 v19, v22, s0, -v20
	v_fmamk_f32 v24, v22, 0xb102e308, v19
	v_pk_add_f32 v[22:23], v[20:21], v[24:25]
	v_ldexp_f32 v13, v13, 1
	v_sub_f32_e32 v19, v23, v25
	v_sub_f32_e32 v19, v21, v19
	v_add_f32_e32 v33, v13, v19
	v_mov_b32_e32 v32, v20
	v_pk_add_f32 v[20:21], v[22:23], v[20:21] neg_lo:[0,1] neg_hi:[0,1]
	v_pk_add_f32 v[34:35], v[22:23], v[32:33]
	v_mov_b32_e32 v25, v22
	v_mov_b32_e32 v21, v35
	v_pk_add_f32 v[36:37], v[24:25], v[20:21] neg_lo:[0,1] neg_hi:[0,1]
	v_pk_add_f32 v[20:21], v[24:25], v[20:21]
	v_mov_b32_e32 v32, v33
	v_pk_add_f32 v[24:25], v[20:21], v[22:23] op_sel:[1,0] op_sel_hi:[0,1] neg_lo:[0,1] neg_hi:[0,1]
	v_pk_add_f32 v[38:39], v[34:35], v[24:25] op_sel_hi:[1,0] neg_lo:[0,1] neg_hi:[0,1]
	v_mov_b32_e32 v34, v35
	v_mov_b32_e32 v35, v21
	v_pk_mov_b32 v[24:25], v[22:23], v[24:25] op_sel:[1,0]
	v_mov_b32_e32 v33, v22
	v_pk_add_f32 v[24:25], v[34:35], v[24:25] neg_lo:[0,1] neg_hi:[0,1]
	v_mov_b32_e32 v38, v36
	v_pk_add_f32 v[22:23], v[32:33], v[24:25] neg_lo:[0,1] neg_hi:[0,1]
	v_mov_b32_e32 v37, v21
	v_pk_add_f32 v[24:25], v[38:39], v[22:23]
	v_cmp_neq_f32_e64 s[0:1], s30, v6
	v_pk_add_f32 v[32:33], v[24:25], v[24:25] op_sel:[0,1] op_sel_hi:[1,0]
	s_nop 0
	v_pk_add_f32 v[20:21], v[20:21], v[32:33] op_sel:[1,0] op_sel_hi:[0,1]
	v_mov_b32_e32 v25, v20
	v_pk_add_f32 v[34:35], v[24:25], v[36:37] neg_lo:[0,1] neg_hi:[0,1]
	v_mov_b32_e32 v23, v32
	v_sub_f32_e32 v13, v24, v34
	v_pk_add_f32 v[22:23], v[22:23], v[34:35] neg_lo:[0,1] neg_hi:[0,1]
	v_sub_f32_e32 v13, v36, v13
	v_add_f32_e32 v13, v22, v13
	v_add_f32_e32 v13, v13, v23
	;; [unrolled: 1-line block ×3, first 2 shown]
	v_cndmask_b32_e64 v13, v15, v13, s[0:1]
	s_mov_b32 s0, 0x33800000
	v_cmp_lt_f32_e64 s[0:1], |v6|, s0
	s_nop 1
	v_cndmask_b32_e64 v6, v13, v6, s[0:1]
	v_add_f32_e32 v6, v12, v6
.LBB143_114:
	s_or_b64 exec, exec, s[28:29]
	v_max_f32_e32 v12, v6, v6
	v_min_f32_e32 v13, v12, v26
	v_cmp_u_f32_e64 s[0:1], v6, v6
	v_max_f32_e32 v12, v12, v26
	s_movk_i32 s30, 0x1f8
	v_cndmask_b32_e64 v13, v13, v6, s[0:1]
	v_cndmask_b32_e64 v12, v12, v6, s[0:1]
	;; [unrolled: 1-line block ×4, first 2 shown]
	v_cmp_neq_f32_e64 s[0:1], v13, v12
	v_cmp_class_f32_e64 s[28:29], v13, s30
	s_or_b64 s[0:1], s[0:1], s[28:29]
	v_mov_b32_e32 v7, v6
	s_and_saveexec_b64 s[28:29], s[0:1]
	s_cbranch_execz .LBB143_116
; %bb.115:
	v_sub_f32_e32 v7, v13, v12
	s_mov_b32 s0, 0x3fb8aa3b
	v_mul_f32_e32 v13, 0x3fb8aa3b, v7
	v_fma_f32 v15, v7, s0, -v13
	v_rndne_f32_e32 v19, v13
	v_fmamk_f32 v15, v7, 0x32a5705f, v15
	v_sub_f32_e32 v13, v13, v19
	v_add_f32_e32 v13, v13, v15
	v_exp_f32_e32 v13, v13
	v_cvt_i32_f32_e32 v15, v19
	s_mov_b32 s0, 0xc2ce8ed0
	v_cmp_ngt_f32_e64 s[0:1], s0, v7
	s_mov_b32 s31, 0x7f800000
	v_ldexp_f32 v13, v13, v15
	v_cndmask_b32_e64 v13, 0, v13, s[0:1]
	s_mov_b32 s0, 0x42b17218
	v_mov_b32_e32 v15, 0x7f800000
	v_cmp_nlt_f32_e64 s[0:1], s0, v7
	s_nop 1
	v_cndmask_b32_e64 v7, v15, v13, s[0:1]
	v_add_f32_e32 v13, 1.0, v7
	v_add_f32_e32 v19, -1.0, v13
	v_sub_f32_e32 v20, v19, v13
	v_add_f32_e32 v20, 1.0, v20
	v_sub_f32_e32 v19, v7, v19
	v_add_f32_e32 v19, v19, v20
	v_frexp_mant_f32_e32 v22, v13
	s_mov_b32 s0, 0x3f2aaaab
	v_cvt_f64_f32_e32 v[20:21], v13
	v_frexp_exp_i32_f64_e32 v20, v[20:21]
	v_cmp_gt_f32_e64 s[0:1], s0, v22
	s_nop 1
	v_subbrev_co_u32_e64 v26, s[0:1], 0, v20, s[0:1]
	v_sub_u32_e32 v20, 0, v26
	v_ldexp_f32 v13, v13, v20
	v_ldexp_f32 v19, v19, v20
	v_add_f32_e32 v20, -1.0, v13
	v_add_f32_e32 v21, 1.0, v20
	v_sub_f32_e32 v21, v13, v21
	v_add_f32_e32 v22, v19, v21
	v_add_f32_e32 v21, 1.0, v13
	v_add_f32_e32 v23, -1.0, v21
	v_sub_f32_e32 v13, v13, v23
	v_add_f32_e32 v13, v19, v13
	v_add_f32_e32 v19, v21, v13
	v_rcp_f32_e32 v31, v19
	v_sub_f32_e32 v21, v21, v19
	v_add_f32_e32 v13, v13, v21
	v_add_f32_e32 v21, v20, v22
	v_sub_f32_e32 v20, v20, v21
	v_mul_f32_e32 v35, v21, v31
	v_add_f32_e32 v34, v22, v20
	v_mul_f32_e32 v22, v19, v35
	v_fma_f32 v24, v35, v19, -v22
	v_fmac_f32_e32 v24, v35, v13
	v_add_f32_e32 v20, v22, v24
	v_sub_f32_e32 v23, v21, v20
	v_pk_add_f32 v[32:33], v[20:21], v[22:23] neg_lo:[0,1] neg_hi:[0,1]
	v_mov_b32_e32 v25, v20
	v_pk_add_f32 v[20:21], v[32:33], v[24:25] neg_lo:[0,1] neg_hi:[0,1]
	s_mov_b32 s0, 0x3f317218
	v_add_f32_e32 v21, v34, v21
	v_add_f32_e32 v20, v20, v21
	;; [unrolled: 1-line block ×3, first 2 shown]
	v_mul_f32_e32 v34, v31, v21
	v_mul_f32_e32 v22, v19, v34
	v_fma_f32 v24, v34, v19, -v22
	v_fmac_f32_e32 v24, v34, v13
	v_sub_f32_e32 v13, v23, v21
	v_add_f32_e32 v13, v20, v13
	v_add_f32_e32 v20, v22, v24
	v_sub_f32_e32 v23, v21, v20
	v_pk_add_f32 v[32:33], v[20:21], v[22:23] neg_lo:[0,1] neg_hi:[0,1]
	v_mov_b32_e32 v25, v20
	v_pk_add_f32 v[20:21], v[32:33], v[24:25] neg_lo:[0,1] neg_hi:[0,1]
	v_add_f32_e32 v19, v35, v34
	v_add_f32_e32 v13, v13, v21
	;; [unrolled: 1-line block ×4, first 2 shown]
	v_sub_f32_e32 v20, v19, v35
	v_mul_f32_e32 v13, v31, v13
	v_sub_f32_e32 v20, v34, v20
	v_add_f32_e32 v13, v20, v13
	v_add_f32_e32 v20, v19, v13
	v_cvt_f32_i32_e32 v22, v26
	v_mul_f32_e32 v23, v20, v20
	v_mov_b32_e32 v21, 0x3ecc95a3
	v_fmac_f32_e32 v21, 0x3e9b6dac, v23
	v_fmaak_f32 v21, v23, v21, 0x3f2aaada
	v_sub_f32_e32 v19, v20, v19
	v_ldexp_f32 v25, v20, 1
	v_mul_f32_e32 v23, v20, v23
	v_mov_b32_e32 v20, 0x3f317218
	v_pk_mul_f32 v[20:21], v[22:23], v[20:21]
	v_sub_f32_e32 v13, v13, v19
	v_fma_f32 v19, v22, s0, -v20
	v_fmamk_f32 v24, v22, 0xb102e308, v19
	v_pk_add_f32 v[22:23], v[20:21], v[24:25]
	v_ldexp_f32 v13, v13, 1
	v_sub_f32_e32 v19, v23, v25
	v_sub_f32_e32 v19, v21, v19
	v_add_f32_e32 v33, v13, v19
	v_mov_b32_e32 v32, v20
	v_pk_add_f32 v[20:21], v[22:23], v[20:21] neg_lo:[0,1] neg_hi:[0,1]
	v_pk_add_f32 v[34:35], v[22:23], v[32:33]
	v_mov_b32_e32 v25, v22
	v_mov_b32_e32 v21, v35
	v_pk_add_f32 v[36:37], v[24:25], v[20:21] neg_lo:[0,1] neg_hi:[0,1]
	v_pk_add_f32 v[20:21], v[24:25], v[20:21]
	v_mov_b32_e32 v32, v33
	v_pk_add_f32 v[24:25], v[20:21], v[22:23] op_sel:[1,0] op_sel_hi:[0,1] neg_lo:[0,1] neg_hi:[0,1]
	v_pk_add_f32 v[38:39], v[34:35], v[24:25] op_sel_hi:[1,0] neg_lo:[0,1] neg_hi:[0,1]
	v_mov_b32_e32 v34, v35
	v_mov_b32_e32 v35, v21
	v_pk_mov_b32 v[24:25], v[22:23], v[24:25] op_sel:[1,0]
	v_mov_b32_e32 v33, v22
	v_pk_add_f32 v[24:25], v[34:35], v[24:25] neg_lo:[0,1] neg_hi:[0,1]
	v_mov_b32_e32 v38, v36
	v_pk_add_f32 v[22:23], v[32:33], v[24:25] neg_lo:[0,1] neg_hi:[0,1]
	v_mov_b32_e32 v37, v21
	v_pk_add_f32 v[24:25], v[38:39], v[22:23]
	v_cmp_neq_f32_e64 s[0:1], s31, v7
	v_pk_add_f32 v[32:33], v[24:25], v[24:25] op_sel:[0,1] op_sel_hi:[1,0]
	s_nop 0
	v_pk_add_f32 v[20:21], v[20:21], v[32:33] op_sel:[1,0] op_sel_hi:[0,1]
	v_mov_b32_e32 v25, v20
	v_pk_add_f32 v[34:35], v[24:25], v[36:37] neg_lo:[0,1] neg_hi:[0,1]
	v_mov_b32_e32 v23, v32
	v_sub_f32_e32 v13, v24, v34
	v_pk_add_f32 v[22:23], v[22:23], v[34:35] neg_lo:[0,1] neg_hi:[0,1]
	v_sub_f32_e32 v13, v36, v13
	v_add_f32_e32 v13, v22, v13
	v_add_f32_e32 v13, v13, v23
	;; [unrolled: 1-line block ×3, first 2 shown]
	v_cndmask_b32_e64 v13, v15, v13, s[0:1]
	s_mov_b32 s0, 0x33800000
	v_cmp_lt_f32_e64 s[0:1], |v7|, s0
	s_nop 1
	v_cndmask_b32_e64 v7, v13, v7, s[0:1]
	v_add_f32_e32 v7, v12, v7
.LBB143_116:
	s_or_b64 exec, exec, s[28:29]
	v_max_f32_e32 v12, v7, v7
	v_min_f32_e32 v13, v12, v27
	v_cmp_u_f32_e64 s[0:1], v7, v7
	v_max_f32_e32 v12, v12, v27
	s_nop 0
	v_cndmask_b32_e64 v13, v13, v7, s[0:1]
	v_cndmask_b32_e64 v12, v12, v7, s[0:1]
	;; [unrolled: 1-line block ×4, first 2 shown]
	v_cmp_neq_f32_e64 s[0:1], v13, v12
	v_cmp_class_f32_e64 s[28:29], v13, s30
	s_or_b64 s[0:1], s[0:1], s[28:29]
	v_mov_b32_e32 v8, v7
	s_and_saveexec_b64 s[28:29], s[0:1]
	s_cbranch_execz .LBB143_118
; %bb.117:
	v_sub_f32_e32 v8, v13, v12
	s_mov_b32 s0, 0x3fb8aa3b
	v_mul_f32_e32 v13, 0x3fb8aa3b, v8
	v_fma_f32 v15, v8, s0, -v13
	v_rndne_f32_e32 v19, v13
	v_fmamk_f32 v15, v8, 0x32a5705f, v15
	v_sub_f32_e32 v13, v13, v19
	v_add_f32_e32 v13, v13, v15
	v_exp_f32_e32 v13, v13
	v_cvt_i32_f32_e32 v15, v19
	s_mov_b32 s0, 0xc2ce8ed0
	v_cmp_ngt_f32_e64 s[0:1], s0, v8
	s_mov_b32 s30, 0x7f800000
	v_ldexp_f32 v13, v13, v15
	v_cndmask_b32_e64 v13, 0, v13, s[0:1]
	s_mov_b32 s0, 0x42b17218
	v_mov_b32_e32 v15, 0x7f800000
	v_cmp_nlt_f32_e64 s[0:1], s0, v8
	s_nop 1
	v_cndmask_b32_e64 v8, v15, v13, s[0:1]
	v_add_f32_e32 v13, 1.0, v8
	v_add_f32_e32 v19, -1.0, v13
	v_sub_f32_e32 v20, v19, v13
	v_add_f32_e32 v20, 1.0, v20
	v_sub_f32_e32 v19, v8, v19
	v_add_f32_e32 v19, v19, v20
	v_frexp_mant_f32_e32 v22, v13
	s_mov_b32 s0, 0x3f2aaaab
	v_cvt_f64_f32_e32 v[20:21], v13
	v_frexp_exp_i32_f64_e32 v20, v[20:21]
	v_cmp_gt_f32_e64 s[0:1], s0, v22
	s_nop 1
	v_subbrev_co_u32_e64 v31, s[0:1], 0, v20, s[0:1]
	v_sub_u32_e32 v20, 0, v31
	v_ldexp_f32 v13, v13, v20
	v_ldexp_f32 v19, v19, v20
	v_add_f32_e32 v20, -1.0, v13
	v_add_f32_e32 v21, 1.0, v20
	v_sub_f32_e32 v21, v13, v21
	v_add_f32_e32 v22, v19, v21
	v_add_f32_e32 v21, 1.0, v13
	v_add_f32_e32 v23, -1.0, v21
	v_sub_f32_e32 v13, v13, v23
	v_add_f32_e32 v13, v19, v13
	v_add_f32_e32 v19, v21, v13
	v_rcp_f32_e32 v32, v19
	v_sub_f32_e32 v21, v21, v19
	v_add_f32_e32 v13, v13, v21
	v_add_f32_e32 v21, v20, v22
	v_sub_f32_e32 v20, v20, v21
	v_mul_f32_e32 v34, v21, v32
	v_add_f32_e32 v33, v22, v20
	v_mul_f32_e32 v22, v19, v34
	v_fma_f32 v24, v34, v19, -v22
	v_fmac_f32_e32 v24, v34, v13
	v_add_f32_e32 v20, v22, v24
	v_sub_f32_e32 v23, v21, v20
	v_pk_add_f32 v[26:27], v[20:21], v[22:23] neg_lo:[0,1] neg_hi:[0,1]
	v_mov_b32_e32 v25, v20
	v_pk_add_f32 v[20:21], v[26:27], v[24:25] neg_lo:[0,1] neg_hi:[0,1]
	s_mov_b32 s0, 0x3f317218
	v_add_f32_e32 v21, v33, v21
	v_add_f32_e32 v20, v20, v21
	;; [unrolled: 1-line block ×3, first 2 shown]
	v_mul_f32_e32 v33, v32, v21
	v_mul_f32_e32 v22, v19, v33
	v_fma_f32 v24, v33, v19, -v22
	v_fmac_f32_e32 v24, v33, v13
	v_sub_f32_e32 v13, v23, v21
	v_add_f32_e32 v13, v20, v13
	v_add_f32_e32 v20, v22, v24
	v_sub_f32_e32 v23, v21, v20
	v_pk_add_f32 v[26:27], v[20:21], v[22:23] neg_lo:[0,1] neg_hi:[0,1]
	v_mov_b32_e32 v25, v20
	v_pk_add_f32 v[20:21], v[26:27], v[24:25] neg_lo:[0,1] neg_hi:[0,1]
	v_add_f32_e32 v19, v34, v33
	v_add_f32_e32 v13, v13, v21
	v_add_f32_e32 v13, v20, v13
	v_add_f32_e32 v13, v23, v13
	v_sub_f32_e32 v20, v19, v34
	v_mul_f32_e32 v13, v32, v13
	v_sub_f32_e32 v20, v33, v20
	v_add_f32_e32 v13, v20, v13
	v_add_f32_e32 v20, v19, v13
	v_cvt_f32_i32_e32 v22, v31
	v_mul_f32_e32 v23, v20, v20
	v_mov_b32_e32 v21, 0x3ecc95a3
	v_fmac_f32_e32 v21, 0x3e9b6dac, v23
	v_fmaak_f32 v21, v23, v21, 0x3f2aaada
	v_sub_f32_e32 v19, v20, v19
	v_ldexp_f32 v25, v20, 1
	v_mul_f32_e32 v23, v20, v23
	v_mov_b32_e32 v20, 0x3f317218
	v_pk_mul_f32 v[20:21], v[22:23], v[20:21]
	v_sub_f32_e32 v13, v13, v19
	v_fma_f32 v19, v22, s0, -v20
	v_fmamk_f32 v24, v22, 0xb102e308, v19
	v_pk_add_f32 v[22:23], v[20:21], v[24:25]
	v_ldexp_f32 v13, v13, 1
	v_sub_f32_e32 v19, v23, v25
	v_sub_f32_e32 v19, v21, v19
	v_add_f32_e32 v27, v13, v19
	v_mov_b32_e32 v26, v20
	v_pk_add_f32 v[20:21], v[22:23], v[20:21] neg_lo:[0,1] neg_hi:[0,1]
	v_pk_add_f32 v[32:33], v[22:23], v[26:27]
	v_mov_b32_e32 v25, v22
	v_mov_b32_e32 v21, v33
	v_pk_add_f32 v[34:35], v[24:25], v[20:21] neg_lo:[0,1] neg_hi:[0,1]
	v_pk_add_f32 v[20:21], v[24:25], v[20:21]
	v_mov_b32_e32 v26, v27
	v_pk_add_f32 v[24:25], v[20:21], v[22:23] op_sel:[1,0] op_sel_hi:[0,1] neg_lo:[0,1] neg_hi:[0,1]
	v_pk_add_f32 v[36:37], v[32:33], v[24:25] op_sel_hi:[1,0] neg_lo:[0,1] neg_hi:[0,1]
	v_mov_b32_e32 v32, v33
	v_mov_b32_e32 v33, v21
	v_pk_mov_b32 v[24:25], v[22:23], v[24:25] op_sel:[1,0]
	v_mov_b32_e32 v27, v22
	v_pk_add_f32 v[24:25], v[32:33], v[24:25] neg_lo:[0,1] neg_hi:[0,1]
	v_mov_b32_e32 v36, v34
	v_pk_add_f32 v[22:23], v[26:27], v[24:25] neg_lo:[0,1] neg_hi:[0,1]
	v_mov_b32_e32 v35, v21
	v_pk_add_f32 v[24:25], v[36:37], v[22:23]
	v_cmp_neq_f32_e64 s[0:1], s30, v8
	v_pk_add_f32 v[26:27], v[24:25], v[24:25] op_sel:[0,1] op_sel_hi:[1,0]
	s_nop 0
	v_pk_add_f32 v[20:21], v[20:21], v[26:27] op_sel:[1,0] op_sel_hi:[0,1]
	v_mov_b32_e32 v25, v20
	v_pk_add_f32 v[32:33], v[24:25], v[34:35] neg_lo:[0,1] neg_hi:[0,1]
	v_mov_b32_e32 v23, v26
	v_sub_f32_e32 v13, v24, v32
	v_pk_add_f32 v[22:23], v[22:23], v[32:33] neg_lo:[0,1] neg_hi:[0,1]
	v_sub_f32_e32 v13, v34, v13
	v_add_f32_e32 v13, v22, v13
	v_add_f32_e32 v13, v13, v23
	v_add_f32_e32 v13, v20, v13
	v_cndmask_b32_e64 v13, v15, v13, s[0:1]
	s_mov_b32 s0, 0x33800000
	v_cmp_lt_f32_e64 s[0:1], |v8|, s0
	s_nop 1
	v_cndmask_b32_e64 v8, v13, v8, s[0:1]
	v_add_f32_e32 v8, v12, v8
.LBB143_118:
	s_or_b64 exec, exec, s[28:29]
	v_max_f32_e32 v12, v8, v8
	v_min_f32_e32 v13, v12, v28
	v_cmp_u_f32_e64 s[0:1], v8, v8
	v_max_f32_e32 v12, v12, v28
	s_movk_i32 s30, 0x1f8
	v_cndmask_b32_e64 v13, v13, v8, s[0:1]
	v_cndmask_b32_e64 v12, v12, v8, s[0:1]
	v_cndmask_b32_e64 v13, v13, v9, s[50:51]
	v_cndmask_b32_e64 v12, v12, v9, s[50:51]
	v_cmp_neq_f32_e64 s[0:1], v13, v12
	v_cmp_class_f32_e64 s[28:29], v13, s30
	s_or_b64 s[0:1], s[0:1], s[28:29]
	v_mov_b32_e32 v9, v8
	s_and_saveexec_b64 s[28:29], s[0:1]
	s_cbranch_execz .LBB143_120
; %bb.119:
	v_sub_f32_e32 v9, v13, v12
	s_mov_b32 s0, 0x3fb8aa3b
	v_mul_f32_e32 v13, 0x3fb8aa3b, v9
	v_fma_f32 v15, v9, s0, -v13
	v_rndne_f32_e32 v19, v13
	v_fmamk_f32 v15, v9, 0x32a5705f, v15
	v_sub_f32_e32 v13, v13, v19
	v_add_f32_e32 v13, v13, v15
	v_exp_f32_e32 v13, v13
	v_cvt_i32_f32_e32 v15, v19
	s_mov_b32 s0, 0xc2ce8ed0
	v_cmp_ngt_f32_e64 s[0:1], s0, v9
	s_mov_b32 s31, 0x7f800000
	v_ldexp_f32 v13, v13, v15
	v_cndmask_b32_e64 v13, 0, v13, s[0:1]
	s_mov_b32 s0, 0x42b17218
	v_mov_b32_e32 v15, 0x7f800000
	v_cmp_nlt_f32_e64 s[0:1], s0, v9
	s_nop 1
	v_cndmask_b32_e64 v9, v15, v13, s[0:1]
	v_add_f32_e32 v13, 1.0, v9
	v_add_f32_e32 v19, -1.0, v13
	v_sub_f32_e32 v20, v19, v13
	v_add_f32_e32 v20, 1.0, v20
	v_sub_f32_e32 v19, v9, v19
	v_add_f32_e32 v19, v19, v20
	v_frexp_mant_f32_e32 v22, v13
	s_mov_b32 s0, 0x3f2aaaab
	v_cvt_f64_f32_e32 v[20:21], v13
	v_frexp_exp_i32_f64_e32 v20, v[20:21]
	v_cmp_gt_f32_e64 s[0:1], s0, v22
	s_nop 1
	v_subbrev_co_u32_e64 v28, s[0:1], 0, v20, s[0:1]
	v_sub_u32_e32 v20, 0, v28
	v_ldexp_f32 v13, v13, v20
	v_ldexp_f32 v19, v19, v20
	v_add_f32_e32 v20, -1.0, v13
	v_add_f32_e32 v21, 1.0, v20
	v_sub_f32_e32 v21, v13, v21
	v_add_f32_e32 v22, v19, v21
	v_add_f32_e32 v21, 1.0, v13
	v_add_f32_e32 v23, -1.0, v21
	v_sub_f32_e32 v13, v13, v23
	v_add_f32_e32 v13, v19, v13
	v_add_f32_e32 v19, v21, v13
	v_rcp_f32_e32 v31, v19
	v_sub_f32_e32 v21, v21, v19
	v_add_f32_e32 v13, v13, v21
	v_add_f32_e32 v21, v20, v22
	v_sub_f32_e32 v20, v20, v21
	v_mul_f32_e32 v33, v21, v31
	v_add_f32_e32 v32, v22, v20
	v_mul_f32_e32 v22, v19, v33
	v_fma_f32 v24, v33, v19, -v22
	v_fmac_f32_e32 v24, v33, v13
	v_add_f32_e32 v20, v22, v24
	v_sub_f32_e32 v23, v21, v20
	v_pk_add_f32 v[26:27], v[20:21], v[22:23] neg_lo:[0,1] neg_hi:[0,1]
	v_mov_b32_e32 v25, v20
	v_pk_add_f32 v[20:21], v[26:27], v[24:25] neg_lo:[0,1] neg_hi:[0,1]
	s_mov_b32 s0, 0x3f317218
	v_add_f32_e32 v21, v32, v21
	v_add_f32_e32 v20, v20, v21
	;; [unrolled: 1-line block ×3, first 2 shown]
	v_mul_f32_e32 v32, v31, v21
	v_mul_f32_e32 v22, v19, v32
	v_fma_f32 v24, v32, v19, -v22
	v_fmac_f32_e32 v24, v32, v13
	v_sub_f32_e32 v13, v23, v21
	v_add_f32_e32 v13, v20, v13
	v_add_f32_e32 v20, v22, v24
	v_sub_f32_e32 v23, v21, v20
	v_pk_add_f32 v[26:27], v[20:21], v[22:23] neg_lo:[0,1] neg_hi:[0,1]
	v_mov_b32_e32 v25, v20
	v_pk_add_f32 v[20:21], v[26:27], v[24:25] neg_lo:[0,1] neg_hi:[0,1]
	v_add_f32_e32 v19, v33, v32
	v_add_f32_e32 v13, v13, v21
	;; [unrolled: 1-line block ×4, first 2 shown]
	v_sub_f32_e32 v20, v19, v33
	v_mul_f32_e32 v13, v31, v13
	v_sub_f32_e32 v20, v32, v20
	v_add_f32_e32 v13, v20, v13
	v_add_f32_e32 v20, v19, v13
	v_cvt_f32_i32_e32 v22, v28
	v_mul_f32_e32 v23, v20, v20
	v_mov_b32_e32 v21, 0x3ecc95a3
	v_fmac_f32_e32 v21, 0x3e9b6dac, v23
	v_fmaak_f32 v21, v23, v21, 0x3f2aaada
	v_sub_f32_e32 v19, v20, v19
	v_ldexp_f32 v25, v20, 1
	v_mul_f32_e32 v23, v20, v23
	v_mov_b32_e32 v20, 0x3f317218
	v_pk_mul_f32 v[20:21], v[22:23], v[20:21]
	v_sub_f32_e32 v13, v13, v19
	v_fma_f32 v19, v22, s0, -v20
	v_fmamk_f32 v24, v22, 0xb102e308, v19
	v_pk_add_f32 v[22:23], v[20:21], v[24:25]
	v_ldexp_f32 v13, v13, 1
	v_sub_f32_e32 v19, v23, v25
	v_sub_f32_e32 v19, v21, v19
	v_add_f32_e32 v27, v13, v19
	v_mov_b32_e32 v26, v20
	v_pk_add_f32 v[20:21], v[22:23], v[20:21] neg_lo:[0,1] neg_hi:[0,1]
	v_pk_add_f32 v[32:33], v[22:23], v[26:27]
	v_mov_b32_e32 v25, v22
	v_mov_b32_e32 v21, v33
	v_pk_add_f32 v[34:35], v[24:25], v[20:21] neg_lo:[0,1] neg_hi:[0,1]
	v_pk_add_f32 v[20:21], v[24:25], v[20:21]
	v_mov_b32_e32 v26, v27
	v_pk_add_f32 v[24:25], v[20:21], v[22:23] op_sel:[1,0] op_sel_hi:[0,1] neg_lo:[0,1] neg_hi:[0,1]
	v_pk_add_f32 v[36:37], v[32:33], v[24:25] op_sel_hi:[1,0] neg_lo:[0,1] neg_hi:[0,1]
	v_mov_b32_e32 v32, v33
	v_mov_b32_e32 v33, v21
	v_pk_mov_b32 v[24:25], v[22:23], v[24:25] op_sel:[1,0]
	v_mov_b32_e32 v27, v22
	v_pk_add_f32 v[24:25], v[32:33], v[24:25] neg_lo:[0,1] neg_hi:[0,1]
	v_mov_b32_e32 v36, v34
	v_pk_add_f32 v[22:23], v[26:27], v[24:25] neg_lo:[0,1] neg_hi:[0,1]
	v_mov_b32_e32 v35, v21
	v_pk_add_f32 v[24:25], v[36:37], v[22:23]
	v_cmp_neq_f32_e64 s[0:1], s31, v9
	v_pk_add_f32 v[26:27], v[24:25], v[24:25] op_sel:[0,1] op_sel_hi:[1,0]
	s_nop 0
	v_pk_add_f32 v[20:21], v[20:21], v[26:27] op_sel:[1,0] op_sel_hi:[0,1]
	v_mov_b32_e32 v25, v20
	v_pk_add_f32 v[32:33], v[24:25], v[34:35] neg_lo:[0,1] neg_hi:[0,1]
	v_mov_b32_e32 v23, v26
	v_sub_f32_e32 v13, v24, v32
	v_pk_add_f32 v[22:23], v[22:23], v[32:33] neg_lo:[0,1] neg_hi:[0,1]
	v_sub_f32_e32 v13, v34, v13
	v_add_f32_e32 v13, v22, v13
	v_add_f32_e32 v13, v13, v23
	;; [unrolled: 1-line block ×3, first 2 shown]
	v_cndmask_b32_e64 v13, v15, v13, s[0:1]
	s_mov_b32 s0, 0x33800000
	v_cmp_lt_f32_e64 s[0:1], |v9|, s0
	s_nop 1
	v_cndmask_b32_e64 v9, v13, v9, s[0:1]
	v_add_f32_e32 v9, v12, v9
.LBB143_120:
	s_or_b64 exec, exec, s[28:29]
	v_max_f32_e32 v12, v9, v9
	v_min_f32_e32 v13, v12, v29
	v_cmp_u_f32_e64 s[0:1], v9, v9
	v_max_f32_e32 v12, v12, v29
	s_nop 0
	v_cndmask_b32_e64 v13, v13, v9, s[0:1]
	v_cndmask_b32_e64 v12, v12, v9, s[0:1]
	;; [unrolled: 1-line block ×4, first 2 shown]
	v_cmp_neq_f32_e64 s[0:1], v15, v13
	v_cmp_class_f32_e64 s[28:29], v15, s30
	s_or_b64 s[0:1], s[0:1], s[28:29]
	v_mov_b32_e32 v12, v9
	s_and_saveexec_b64 s[28:29], s[0:1]
	s_cbranch_execz .LBB143_122
; %bb.121:
	v_sub_f32_e32 v12, v15, v13
	s_mov_b32 s0, 0x3fb8aa3b
	v_mul_f32_e32 v15, 0x3fb8aa3b, v12
	v_fma_f32 v16, v12, s0, -v15
	v_rndne_f32_e32 v19, v15
	v_fmamk_f32 v16, v12, 0x32a5705f, v16
	v_sub_f32_e32 v15, v15, v19
	v_add_f32_e32 v15, v15, v16
	v_exp_f32_e32 v15, v15
	v_cvt_i32_f32_e32 v16, v19
	s_mov_b32 s0, 0xc2ce8ed0
	v_cmp_ngt_f32_e64 s[0:1], s0, v12
	s_mov_b32 s30, 0x7f800000
	v_ldexp_f32 v15, v15, v16
	v_cndmask_b32_e64 v15, 0, v15, s[0:1]
	s_mov_b32 s0, 0x42b17218
	v_mov_b32_e32 v16, 0x7f800000
	v_cmp_nlt_f32_e64 s[0:1], s0, v12
	s_nop 1
	v_cndmask_b32_e64 v12, v16, v15, s[0:1]
	v_add_f32_e32 v15, 1.0, v12
	v_add_f32_e32 v19, -1.0, v15
	v_sub_f32_e32 v20, v19, v15
	v_add_f32_e32 v20, 1.0, v20
	v_sub_f32_e32 v19, v12, v19
	v_add_f32_e32 v19, v19, v20
	v_frexp_mant_f32_e32 v22, v15
	s_mov_b32 s0, 0x3f2aaaab
	v_cvt_f64_f32_e32 v[20:21], v15
	v_frexp_exp_i32_f64_e32 v20, v[20:21]
	v_cmp_gt_f32_e64 s[0:1], s0, v22
	s_nop 1
	v_subbrev_co_u32_e64 v28, s[0:1], 0, v20, s[0:1]
	v_sub_u32_e32 v20, 0, v28
	v_ldexp_f32 v15, v15, v20
	v_ldexp_f32 v19, v19, v20
	v_add_f32_e32 v20, -1.0, v15
	v_add_f32_e32 v21, 1.0, v20
	v_sub_f32_e32 v21, v15, v21
	v_add_f32_e32 v22, v19, v21
	v_add_f32_e32 v21, 1.0, v15
	v_add_f32_e32 v23, -1.0, v21
	v_sub_f32_e32 v15, v15, v23
	v_add_f32_e32 v15, v19, v15
	v_add_f32_e32 v19, v21, v15
	v_rcp_f32_e32 v29, v19
	v_sub_f32_e32 v21, v21, v19
	v_add_f32_e32 v15, v15, v21
	v_add_f32_e32 v21, v20, v22
	v_sub_f32_e32 v20, v20, v21
	v_mul_f32_e32 v32, v21, v29
	v_add_f32_e32 v31, v22, v20
	v_mul_f32_e32 v22, v19, v32
	v_fma_f32 v24, v32, v19, -v22
	v_fmac_f32_e32 v24, v32, v15
	v_add_f32_e32 v20, v22, v24
	v_sub_f32_e32 v23, v21, v20
	v_pk_add_f32 v[26:27], v[20:21], v[22:23] neg_lo:[0,1] neg_hi:[0,1]
	v_mov_b32_e32 v25, v20
	v_pk_add_f32 v[20:21], v[26:27], v[24:25] neg_lo:[0,1] neg_hi:[0,1]
	s_mov_b32 s0, 0x3f317218
	v_add_f32_e32 v21, v31, v21
	v_add_f32_e32 v20, v20, v21
	;; [unrolled: 1-line block ×3, first 2 shown]
	v_mul_f32_e32 v31, v29, v21
	v_mul_f32_e32 v22, v19, v31
	v_fma_f32 v24, v31, v19, -v22
	v_fmac_f32_e32 v24, v31, v15
	v_sub_f32_e32 v15, v23, v21
	v_add_f32_e32 v15, v20, v15
	v_add_f32_e32 v20, v22, v24
	v_sub_f32_e32 v23, v21, v20
	v_pk_add_f32 v[26:27], v[20:21], v[22:23] neg_lo:[0,1] neg_hi:[0,1]
	v_mov_b32_e32 v25, v20
	v_pk_add_f32 v[20:21], v[26:27], v[24:25] neg_lo:[0,1] neg_hi:[0,1]
	v_add_f32_e32 v19, v32, v31
	v_add_f32_e32 v15, v15, v21
	;; [unrolled: 1-line block ×4, first 2 shown]
	v_sub_f32_e32 v20, v19, v32
	v_mul_f32_e32 v15, v29, v15
	v_sub_f32_e32 v20, v31, v20
	v_add_f32_e32 v15, v20, v15
	v_add_f32_e32 v20, v19, v15
	v_cvt_f32_i32_e32 v22, v28
	v_mul_f32_e32 v23, v20, v20
	v_mov_b32_e32 v21, 0x3ecc95a3
	v_fmac_f32_e32 v21, 0x3e9b6dac, v23
	v_fmaak_f32 v21, v23, v21, 0x3f2aaada
	v_sub_f32_e32 v19, v20, v19
	v_ldexp_f32 v25, v20, 1
	v_mul_f32_e32 v23, v20, v23
	v_mov_b32_e32 v20, 0x3f317218
	v_pk_mul_f32 v[20:21], v[22:23], v[20:21]
	v_sub_f32_e32 v15, v15, v19
	v_fma_f32 v19, v22, s0, -v20
	v_fmamk_f32 v24, v22, 0xb102e308, v19
	v_pk_add_f32 v[22:23], v[20:21], v[24:25]
	v_ldexp_f32 v15, v15, 1
	v_sub_f32_e32 v19, v23, v25
	v_sub_f32_e32 v19, v21, v19
	v_add_f32_e32 v27, v15, v19
	v_mov_b32_e32 v26, v20
	v_pk_add_f32 v[20:21], v[22:23], v[20:21] neg_lo:[0,1] neg_hi:[0,1]
	v_pk_add_f32 v[28:29], v[22:23], v[26:27]
	v_mov_b32_e32 v25, v22
	v_mov_b32_e32 v21, v29
	v_pk_add_f32 v[32:33], v[24:25], v[20:21] neg_lo:[0,1] neg_hi:[0,1]
	v_pk_add_f32 v[20:21], v[24:25], v[20:21]
	v_mov_b32_e32 v26, v27
	v_pk_add_f32 v[24:25], v[20:21], v[22:23] op_sel:[1,0] op_sel_hi:[0,1] neg_lo:[0,1] neg_hi:[0,1]
	v_pk_add_f32 v[34:35], v[28:29], v[24:25] op_sel_hi:[1,0] neg_lo:[0,1] neg_hi:[0,1]
	v_mov_b32_e32 v28, v29
	v_mov_b32_e32 v29, v21
	v_pk_mov_b32 v[24:25], v[22:23], v[24:25] op_sel:[1,0]
	v_mov_b32_e32 v27, v22
	v_pk_add_f32 v[24:25], v[28:29], v[24:25] neg_lo:[0,1] neg_hi:[0,1]
	v_mov_b32_e32 v34, v32
	v_pk_add_f32 v[22:23], v[26:27], v[24:25] neg_lo:[0,1] neg_hi:[0,1]
	v_mov_b32_e32 v33, v21
	v_pk_add_f32 v[24:25], v[34:35], v[22:23]
	v_cmp_neq_f32_e64 s[0:1], s30, v12
	v_pk_add_f32 v[26:27], v[24:25], v[24:25] op_sel:[0,1] op_sel_hi:[1,0]
	s_nop 0
	v_pk_add_f32 v[20:21], v[20:21], v[26:27] op_sel:[1,0] op_sel_hi:[0,1]
	v_mov_b32_e32 v25, v20
	v_pk_add_f32 v[28:29], v[24:25], v[32:33] neg_lo:[0,1] neg_hi:[0,1]
	v_mov_b32_e32 v23, v26
	v_sub_f32_e32 v15, v24, v28
	v_pk_add_f32 v[22:23], v[22:23], v[28:29] neg_lo:[0,1] neg_hi:[0,1]
	v_sub_f32_e32 v15, v32, v15
	v_add_f32_e32 v15, v22, v15
	v_add_f32_e32 v15, v15, v23
	;; [unrolled: 1-line block ×3, first 2 shown]
	v_cndmask_b32_e64 v15, v16, v15, s[0:1]
	s_mov_b32 s0, 0x33800000
	v_cmp_lt_f32_e64 s[0:1], |v12|, s0
	s_nop 1
	v_cndmask_b32_e64 v12, v15, v12, s[0:1]
	v_add_f32_e32 v12, v13, v12
.LBB143_122:
	s_or_b64 exec, exec, s[28:29]
	v_max_f32_e32 v13, v12, v12
	v_min_f32_e32 v15, v13, v30
	v_cmp_u_f32_e64 s[0:1], v12, v12
	v_max_f32_e32 v13, v13, v30
	s_movk_i32 s28, 0x1f8
	v_cndmask_b32_e64 v15, v15, v12, s[0:1]
	v_cndmask_b32_e64 v13, v13, v12, s[0:1]
	;; [unrolled: 1-line block ×4, first 2 shown]
	v_cmp_neq_f32_e64 s[0:1], v16, v15
	v_cmp_class_f32_e64 s[28:29], v16, s28
	s_or_b64 s[0:1], s[0:1], s[28:29]
	v_mov_b32_e32 v13, v12
	s_and_saveexec_b64 s[28:29], s[0:1]
	s_cbranch_execz .LBB143_124
; %bb.123:
	v_sub_f32_e32 v13, v16, v15
	s_mov_b32 s0, 0x3fb8aa3b
	v_mul_f32_e32 v16, 0x3fb8aa3b, v13
	v_fma_f32 v17, v13, s0, -v16
	v_rndne_f32_e32 v19, v16
	v_fmamk_f32 v17, v13, 0x32a5705f, v17
	v_sub_f32_e32 v16, v16, v19
	v_add_f32_e32 v16, v16, v17
	v_exp_f32_e32 v16, v16
	v_cvt_i32_f32_e32 v17, v19
	s_mov_b32 s0, 0xc2ce8ed0
	v_cmp_ngt_f32_e64 s[0:1], s0, v13
	v_mov_b32_e32 v19, 0x7f800000
	v_ldexp_f32 v16, v16, v17
	v_cndmask_b32_e64 v16, 0, v16, s[0:1]
	s_mov_b32 s0, 0x42b17218
	v_cmp_nlt_f32_e64 s[0:1], s0, v13
	s_mov_b32 s30, 0x7f800000
	s_nop 0
	v_cndmask_b32_e64 v13, v19, v16, s[0:1]
	v_add_f32_e32 v20, 1.0, v13
	v_add_f32_e32 v16, -1.0, v20
	v_sub_f32_e32 v17, v16, v20
	v_add_f32_e32 v17, 1.0, v17
	v_sub_f32_e32 v16, v13, v16
	v_add_f32_e32 v21, v16, v17
	v_frexp_mant_f32_e32 v22, v20
	s_mov_b32 s0, 0x3f2aaaab
	v_cvt_f64_f32_e32 v[16:17], v20
	v_frexp_exp_i32_f64_e32 v16, v[16:17]
	v_cmp_gt_f32_e64 s[0:1], s0, v22
	s_nop 1
	v_subbrev_co_u32_e64 v26, s[0:1], 0, v16, s[0:1]
	v_sub_u32_e32 v16, 0, v26
	v_ldexp_f32 v17, v20, v16
	v_add_f32_e32 v20, -1.0, v17
	v_add_f32_e32 v22, 1.0, v17
	v_ldexp_f32 v16, v21, v16
	v_add_f32_e32 v21, 1.0, v20
	v_add_f32_e32 v23, -1.0, v22
	v_sub_f32_e32 v21, v17, v21
	v_sub_f32_e32 v17, v17, v23
	v_add_f32_e32 v21, v16, v21
	v_add_f32_e32 v16, v16, v17
	;; [unrolled: 1-line block ×3, first 2 shown]
	v_rcp_f32_e32 v29, v27
	v_sub_f32_e32 v17, v22, v27
	v_add_f32_e32 v28, v16, v17
	v_add_f32_e32 v17, v20, v21
	v_mul_f32_e32 v31, v17, v29
	v_sub_f32_e32 v16, v20, v17
	v_mul_f32_e32 v20, v27, v31
	v_fma_f32 v22, v31, v27, -v20
	v_fmac_f32_e32 v22, v31, v28
	v_add_f32_e32 v30, v21, v16
	v_add_f32_e32 v16, v20, v22
	v_sub_f32_e32 v21, v17, v16
	v_pk_add_f32 v[24:25], v[16:17], v[20:21] neg_lo:[0,1] neg_hi:[0,1]
	v_mov_b32_e32 v23, v16
	v_pk_add_f32 v[16:17], v[24:25], v[22:23] neg_lo:[0,1] neg_hi:[0,1]
	s_mov_b32 s0, 0x3f317218
	v_add_f32_e32 v17, v30, v17
	v_add_f32_e32 v16, v16, v17
	;; [unrolled: 1-line block ×3, first 2 shown]
	v_mul_f32_e32 v30, v29, v17
	v_mul_f32_e32 v20, v27, v30
	v_fma_f32 v22, v30, v27, -v20
	v_fmac_f32_e32 v22, v30, v28
	v_sub_f32_e32 v21, v21, v17
	v_add_f32_e32 v27, v16, v21
	v_add_f32_e32 v16, v20, v22
	v_sub_f32_e32 v21, v17, v16
	v_pk_add_f32 v[24:25], v[16:17], v[20:21] neg_lo:[0,1] neg_hi:[0,1]
	v_mov_b32_e32 v23, v16
	v_pk_add_f32 v[16:17], v[24:25], v[22:23] neg_lo:[0,1] neg_hi:[0,1]
	v_cvt_f32_i32_e32 v20, v26
	v_add_f32_e32 v17, v27, v17
	v_add_f32_e32 v16, v16, v17
	;; [unrolled: 1-line block ×4, first 2 shown]
	v_sub_f32_e32 v17, v21, v31
	v_mul_f32_e32 v16, v29, v16
	v_sub_f32_e32 v17, v30, v17
	v_add_f32_e32 v16, v17, v16
	v_add_f32_e32 v22, v21, v16
	v_mul_f32_e32 v24, v22, v22
	v_mov_b32_e32 v17, 0x3ecc95a3
	v_sub_f32_e32 v21, v22, v21
	v_fmac_f32_e32 v17, 0x3e9b6dac, v24
	v_sub_f32_e32 v16, v16, v21
	v_fmaak_f32 v17, v24, v17, 0x3f2aaada
	v_ldexp_f32 v25, v16, 1
	v_mul_f32_e32 v21, v22, v24
	v_mov_b32_e32 v16, 0x3f317218
	v_pk_mul_f32 v[16:17], v[20:21], v[16:17]
	v_ldexp_f32 v23, v22, 1
	v_fma_f32 v21, v20, s0, -v16
	v_fmamk_f32 v22, v20, 0xb102e308, v21
	v_pk_add_f32 v[20:21], v[16:17], v[22:23]
	v_mov_b32_e32 v24, v16
	v_sub_f32_e32 v23, v21, v23
	v_sub_f32_e32 v23, v17, v23
	v_add_f32_e32 v25, v25, v23
	v_pk_add_f32 v[16:17], v[20:21], v[16:17] neg_lo:[0,1] neg_hi:[0,1]
	v_pk_add_f32 v[26:27], v[20:21], v[24:25]
	v_mov_b32_e32 v23, v20
	v_mov_b32_e32 v17, v27
	v_pk_add_f32 v[28:29], v[22:23], v[16:17] neg_lo:[0,1] neg_hi:[0,1]
	v_pk_add_f32 v[16:17], v[22:23], v[16:17]
	v_mov_b32_e32 v24, v25
	v_pk_add_f32 v[22:23], v[16:17], v[20:21] op_sel:[1,0] op_sel_hi:[0,1] neg_lo:[0,1] neg_hi:[0,1]
	v_pk_add_f32 v[30:31], v[26:27], v[22:23] op_sel_hi:[1,0] neg_lo:[0,1] neg_hi:[0,1]
	v_mov_b32_e32 v26, v27
	v_mov_b32_e32 v27, v17
	v_pk_mov_b32 v[22:23], v[20:21], v[22:23] op_sel:[1,0]
	v_mov_b32_e32 v25, v20
	v_pk_add_f32 v[22:23], v[26:27], v[22:23] neg_lo:[0,1] neg_hi:[0,1]
	v_mov_b32_e32 v30, v28
	v_pk_add_f32 v[20:21], v[24:25], v[22:23] neg_lo:[0,1] neg_hi:[0,1]
	v_mov_b32_e32 v29, v17
	v_pk_add_f32 v[22:23], v[30:31], v[20:21]
	v_cmp_neq_f32_e64 s[0:1], s30, v13
	v_pk_add_f32 v[24:25], v[22:23], v[22:23] op_sel:[0,1] op_sel_hi:[1,0]
	s_nop 0
	v_pk_add_f32 v[16:17], v[16:17], v[24:25] op_sel:[1,0] op_sel_hi:[0,1]
	v_mov_b32_e32 v23, v16
	v_pk_add_f32 v[26:27], v[22:23], v[28:29] neg_lo:[0,1] neg_hi:[0,1]
	v_mov_b32_e32 v21, v24
	v_sub_f32_e32 v17, v22, v26
	v_pk_add_f32 v[20:21], v[20:21], v[26:27] neg_lo:[0,1] neg_hi:[0,1]
	v_sub_f32_e32 v17, v28, v17
	v_add_f32_e32 v17, v20, v17
	v_add_f32_e32 v17, v17, v21
	;; [unrolled: 1-line block ×3, first 2 shown]
	v_cndmask_b32_e64 v16, v19, v16, s[0:1]
	s_mov_b32 s0, 0x33800000
	v_cmp_lt_f32_e64 s[0:1], |v13|, s0
	s_nop 1
	v_cndmask_b32_e64 v13, v16, v13, s[0:1]
	v_add_f32_e32 v13, v15, v13
.LBB143_124:
	s_or_b64 exec, exec, s[28:29]
	v_add_u32_e32 v15, v14, v18
	s_barrier
	ds_write2_b64 v15, v[2:3], v[0:1] offset1:1
	ds_write2_b64 v15, v[4:5], v[10:11] offset0:2 offset1:3
	ds_write2_b64 v15, v[6:7], v[8:9] offset0:4 offset1:5
	ds_write_b64 v15, v[12:13] offset:48
	s_waitcnt lgkmcnt(0)
	s_barrier
	ds_read2st64_b32 v[12:13], v14 offset0:4 offset1:8
	ds_read2st64_b32 v[10:11], v14 offset0:12 offset1:16
	ds_read2st64_b32 v[8:9], v14 offset0:20 offset1:24
	ds_read2st64_b32 v[6:7], v14 offset0:28 offset1:32
	ds_read2st64_b32 v[4:5], v14 offset0:36 offset1:40
	ds_read2st64_b32 v[2:3], v14 offset0:44 offset1:48
	ds_read_b32 v16, v14 offset:13312
	v_mov_b32_e32 v15, 0
	v_lshl_add_u64 v[0:1], s[58:59], 0, v[14:15]
	s_and_saveexec_b64 s[0:1], vcc
	s_cbranch_execnz .LBB143_139
; %bb.125:
	s_or_b64 exec, exec, s[0:1]
	s_and_saveexec_b64 s[0:1], s[26:27]
	s_cbranch_execnz .LBB143_140
.LBB143_126:
	s_or_b64 exec, exec, s[0:1]
	s_and_saveexec_b64 s[0:1], s[2:3]
	s_cbranch_execnz .LBB143_141
.LBB143_127:
	s_or_b64 exec, exec, s[0:1]
	s_and_saveexec_b64 s[0:1], s[4:5]
	s_cbranch_execnz .LBB143_142
.LBB143_128:
	s_or_b64 exec, exec, s[0:1]
	s_and_saveexec_b64 s[0:1], s[6:7]
	s_cbranch_execnz .LBB143_143
.LBB143_129:
	s_or_b64 exec, exec, s[0:1]
	s_and_saveexec_b64 s[0:1], s[8:9]
	s_cbranch_execnz .LBB143_144
.LBB143_130:
	s_or_b64 exec, exec, s[0:1]
	s_and_saveexec_b64 s[0:1], s[10:11]
	s_cbranch_execnz .LBB143_145
.LBB143_131:
	s_or_b64 exec, exec, s[0:1]
	s_and_saveexec_b64 s[0:1], s[12:13]
	s_cbranch_execnz .LBB143_146
.LBB143_132:
	s_or_b64 exec, exec, s[0:1]
	s_and_saveexec_b64 s[0:1], s[14:15]
	s_cbranch_execnz .LBB143_147
.LBB143_133:
	s_or_b64 exec, exec, s[0:1]
	s_and_saveexec_b64 s[0:1], s[16:17]
	s_cbranch_execnz .LBB143_148
.LBB143_134:
	s_or_b64 exec, exec, s[0:1]
	s_and_saveexec_b64 s[0:1], s[18:19]
	s_cbranch_execnz .LBB143_149
.LBB143_135:
	s_or_b64 exec, exec, s[0:1]
	s_and_saveexec_b64 s[0:1], s[20:21]
	s_cbranch_execnz .LBB143_150
.LBB143_136:
	s_or_b64 exec, exec, s[0:1]
	s_and_saveexec_b64 s[0:1], s[22:23]
	s_cbranch_execnz .LBB143_151
.LBB143_137:
	s_or_b64 exec, exec, s[0:1]
	s_and_saveexec_b64 s[0:1], s[24:25]
	s_cbranch_execnz .LBB143_152
.LBB143_138:
	s_endpgm
.LBB143_139:
	ds_read_b32 v14, v14
	s_waitcnt lgkmcnt(0)
	global_store_dword v[0:1], v14, off
	s_or_b64 exec, exec, s[0:1]
	s_and_saveexec_b64 s[0:1], s[26:27]
	s_cbranch_execz .LBB143_126
.LBB143_140:
	s_waitcnt lgkmcnt(6)
	global_store_dword v[0:1], v12, off offset:1024
	s_or_b64 exec, exec, s[0:1]
	s_and_saveexec_b64 s[0:1], s[2:3]
	s_cbranch_execz .LBB143_127
.LBB143_141:
	s_waitcnt lgkmcnt(6)
	global_store_dword v[0:1], v13, off offset:2048
	s_or_b64 exec, exec, s[0:1]
	s_and_saveexec_b64 s[0:1], s[4:5]
	s_cbranch_execz .LBB143_128
.LBB143_142:
	s_waitcnt lgkmcnt(5)
	global_store_dword v[0:1], v10, off offset:3072
	s_or_b64 exec, exec, s[0:1]
	s_and_saveexec_b64 s[0:1], s[6:7]
	s_cbranch_execz .LBB143_129
.LBB143_143:
	s_waitcnt lgkmcnt(6)
	v_add_co_u32_e32 v12, vcc, 0x1000, v0
	s_nop 1
	v_addc_co_u32_e32 v13, vcc, 0, v1, vcc
	s_waitcnt lgkmcnt(5)
	global_store_dword v[12:13], v11, off
	s_or_b64 exec, exec, s[0:1]
	s_and_saveexec_b64 s[0:1], s[8:9]
	s_cbranch_execz .LBB143_130
.LBB143_144:
	s_waitcnt lgkmcnt(5)
	v_add_co_u32_e32 v10, vcc, 0x1000, v0
	s_nop 1
	v_addc_co_u32_e32 v11, vcc, 0, v1, vcc
	s_waitcnt lgkmcnt(4)
	global_store_dword v[10:11], v8, off offset:1024
	s_or_b64 exec, exec, s[0:1]
	s_and_saveexec_b64 s[0:1], s[10:11]
	s_cbranch_execz .LBB143_131
.LBB143_145:
	s_waitcnt lgkmcnt(5)
	v_add_co_u32_e32 v10, vcc, 0x1000, v0
	s_nop 1
	v_addc_co_u32_e32 v11, vcc, 0, v1, vcc
	s_waitcnt lgkmcnt(4)
	global_store_dword v[10:11], v9, off offset:2048
	s_or_b64 exec, exec, s[0:1]
	s_and_saveexec_b64 s[0:1], s[12:13]
	s_cbranch_execz .LBB143_132
.LBB143_146:
	s_waitcnt lgkmcnt(4)
	v_add_co_u32_e32 v8, vcc, 0x1000, v0
	s_nop 1
	v_addc_co_u32_e32 v9, vcc, 0, v1, vcc
	s_waitcnt lgkmcnt(3)
	global_store_dword v[8:9], v6, off offset:3072
	s_or_b64 exec, exec, s[0:1]
	s_and_saveexec_b64 s[0:1], s[14:15]
	s_cbranch_execz .LBB143_133
.LBB143_147:
	s_waitcnt lgkmcnt(4)
	v_add_co_u32_e32 v8, vcc, 0x2000, v0
	s_nop 1
	v_addc_co_u32_e32 v9, vcc, 0, v1, vcc
	s_waitcnt lgkmcnt(3)
	global_store_dword v[8:9], v7, off
	s_or_b64 exec, exec, s[0:1]
	s_and_saveexec_b64 s[0:1], s[16:17]
	s_cbranch_execz .LBB143_134
.LBB143_148:
	s_waitcnt lgkmcnt(3)
	v_add_co_u32_e32 v6, vcc, 0x2000, v0
	s_nop 1
	v_addc_co_u32_e32 v7, vcc, 0, v1, vcc
	s_waitcnt lgkmcnt(2)
	global_store_dword v[6:7], v4, off offset:1024
	s_or_b64 exec, exec, s[0:1]
	s_and_saveexec_b64 s[0:1], s[18:19]
	s_cbranch_execz .LBB143_135
.LBB143_149:
	s_waitcnt lgkmcnt(3)
	v_add_co_u32_e32 v6, vcc, 0x2000, v0
	s_nop 1
	v_addc_co_u32_e32 v7, vcc, 0, v1, vcc
	s_waitcnt lgkmcnt(2)
	global_store_dword v[6:7], v5, off offset:2048
	s_or_b64 exec, exec, s[0:1]
	s_and_saveexec_b64 s[0:1], s[20:21]
	s_cbranch_execz .LBB143_136
.LBB143_150:
	s_waitcnt lgkmcnt(2)
	v_add_co_u32_e32 v4, vcc, 0x2000, v0
	s_nop 1
	v_addc_co_u32_e32 v5, vcc, 0, v1, vcc
	s_waitcnt lgkmcnt(1)
	global_store_dword v[4:5], v2, off offset:3072
	s_or_b64 exec, exec, s[0:1]
	s_and_saveexec_b64 s[0:1], s[22:23]
	s_cbranch_execz .LBB143_137
.LBB143_151:
	s_waitcnt lgkmcnt(2)
	v_add_co_u32_e32 v4, vcc, 0x3000, v0
	s_nop 1
	v_addc_co_u32_e32 v5, vcc, 0, v1, vcc
	s_waitcnt lgkmcnt(1)
	global_store_dword v[4:5], v3, off
	s_or_b64 exec, exec, s[0:1]
	s_and_saveexec_b64 s[0:1], s[24:25]
	s_cbranch_execz .LBB143_138
.LBB143_152:
	v_add_co_u32_e32 v0, vcc, 0x3000, v0
	s_nop 1
	v_addc_co_u32_e32 v1, vcc, 0, v1, vcc
	s_waitcnt lgkmcnt(0)
	global_store_dword v[0:1], v16, off offset:1024
	s_endpgm
	.section	.rodata,"a",@progbits
	.p2align	6, 0x0
	.amdhsa_kernel _ZN7rocprim17ROCPRIM_400000_NS6detail17trampoline_kernelINS0_14default_configENS1_20scan_config_selectorIfEEZZNS1_9scan_implILNS1_25lookback_scan_determinismE0ELb0ELb0ES3_PKfPffZZZN2at6native31launch_logcumsumexp_cuda_kernelERKNSB_10TensorBaseESF_lENKUlvE_clEvENKUlvE0_clEvEUlffE_fEEDaPvRmT3_T4_T5_mT6_P12ihipStream_tbENKUlT_T0_E_clISt17integral_constantIbLb1EESV_IbLb0EEEEDaSR_SS_EUlSR_E0_NS1_11comp_targetILNS1_3genE0ELNS1_11target_archE4294967295ELNS1_3gpuE0ELNS1_3repE0EEENS1_30default_config_static_selectorELNS0_4arch9wavefront6targetE1EEEvT1_
		.amdhsa_group_segment_fixed_size 14336
		.amdhsa_private_segment_fixed_size 0
		.amdhsa_kernarg_size 32
		.amdhsa_user_sgpr_count 2
		.amdhsa_user_sgpr_dispatch_ptr 0
		.amdhsa_user_sgpr_queue_ptr 0
		.amdhsa_user_sgpr_kernarg_segment_ptr 1
		.amdhsa_user_sgpr_dispatch_id 0
		.amdhsa_user_sgpr_kernarg_preload_length 0
		.amdhsa_user_sgpr_kernarg_preload_offset 0
		.amdhsa_user_sgpr_private_segment_size 0
		.amdhsa_uses_dynamic_stack 0
		.amdhsa_enable_private_segment 0
		.amdhsa_system_sgpr_workgroup_id_x 1
		.amdhsa_system_sgpr_workgroup_id_y 0
		.amdhsa_system_sgpr_workgroup_id_z 0
		.amdhsa_system_sgpr_workgroup_info 0
		.amdhsa_system_vgpr_workitem_id 0
		.amdhsa_next_free_vgpr 55
		.amdhsa_next_free_sgpr 69
		.amdhsa_accum_offset 56
		.amdhsa_reserve_vcc 1
		.amdhsa_float_round_mode_32 0
		.amdhsa_float_round_mode_16_64 0
		.amdhsa_float_denorm_mode_32 3
		.amdhsa_float_denorm_mode_16_64 3
		.amdhsa_dx10_clamp 1
		.amdhsa_ieee_mode 1
		.amdhsa_fp16_overflow 0
		.amdhsa_tg_split 0
		.amdhsa_exception_fp_ieee_invalid_op 0
		.amdhsa_exception_fp_denorm_src 0
		.amdhsa_exception_fp_ieee_div_zero 0
		.amdhsa_exception_fp_ieee_overflow 0
		.amdhsa_exception_fp_ieee_underflow 0
		.amdhsa_exception_fp_ieee_inexact 0
		.amdhsa_exception_int_div_zero 0
	.end_amdhsa_kernel
	.section	.text._ZN7rocprim17ROCPRIM_400000_NS6detail17trampoline_kernelINS0_14default_configENS1_20scan_config_selectorIfEEZZNS1_9scan_implILNS1_25lookback_scan_determinismE0ELb0ELb0ES3_PKfPffZZZN2at6native31launch_logcumsumexp_cuda_kernelERKNSB_10TensorBaseESF_lENKUlvE_clEvENKUlvE0_clEvEUlffE_fEEDaPvRmT3_T4_T5_mT6_P12ihipStream_tbENKUlT_T0_E_clISt17integral_constantIbLb1EESV_IbLb0EEEEDaSR_SS_EUlSR_E0_NS1_11comp_targetILNS1_3genE0ELNS1_11target_archE4294967295ELNS1_3gpuE0ELNS1_3repE0EEENS1_30default_config_static_selectorELNS0_4arch9wavefront6targetE1EEEvT1_,"axG",@progbits,_ZN7rocprim17ROCPRIM_400000_NS6detail17trampoline_kernelINS0_14default_configENS1_20scan_config_selectorIfEEZZNS1_9scan_implILNS1_25lookback_scan_determinismE0ELb0ELb0ES3_PKfPffZZZN2at6native31launch_logcumsumexp_cuda_kernelERKNSB_10TensorBaseESF_lENKUlvE_clEvENKUlvE0_clEvEUlffE_fEEDaPvRmT3_T4_T5_mT6_P12ihipStream_tbENKUlT_T0_E_clISt17integral_constantIbLb1EESV_IbLb0EEEEDaSR_SS_EUlSR_E0_NS1_11comp_targetILNS1_3genE0ELNS1_11target_archE4294967295ELNS1_3gpuE0ELNS1_3repE0EEENS1_30default_config_static_selectorELNS0_4arch9wavefront6targetE1EEEvT1_,comdat
.Lfunc_end143:
	.size	_ZN7rocprim17ROCPRIM_400000_NS6detail17trampoline_kernelINS0_14default_configENS1_20scan_config_selectorIfEEZZNS1_9scan_implILNS1_25lookback_scan_determinismE0ELb0ELb0ES3_PKfPffZZZN2at6native31launch_logcumsumexp_cuda_kernelERKNSB_10TensorBaseESF_lENKUlvE_clEvENKUlvE0_clEvEUlffE_fEEDaPvRmT3_T4_T5_mT6_P12ihipStream_tbENKUlT_T0_E_clISt17integral_constantIbLb1EESV_IbLb0EEEEDaSR_SS_EUlSR_E0_NS1_11comp_targetILNS1_3genE0ELNS1_11target_archE4294967295ELNS1_3gpuE0ELNS1_3repE0EEENS1_30default_config_static_selectorELNS0_4arch9wavefront6targetE1EEEvT1_, .Lfunc_end143-_ZN7rocprim17ROCPRIM_400000_NS6detail17trampoline_kernelINS0_14default_configENS1_20scan_config_selectorIfEEZZNS1_9scan_implILNS1_25lookback_scan_determinismE0ELb0ELb0ES3_PKfPffZZZN2at6native31launch_logcumsumexp_cuda_kernelERKNSB_10TensorBaseESF_lENKUlvE_clEvENKUlvE0_clEvEUlffE_fEEDaPvRmT3_T4_T5_mT6_P12ihipStream_tbENKUlT_T0_E_clISt17integral_constantIbLb1EESV_IbLb0EEEEDaSR_SS_EUlSR_E0_NS1_11comp_targetILNS1_3genE0ELNS1_11target_archE4294967295ELNS1_3gpuE0ELNS1_3repE0EEENS1_30default_config_static_selectorELNS0_4arch9wavefront6targetE1EEEvT1_
                                        ; -- End function
	.set _ZN7rocprim17ROCPRIM_400000_NS6detail17trampoline_kernelINS0_14default_configENS1_20scan_config_selectorIfEEZZNS1_9scan_implILNS1_25lookback_scan_determinismE0ELb0ELb0ES3_PKfPffZZZN2at6native31launch_logcumsumexp_cuda_kernelERKNSB_10TensorBaseESF_lENKUlvE_clEvENKUlvE0_clEvEUlffE_fEEDaPvRmT3_T4_T5_mT6_P12ihipStream_tbENKUlT_T0_E_clISt17integral_constantIbLb1EESV_IbLb0EEEEDaSR_SS_EUlSR_E0_NS1_11comp_targetILNS1_3genE0ELNS1_11target_archE4294967295ELNS1_3gpuE0ELNS1_3repE0EEENS1_30default_config_static_selectorELNS0_4arch9wavefront6targetE1EEEvT1_.num_vgpr, 55
	.set _ZN7rocprim17ROCPRIM_400000_NS6detail17trampoline_kernelINS0_14default_configENS1_20scan_config_selectorIfEEZZNS1_9scan_implILNS1_25lookback_scan_determinismE0ELb0ELb0ES3_PKfPffZZZN2at6native31launch_logcumsumexp_cuda_kernelERKNSB_10TensorBaseESF_lENKUlvE_clEvENKUlvE0_clEvEUlffE_fEEDaPvRmT3_T4_T5_mT6_P12ihipStream_tbENKUlT_T0_E_clISt17integral_constantIbLb1EESV_IbLb0EEEEDaSR_SS_EUlSR_E0_NS1_11comp_targetILNS1_3genE0ELNS1_11target_archE4294967295ELNS1_3gpuE0ELNS1_3repE0EEENS1_30default_config_static_selectorELNS0_4arch9wavefront6targetE1EEEvT1_.num_agpr, 0
	.set _ZN7rocprim17ROCPRIM_400000_NS6detail17trampoline_kernelINS0_14default_configENS1_20scan_config_selectorIfEEZZNS1_9scan_implILNS1_25lookback_scan_determinismE0ELb0ELb0ES3_PKfPffZZZN2at6native31launch_logcumsumexp_cuda_kernelERKNSB_10TensorBaseESF_lENKUlvE_clEvENKUlvE0_clEvEUlffE_fEEDaPvRmT3_T4_T5_mT6_P12ihipStream_tbENKUlT_T0_E_clISt17integral_constantIbLb1EESV_IbLb0EEEEDaSR_SS_EUlSR_E0_NS1_11comp_targetILNS1_3genE0ELNS1_11target_archE4294967295ELNS1_3gpuE0ELNS1_3repE0EEENS1_30default_config_static_selectorELNS0_4arch9wavefront6targetE1EEEvT1_.numbered_sgpr, 69
	.set _ZN7rocprim17ROCPRIM_400000_NS6detail17trampoline_kernelINS0_14default_configENS1_20scan_config_selectorIfEEZZNS1_9scan_implILNS1_25lookback_scan_determinismE0ELb0ELb0ES3_PKfPffZZZN2at6native31launch_logcumsumexp_cuda_kernelERKNSB_10TensorBaseESF_lENKUlvE_clEvENKUlvE0_clEvEUlffE_fEEDaPvRmT3_T4_T5_mT6_P12ihipStream_tbENKUlT_T0_E_clISt17integral_constantIbLb1EESV_IbLb0EEEEDaSR_SS_EUlSR_E0_NS1_11comp_targetILNS1_3genE0ELNS1_11target_archE4294967295ELNS1_3gpuE0ELNS1_3repE0EEENS1_30default_config_static_selectorELNS0_4arch9wavefront6targetE1EEEvT1_.num_named_barrier, 0
	.set _ZN7rocprim17ROCPRIM_400000_NS6detail17trampoline_kernelINS0_14default_configENS1_20scan_config_selectorIfEEZZNS1_9scan_implILNS1_25lookback_scan_determinismE0ELb0ELb0ES3_PKfPffZZZN2at6native31launch_logcumsumexp_cuda_kernelERKNSB_10TensorBaseESF_lENKUlvE_clEvENKUlvE0_clEvEUlffE_fEEDaPvRmT3_T4_T5_mT6_P12ihipStream_tbENKUlT_T0_E_clISt17integral_constantIbLb1EESV_IbLb0EEEEDaSR_SS_EUlSR_E0_NS1_11comp_targetILNS1_3genE0ELNS1_11target_archE4294967295ELNS1_3gpuE0ELNS1_3repE0EEENS1_30default_config_static_selectorELNS0_4arch9wavefront6targetE1EEEvT1_.private_seg_size, 0
	.set _ZN7rocprim17ROCPRIM_400000_NS6detail17trampoline_kernelINS0_14default_configENS1_20scan_config_selectorIfEEZZNS1_9scan_implILNS1_25lookback_scan_determinismE0ELb0ELb0ES3_PKfPffZZZN2at6native31launch_logcumsumexp_cuda_kernelERKNSB_10TensorBaseESF_lENKUlvE_clEvENKUlvE0_clEvEUlffE_fEEDaPvRmT3_T4_T5_mT6_P12ihipStream_tbENKUlT_T0_E_clISt17integral_constantIbLb1EESV_IbLb0EEEEDaSR_SS_EUlSR_E0_NS1_11comp_targetILNS1_3genE0ELNS1_11target_archE4294967295ELNS1_3gpuE0ELNS1_3repE0EEENS1_30default_config_static_selectorELNS0_4arch9wavefront6targetE1EEEvT1_.uses_vcc, 1
	.set _ZN7rocprim17ROCPRIM_400000_NS6detail17trampoline_kernelINS0_14default_configENS1_20scan_config_selectorIfEEZZNS1_9scan_implILNS1_25lookback_scan_determinismE0ELb0ELb0ES3_PKfPffZZZN2at6native31launch_logcumsumexp_cuda_kernelERKNSB_10TensorBaseESF_lENKUlvE_clEvENKUlvE0_clEvEUlffE_fEEDaPvRmT3_T4_T5_mT6_P12ihipStream_tbENKUlT_T0_E_clISt17integral_constantIbLb1EESV_IbLb0EEEEDaSR_SS_EUlSR_E0_NS1_11comp_targetILNS1_3genE0ELNS1_11target_archE4294967295ELNS1_3gpuE0ELNS1_3repE0EEENS1_30default_config_static_selectorELNS0_4arch9wavefront6targetE1EEEvT1_.uses_flat_scratch, 0
	.set _ZN7rocprim17ROCPRIM_400000_NS6detail17trampoline_kernelINS0_14default_configENS1_20scan_config_selectorIfEEZZNS1_9scan_implILNS1_25lookback_scan_determinismE0ELb0ELb0ES3_PKfPffZZZN2at6native31launch_logcumsumexp_cuda_kernelERKNSB_10TensorBaseESF_lENKUlvE_clEvENKUlvE0_clEvEUlffE_fEEDaPvRmT3_T4_T5_mT6_P12ihipStream_tbENKUlT_T0_E_clISt17integral_constantIbLb1EESV_IbLb0EEEEDaSR_SS_EUlSR_E0_NS1_11comp_targetILNS1_3genE0ELNS1_11target_archE4294967295ELNS1_3gpuE0ELNS1_3repE0EEENS1_30default_config_static_selectorELNS0_4arch9wavefront6targetE1EEEvT1_.has_dyn_sized_stack, 0
	.set _ZN7rocprim17ROCPRIM_400000_NS6detail17trampoline_kernelINS0_14default_configENS1_20scan_config_selectorIfEEZZNS1_9scan_implILNS1_25lookback_scan_determinismE0ELb0ELb0ES3_PKfPffZZZN2at6native31launch_logcumsumexp_cuda_kernelERKNSB_10TensorBaseESF_lENKUlvE_clEvENKUlvE0_clEvEUlffE_fEEDaPvRmT3_T4_T5_mT6_P12ihipStream_tbENKUlT_T0_E_clISt17integral_constantIbLb1EESV_IbLb0EEEEDaSR_SS_EUlSR_E0_NS1_11comp_targetILNS1_3genE0ELNS1_11target_archE4294967295ELNS1_3gpuE0ELNS1_3repE0EEENS1_30default_config_static_selectorELNS0_4arch9wavefront6targetE1EEEvT1_.has_recursion, 0
	.set _ZN7rocprim17ROCPRIM_400000_NS6detail17trampoline_kernelINS0_14default_configENS1_20scan_config_selectorIfEEZZNS1_9scan_implILNS1_25lookback_scan_determinismE0ELb0ELb0ES3_PKfPffZZZN2at6native31launch_logcumsumexp_cuda_kernelERKNSB_10TensorBaseESF_lENKUlvE_clEvENKUlvE0_clEvEUlffE_fEEDaPvRmT3_T4_T5_mT6_P12ihipStream_tbENKUlT_T0_E_clISt17integral_constantIbLb1EESV_IbLb0EEEEDaSR_SS_EUlSR_E0_NS1_11comp_targetILNS1_3genE0ELNS1_11target_archE4294967295ELNS1_3gpuE0ELNS1_3repE0EEENS1_30default_config_static_selectorELNS0_4arch9wavefront6targetE1EEEvT1_.has_indirect_call, 0
	.section	.AMDGPU.csdata,"",@progbits
; Kernel info:
; codeLenInByte = 36956
; TotalNumSgprs: 75
; NumVgprs: 55
; NumAgprs: 0
; TotalNumVgprs: 55
; ScratchSize: 0
; MemoryBound: 0
; FloatMode: 240
; IeeeMode: 1
; LDSByteSize: 14336 bytes/workgroup (compile time only)
; SGPRBlocks: 9
; VGPRBlocks: 6
; NumSGPRsForWavesPerEU: 75
; NumVGPRsForWavesPerEU: 55
; AccumOffset: 56
; Occupancy: 8
; WaveLimiterHint : 0
; COMPUTE_PGM_RSRC2:SCRATCH_EN: 0
; COMPUTE_PGM_RSRC2:USER_SGPR: 2
; COMPUTE_PGM_RSRC2:TRAP_HANDLER: 0
; COMPUTE_PGM_RSRC2:TGID_X_EN: 1
; COMPUTE_PGM_RSRC2:TGID_Y_EN: 0
; COMPUTE_PGM_RSRC2:TGID_Z_EN: 0
; COMPUTE_PGM_RSRC2:TIDIG_COMP_CNT: 0
; COMPUTE_PGM_RSRC3_GFX90A:ACCUM_OFFSET: 13
; COMPUTE_PGM_RSRC3_GFX90A:TG_SPLIT: 0
	.section	.text._ZN7rocprim17ROCPRIM_400000_NS6detail17trampoline_kernelINS0_14default_configENS1_20scan_config_selectorIfEEZZNS1_9scan_implILNS1_25lookback_scan_determinismE0ELb0ELb0ES3_PKfPffZZZN2at6native31launch_logcumsumexp_cuda_kernelERKNSB_10TensorBaseESF_lENKUlvE_clEvENKUlvE0_clEvEUlffE_fEEDaPvRmT3_T4_T5_mT6_P12ihipStream_tbENKUlT_T0_E_clISt17integral_constantIbLb1EESV_IbLb0EEEEDaSR_SS_EUlSR_E0_NS1_11comp_targetILNS1_3genE5ELNS1_11target_archE942ELNS1_3gpuE9ELNS1_3repE0EEENS1_30default_config_static_selectorELNS0_4arch9wavefront6targetE1EEEvT1_,"axG",@progbits,_ZN7rocprim17ROCPRIM_400000_NS6detail17trampoline_kernelINS0_14default_configENS1_20scan_config_selectorIfEEZZNS1_9scan_implILNS1_25lookback_scan_determinismE0ELb0ELb0ES3_PKfPffZZZN2at6native31launch_logcumsumexp_cuda_kernelERKNSB_10TensorBaseESF_lENKUlvE_clEvENKUlvE0_clEvEUlffE_fEEDaPvRmT3_T4_T5_mT6_P12ihipStream_tbENKUlT_T0_E_clISt17integral_constantIbLb1EESV_IbLb0EEEEDaSR_SS_EUlSR_E0_NS1_11comp_targetILNS1_3genE5ELNS1_11target_archE942ELNS1_3gpuE9ELNS1_3repE0EEENS1_30default_config_static_selectorELNS0_4arch9wavefront6targetE1EEEvT1_,comdat
	.globl	_ZN7rocprim17ROCPRIM_400000_NS6detail17trampoline_kernelINS0_14default_configENS1_20scan_config_selectorIfEEZZNS1_9scan_implILNS1_25lookback_scan_determinismE0ELb0ELb0ES3_PKfPffZZZN2at6native31launch_logcumsumexp_cuda_kernelERKNSB_10TensorBaseESF_lENKUlvE_clEvENKUlvE0_clEvEUlffE_fEEDaPvRmT3_T4_T5_mT6_P12ihipStream_tbENKUlT_T0_E_clISt17integral_constantIbLb1EESV_IbLb0EEEEDaSR_SS_EUlSR_E0_NS1_11comp_targetILNS1_3genE5ELNS1_11target_archE942ELNS1_3gpuE9ELNS1_3repE0EEENS1_30default_config_static_selectorELNS0_4arch9wavefront6targetE1EEEvT1_ ; -- Begin function _ZN7rocprim17ROCPRIM_400000_NS6detail17trampoline_kernelINS0_14default_configENS1_20scan_config_selectorIfEEZZNS1_9scan_implILNS1_25lookback_scan_determinismE0ELb0ELb0ES3_PKfPffZZZN2at6native31launch_logcumsumexp_cuda_kernelERKNSB_10TensorBaseESF_lENKUlvE_clEvENKUlvE0_clEvEUlffE_fEEDaPvRmT3_T4_T5_mT6_P12ihipStream_tbENKUlT_T0_E_clISt17integral_constantIbLb1EESV_IbLb0EEEEDaSR_SS_EUlSR_E0_NS1_11comp_targetILNS1_3genE5ELNS1_11target_archE942ELNS1_3gpuE9ELNS1_3repE0EEENS1_30default_config_static_selectorELNS0_4arch9wavefront6targetE1EEEvT1_
	.p2align	8
	.type	_ZN7rocprim17ROCPRIM_400000_NS6detail17trampoline_kernelINS0_14default_configENS1_20scan_config_selectorIfEEZZNS1_9scan_implILNS1_25lookback_scan_determinismE0ELb0ELb0ES3_PKfPffZZZN2at6native31launch_logcumsumexp_cuda_kernelERKNSB_10TensorBaseESF_lENKUlvE_clEvENKUlvE0_clEvEUlffE_fEEDaPvRmT3_T4_T5_mT6_P12ihipStream_tbENKUlT_T0_E_clISt17integral_constantIbLb1EESV_IbLb0EEEEDaSR_SS_EUlSR_E0_NS1_11comp_targetILNS1_3genE5ELNS1_11target_archE942ELNS1_3gpuE9ELNS1_3repE0EEENS1_30default_config_static_selectorELNS0_4arch9wavefront6targetE1EEEvT1_,@function
_ZN7rocprim17ROCPRIM_400000_NS6detail17trampoline_kernelINS0_14default_configENS1_20scan_config_selectorIfEEZZNS1_9scan_implILNS1_25lookback_scan_determinismE0ELb0ELb0ES3_PKfPffZZZN2at6native31launch_logcumsumexp_cuda_kernelERKNSB_10TensorBaseESF_lENKUlvE_clEvENKUlvE0_clEvEUlffE_fEEDaPvRmT3_T4_T5_mT6_P12ihipStream_tbENKUlT_T0_E_clISt17integral_constantIbLb1EESV_IbLb0EEEEDaSR_SS_EUlSR_E0_NS1_11comp_targetILNS1_3genE5ELNS1_11target_archE942ELNS1_3gpuE9ELNS1_3repE0EEENS1_30default_config_static_selectorELNS0_4arch9wavefront6targetE1EEEvT1_: ; @_ZN7rocprim17ROCPRIM_400000_NS6detail17trampoline_kernelINS0_14default_configENS1_20scan_config_selectorIfEEZZNS1_9scan_implILNS1_25lookback_scan_determinismE0ELb0ELb0ES3_PKfPffZZZN2at6native31launch_logcumsumexp_cuda_kernelERKNSB_10TensorBaseESF_lENKUlvE_clEvENKUlvE0_clEvEUlffE_fEEDaPvRmT3_T4_T5_mT6_P12ihipStream_tbENKUlT_T0_E_clISt17integral_constantIbLb1EESV_IbLb0EEEEDaSR_SS_EUlSR_E0_NS1_11comp_targetILNS1_3genE5ELNS1_11target_archE942ELNS1_3gpuE9ELNS1_3repE0EEENS1_30default_config_static_selectorELNS0_4arch9wavefront6targetE1EEEvT1_
; %bb.0:
	.section	.rodata,"a",@progbits
	.p2align	6, 0x0
	.amdhsa_kernel _ZN7rocprim17ROCPRIM_400000_NS6detail17trampoline_kernelINS0_14default_configENS1_20scan_config_selectorIfEEZZNS1_9scan_implILNS1_25lookback_scan_determinismE0ELb0ELb0ES3_PKfPffZZZN2at6native31launch_logcumsumexp_cuda_kernelERKNSB_10TensorBaseESF_lENKUlvE_clEvENKUlvE0_clEvEUlffE_fEEDaPvRmT3_T4_T5_mT6_P12ihipStream_tbENKUlT_T0_E_clISt17integral_constantIbLb1EESV_IbLb0EEEEDaSR_SS_EUlSR_E0_NS1_11comp_targetILNS1_3genE5ELNS1_11target_archE942ELNS1_3gpuE9ELNS1_3repE0EEENS1_30default_config_static_selectorELNS0_4arch9wavefront6targetE1EEEvT1_
		.amdhsa_group_segment_fixed_size 0
		.amdhsa_private_segment_fixed_size 0
		.amdhsa_kernarg_size 32
		.amdhsa_user_sgpr_count 2
		.amdhsa_user_sgpr_dispatch_ptr 0
		.amdhsa_user_sgpr_queue_ptr 0
		.amdhsa_user_sgpr_kernarg_segment_ptr 1
		.amdhsa_user_sgpr_dispatch_id 0
		.amdhsa_user_sgpr_kernarg_preload_length 0
		.amdhsa_user_sgpr_kernarg_preload_offset 0
		.amdhsa_user_sgpr_private_segment_size 0
		.amdhsa_uses_dynamic_stack 0
		.amdhsa_enable_private_segment 0
		.amdhsa_system_sgpr_workgroup_id_x 1
		.amdhsa_system_sgpr_workgroup_id_y 0
		.amdhsa_system_sgpr_workgroup_id_z 0
		.amdhsa_system_sgpr_workgroup_info 0
		.amdhsa_system_vgpr_workitem_id 0
		.amdhsa_next_free_vgpr 1
		.amdhsa_next_free_sgpr 0
		.amdhsa_accum_offset 4
		.amdhsa_reserve_vcc 0
		.amdhsa_float_round_mode_32 0
		.amdhsa_float_round_mode_16_64 0
		.amdhsa_float_denorm_mode_32 3
		.amdhsa_float_denorm_mode_16_64 3
		.amdhsa_dx10_clamp 1
		.amdhsa_ieee_mode 1
		.amdhsa_fp16_overflow 0
		.amdhsa_tg_split 0
		.amdhsa_exception_fp_ieee_invalid_op 0
		.amdhsa_exception_fp_denorm_src 0
		.amdhsa_exception_fp_ieee_div_zero 0
		.amdhsa_exception_fp_ieee_overflow 0
		.amdhsa_exception_fp_ieee_underflow 0
		.amdhsa_exception_fp_ieee_inexact 0
		.amdhsa_exception_int_div_zero 0
	.end_amdhsa_kernel
	.section	.text._ZN7rocprim17ROCPRIM_400000_NS6detail17trampoline_kernelINS0_14default_configENS1_20scan_config_selectorIfEEZZNS1_9scan_implILNS1_25lookback_scan_determinismE0ELb0ELb0ES3_PKfPffZZZN2at6native31launch_logcumsumexp_cuda_kernelERKNSB_10TensorBaseESF_lENKUlvE_clEvENKUlvE0_clEvEUlffE_fEEDaPvRmT3_T4_T5_mT6_P12ihipStream_tbENKUlT_T0_E_clISt17integral_constantIbLb1EESV_IbLb0EEEEDaSR_SS_EUlSR_E0_NS1_11comp_targetILNS1_3genE5ELNS1_11target_archE942ELNS1_3gpuE9ELNS1_3repE0EEENS1_30default_config_static_selectorELNS0_4arch9wavefront6targetE1EEEvT1_,"axG",@progbits,_ZN7rocprim17ROCPRIM_400000_NS6detail17trampoline_kernelINS0_14default_configENS1_20scan_config_selectorIfEEZZNS1_9scan_implILNS1_25lookback_scan_determinismE0ELb0ELb0ES3_PKfPffZZZN2at6native31launch_logcumsumexp_cuda_kernelERKNSB_10TensorBaseESF_lENKUlvE_clEvENKUlvE0_clEvEUlffE_fEEDaPvRmT3_T4_T5_mT6_P12ihipStream_tbENKUlT_T0_E_clISt17integral_constantIbLb1EESV_IbLb0EEEEDaSR_SS_EUlSR_E0_NS1_11comp_targetILNS1_3genE5ELNS1_11target_archE942ELNS1_3gpuE9ELNS1_3repE0EEENS1_30default_config_static_selectorELNS0_4arch9wavefront6targetE1EEEvT1_,comdat
.Lfunc_end144:
	.size	_ZN7rocprim17ROCPRIM_400000_NS6detail17trampoline_kernelINS0_14default_configENS1_20scan_config_selectorIfEEZZNS1_9scan_implILNS1_25lookback_scan_determinismE0ELb0ELb0ES3_PKfPffZZZN2at6native31launch_logcumsumexp_cuda_kernelERKNSB_10TensorBaseESF_lENKUlvE_clEvENKUlvE0_clEvEUlffE_fEEDaPvRmT3_T4_T5_mT6_P12ihipStream_tbENKUlT_T0_E_clISt17integral_constantIbLb1EESV_IbLb0EEEEDaSR_SS_EUlSR_E0_NS1_11comp_targetILNS1_3genE5ELNS1_11target_archE942ELNS1_3gpuE9ELNS1_3repE0EEENS1_30default_config_static_selectorELNS0_4arch9wavefront6targetE1EEEvT1_, .Lfunc_end144-_ZN7rocprim17ROCPRIM_400000_NS6detail17trampoline_kernelINS0_14default_configENS1_20scan_config_selectorIfEEZZNS1_9scan_implILNS1_25lookback_scan_determinismE0ELb0ELb0ES3_PKfPffZZZN2at6native31launch_logcumsumexp_cuda_kernelERKNSB_10TensorBaseESF_lENKUlvE_clEvENKUlvE0_clEvEUlffE_fEEDaPvRmT3_T4_T5_mT6_P12ihipStream_tbENKUlT_T0_E_clISt17integral_constantIbLb1EESV_IbLb0EEEEDaSR_SS_EUlSR_E0_NS1_11comp_targetILNS1_3genE5ELNS1_11target_archE942ELNS1_3gpuE9ELNS1_3repE0EEENS1_30default_config_static_selectorELNS0_4arch9wavefront6targetE1EEEvT1_
                                        ; -- End function
	.set _ZN7rocprim17ROCPRIM_400000_NS6detail17trampoline_kernelINS0_14default_configENS1_20scan_config_selectorIfEEZZNS1_9scan_implILNS1_25lookback_scan_determinismE0ELb0ELb0ES3_PKfPffZZZN2at6native31launch_logcumsumexp_cuda_kernelERKNSB_10TensorBaseESF_lENKUlvE_clEvENKUlvE0_clEvEUlffE_fEEDaPvRmT3_T4_T5_mT6_P12ihipStream_tbENKUlT_T0_E_clISt17integral_constantIbLb1EESV_IbLb0EEEEDaSR_SS_EUlSR_E0_NS1_11comp_targetILNS1_3genE5ELNS1_11target_archE942ELNS1_3gpuE9ELNS1_3repE0EEENS1_30default_config_static_selectorELNS0_4arch9wavefront6targetE1EEEvT1_.num_vgpr, 0
	.set _ZN7rocprim17ROCPRIM_400000_NS6detail17trampoline_kernelINS0_14default_configENS1_20scan_config_selectorIfEEZZNS1_9scan_implILNS1_25lookback_scan_determinismE0ELb0ELb0ES3_PKfPffZZZN2at6native31launch_logcumsumexp_cuda_kernelERKNSB_10TensorBaseESF_lENKUlvE_clEvENKUlvE0_clEvEUlffE_fEEDaPvRmT3_T4_T5_mT6_P12ihipStream_tbENKUlT_T0_E_clISt17integral_constantIbLb1EESV_IbLb0EEEEDaSR_SS_EUlSR_E0_NS1_11comp_targetILNS1_3genE5ELNS1_11target_archE942ELNS1_3gpuE9ELNS1_3repE0EEENS1_30default_config_static_selectorELNS0_4arch9wavefront6targetE1EEEvT1_.num_agpr, 0
	.set _ZN7rocprim17ROCPRIM_400000_NS6detail17trampoline_kernelINS0_14default_configENS1_20scan_config_selectorIfEEZZNS1_9scan_implILNS1_25lookback_scan_determinismE0ELb0ELb0ES3_PKfPffZZZN2at6native31launch_logcumsumexp_cuda_kernelERKNSB_10TensorBaseESF_lENKUlvE_clEvENKUlvE0_clEvEUlffE_fEEDaPvRmT3_T4_T5_mT6_P12ihipStream_tbENKUlT_T0_E_clISt17integral_constantIbLb1EESV_IbLb0EEEEDaSR_SS_EUlSR_E0_NS1_11comp_targetILNS1_3genE5ELNS1_11target_archE942ELNS1_3gpuE9ELNS1_3repE0EEENS1_30default_config_static_selectorELNS0_4arch9wavefront6targetE1EEEvT1_.numbered_sgpr, 0
	.set _ZN7rocprim17ROCPRIM_400000_NS6detail17trampoline_kernelINS0_14default_configENS1_20scan_config_selectorIfEEZZNS1_9scan_implILNS1_25lookback_scan_determinismE0ELb0ELb0ES3_PKfPffZZZN2at6native31launch_logcumsumexp_cuda_kernelERKNSB_10TensorBaseESF_lENKUlvE_clEvENKUlvE0_clEvEUlffE_fEEDaPvRmT3_T4_T5_mT6_P12ihipStream_tbENKUlT_T0_E_clISt17integral_constantIbLb1EESV_IbLb0EEEEDaSR_SS_EUlSR_E0_NS1_11comp_targetILNS1_3genE5ELNS1_11target_archE942ELNS1_3gpuE9ELNS1_3repE0EEENS1_30default_config_static_selectorELNS0_4arch9wavefront6targetE1EEEvT1_.num_named_barrier, 0
	.set _ZN7rocprim17ROCPRIM_400000_NS6detail17trampoline_kernelINS0_14default_configENS1_20scan_config_selectorIfEEZZNS1_9scan_implILNS1_25lookback_scan_determinismE0ELb0ELb0ES3_PKfPffZZZN2at6native31launch_logcumsumexp_cuda_kernelERKNSB_10TensorBaseESF_lENKUlvE_clEvENKUlvE0_clEvEUlffE_fEEDaPvRmT3_T4_T5_mT6_P12ihipStream_tbENKUlT_T0_E_clISt17integral_constantIbLb1EESV_IbLb0EEEEDaSR_SS_EUlSR_E0_NS1_11comp_targetILNS1_3genE5ELNS1_11target_archE942ELNS1_3gpuE9ELNS1_3repE0EEENS1_30default_config_static_selectorELNS0_4arch9wavefront6targetE1EEEvT1_.private_seg_size, 0
	.set _ZN7rocprim17ROCPRIM_400000_NS6detail17trampoline_kernelINS0_14default_configENS1_20scan_config_selectorIfEEZZNS1_9scan_implILNS1_25lookback_scan_determinismE0ELb0ELb0ES3_PKfPffZZZN2at6native31launch_logcumsumexp_cuda_kernelERKNSB_10TensorBaseESF_lENKUlvE_clEvENKUlvE0_clEvEUlffE_fEEDaPvRmT3_T4_T5_mT6_P12ihipStream_tbENKUlT_T0_E_clISt17integral_constantIbLb1EESV_IbLb0EEEEDaSR_SS_EUlSR_E0_NS1_11comp_targetILNS1_3genE5ELNS1_11target_archE942ELNS1_3gpuE9ELNS1_3repE0EEENS1_30default_config_static_selectorELNS0_4arch9wavefront6targetE1EEEvT1_.uses_vcc, 0
	.set _ZN7rocprim17ROCPRIM_400000_NS6detail17trampoline_kernelINS0_14default_configENS1_20scan_config_selectorIfEEZZNS1_9scan_implILNS1_25lookback_scan_determinismE0ELb0ELb0ES3_PKfPffZZZN2at6native31launch_logcumsumexp_cuda_kernelERKNSB_10TensorBaseESF_lENKUlvE_clEvENKUlvE0_clEvEUlffE_fEEDaPvRmT3_T4_T5_mT6_P12ihipStream_tbENKUlT_T0_E_clISt17integral_constantIbLb1EESV_IbLb0EEEEDaSR_SS_EUlSR_E0_NS1_11comp_targetILNS1_3genE5ELNS1_11target_archE942ELNS1_3gpuE9ELNS1_3repE0EEENS1_30default_config_static_selectorELNS0_4arch9wavefront6targetE1EEEvT1_.uses_flat_scratch, 0
	.set _ZN7rocprim17ROCPRIM_400000_NS6detail17trampoline_kernelINS0_14default_configENS1_20scan_config_selectorIfEEZZNS1_9scan_implILNS1_25lookback_scan_determinismE0ELb0ELb0ES3_PKfPffZZZN2at6native31launch_logcumsumexp_cuda_kernelERKNSB_10TensorBaseESF_lENKUlvE_clEvENKUlvE0_clEvEUlffE_fEEDaPvRmT3_T4_T5_mT6_P12ihipStream_tbENKUlT_T0_E_clISt17integral_constantIbLb1EESV_IbLb0EEEEDaSR_SS_EUlSR_E0_NS1_11comp_targetILNS1_3genE5ELNS1_11target_archE942ELNS1_3gpuE9ELNS1_3repE0EEENS1_30default_config_static_selectorELNS0_4arch9wavefront6targetE1EEEvT1_.has_dyn_sized_stack, 0
	.set _ZN7rocprim17ROCPRIM_400000_NS6detail17trampoline_kernelINS0_14default_configENS1_20scan_config_selectorIfEEZZNS1_9scan_implILNS1_25lookback_scan_determinismE0ELb0ELb0ES3_PKfPffZZZN2at6native31launch_logcumsumexp_cuda_kernelERKNSB_10TensorBaseESF_lENKUlvE_clEvENKUlvE0_clEvEUlffE_fEEDaPvRmT3_T4_T5_mT6_P12ihipStream_tbENKUlT_T0_E_clISt17integral_constantIbLb1EESV_IbLb0EEEEDaSR_SS_EUlSR_E0_NS1_11comp_targetILNS1_3genE5ELNS1_11target_archE942ELNS1_3gpuE9ELNS1_3repE0EEENS1_30default_config_static_selectorELNS0_4arch9wavefront6targetE1EEEvT1_.has_recursion, 0
	.set _ZN7rocprim17ROCPRIM_400000_NS6detail17trampoline_kernelINS0_14default_configENS1_20scan_config_selectorIfEEZZNS1_9scan_implILNS1_25lookback_scan_determinismE0ELb0ELb0ES3_PKfPffZZZN2at6native31launch_logcumsumexp_cuda_kernelERKNSB_10TensorBaseESF_lENKUlvE_clEvENKUlvE0_clEvEUlffE_fEEDaPvRmT3_T4_T5_mT6_P12ihipStream_tbENKUlT_T0_E_clISt17integral_constantIbLb1EESV_IbLb0EEEEDaSR_SS_EUlSR_E0_NS1_11comp_targetILNS1_3genE5ELNS1_11target_archE942ELNS1_3gpuE9ELNS1_3repE0EEENS1_30default_config_static_selectorELNS0_4arch9wavefront6targetE1EEEvT1_.has_indirect_call, 0
	.section	.AMDGPU.csdata,"",@progbits
; Kernel info:
; codeLenInByte = 0
; TotalNumSgprs: 6
; NumVgprs: 0
; NumAgprs: 0
; TotalNumVgprs: 0
; ScratchSize: 0
; MemoryBound: 0
; FloatMode: 240
; IeeeMode: 1
; LDSByteSize: 0 bytes/workgroup (compile time only)
; SGPRBlocks: 0
; VGPRBlocks: 0
; NumSGPRsForWavesPerEU: 6
; NumVGPRsForWavesPerEU: 1
; AccumOffset: 4
; Occupancy: 8
; WaveLimiterHint : 0
; COMPUTE_PGM_RSRC2:SCRATCH_EN: 0
; COMPUTE_PGM_RSRC2:USER_SGPR: 2
; COMPUTE_PGM_RSRC2:TRAP_HANDLER: 0
; COMPUTE_PGM_RSRC2:TGID_X_EN: 1
; COMPUTE_PGM_RSRC2:TGID_Y_EN: 0
; COMPUTE_PGM_RSRC2:TGID_Z_EN: 0
; COMPUTE_PGM_RSRC2:TIDIG_COMP_CNT: 0
; COMPUTE_PGM_RSRC3_GFX90A:ACCUM_OFFSET: 0
; COMPUTE_PGM_RSRC3_GFX90A:TG_SPLIT: 0
	.section	.text._ZN7rocprim17ROCPRIM_400000_NS6detail17trampoline_kernelINS0_14default_configENS1_20scan_config_selectorIfEEZZNS1_9scan_implILNS1_25lookback_scan_determinismE0ELb0ELb0ES3_PKfPffZZZN2at6native31launch_logcumsumexp_cuda_kernelERKNSB_10TensorBaseESF_lENKUlvE_clEvENKUlvE0_clEvEUlffE_fEEDaPvRmT3_T4_T5_mT6_P12ihipStream_tbENKUlT_T0_E_clISt17integral_constantIbLb1EESV_IbLb0EEEEDaSR_SS_EUlSR_E0_NS1_11comp_targetILNS1_3genE4ELNS1_11target_archE910ELNS1_3gpuE8ELNS1_3repE0EEENS1_30default_config_static_selectorELNS0_4arch9wavefront6targetE1EEEvT1_,"axG",@progbits,_ZN7rocprim17ROCPRIM_400000_NS6detail17trampoline_kernelINS0_14default_configENS1_20scan_config_selectorIfEEZZNS1_9scan_implILNS1_25lookback_scan_determinismE0ELb0ELb0ES3_PKfPffZZZN2at6native31launch_logcumsumexp_cuda_kernelERKNSB_10TensorBaseESF_lENKUlvE_clEvENKUlvE0_clEvEUlffE_fEEDaPvRmT3_T4_T5_mT6_P12ihipStream_tbENKUlT_T0_E_clISt17integral_constantIbLb1EESV_IbLb0EEEEDaSR_SS_EUlSR_E0_NS1_11comp_targetILNS1_3genE4ELNS1_11target_archE910ELNS1_3gpuE8ELNS1_3repE0EEENS1_30default_config_static_selectorELNS0_4arch9wavefront6targetE1EEEvT1_,comdat
	.globl	_ZN7rocprim17ROCPRIM_400000_NS6detail17trampoline_kernelINS0_14default_configENS1_20scan_config_selectorIfEEZZNS1_9scan_implILNS1_25lookback_scan_determinismE0ELb0ELb0ES3_PKfPffZZZN2at6native31launch_logcumsumexp_cuda_kernelERKNSB_10TensorBaseESF_lENKUlvE_clEvENKUlvE0_clEvEUlffE_fEEDaPvRmT3_T4_T5_mT6_P12ihipStream_tbENKUlT_T0_E_clISt17integral_constantIbLb1EESV_IbLb0EEEEDaSR_SS_EUlSR_E0_NS1_11comp_targetILNS1_3genE4ELNS1_11target_archE910ELNS1_3gpuE8ELNS1_3repE0EEENS1_30default_config_static_selectorELNS0_4arch9wavefront6targetE1EEEvT1_ ; -- Begin function _ZN7rocprim17ROCPRIM_400000_NS6detail17trampoline_kernelINS0_14default_configENS1_20scan_config_selectorIfEEZZNS1_9scan_implILNS1_25lookback_scan_determinismE0ELb0ELb0ES3_PKfPffZZZN2at6native31launch_logcumsumexp_cuda_kernelERKNSB_10TensorBaseESF_lENKUlvE_clEvENKUlvE0_clEvEUlffE_fEEDaPvRmT3_T4_T5_mT6_P12ihipStream_tbENKUlT_T0_E_clISt17integral_constantIbLb1EESV_IbLb0EEEEDaSR_SS_EUlSR_E0_NS1_11comp_targetILNS1_3genE4ELNS1_11target_archE910ELNS1_3gpuE8ELNS1_3repE0EEENS1_30default_config_static_selectorELNS0_4arch9wavefront6targetE1EEEvT1_
	.p2align	8
	.type	_ZN7rocprim17ROCPRIM_400000_NS6detail17trampoline_kernelINS0_14default_configENS1_20scan_config_selectorIfEEZZNS1_9scan_implILNS1_25lookback_scan_determinismE0ELb0ELb0ES3_PKfPffZZZN2at6native31launch_logcumsumexp_cuda_kernelERKNSB_10TensorBaseESF_lENKUlvE_clEvENKUlvE0_clEvEUlffE_fEEDaPvRmT3_T4_T5_mT6_P12ihipStream_tbENKUlT_T0_E_clISt17integral_constantIbLb1EESV_IbLb0EEEEDaSR_SS_EUlSR_E0_NS1_11comp_targetILNS1_3genE4ELNS1_11target_archE910ELNS1_3gpuE8ELNS1_3repE0EEENS1_30default_config_static_selectorELNS0_4arch9wavefront6targetE1EEEvT1_,@function
_ZN7rocprim17ROCPRIM_400000_NS6detail17trampoline_kernelINS0_14default_configENS1_20scan_config_selectorIfEEZZNS1_9scan_implILNS1_25lookback_scan_determinismE0ELb0ELb0ES3_PKfPffZZZN2at6native31launch_logcumsumexp_cuda_kernelERKNSB_10TensorBaseESF_lENKUlvE_clEvENKUlvE0_clEvEUlffE_fEEDaPvRmT3_T4_T5_mT6_P12ihipStream_tbENKUlT_T0_E_clISt17integral_constantIbLb1EESV_IbLb0EEEEDaSR_SS_EUlSR_E0_NS1_11comp_targetILNS1_3genE4ELNS1_11target_archE910ELNS1_3gpuE8ELNS1_3repE0EEENS1_30default_config_static_selectorELNS0_4arch9wavefront6targetE1EEEvT1_: ; @_ZN7rocprim17ROCPRIM_400000_NS6detail17trampoline_kernelINS0_14default_configENS1_20scan_config_selectorIfEEZZNS1_9scan_implILNS1_25lookback_scan_determinismE0ELb0ELb0ES3_PKfPffZZZN2at6native31launch_logcumsumexp_cuda_kernelERKNSB_10TensorBaseESF_lENKUlvE_clEvENKUlvE0_clEvEUlffE_fEEDaPvRmT3_T4_T5_mT6_P12ihipStream_tbENKUlT_T0_E_clISt17integral_constantIbLb1EESV_IbLb0EEEEDaSR_SS_EUlSR_E0_NS1_11comp_targetILNS1_3genE4ELNS1_11target_archE910ELNS1_3gpuE8ELNS1_3repE0EEENS1_30default_config_static_selectorELNS0_4arch9wavefront6targetE1EEEvT1_
; %bb.0:
	.section	.rodata,"a",@progbits
	.p2align	6, 0x0
	.amdhsa_kernel _ZN7rocprim17ROCPRIM_400000_NS6detail17trampoline_kernelINS0_14default_configENS1_20scan_config_selectorIfEEZZNS1_9scan_implILNS1_25lookback_scan_determinismE0ELb0ELb0ES3_PKfPffZZZN2at6native31launch_logcumsumexp_cuda_kernelERKNSB_10TensorBaseESF_lENKUlvE_clEvENKUlvE0_clEvEUlffE_fEEDaPvRmT3_T4_T5_mT6_P12ihipStream_tbENKUlT_T0_E_clISt17integral_constantIbLb1EESV_IbLb0EEEEDaSR_SS_EUlSR_E0_NS1_11comp_targetILNS1_3genE4ELNS1_11target_archE910ELNS1_3gpuE8ELNS1_3repE0EEENS1_30default_config_static_selectorELNS0_4arch9wavefront6targetE1EEEvT1_
		.amdhsa_group_segment_fixed_size 0
		.amdhsa_private_segment_fixed_size 0
		.amdhsa_kernarg_size 32
		.amdhsa_user_sgpr_count 2
		.amdhsa_user_sgpr_dispatch_ptr 0
		.amdhsa_user_sgpr_queue_ptr 0
		.amdhsa_user_sgpr_kernarg_segment_ptr 1
		.amdhsa_user_sgpr_dispatch_id 0
		.amdhsa_user_sgpr_kernarg_preload_length 0
		.amdhsa_user_sgpr_kernarg_preload_offset 0
		.amdhsa_user_sgpr_private_segment_size 0
		.amdhsa_uses_dynamic_stack 0
		.amdhsa_enable_private_segment 0
		.amdhsa_system_sgpr_workgroup_id_x 1
		.amdhsa_system_sgpr_workgroup_id_y 0
		.amdhsa_system_sgpr_workgroup_id_z 0
		.amdhsa_system_sgpr_workgroup_info 0
		.amdhsa_system_vgpr_workitem_id 0
		.amdhsa_next_free_vgpr 1
		.amdhsa_next_free_sgpr 0
		.amdhsa_accum_offset 4
		.amdhsa_reserve_vcc 0
		.amdhsa_float_round_mode_32 0
		.amdhsa_float_round_mode_16_64 0
		.amdhsa_float_denorm_mode_32 3
		.amdhsa_float_denorm_mode_16_64 3
		.amdhsa_dx10_clamp 1
		.amdhsa_ieee_mode 1
		.amdhsa_fp16_overflow 0
		.amdhsa_tg_split 0
		.amdhsa_exception_fp_ieee_invalid_op 0
		.amdhsa_exception_fp_denorm_src 0
		.amdhsa_exception_fp_ieee_div_zero 0
		.amdhsa_exception_fp_ieee_overflow 0
		.amdhsa_exception_fp_ieee_underflow 0
		.amdhsa_exception_fp_ieee_inexact 0
		.amdhsa_exception_int_div_zero 0
	.end_amdhsa_kernel
	.section	.text._ZN7rocprim17ROCPRIM_400000_NS6detail17trampoline_kernelINS0_14default_configENS1_20scan_config_selectorIfEEZZNS1_9scan_implILNS1_25lookback_scan_determinismE0ELb0ELb0ES3_PKfPffZZZN2at6native31launch_logcumsumexp_cuda_kernelERKNSB_10TensorBaseESF_lENKUlvE_clEvENKUlvE0_clEvEUlffE_fEEDaPvRmT3_T4_T5_mT6_P12ihipStream_tbENKUlT_T0_E_clISt17integral_constantIbLb1EESV_IbLb0EEEEDaSR_SS_EUlSR_E0_NS1_11comp_targetILNS1_3genE4ELNS1_11target_archE910ELNS1_3gpuE8ELNS1_3repE0EEENS1_30default_config_static_selectorELNS0_4arch9wavefront6targetE1EEEvT1_,"axG",@progbits,_ZN7rocprim17ROCPRIM_400000_NS6detail17trampoline_kernelINS0_14default_configENS1_20scan_config_selectorIfEEZZNS1_9scan_implILNS1_25lookback_scan_determinismE0ELb0ELb0ES3_PKfPffZZZN2at6native31launch_logcumsumexp_cuda_kernelERKNSB_10TensorBaseESF_lENKUlvE_clEvENKUlvE0_clEvEUlffE_fEEDaPvRmT3_T4_T5_mT6_P12ihipStream_tbENKUlT_T0_E_clISt17integral_constantIbLb1EESV_IbLb0EEEEDaSR_SS_EUlSR_E0_NS1_11comp_targetILNS1_3genE4ELNS1_11target_archE910ELNS1_3gpuE8ELNS1_3repE0EEENS1_30default_config_static_selectorELNS0_4arch9wavefront6targetE1EEEvT1_,comdat
.Lfunc_end145:
	.size	_ZN7rocprim17ROCPRIM_400000_NS6detail17trampoline_kernelINS0_14default_configENS1_20scan_config_selectorIfEEZZNS1_9scan_implILNS1_25lookback_scan_determinismE0ELb0ELb0ES3_PKfPffZZZN2at6native31launch_logcumsumexp_cuda_kernelERKNSB_10TensorBaseESF_lENKUlvE_clEvENKUlvE0_clEvEUlffE_fEEDaPvRmT3_T4_T5_mT6_P12ihipStream_tbENKUlT_T0_E_clISt17integral_constantIbLb1EESV_IbLb0EEEEDaSR_SS_EUlSR_E0_NS1_11comp_targetILNS1_3genE4ELNS1_11target_archE910ELNS1_3gpuE8ELNS1_3repE0EEENS1_30default_config_static_selectorELNS0_4arch9wavefront6targetE1EEEvT1_, .Lfunc_end145-_ZN7rocprim17ROCPRIM_400000_NS6detail17trampoline_kernelINS0_14default_configENS1_20scan_config_selectorIfEEZZNS1_9scan_implILNS1_25lookback_scan_determinismE0ELb0ELb0ES3_PKfPffZZZN2at6native31launch_logcumsumexp_cuda_kernelERKNSB_10TensorBaseESF_lENKUlvE_clEvENKUlvE0_clEvEUlffE_fEEDaPvRmT3_T4_T5_mT6_P12ihipStream_tbENKUlT_T0_E_clISt17integral_constantIbLb1EESV_IbLb0EEEEDaSR_SS_EUlSR_E0_NS1_11comp_targetILNS1_3genE4ELNS1_11target_archE910ELNS1_3gpuE8ELNS1_3repE0EEENS1_30default_config_static_selectorELNS0_4arch9wavefront6targetE1EEEvT1_
                                        ; -- End function
	.set _ZN7rocprim17ROCPRIM_400000_NS6detail17trampoline_kernelINS0_14default_configENS1_20scan_config_selectorIfEEZZNS1_9scan_implILNS1_25lookback_scan_determinismE0ELb0ELb0ES3_PKfPffZZZN2at6native31launch_logcumsumexp_cuda_kernelERKNSB_10TensorBaseESF_lENKUlvE_clEvENKUlvE0_clEvEUlffE_fEEDaPvRmT3_T4_T5_mT6_P12ihipStream_tbENKUlT_T0_E_clISt17integral_constantIbLb1EESV_IbLb0EEEEDaSR_SS_EUlSR_E0_NS1_11comp_targetILNS1_3genE4ELNS1_11target_archE910ELNS1_3gpuE8ELNS1_3repE0EEENS1_30default_config_static_selectorELNS0_4arch9wavefront6targetE1EEEvT1_.num_vgpr, 0
	.set _ZN7rocprim17ROCPRIM_400000_NS6detail17trampoline_kernelINS0_14default_configENS1_20scan_config_selectorIfEEZZNS1_9scan_implILNS1_25lookback_scan_determinismE0ELb0ELb0ES3_PKfPffZZZN2at6native31launch_logcumsumexp_cuda_kernelERKNSB_10TensorBaseESF_lENKUlvE_clEvENKUlvE0_clEvEUlffE_fEEDaPvRmT3_T4_T5_mT6_P12ihipStream_tbENKUlT_T0_E_clISt17integral_constantIbLb1EESV_IbLb0EEEEDaSR_SS_EUlSR_E0_NS1_11comp_targetILNS1_3genE4ELNS1_11target_archE910ELNS1_3gpuE8ELNS1_3repE0EEENS1_30default_config_static_selectorELNS0_4arch9wavefront6targetE1EEEvT1_.num_agpr, 0
	.set _ZN7rocprim17ROCPRIM_400000_NS6detail17trampoline_kernelINS0_14default_configENS1_20scan_config_selectorIfEEZZNS1_9scan_implILNS1_25lookback_scan_determinismE0ELb0ELb0ES3_PKfPffZZZN2at6native31launch_logcumsumexp_cuda_kernelERKNSB_10TensorBaseESF_lENKUlvE_clEvENKUlvE0_clEvEUlffE_fEEDaPvRmT3_T4_T5_mT6_P12ihipStream_tbENKUlT_T0_E_clISt17integral_constantIbLb1EESV_IbLb0EEEEDaSR_SS_EUlSR_E0_NS1_11comp_targetILNS1_3genE4ELNS1_11target_archE910ELNS1_3gpuE8ELNS1_3repE0EEENS1_30default_config_static_selectorELNS0_4arch9wavefront6targetE1EEEvT1_.numbered_sgpr, 0
	.set _ZN7rocprim17ROCPRIM_400000_NS6detail17trampoline_kernelINS0_14default_configENS1_20scan_config_selectorIfEEZZNS1_9scan_implILNS1_25lookback_scan_determinismE0ELb0ELb0ES3_PKfPffZZZN2at6native31launch_logcumsumexp_cuda_kernelERKNSB_10TensorBaseESF_lENKUlvE_clEvENKUlvE0_clEvEUlffE_fEEDaPvRmT3_T4_T5_mT6_P12ihipStream_tbENKUlT_T0_E_clISt17integral_constantIbLb1EESV_IbLb0EEEEDaSR_SS_EUlSR_E0_NS1_11comp_targetILNS1_3genE4ELNS1_11target_archE910ELNS1_3gpuE8ELNS1_3repE0EEENS1_30default_config_static_selectorELNS0_4arch9wavefront6targetE1EEEvT1_.num_named_barrier, 0
	.set _ZN7rocprim17ROCPRIM_400000_NS6detail17trampoline_kernelINS0_14default_configENS1_20scan_config_selectorIfEEZZNS1_9scan_implILNS1_25lookback_scan_determinismE0ELb0ELb0ES3_PKfPffZZZN2at6native31launch_logcumsumexp_cuda_kernelERKNSB_10TensorBaseESF_lENKUlvE_clEvENKUlvE0_clEvEUlffE_fEEDaPvRmT3_T4_T5_mT6_P12ihipStream_tbENKUlT_T0_E_clISt17integral_constantIbLb1EESV_IbLb0EEEEDaSR_SS_EUlSR_E0_NS1_11comp_targetILNS1_3genE4ELNS1_11target_archE910ELNS1_3gpuE8ELNS1_3repE0EEENS1_30default_config_static_selectorELNS0_4arch9wavefront6targetE1EEEvT1_.private_seg_size, 0
	.set _ZN7rocprim17ROCPRIM_400000_NS6detail17trampoline_kernelINS0_14default_configENS1_20scan_config_selectorIfEEZZNS1_9scan_implILNS1_25lookback_scan_determinismE0ELb0ELb0ES3_PKfPffZZZN2at6native31launch_logcumsumexp_cuda_kernelERKNSB_10TensorBaseESF_lENKUlvE_clEvENKUlvE0_clEvEUlffE_fEEDaPvRmT3_T4_T5_mT6_P12ihipStream_tbENKUlT_T0_E_clISt17integral_constantIbLb1EESV_IbLb0EEEEDaSR_SS_EUlSR_E0_NS1_11comp_targetILNS1_3genE4ELNS1_11target_archE910ELNS1_3gpuE8ELNS1_3repE0EEENS1_30default_config_static_selectorELNS0_4arch9wavefront6targetE1EEEvT1_.uses_vcc, 0
	.set _ZN7rocprim17ROCPRIM_400000_NS6detail17trampoline_kernelINS0_14default_configENS1_20scan_config_selectorIfEEZZNS1_9scan_implILNS1_25lookback_scan_determinismE0ELb0ELb0ES3_PKfPffZZZN2at6native31launch_logcumsumexp_cuda_kernelERKNSB_10TensorBaseESF_lENKUlvE_clEvENKUlvE0_clEvEUlffE_fEEDaPvRmT3_T4_T5_mT6_P12ihipStream_tbENKUlT_T0_E_clISt17integral_constantIbLb1EESV_IbLb0EEEEDaSR_SS_EUlSR_E0_NS1_11comp_targetILNS1_3genE4ELNS1_11target_archE910ELNS1_3gpuE8ELNS1_3repE0EEENS1_30default_config_static_selectorELNS0_4arch9wavefront6targetE1EEEvT1_.uses_flat_scratch, 0
	.set _ZN7rocprim17ROCPRIM_400000_NS6detail17trampoline_kernelINS0_14default_configENS1_20scan_config_selectorIfEEZZNS1_9scan_implILNS1_25lookback_scan_determinismE0ELb0ELb0ES3_PKfPffZZZN2at6native31launch_logcumsumexp_cuda_kernelERKNSB_10TensorBaseESF_lENKUlvE_clEvENKUlvE0_clEvEUlffE_fEEDaPvRmT3_T4_T5_mT6_P12ihipStream_tbENKUlT_T0_E_clISt17integral_constantIbLb1EESV_IbLb0EEEEDaSR_SS_EUlSR_E0_NS1_11comp_targetILNS1_3genE4ELNS1_11target_archE910ELNS1_3gpuE8ELNS1_3repE0EEENS1_30default_config_static_selectorELNS0_4arch9wavefront6targetE1EEEvT1_.has_dyn_sized_stack, 0
	.set _ZN7rocprim17ROCPRIM_400000_NS6detail17trampoline_kernelINS0_14default_configENS1_20scan_config_selectorIfEEZZNS1_9scan_implILNS1_25lookback_scan_determinismE0ELb0ELb0ES3_PKfPffZZZN2at6native31launch_logcumsumexp_cuda_kernelERKNSB_10TensorBaseESF_lENKUlvE_clEvENKUlvE0_clEvEUlffE_fEEDaPvRmT3_T4_T5_mT6_P12ihipStream_tbENKUlT_T0_E_clISt17integral_constantIbLb1EESV_IbLb0EEEEDaSR_SS_EUlSR_E0_NS1_11comp_targetILNS1_3genE4ELNS1_11target_archE910ELNS1_3gpuE8ELNS1_3repE0EEENS1_30default_config_static_selectorELNS0_4arch9wavefront6targetE1EEEvT1_.has_recursion, 0
	.set _ZN7rocprim17ROCPRIM_400000_NS6detail17trampoline_kernelINS0_14default_configENS1_20scan_config_selectorIfEEZZNS1_9scan_implILNS1_25lookback_scan_determinismE0ELb0ELb0ES3_PKfPffZZZN2at6native31launch_logcumsumexp_cuda_kernelERKNSB_10TensorBaseESF_lENKUlvE_clEvENKUlvE0_clEvEUlffE_fEEDaPvRmT3_T4_T5_mT6_P12ihipStream_tbENKUlT_T0_E_clISt17integral_constantIbLb1EESV_IbLb0EEEEDaSR_SS_EUlSR_E0_NS1_11comp_targetILNS1_3genE4ELNS1_11target_archE910ELNS1_3gpuE8ELNS1_3repE0EEENS1_30default_config_static_selectorELNS0_4arch9wavefront6targetE1EEEvT1_.has_indirect_call, 0
	.section	.AMDGPU.csdata,"",@progbits
; Kernel info:
; codeLenInByte = 0
; TotalNumSgprs: 6
; NumVgprs: 0
; NumAgprs: 0
; TotalNumVgprs: 0
; ScratchSize: 0
; MemoryBound: 0
; FloatMode: 240
; IeeeMode: 1
; LDSByteSize: 0 bytes/workgroup (compile time only)
; SGPRBlocks: 0
; VGPRBlocks: 0
; NumSGPRsForWavesPerEU: 6
; NumVGPRsForWavesPerEU: 1
; AccumOffset: 4
; Occupancy: 8
; WaveLimiterHint : 0
; COMPUTE_PGM_RSRC2:SCRATCH_EN: 0
; COMPUTE_PGM_RSRC2:USER_SGPR: 2
; COMPUTE_PGM_RSRC2:TRAP_HANDLER: 0
; COMPUTE_PGM_RSRC2:TGID_X_EN: 1
; COMPUTE_PGM_RSRC2:TGID_Y_EN: 0
; COMPUTE_PGM_RSRC2:TGID_Z_EN: 0
; COMPUTE_PGM_RSRC2:TIDIG_COMP_CNT: 0
; COMPUTE_PGM_RSRC3_GFX90A:ACCUM_OFFSET: 0
; COMPUTE_PGM_RSRC3_GFX90A:TG_SPLIT: 0
	.section	.text._ZN7rocprim17ROCPRIM_400000_NS6detail17trampoline_kernelINS0_14default_configENS1_20scan_config_selectorIfEEZZNS1_9scan_implILNS1_25lookback_scan_determinismE0ELb0ELb0ES3_PKfPffZZZN2at6native31launch_logcumsumexp_cuda_kernelERKNSB_10TensorBaseESF_lENKUlvE_clEvENKUlvE0_clEvEUlffE_fEEDaPvRmT3_T4_T5_mT6_P12ihipStream_tbENKUlT_T0_E_clISt17integral_constantIbLb1EESV_IbLb0EEEEDaSR_SS_EUlSR_E0_NS1_11comp_targetILNS1_3genE3ELNS1_11target_archE908ELNS1_3gpuE7ELNS1_3repE0EEENS1_30default_config_static_selectorELNS0_4arch9wavefront6targetE1EEEvT1_,"axG",@progbits,_ZN7rocprim17ROCPRIM_400000_NS6detail17trampoline_kernelINS0_14default_configENS1_20scan_config_selectorIfEEZZNS1_9scan_implILNS1_25lookback_scan_determinismE0ELb0ELb0ES3_PKfPffZZZN2at6native31launch_logcumsumexp_cuda_kernelERKNSB_10TensorBaseESF_lENKUlvE_clEvENKUlvE0_clEvEUlffE_fEEDaPvRmT3_T4_T5_mT6_P12ihipStream_tbENKUlT_T0_E_clISt17integral_constantIbLb1EESV_IbLb0EEEEDaSR_SS_EUlSR_E0_NS1_11comp_targetILNS1_3genE3ELNS1_11target_archE908ELNS1_3gpuE7ELNS1_3repE0EEENS1_30default_config_static_selectorELNS0_4arch9wavefront6targetE1EEEvT1_,comdat
	.globl	_ZN7rocprim17ROCPRIM_400000_NS6detail17trampoline_kernelINS0_14default_configENS1_20scan_config_selectorIfEEZZNS1_9scan_implILNS1_25lookback_scan_determinismE0ELb0ELb0ES3_PKfPffZZZN2at6native31launch_logcumsumexp_cuda_kernelERKNSB_10TensorBaseESF_lENKUlvE_clEvENKUlvE0_clEvEUlffE_fEEDaPvRmT3_T4_T5_mT6_P12ihipStream_tbENKUlT_T0_E_clISt17integral_constantIbLb1EESV_IbLb0EEEEDaSR_SS_EUlSR_E0_NS1_11comp_targetILNS1_3genE3ELNS1_11target_archE908ELNS1_3gpuE7ELNS1_3repE0EEENS1_30default_config_static_selectorELNS0_4arch9wavefront6targetE1EEEvT1_ ; -- Begin function _ZN7rocprim17ROCPRIM_400000_NS6detail17trampoline_kernelINS0_14default_configENS1_20scan_config_selectorIfEEZZNS1_9scan_implILNS1_25lookback_scan_determinismE0ELb0ELb0ES3_PKfPffZZZN2at6native31launch_logcumsumexp_cuda_kernelERKNSB_10TensorBaseESF_lENKUlvE_clEvENKUlvE0_clEvEUlffE_fEEDaPvRmT3_T4_T5_mT6_P12ihipStream_tbENKUlT_T0_E_clISt17integral_constantIbLb1EESV_IbLb0EEEEDaSR_SS_EUlSR_E0_NS1_11comp_targetILNS1_3genE3ELNS1_11target_archE908ELNS1_3gpuE7ELNS1_3repE0EEENS1_30default_config_static_selectorELNS0_4arch9wavefront6targetE1EEEvT1_
	.p2align	8
	.type	_ZN7rocprim17ROCPRIM_400000_NS6detail17trampoline_kernelINS0_14default_configENS1_20scan_config_selectorIfEEZZNS1_9scan_implILNS1_25lookback_scan_determinismE0ELb0ELb0ES3_PKfPffZZZN2at6native31launch_logcumsumexp_cuda_kernelERKNSB_10TensorBaseESF_lENKUlvE_clEvENKUlvE0_clEvEUlffE_fEEDaPvRmT3_T4_T5_mT6_P12ihipStream_tbENKUlT_T0_E_clISt17integral_constantIbLb1EESV_IbLb0EEEEDaSR_SS_EUlSR_E0_NS1_11comp_targetILNS1_3genE3ELNS1_11target_archE908ELNS1_3gpuE7ELNS1_3repE0EEENS1_30default_config_static_selectorELNS0_4arch9wavefront6targetE1EEEvT1_,@function
_ZN7rocprim17ROCPRIM_400000_NS6detail17trampoline_kernelINS0_14default_configENS1_20scan_config_selectorIfEEZZNS1_9scan_implILNS1_25lookback_scan_determinismE0ELb0ELb0ES3_PKfPffZZZN2at6native31launch_logcumsumexp_cuda_kernelERKNSB_10TensorBaseESF_lENKUlvE_clEvENKUlvE0_clEvEUlffE_fEEDaPvRmT3_T4_T5_mT6_P12ihipStream_tbENKUlT_T0_E_clISt17integral_constantIbLb1EESV_IbLb0EEEEDaSR_SS_EUlSR_E0_NS1_11comp_targetILNS1_3genE3ELNS1_11target_archE908ELNS1_3gpuE7ELNS1_3repE0EEENS1_30default_config_static_selectorELNS0_4arch9wavefront6targetE1EEEvT1_: ; @_ZN7rocprim17ROCPRIM_400000_NS6detail17trampoline_kernelINS0_14default_configENS1_20scan_config_selectorIfEEZZNS1_9scan_implILNS1_25lookback_scan_determinismE0ELb0ELb0ES3_PKfPffZZZN2at6native31launch_logcumsumexp_cuda_kernelERKNSB_10TensorBaseESF_lENKUlvE_clEvENKUlvE0_clEvEUlffE_fEEDaPvRmT3_T4_T5_mT6_P12ihipStream_tbENKUlT_T0_E_clISt17integral_constantIbLb1EESV_IbLb0EEEEDaSR_SS_EUlSR_E0_NS1_11comp_targetILNS1_3genE3ELNS1_11target_archE908ELNS1_3gpuE7ELNS1_3repE0EEENS1_30default_config_static_selectorELNS0_4arch9wavefront6targetE1EEEvT1_
; %bb.0:
	.section	.rodata,"a",@progbits
	.p2align	6, 0x0
	.amdhsa_kernel _ZN7rocprim17ROCPRIM_400000_NS6detail17trampoline_kernelINS0_14default_configENS1_20scan_config_selectorIfEEZZNS1_9scan_implILNS1_25lookback_scan_determinismE0ELb0ELb0ES3_PKfPffZZZN2at6native31launch_logcumsumexp_cuda_kernelERKNSB_10TensorBaseESF_lENKUlvE_clEvENKUlvE0_clEvEUlffE_fEEDaPvRmT3_T4_T5_mT6_P12ihipStream_tbENKUlT_T0_E_clISt17integral_constantIbLb1EESV_IbLb0EEEEDaSR_SS_EUlSR_E0_NS1_11comp_targetILNS1_3genE3ELNS1_11target_archE908ELNS1_3gpuE7ELNS1_3repE0EEENS1_30default_config_static_selectorELNS0_4arch9wavefront6targetE1EEEvT1_
		.amdhsa_group_segment_fixed_size 0
		.amdhsa_private_segment_fixed_size 0
		.amdhsa_kernarg_size 32
		.amdhsa_user_sgpr_count 2
		.amdhsa_user_sgpr_dispatch_ptr 0
		.amdhsa_user_sgpr_queue_ptr 0
		.amdhsa_user_sgpr_kernarg_segment_ptr 1
		.amdhsa_user_sgpr_dispatch_id 0
		.amdhsa_user_sgpr_kernarg_preload_length 0
		.amdhsa_user_sgpr_kernarg_preload_offset 0
		.amdhsa_user_sgpr_private_segment_size 0
		.amdhsa_uses_dynamic_stack 0
		.amdhsa_enable_private_segment 0
		.amdhsa_system_sgpr_workgroup_id_x 1
		.amdhsa_system_sgpr_workgroup_id_y 0
		.amdhsa_system_sgpr_workgroup_id_z 0
		.amdhsa_system_sgpr_workgroup_info 0
		.amdhsa_system_vgpr_workitem_id 0
		.amdhsa_next_free_vgpr 1
		.amdhsa_next_free_sgpr 0
		.amdhsa_accum_offset 4
		.amdhsa_reserve_vcc 0
		.amdhsa_float_round_mode_32 0
		.amdhsa_float_round_mode_16_64 0
		.amdhsa_float_denorm_mode_32 3
		.amdhsa_float_denorm_mode_16_64 3
		.amdhsa_dx10_clamp 1
		.amdhsa_ieee_mode 1
		.amdhsa_fp16_overflow 0
		.amdhsa_tg_split 0
		.amdhsa_exception_fp_ieee_invalid_op 0
		.amdhsa_exception_fp_denorm_src 0
		.amdhsa_exception_fp_ieee_div_zero 0
		.amdhsa_exception_fp_ieee_overflow 0
		.amdhsa_exception_fp_ieee_underflow 0
		.amdhsa_exception_fp_ieee_inexact 0
		.amdhsa_exception_int_div_zero 0
	.end_amdhsa_kernel
	.section	.text._ZN7rocprim17ROCPRIM_400000_NS6detail17trampoline_kernelINS0_14default_configENS1_20scan_config_selectorIfEEZZNS1_9scan_implILNS1_25lookback_scan_determinismE0ELb0ELb0ES3_PKfPffZZZN2at6native31launch_logcumsumexp_cuda_kernelERKNSB_10TensorBaseESF_lENKUlvE_clEvENKUlvE0_clEvEUlffE_fEEDaPvRmT3_T4_T5_mT6_P12ihipStream_tbENKUlT_T0_E_clISt17integral_constantIbLb1EESV_IbLb0EEEEDaSR_SS_EUlSR_E0_NS1_11comp_targetILNS1_3genE3ELNS1_11target_archE908ELNS1_3gpuE7ELNS1_3repE0EEENS1_30default_config_static_selectorELNS0_4arch9wavefront6targetE1EEEvT1_,"axG",@progbits,_ZN7rocprim17ROCPRIM_400000_NS6detail17trampoline_kernelINS0_14default_configENS1_20scan_config_selectorIfEEZZNS1_9scan_implILNS1_25lookback_scan_determinismE0ELb0ELb0ES3_PKfPffZZZN2at6native31launch_logcumsumexp_cuda_kernelERKNSB_10TensorBaseESF_lENKUlvE_clEvENKUlvE0_clEvEUlffE_fEEDaPvRmT3_T4_T5_mT6_P12ihipStream_tbENKUlT_T0_E_clISt17integral_constantIbLb1EESV_IbLb0EEEEDaSR_SS_EUlSR_E0_NS1_11comp_targetILNS1_3genE3ELNS1_11target_archE908ELNS1_3gpuE7ELNS1_3repE0EEENS1_30default_config_static_selectorELNS0_4arch9wavefront6targetE1EEEvT1_,comdat
.Lfunc_end146:
	.size	_ZN7rocprim17ROCPRIM_400000_NS6detail17trampoline_kernelINS0_14default_configENS1_20scan_config_selectorIfEEZZNS1_9scan_implILNS1_25lookback_scan_determinismE0ELb0ELb0ES3_PKfPffZZZN2at6native31launch_logcumsumexp_cuda_kernelERKNSB_10TensorBaseESF_lENKUlvE_clEvENKUlvE0_clEvEUlffE_fEEDaPvRmT3_T4_T5_mT6_P12ihipStream_tbENKUlT_T0_E_clISt17integral_constantIbLb1EESV_IbLb0EEEEDaSR_SS_EUlSR_E0_NS1_11comp_targetILNS1_3genE3ELNS1_11target_archE908ELNS1_3gpuE7ELNS1_3repE0EEENS1_30default_config_static_selectorELNS0_4arch9wavefront6targetE1EEEvT1_, .Lfunc_end146-_ZN7rocprim17ROCPRIM_400000_NS6detail17trampoline_kernelINS0_14default_configENS1_20scan_config_selectorIfEEZZNS1_9scan_implILNS1_25lookback_scan_determinismE0ELb0ELb0ES3_PKfPffZZZN2at6native31launch_logcumsumexp_cuda_kernelERKNSB_10TensorBaseESF_lENKUlvE_clEvENKUlvE0_clEvEUlffE_fEEDaPvRmT3_T4_T5_mT6_P12ihipStream_tbENKUlT_T0_E_clISt17integral_constantIbLb1EESV_IbLb0EEEEDaSR_SS_EUlSR_E0_NS1_11comp_targetILNS1_3genE3ELNS1_11target_archE908ELNS1_3gpuE7ELNS1_3repE0EEENS1_30default_config_static_selectorELNS0_4arch9wavefront6targetE1EEEvT1_
                                        ; -- End function
	.set _ZN7rocprim17ROCPRIM_400000_NS6detail17trampoline_kernelINS0_14default_configENS1_20scan_config_selectorIfEEZZNS1_9scan_implILNS1_25lookback_scan_determinismE0ELb0ELb0ES3_PKfPffZZZN2at6native31launch_logcumsumexp_cuda_kernelERKNSB_10TensorBaseESF_lENKUlvE_clEvENKUlvE0_clEvEUlffE_fEEDaPvRmT3_T4_T5_mT6_P12ihipStream_tbENKUlT_T0_E_clISt17integral_constantIbLb1EESV_IbLb0EEEEDaSR_SS_EUlSR_E0_NS1_11comp_targetILNS1_3genE3ELNS1_11target_archE908ELNS1_3gpuE7ELNS1_3repE0EEENS1_30default_config_static_selectorELNS0_4arch9wavefront6targetE1EEEvT1_.num_vgpr, 0
	.set _ZN7rocprim17ROCPRIM_400000_NS6detail17trampoline_kernelINS0_14default_configENS1_20scan_config_selectorIfEEZZNS1_9scan_implILNS1_25lookback_scan_determinismE0ELb0ELb0ES3_PKfPffZZZN2at6native31launch_logcumsumexp_cuda_kernelERKNSB_10TensorBaseESF_lENKUlvE_clEvENKUlvE0_clEvEUlffE_fEEDaPvRmT3_T4_T5_mT6_P12ihipStream_tbENKUlT_T0_E_clISt17integral_constantIbLb1EESV_IbLb0EEEEDaSR_SS_EUlSR_E0_NS1_11comp_targetILNS1_3genE3ELNS1_11target_archE908ELNS1_3gpuE7ELNS1_3repE0EEENS1_30default_config_static_selectorELNS0_4arch9wavefront6targetE1EEEvT1_.num_agpr, 0
	.set _ZN7rocprim17ROCPRIM_400000_NS6detail17trampoline_kernelINS0_14default_configENS1_20scan_config_selectorIfEEZZNS1_9scan_implILNS1_25lookback_scan_determinismE0ELb0ELb0ES3_PKfPffZZZN2at6native31launch_logcumsumexp_cuda_kernelERKNSB_10TensorBaseESF_lENKUlvE_clEvENKUlvE0_clEvEUlffE_fEEDaPvRmT3_T4_T5_mT6_P12ihipStream_tbENKUlT_T0_E_clISt17integral_constantIbLb1EESV_IbLb0EEEEDaSR_SS_EUlSR_E0_NS1_11comp_targetILNS1_3genE3ELNS1_11target_archE908ELNS1_3gpuE7ELNS1_3repE0EEENS1_30default_config_static_selectorELNS0_4arch9wavefront6targetE1EEEvT1_.numbered_sgpr, 0
	.set _ZN7rocprim17ROCPRIM_400000_NS6detail17trampoline_kernelINS0_14default_configENS1_20scan_config_selectorIfEEZZNS1_9scan_implILNS1_25lookback_scan_determinismE0ELb0ELb0ES3_PKfPffZZZN2at6native31launch_logcumsumexp_cuda_kernelERKNSB_10TensorBaseESF_lENKUlvE_clEvENKUlvE0_clEvEUlffE_fEEDaPvRmT3_T4_T5_mT6_P12ihipStream_tbENKUlT_T0_E_clISt17integral_constantIbLb1EESV_IbLb0EEEEDaSR_SS_EUlSR_E0_NS1_11comp_targetILNS1_3genE3ELNS1_11target_archE908ELNS1_3gpuE7ELNS1_3repE0EEENS1_30default_config_static_selectorELNS0_4arch9wavefront6targetE1EEEvT1_.num_named_barrier, 0
	.set _ZN7rocprim17ROCPRIM_400000_NS6detail17trampoline_kernelINS0_14default_configENS1_20scan_config_selectorIfEEZZNS1_9scan_implILNS1_25lookback_scan_determinismE0ELb0ELb0ES3_PKfPffZZZN2at6native31launch_logcumsumexp_cuda_kernelERKNSB_10TensorBaseESF_lENKUlvE_clEvENKUlvE0_clEvEUlffE_fEEDaPvRmT3_T4_T5_mT6_P12ihipStream_tbENKUlT_T0_E_clISt17integral_constantIbLb1EESV_IbLb0EEEEDaSR_SS_EUlSR_E0_NS1_11comp_targetILNS1_3genE3ELNS1_11target_archE908ELNS1_3gpuE7ELNS1_3repE0EEENS1_30default_config_static_selectorELNS0_4arch9wavefront6targetE1EEEvT1_.private_seg_size, 0
	.set _ZN7rocprim17ROCPRIM_400000_NS6detail17trampoline_kernelINS0_14default_configENS1_20scan_config_selectorIfEEZZNS1_9scan_implILNS1_25lookback_scan_determinismE0ELb0ELb0ES3_PKfPffZZZN2at6native31launch_logcumsumexp_cuda_kernelERKNSB_10TensorBaseESF_lENKUlvE_clEvENKUlvE0_clEvEUlffE_fEEDaPvRmT3_T4_T5_mT6_P12ihipStream_tbENKUlT_T0_E_clISt17integral_constantIbLb1EESV_IbLb0EEEEDaSR_SS_EUlSR_E0_NS1_11comp_targetILNS1_3genE3ELNS1_11target_archE908ELNS1_3gpuE7ELNS1_3repE0EEENS1_30default_config_static_selectorELNS0_4arch9wavefront6targetE1EEEvT1_.uses_vcc, 0
	.set _ZN7rocprim17ROCPRIM_400000_NS6detail17trampoline_kernelINS0_14default_configENS1_20scan_config_selectorIfEEZZNS1_9scan_implILNS1_25lookback_scan_determinismE0ELb0ELb0ES3_PKfPffZZZN2at6native31launch_logcumsumexp_cuda_kernelERKNSB_10TensorBaseESF_lENKUlvE_clEvENKUlvE0_clEvEUlffE_fEEDaPvRmT3_T4_T5_mT6_P12ihipStream_tbENKUlT_T0_E_clISt17integral_constantIbLb1EESV_IbLb0EEEEDaSR_SS_EUlSR_E0_NS1_11comp_targetILNS1_3genE3ELNS1_11target_archE908ELNS1_3gpuE7ELNS1_3repE0EEENS1_30default_config_static_selectorELNS0_4arch9wavefront6targetE1EEEvT1_.uses_flat_scratch, 0
	.set _ZN7rocprim17ROCPRIM_400000_NS6detail17trampoline_kernelINS0_14default_configENS1_20scan_config_selectorIfEEZZNS1_9scan_implILNS1_25lookback_scan_determinismE0ELb0ELb0ES3_PKfPffZZZN2at6native31launch_logcumsumexp_cuda_kernelERKNSB_10TensorBaseESF_lENKUlvE_clEvENKUlvE0_clEvEUlffE_fEEDaPvRmT3_T4_T5_mT6_P12ihipStream_tbENKUlT_T0_E_clISt17integral_constantIbLb1EESV_IbLb0EEEEDaSR_SS_EUlSR_E0_NS1_11comp_targetILNS1_3genE3ELNS1_11target_archE908ELNS1_3gpuE7ELNS1_3repE0EEENS1_30default_config_static_selectorELNS0_4arch9wavefront6targetE1EEEvT1_.has_dyn_sized_stack, 0
	.set _ZN7rocprim17ROCPRIM_400000_NS6detail17trampoline_kernelINS0_14default_configENS1_20scan_config_selectorIfEEZZNS1_9scan_implILNS1_25lookback_scan_determinismE0ELb0ELb0ES3_PKfPffZZZN2at6native31launch_logcumsumexp_cuda_kernelERKNSB_10TensorBaseESF_lENKUlvE_clEvENKUlvE0_clEvEUlffE_fEEDaPvRmT3_T4_T5_mT6_P12ihipStream_tbENKUlT_T0_E_clISt17integral_constantIbLb1EESV_IbLb0EEEEDaSR_SS_EUlSR_E0_NS1_11comp_targetILNS1_3genE3ELNS1_11target_archE908ELNS1_3gpuE7ELNS1_3repE0EEENS1_30default_config_static_selectorELNS0_4arch9wavefront6targetE1EEEvT1_.has_recursion, 0
	.set _ZN7rocprim17ROCPRIM_400000_NS6detail17trampoline_kernelINS0_14default_configENS1_20scan_config_selectorIfEEZZNS1_9scan_implILNS1_25lookback_scan_determinismE0ELb0ELb0ES3_PKfPffZZZN2at6native31launch_logcumsumexp_cuda_kernelERKNSB_10TensorBaseESF_lENKUlvE_clEvENKUlvE0_clEvEUlffE_fEEDaPvRmT3_T4_T5_mT6_P12ihipStream_tbENKUlT_T0_E_clISt17integral_constantIbLb1EESV_IbLb0EEEEDaSR_SS_EUlSR_E0_NS1_11comp_targetILNS1_3genE3ELNS1_11target_archE908ELNS1_3gpuE7ELNS1_3repE0EEENS1_30default_config_static_selectorELNS0_4arch9wavefront6targetE1EEEvT1_.has_indirect_call, 0
	.section	.AMDGPU.csdata,"",@progbits
; Kernel info:
; codeLenInByte = 0
; TotalNumSgprs: 6
; NumVgprs: 0
; NumAgprs: 0
; TotalNumVgprs: 0
; ScratchSize: 0
; MemoryBound: 0
; FloatMode: 240
; IeeeMode: 1
; LDSByteSize: 0 bytes/workgroup (compile time only)
; SGPRBlocks: 0
; VGPRBlocks: 0
; NumSGPRsForWavesPerEU: 6
; NumVGPRsForWavesPerEU: 1
; AccumOffset: 4
; Occupancy: 8
; WaveLimiterHint : 0
; COMPUTE_PGM_RSRC2:SCRATCH_EN: 0
; COMPUTE_PGM_RSRC2:USER_SGPR: 2
; COMPUTE_PGM_RSRC2:TRAP_HANDLER: 0
; COMPUTE_PGM_RSRC2:TGID_X_EN: 1
; COMPUTE_PGM_RSRC2:TGID_Y_EN: 0
; COMPUTE_PGM_RSRC2:TGID_Z_EN: 0
; COMPUTE_PGM_RSRC2:TIDIG_COMP_CNT: 0
; COMPUTE_PGM_RSRC3_GFX90A:ACCUM_OFFSET: 0
; COMPUTE_PGM_RSRC3_GFX90A:TG_SPLIT: 0
	.section	.text._ZN7rocprim17ROCPRIM_400000_NS6detail17trampoline_kernelINS0_14default_configENS1_20scan_config_selectorIfEEZZNS1_9scan_implILNS1_25lookback_scan_determinismE0ELb0ELb0ES3_PKfPffZZZN2at6native31launch_logcumsumexp_cuda_kernelERKNSB_10TensorBaseESF_lENKUlvE_clEvENKUlvE0_clEvEUlffE_fEEDaPvRmT3_T4_T5_mT6_P12ihipStream_tbENKUlT_T0_E_clISt17integral_constantIbLb1EESV_IbLb0EEEEDaSR_SS_EUlSR_E0_NS1_11comp_targetILNS1_3genE2ELNS1_11target_archE906ELNS1_3gpuE6ELNS1_3repE0EEENS1_30default_config_static_selectorELNS0_4arch9wavefront6targetE1EEEvT1_,"axG",@progbits,_ZN7rocprim17ROCPRIM_400000_NS6detail17trampoline_kernelINS0_14default_configENS1_20scan_config_selectorIfEEZZNS1_9scan_implILNS1_25lookback_scan_determinismE0ELb0ELb0ES3_PKfPffZZZN2at6native31launch_logcumsumexp_cuda_kernelERKNSB_10TensorBaseESF_lENKUlvE_clEvENKUlvE0_clEvEUlffE_fEEDaPvRmT3_T4_T5_mT6_P12ihipStream_tbENKUlT_T0_E_clISt17integral_constantIbLb1EESV_IbLb0EEEEDaSR_SS_EUlSR_E0_NS1_11comp_targetILNS1_3genE2ELNS1_11target_archE906ELNS1_3gpuE6ELNS1_3repE0EEENS1_30default_config_static_selectorELNS0_4arch9wavefront6targetE1EEEvT1_,comdat
	.globl	_ZN7rocprim17ROCPRIM_400000_NS6detail17trampoline_kernelINS0_14default_configENS1_20scan_config_selectorIfEEZZNS1_9scan_implILNS1_25lookback_scan_determinismE0ELb0ELb0ES3_PKfPffZZZN2at6native31launch_logcumsumexp_cuda_kernelERKNSB_10TensorBaseESF_lENKUlvE_clEvENKUlvE0_clEvEUlffE_fEEDaPvRmT3_T4_T5_mT6_P12ihipStream_tbENKUlT_T0_E_clISt17integral_constantIbLb1EESV_IbLb0EEEEDaSR_SS_EUlSR_E0_NS1_11comp_targetILNS1_3genE2ELNS1_11target_archE906ELNS1_3gpuE6ELNS1_3repE0EEENS1_30default_config_static_selectorELNS0_4arch9wavefront6targetE1EEEvT1_ ; -- Begin function _ZN7rocprim17ROCPRIM_400000_NS6detail17trampoline_kernelINS0_14default_configENS1_20scan_config_selectorIfEEZZNS1_9scan_implILNS1_25lookback_scan_determinismE0ELb0ELb0ES3_PKfPffZZZN2at6native31launch_logcumsumexp_cuda_kernelERKNSB_10TensorBaseESF_lENKUlvE_clEvENKUlvE0_clEvEUlffE_fEEDaPvRmT3_T4_T5_mT6_P12ihipStream_tbENKUlT_T0_E_clISt17integral_constantIbLb1EESV_IbLb0EEEEDaSR_SS_EUlSR_E0_NS1_11comp_targetILNS1_3genE2ELNS1_11target_archE906ELNS1_3gpuE6ELNS1_3repE0EEENS1_30default_config_static_selectorELNS0_4arch9wavefront6targetE1EEEvT1_
	.p2align	8
	.type	_ZN7rocprim17ROCPRIM_400000_NS6detail17trampoline_kernelINS0_14default_configENS1_20scan_config_selectorIfEEZZNS1_9scan_implILNS1_25lookback_scan_determinismE0ELb0ELb0ES3_PKfPffZZZN2at6native31launch_logcumsumexp_cuda_kernelERKNSB_10TensorBaseESF_lENKUlvE_clEvENKUlvE0_clEvEUlffE_fEEDaPvRmT3_T4_T5_mT6_P12ihipStream_tbENKUlT_T0_E_clISt17integral_constantIbLb1EESV_IbLb0EEEEDaSR_SS_EUlSR_E0_NS1_11comp_targetILNS1_3genE2ELNS1_11target_archE906ELNS1_3gpuE6ELNS1_3repE0EEENS1_30default_config_static_selectorELNS0_4arch9wavefront6targetE1EEEvT1_,@function
_ZN7rocprim17ROCPRIM_400000_NS6detail17trampoline_kernelINS0_14default_configENS1_20scan_config_selectorIfEEZZNS1_9scan_implILNS1_25lookback_scan_determinismE0ELb0ELb0ES3_PKfPffZZZN2at6native31launch_logcumsumexp_cuda_kernelERKNSB_10TensorBaseESF_lENKUlvE_clEvENKUlvE0_clEvEUlffE_fEEDaPvRmT3_T4_T5_mT6_P12ihipStream_tbENKUlT_T0_E_clISt17integral_constantIbLb1EESV_IbLb0EEEEDaSR_SS_EUlSR_E0_NS1_11comp_targetILNS1_3genE2ELNS1_11target_archE906ELNS1_3gpuE6ELNS1_3repE0EEENS1_30default_config_static_selectorELNS0_4arch9wavefront6targetE1EEEvT1_: ; @_ZN7rocprim17ROCPRIM_400000_NS6detail17trampoline_kernelINS0_14default_configENS1_20scan_config_selectorIfEEZZNS1_9scan_implILNS1_25lookback_scan_determinismE0ELb0ELb0ES3_PKfPffZZZN2at6native31launch_logcumsumexp_cuda_kernelERKNSB_10TensorBaseESF_lENKUlvE_clEvENKUlvE0_clEvEUlffE_fEEDaPvRmT3_T4_T5_mT6_P12ihipStream_tbENKUlT_T0_E_clISt17integral_constantIbLb1EESV_IbLb0EEEEDaSR_SS_EUlSR_E0_NS1_11comp_targetILNS1_3genE2ELNS1_11target_archE906ELNS1_3gpuE6ELNS1_3repE0EEENS1_30default_config_static_selectorELNS0_4arch9wavefront6targetE1EEEvT1_
; %bb.0:
	.section	.rodata,"a",@progbits
	.p2align	6, 0x0
	.amdhsa_kernel _ZN7rocprim17ROCPRIM_400000_NS6detail17trampoline_kernelINS0_14default_configENS1_20scan_config_selectorIfEEZZNS1_9scan_implILNS1_25lookback_scan_determinismE0ELb0ELb0ES3_PKfPffZZZN2at6native31launch_logcumsumexp_cuda_kernelERKNSB_10TensorBaseESF_lENKUlvE_clEvENKUlvE0_clEvEUlffE_fEEDaPvRmT3_T4_T5_mT6_P12ihipStream_tbENKUlT_T0_E_clISt17integral_constantIbLb1EESV_IbLb0EEEEDaSR_SS_EUlSR_E0_NS1_11comp_targetILNS1_3genE2ELNS1_11target_archE906ELNS1_3gpuE6ELNS1_3repE0EEENS1_30default_config_static_selectorELNS0_4arch9wavefront6targetE1EEEvT1_
		.amdhsa_group_segment_fixed_size 0
		.amdhsa_private_segment_fixed_size 0
		.amdhsa_kernarg_size 32
		.amdhsa_user_sgpr_count 2
		.amdhsa_user_sgpr_dispatch_ptr 0
		.amdhsa_user_sgpr_queue_ptr 0
		.amdhsa_user_sgpr_kernarg_segment_ptr 1
		.amdhsa_user_sgpr_dispatch_id 0
		.amdhsa_user_sgpr_kernarg_preload_length 0
		.amdhsa_user_sgpr_kernarg_preload_offset 0
		.amdhsa_user_sgpr_private_segment_size 0
		.amdhsa_uses_dynamic_stack 0
		.amdhsa_enable_private_segment 0
		.amdhsa_system_sgpr_workgroup_id_x 1
		.amdhsa_system_sgpr_workgroup_id_y 0
		.amdhsa_system_sgpr_workgroup_id_z 0
		.amdhsa_system_sgpr_workgroup_info 0
		.amdhsa_system_vgpr_workitem_id 0
		.amdhsa_next_free_vgpr 1
		.amdhsa_next_free_sgpr 0
		.amdhsa_accum_offset 4
		.amdhsa_reserve_vcc 0
		.amdhsa_float_round_mode_32 0
		.amdhsa_float_round_mode_16_64 0
		.amdhsa_float_denorm_mode_32 3
		.amdhsa_float_denorm_mode_16_64 3
		.amdhsa_dx10_clamp 1
		.amdhsa_ieee_mode 1
		.amdhsa_fp16_overflow 0
		.amdhsa_tg_split 0
		.amdhsa_exception_fp_ieee_invalid_op 0
		.amdhsa_exception_fp_denorm_src 0
		.amdhsa_exception_fp_ieee_div_zero 0
		.amdhsa_exception_fp_ieee_overflow 0
		.amdhsa_exception_fp_ieee_underflow 0
		.amdhsa_exception_fp_ieee_inexact 0
		.amdhsa_exception_int_div_zero 0
	.end_amdhsa_kernel
	.section	.text._ZN7rocprim17ROCPRIM_400000_NS6detail17trampoline_kernelINS0_14default_configENS1_20scan_config_selectorIfEEZZNS1_9scan_implILNS1_25lookback_scan_determinismE0ELb0ELb0ES3_PKfPffZZZN2at6native31launch_logcumsumexp_cuda_kernelERKNSB_10TensorBaseESF_lENKUlvE_clEvENKUlvE0_clEvEUlffE_fEEDaPvRmT3_T4_T5_mT6_P12ihipStream_tbENKUlT_T0_E_clISt17integral_constantIbLb1EESV_IbLb0EEEEDaSR_SS_EUlSR_E0_NS1_11comp_targetILNS1_3genE2ELNS1_11target_archE906ELNS1_3gpuE6ELNS1_3repE0EEENS1_30default_config_static_selectorELNS0_4arch9wavefront6targetE1EEEvT1_,"axG",@progbits,_ZN7rocprim17ROCPRIM_400000_NS6detail17trampoline_kernelINS0_14default_configENS1_20scan_config_selectorIfEEZZNS1_9scan_implILNS1_25lookback_scan_determinismE0ELb0ELb0ES3_PKfPffZZZN2at6native31launch_logcumsumexp_cuda_kernelERKNSB_10TensorBaseESF_lENKUlvE_clEvENKUlvE0_clEvEUlffE_fEEDaPvRmT3_T4_T5_mT6_P12ihipStream_tbENKUlT_T0_E_clISt17integral_constantIbLb1EESV_IbLb0EEEEDaSR_SS_EUlSR_E0_NS1_11comp_targetILNS1_3genE2ELNS1_11target_archE906ELNS1_3gpuE6ELNS1_3repE0EEENS1_30default_config_static_selectorELNS0_4arch9wavefront6targetE1EEEvT1_,comdat
.Lfunc_end147:
	.size	_ZN7rocprim17ROCPRIM_400000_NS6detail17trampoline_kernelINS0_14default_configENS1_20scan_config_selectorIfEEZZNS1_9scan_implILNS1_25lookback_scan_determinismE0ELb0ELb0ES3_PKfPffZZZN2at6native31launch_logcumsumexp_cuda_kernelERKNSB_10TensorBaseESF_lENKUlvE_clEvENKUlvE0_clEvEUlffE_fEEDaPvRmT3_T4_T5_mT6_P12ihipStream_tbENKUlT_T0_E_clISt17integral_constantIbLb1EESV_IbLb0EEEEDaSR_SS_EUlSR_E0_NS1_11comp_targetILNS1_3genE2ELNS1_11target_archE906ELNS1_3gpuE6ELNS1_3repE0EEENS1_30default_config_static_selectorELNS0_4arch9wavefront6targetE1EEEvT1_, .Lfunc_end147-_ZN7rocprim17ROCPRIM_400000_NS6detail17trampoline_kernelINS0_14default_configENS1_20scan_config_selectorIfEEZZNS1_9scan_implILNS1_25lookback_scan_determinismE0ELb0ELb0ES3_PKfPffZZZN2at6native31launch_logcumsumexp_cuda_kernelERKNSB_10TensorBaseESF_lENKUlvE_clEvENKUlvE0_clEvEUlffE_fEEDaPvRmT3_T4_T5_mT6_P12ihipStream_tbENKUlT_T0_E_clISt17integral_constantIbLb1EESV_IbLb0EEEEDaSR_SS_EUlSR_E0_NS1_11comp_targetILNS1_3genE2ELNS1_11target_archE906ELNS1_3gpuE6ELNS1_3repE0EEENS1_30default_config_static_selectorELNS0_4arch9wavefront6targetE1EEEvT1_
                                        ; -- End function
	.set _ZN7rocprim17ROCPRIM_400000_NS6detail17trampoline_kernelINS0_14default_configENS1_20scan_config_selectorIfEEZZNS1_9scan_implILNS1_25lookback_scan_determinismE0ELb0ELb0ES3_PKfPffZZZN2at6native31launch_logcumsumexp_cuda_kernelERKNSB_10TensorBaseESF_lENKUlvE_clEvENKUlvE0_clEvEUlffE_fEEDaPvRmT3_T4_T5_mT6_P12ihipStream_tbENKUlT_T0_E_clISt17integral_constantIbLb1EESV_IbLb0EEEEDaSR_SS_EUlSR_E0_NS1_11comp_targetILNS1_3genE2ELNS1_11target_archE906ELNS1_3gpuE6ELNS1_3repE0EEENS1_30default_config_static_selectorELNS0_4arch9wavefront6targetE1EEEvT1_.num_vgpr, 0
	.set _ZN7rocprim17ROCPRIM_400000_NS6detail17trampoline_kernelINS0_14default_configENS1_20scan_config_selectorIfEEZZNS1_9scan_implILNS1_25lookback_scan_determinismE0ELb0ELb0ES3_PKfPffZZZN2at6native31launch_logcumsumexp_cuda_kernelERKNSB_10TensorBaseESF_lENKUlvE_clEvENKUlvE0_clEvEUlffE_fEEDaPvRmT3_T4_T5_mT6_P12ihipStream_tbENKUlT_T0_E_clISt17integral_constantIbLb1EESV_IbLb0EEEEDaSR_SS_EUlSR_E0_NS1_11comp_targetILNS1_3genE2ELNS1_11target_archE906ELNS1_3gpuE6ELNS1_3repE0EEENS1_30default_config_static_selectorELNS0_4arch9wavefront6targetE1EEEvT1_.num_agpr, 0
	.set _ZN7rocprim17ROCPRIM_400000_NS6detail17trampoline_kernelINS0_14default_configENS1_20scan_config_selectorIfEEZZNS1_9scan_implILNS1_25lookback_scan_determinismE0ELb0ELb0ES3_PKfPffZZZN2at6native31launch_logcumsumexp_cuda_kernelERKNSB_10TensorBaseESF_lENKUlvE_clEvENKUlvE0_clEvEUlffE_fEEDaPvRmT3_T4_T5_mT6_P12ihipStream_tbENKUlT_T0_E_clISt17integral_constantIbLb1EESV_IbLb0EEEEDaSR_SS_EUlSR_E0_NS1_11comp_targetILNS1_3genE2ELNS1_11target_archE906ELNS1_3gpuE6ELNS1_3repE0EEENS1_30default_config_static_selectorELNS0_4arch9wavefront6targetE1EEEvT1_.numbered_sgpr, 0
	.set _ZN7rocprim17ROCPRIM_400000_NS6detail17trampoline_kernelINS0_14default_configENS1_20scan_config_selectorIfEEZZNS1_9scan_implILNS1_25lookback_scan_determinismE0ELb0ELb0ES3_PKfPffZZZN2at6native31launch_logcumsumexp_cuda_kernelERKNSB_10TensorBaseESF_lENKUlvE_clEvENKUlvE0_clEvEUlffE_fEEDaPvRmT3_T4_T5_mT6_P12ihipStream_tbENKUlT_T0_E_clISt17integral_constantIbLb1EESV_IbLb0EEEEDaSR_SS_EUlSR_E0_NS1_11comp_targetILNS1_3genE2ELNS1_11target_archE906ELNS1_3gpuE6ELNS1_3repE0EEENS1_30default_config_static_selectorELNS0_4arch9wavefront6targetE1EEEvT1_.num_named_barrier, 0
	.set _ZN7rocprim17ROCPRIM_400000_NS6detail17trampoline_kernelINS0_14default_configENS1_20scan_config_selectorIfEEZZNS1_9scan_implILNS1_25lookback_scan_determinismE0ELb0ELb0ES3_PKfPffZZZN2at6native31launch_logcumsumexp_cuda_kernelERKNSB_10TensorBaseESF_lENKUlvE_clEvENKUlvE0_clEvEUlffE_fEEDaPvRmT3_T4_T5_mT6_P12ihipStream_tbENKUlT_T0_E_clISt17integral_constantIbLb1EESV_IbLb0EEEEDaSR_SS_EUlSR_E0_NS1_11comp_targetILNS1_3genE2ELNS1_11target_archE906ELNS1_3gpuE6ELNS1_3repE0EEENS1_30default_config_static_selectorELNS0_4arch9wavefront6targetE1EEEvT1_.private_seg_size, 0
	.set _ZN7rocprim17ROCPRIM_400000_NS6detail17trampoline_kernelINS0_14default_configENS1_20scan_config_selectorIfEEZZNS1_9scan_implILNS1_25lookback_scan_determinismE0ELb0ELb0ES3_PKfPffZZZN2at6native31launch_logcumsumexp_cuda_kernelERKNSB_10TensorBaseESF_lENKUlvE_clEvENKUlvE0_clEvEUlffE_fEEDaPvRmT3_T4_T5_mT6_P12ihipStream_tbENKUlT_T0_E_clISt17integral_constantIbLb1EESV_IbLb0EEEEDaSR_SS_EUlSR_E0_NS1_11comp_targetILNS1_3genE2ELNS1_11target_archE906ELNS1_3gpuE6ELNS1_3repE0EEENS1_30default_config_static_selectorELNS0_4arch9wavefront6targetE1EEEvT1_.uses_vcc, 0
	.set _ZN7rocprim17ROCPRIM_400000_NS6detail17trampoline_kernelINS0_14default_configENS1_20scan_config_selectorIfEEZZNS1_9scan_implILNS1_25lookback_scan_determinismE0ELb0ELb0ES3_PKfPffZZZN2at6native31launch_logcumsumexp_cuda_kernelERKNSB_10TensorBaseESF_lENKUlvE_clEvENKUlvE0_clEvEUlffE_fEEDaPvRmT3_T4_T5_mT6_P12ihipStream_tbENKUlT_T0_E_clISt17integral_constantIbLb1EESV_IbLb0EEEEDaSR_SS_EUlSR_E0_NS1_11comp_targetILNS1_3genE2ELNS1_11target_archE906ELNS1_3gpuE6ELNS1_3repE0EEENS1_30default_config_static_selectorELNS0_4arch9wavefront6targetE1EEEvT1_.uses_flat_scratch, 0
	.set _ZN7rocprim17ROCPRIM_400000_NS6detail17trampoline_kernelINS0_14default_configENS1_20scan_config_selectorIfEEZZNS1_9scan_implILNS1_25lookback_scan_determinismE0ELb0ELb0ES3_PKfPffZZZN2at6native31launch_logcumsumexp_cuda_kernelERKNSB_10TensorBaseESF_lENKUlvE_clEvENKUlvE0_clEvEUlffE_fEEDaPvRmT3_T4_T5_mT6_P12ihipStream_tbENKUlT_T0_E_clISt17integral_constantIbLb1EESV_IbLb0EEEEDaSR_SS_EUlSR_E0_NS1_11comp_targetILNS1_3genE2ELNS1_11target_archE906ELNS1_3gpuE6ELNS1_3repE0EEENS1_30default_config_static_selectorELNS0_4arch9wavefront6targetE1EEEvT1_.has_dyn_sized_stack, 0
	.set _ZN7rocprim17ROCPRIM_400000_NS6detail17trampoline_kernelINS0_14default_configENS1_20scan_config_selectorIfEEZZNS1_9scan_implILNS1_25lookback_scan_determinismE0ELb0ELb0ES3_PKfPffZZZN2at6native31launch_logcumsumexp_cuda_kernelERKNSB_10TensorBaseESF_lENKUlvE_clEvENKUlvE0_clEvEUlffE_fEEDaPvRmT3_T4_T5_mT6_P12ihipStream_tbENKUlT_T0_E_clISt17integral_constantIbLb1EESV_IbLb0EEEEDaSR_SS_EUlSR_E0_NS1_11comp_targetILNS1_3genE2ELNS1_11target_archE906ELNS1_3gpuE6ELNS1_3repE0EEENS1_30default_config_static_selectorELNS0_4arch9wavefront6targetE1EEEvT1_.has_recursion, 0
	.set _ZN7rocprim17ROCPRIM_400000_NS6detail17trampoline_kernelINS0_14default_configENS1_20scan_config_selectorIfEEZZNS1_9scan_implILNS1_25lookback_scan_determinismE0ELb0ELb0ES3_PKfPffZZZN2at6native31launch_logcumsumexp_cuda_kernelERKNSB_10TensorBaseESF_lENKUlvE_clEvENKUlvE0_clEvEUlffE_fEEDaPvRmT3_T4_T5_mT6_P12ihipStream_tbENKUlT_T0_E_clISt17integral_constantIbLb1EESV_IbLb0EEEEDaSR_SS_EUlSR_E0_NS1_11comp_targetILNS1_3genE2ELNS1_11target_archE906ELNS1_3gpuE6ELNS1_3repE0EEENS1_30default_config_static_selectorELNS0_4arch9wavefront6targetE1EEEvT1_.has_indirect_call, 0
	.section	.AMDGPU.csdata,"",@progbits
; Kernel info:
; codeLenInByte = 0
; TotalNumSgprs: 6
; NumVgprs: 0
; NumAgprs: 0
; TotalNumVgprs: 0
; ScratchSize: 0
; MemoryBound: 0
; FloatMode: 240
; IeeeMode: 1
; LDSByteSize: 0 bytes/workgroup (compile time only)
; SGPRBlocks: 0
; VGPRBlocks: 0
; NumSGPRsForWavesPerEU: 6
; NumVGPRsForWavesPerEU: 1
; AccumOffset: 4
; Occupancy: 8
; WaveLimiterHint : 0
; COMPUTE_PGM_RSRC2:SCRATCH_EN: 0
; COMPUTE_PGM_RSRC2:USER_SGPR: 2
; COMPUTE_PGM_RSRC2:TRAP_HANDLER: 0
; COMPUTE_PGM_RSRC2:TGID_X_EN: 1
; COMPUTE_PGM_RSRC2:TGID_Y_EN: 0
; COMPUTE_PGM_RSRC2:TGID_Z_EN: 0
; COMPUTE_PGM_RSRC2:TIDIG_COMP_CNT: 0
; COMPUTE_PGM_RSRC3_GFX90A:ACCUM_OFFSET: 0
; COMPUTE_PGM_RSRC3_GFX90A:TG_SPLIT: 0
	.section	.text._ZN7rocprim17ROCPRIM_400000_NS6detail17trampoline_kernelINS0_14default_configENS1_20scan_config_selectorIfEEZZNS1_9scan_implILNS1_25lookback_scan_determinismE0ELb0ELb0ES3_PKfPffZZZN2at6native31launch_logcumsumexp_cuda_kernelERKNSB_10TensorBaseESF_lENKUlvE_clEvENKUlvE0_clEvEUlffE_fEEDaPvRmT3_T4_T5_mT6_P12ihipStream_tbENKUlT_T0_E_clISt17integral_constantIbLb1EESV_IbLb0EEEEDaSR_SS_EUlSR_E0_NS1_11comp_targetILNS1_3genE10ELNS1_11target_archE1201ELNS1_3gpuE5ELNS1_3repE0EEENS1_30default_config_static_selectorELNS0_4arch9wavefront6targetE1EEEvT1_,"axG",@progbits,_ZN7rocprim17ROCPRIM_400000_NS6detail17trampoline_kernelINS0_14default_configENS1_20scan_config_selectorIfEEZZNS1_9scan_implILNS1_25lookback_scan_determinismE0ELb0ELb0ES3_PKfPffZZZN2at6native31launch_logcumsumexp_cuda_kernelERKNSB_10TensorBaseESF_lENKUlvE_clEvENKUlvE0_clEvEUlffE_fEEDaPvRmT3_T4_T5_mT6_P12ihipStream_tbENKUlT_T0_E_clISt17integral_constantIbLb1EESV_IbLb0EEEEDaSR_SS_EUlSR_E0_NS1_11comp_targetILNS1_3genE10ELNS1_11target_archE1201ELNS1_3gpuE5ELNS1_3repE0EEENS1_30default_config_static_selectorELNS0_4arch9wavefront6targetE1EEEvT1_,comdat
	.globl	_ZN7rocprim17ROCPRIM_400000_NS6detail17trampoline_kernelINS0_14default_configENS1_20scan_config_selectorIfEEZZNS1_9scan_implILNS1_25lookback_scan_determinismE0ELb0ELb0ES3_PKfPffZZZN2at6native31launch_logcumsumexp_cuda_kernelERKNSB_10TensorBaseESF_lENKUlvE_clEvENKUlvE0_clEvEUlffE_fEEDaPvRmT3_T4_T5_mT6_P12ihipStream_tbENKUlT_T0_E_clISt17integral_constantIbLb1EESV_IbLb0EEEEDaSR_SS_EUlSR_E0_NS1_11comp_targetILNS1_3genE10ELNS1_11target_archE1201ELNS1_3gpuE5ELNS1_3repE0EEENS1_30default_config_static_selectorELNS0_4arch9wavefront6targetE1EEEvT1_ ; -- Begin function _ZN7rocprim17ROCPRIM_400000_NS6detail17trampoline_kernelINS0_14default_configENS1_20scan_config_selectorIfEEZZNS1_9scan_implILNS1_25lookback_scan_determinismE0ELb0ELb0ES3_PKfPffZZZN2at6native31launch_logcumsumexp_cuda_kernelERKNSB_10TensorBaseESF_lENKUlvE_clEvENKUlvE0_clEvEUlffE_fEEDaPvRmT3_T4_T5_mT6_P12ihipStream_tbENKUlT_T0_E_clISt17integral_constantIbLb1EESV_IbLb0EEEEDaSR_SS_EUlSR_E0_NS1_11comp_targetILNS1_3genE10ELNS1_11target_archE1201ELNS1_3gpuE5ELNS1_3repE0EEENS1_30default_config_static_selectorELNS0_4arch9wavefront6targetE1EEEvT1_
	.p2align	8
	.type	_ZN7rocprim17ROCPRIM_400000_NS6detail17trampoline_kernelINS0_14default_configENS1_20scan_config_selectorIfEEZZNS1_9scan_implILNS1_25lookback_scan_determinismE0ELb0ELb0ES3_PKfPffZZZN2at6native31launch_logcumsumexp_cuda_kernelERKNSB_10TensorBaseESF_lENKUlvE_clEvENKUlvE0_clEvEUlffE_fEEDaPvRmT3_T4_T5_mT6_P12ihipStream_tbENKUlT_T0_E_clISt17integral_constantIbLb1EESV_IbLb0EEEEDaSR_SS_EUlSR_E0_NS1_11comp_targetILNS1_3genE10ELNS1_11target_archE1201ELNS1_3gpuE5ELNS1_3repE0EEENS1_30default_config_static_selectorELNS0_4arch9wavefront6targetE1EEEvT1_,@function
_ZN7rocprim17ROCPRIM_400000_NS6detail17trampoline_kernelINS0_14default_configENS1_20scan_config_selectorIfEEZZNS1_9scan_implILNS1_25lookback_scan_determinismE0ELb0ELb0ES3_PKfPffZZZN2at6native31launch_logcumsumexp_cuda_kernelERKNSB_10TensorBaseESF_lENKUlvE_clEvENKUlvE0_clEvEUlffE_fEEDaPvRmT3_T4_T5_mT6_P12ihipStream_tbENKUlT_T0_E_clISt17integral_constantIbLb1EESV_IbLb0EEEEDaSR_SS_EUlSR_E0_NS1_11comp_targetILNS1_3genE10ELNS1_11target_archE1201ELNS1_3gpuE5ELNS1_3repE0EEENS1_30default_config_static_selectorELNS0_4arch9wavefront6targetE1EEEvT1_: ; @_ZN7rocprim17ROCPRIM_400000_NS6detail17trampoline_kernelINS0_14default_configENS1_20scan_config_selectorIfEEZZNS1_9scan_implILNS1_25lookback_scan_determinismE0ELb0ELb0ES3_PKfPffZZZN2at6native31launch_logcumsumexp_cuda_kernelERKNSB_10TensorBaseESF_lENKUlvE_clEvENKUlvE0_clEvEUlffE_fEEDaPvRmT3_T4_T5_mT6_P12ihipStream_tbENKUlT_T0_E_clISt17integral_constantIbLb1EESV_IbLb0EEEEDaSR_SS_EUlSR_E0_NS1_11comp_targetILNS1_3genE10ELNS1_11target_archE1201ELNS1_3gpuE5ELNS1_3repE0EEENS1_30default_config_static_selectorELNS0_4arch9wavefront6targetE1EEEvT1_
; %bb.0:
	.section	.rodata,"a",@progbits
	.p2align	6, 0x0
	.amdhsa_kernel _ZN7rocprim17ROCPRIM_400000_NS6detail17trampoline_kernelINS0_14default_configENS1_20scan_config_selectorIfEEZZNS1_9scan_implILNS1_25lookback_scan_determinismE0ELb0ELb0ES3_PKfPffZZZN2at6native31launch_logcumsumexp_cuda_kernelERKNSB_10TensorBaseESF_lENKUlvE_clEvENKUlvE0_clEvEUlffE_fEEDaPvRmT3_T4_T5_mT6_P12ihipStream_tbENKUlT_T0_E_clISt17integral_constantIbLb1EESV_IbLb0EEEEDaSR_SS_EUlSR_E0_NS1_11comp_targetILNS1_3genE10ELNS1_11target_archE1201ELNS1_3gpuE5ELNS1_3repE0EEENS1_30default_config_static_selectorELNS0_4arch9wavefront6targetE1EEEvT1_
		.amdhsa_group_segment_fixed_size 0
		.amdhsa_private_segment_fixed_size 0
		.amdhsa_kernarg_size 32
		.amdhsa_user_sgpr_count 2
		.amdhsa_user_sgpr_dispatch_ptr 0
		.amdhsa_user_sgpr_queue_ptr 0
		.amdhsa_user_sgpr_kernarg_segment_ptr 1
		.amdhsa_user_sgpr_dispatch_id 0
		.amdhsa_user_sgpr_kernarg_preload_length 0
		.amdhsa_user_sgpr_kernarg_preload_offset 0
		.amdhsa_user_sgpr_private_segment_size 0
		.amdhsa_uses_dynamic_stack 0
		.amdhsa_enable_private_segment 0
		.amdhsa_system_sgpr_workgroup_id_x 1
		.amdhsa_system_sgpr_workgroup_id_y 0
		.amdhsa_system_sgpr_workgroup_id_z 0
		.amdhsa_system_sgpr_workgroup_info 0
		.amdhsa_system_vgpr_workitem_id 0
		.amdhsa_next_free_vgpr 1
		.amdhsa_next_free_sgpr 0
		.amdhsa_accum_offset 4
		.amdhsa_reserve_vcc 0
		.amdhsa_float_round_mode_32 0
		.amdhsa_float_round_mode_16_64 0
		.amdhsa_float_denorm_mode_32 3
		.amdhsa_float_denorm_mode_16_64 3
		.amdhsa_dx10_clamp 1
		.amdhsa_ieee_mode 1
		.amdhsa_fp16_overflow 0
		.amdhsa_tg_split 0
		.amdhsa_exception_fp_ieee_invalid_op 0
		.amdhsa_exception_fp_denorm_src 0
		.amdhsa_exception_fp_ieee_div_zero 0
		.amdhsa_exception_fp_ieee_overflow 0
		.amdhsa_exception_fp_ieee_underflow 0
		.amdhsa_exception_fp_ieee_inexact 0
		.amdhsa_exception_int_div_zero 0
	.end_amdhsa_kernel
	.section	.text._ZN7rocprim17ROCPRIM_400000_NS6detail17trampoline_kernelINS0_14default_configENS1_20scan_config_selectorIfEEZZNS1_9scan_implILNS1_25lookback_scan_determinismE0ELb0ELb0ES3_PKfPffZZZN2at6native31launch_logcumsumexp_cuda_kernelERKNSB_10TensorBaseESF_lENKUlvE_clEvENKUlvE0_clEvEUlffE_fEEDaPvRmT3_T4_T5_mT6_P12ihipStream_tbENKUlT_T0_E_clISt17integral_constantIbLb1EESV_IbLb0EEEEDaSR_SS_EUlSR_E0_NS1_11comp_targetILNS1_3genE10ELNS1_11target_archE1201ELNS1_3gpuE5ELNS1_3repE0EEENS1_30default_config_static_selectorELNS0_4arch9wavefront6targetE1EEEvT1_,"axG",@progbits,_ZN7rocprim17ROCPRIM_400000_NS6detail17trampoline_kernelINS0_14default_configENS1_20scan_config_selectorIfEEZZNS1_9scan_implILNS1_25lookback_scan_determinismE0ELb0ELb0ES3_PKfPffZZZN2at6native31launch_logcumsumexp_cuda_kernelERKNSB_10TensorBaseESF_lENKUlvE_clEvENKUlvE0_clEvEUlffE_fEEDaPvRmT3_T4_T5_mT6_P12ihipStream_tbENKUlT_T0_E_clISt17integral_constantIbLb1EESV_IbLb0EEEEDaSR_SS_EUlSR_E0_NS1_11comp_targetILNS1_3genE10ELNS1_11target_archE1201ELNS1_3gpuE5ELNS1_3repE0EEENS1_30default_config_static_selectorELNS0_4arch9wavefront6targetE1EEEvT1_,comdat
.Lfunc_end148:
	.size	_ZN7rocprim17ROCPRIM_400000_NS6detail17trampoline_kernelINS0_14default_configENS1_20scan_config_selectorIfEEZZNS1_9scan_implILNS1_25lookback_scan_determinismE0ELb0ELb0ES3_PKfPffZZZN2at6native31launch_logcumsumexp_cuda_kernelERKNSB_10TensorBaseESF_lENKUlvE_clEvENKUlvE0_clEvEUlffE_fEEDaPvRmT3_T4_T5_mT6_P12ihipStream_tbENKUlT_T0_E_clISt17integral_constantIbLb1EESV_IbLb0EEEEDaSR_SS_EUlSR_E0_NS1_11comp_targetILNS1_3genE10ELNS1_11target_archE1201ELNS1_3gpuE5ELNS1_3repE0EEENS1_30default_config_static_selectorELNS0_4arch9wavefront6targetE1EEEvT1_, .Lfunc_end148-_ZN7rocprim17ROCPRIM_400000_NS6detail17trampoline_kernelINS0_14default_configENS1_20scan_config_selectorIfEEZZNS1_9scan_implILNS1_25lookback_scan_determinismE0ELb0ELb0ES3_PKfPffZZZN2at6native31launch_logcumsumexp_cuda_kernelERKNSB_10TensorBaseESF_lENKUlvE_clEvENKUlvE0_clEvEUlffE_fEEDaPvRmT3_T4_T5_mT6_P12ihipStream_tbENKUlT_T0_E_clISt17integral_constantIbLb1EESV_IbLb0EEEEDaSR_SS_EUlSR_E0_NS1_11comp_targetILNS1_3genE10ELNS1_11target_archE1201ELNS1_3gpuE5ELNS1_3repE0EEENS1_30default_config_static_selectorELNS0_4arch9wavefront6targetE1EEEvT1_
                                        ; -- End function
	.set _ZN7rocprim17ROCPRIM_400000_NS6detail17trampoline_kernelINS0_14default_configENS1_20scan_config_selectorIfEEZZNS1_9scan_implILNS1_25lookback_scan_determinismE0ELb0ELb0ES3_PKfPffZZZN2at6native31launch_logcumsumexp_cuda_kernelERKNSB_10TensorBaseESF_lENKUlvE_clEvENKUlvE0_clEvEUlffE_fEEDaPvRmT3_T4_T5_mT6_P12ihipStream_tbENKUlT_T0_E_clISt17integral_constantIbLb1EESV_IbLb0EEEEDaSR_SS_EUlSR_E0_NS1_11comp_targetILNS1_3genE10ELNS1_11target_archE1201ELNS1_3gpuE5ELNS1_3repE0EEENS1_30default_config_static_selectorELNS0_4arch9wavefront6targetE1EEEvT1_.num_vgpr, 0
	.set _ZN7rocprim17ROCPRIM_400000_NS6detail17trampoline_kernelINS0_14default_configENS1_20scan_config_selectorIfEEZZNS1_9scan_implILNS1_25lookback_scan_determinismE0ELb0ELb0ES3_PKfPffZZZN2at6native31launch_logcumsumexp_cuda_kernelERKNSB_10TensorBaseESF_lENKUlvE_clEvENKUlvE0_clEvEUlffE_fEEDaPvRmT3_T4_T5_mT6_P12ihipStream_tbENKUlT_T0_E_clISt17integral_constantIbLb1EESV_IbLb0EEEEDaSR_SS_EUlSR_E0_NS1_11comp_targetILNS1_3genE10ELNS1_11target_archE1201ELNS1_3gpuE5ELNS1_3repE0EEENS1_30default_config_static_selectorELNS0_4arch9wavefront6targetE1EEEvT1_.num_agpr, 0
	.set _ZN7rocprim17ROCPRIM_400000_NS6detail17trampoline_kernelINS0_14default_configENS1_20scan_config_selectorIfEEZZNS1_9scan_implILNS1_25lookback_scan_determinismE0ELb0ELb0ES3_PKfPffZZZN2at6native31launch_logcumsumexp_cuda_kernelERKNSB_10TensorBaseESF_lENKUlvE_clEvENKUlvE0_clEvEUlffE_fEEDaPvRmT3_T4_T5_mT6_P12ihipStream_tbENKUlT_T0_E_clISt17integral_constantIbLb1EESV_IbLb0EEEEDaSR_SS_EUlSR_E0_NS1_11comp_targetILNS1_3genE10ELNS1_11target_archE1201ELNS1_3gpuE5ELNS1_3repE0EEENS1_30default_config_static_selectorELNS0_4arch9wavefront6targetE1EEEvT1_.numbered_sgpr, 0
	.set _ZN7rocprim17ROCPRIM_400000_NS6detail17trampoline_kernelINS0_14default_configENS1_20scan_config_selectorIfEEZZNS1_9scan_implILNS1_25lookback_scan_determinismE0ELb0ELb0ES3_PKfPffZZZN2at6native31launch_logcumsumexp_cuda_kernelERKNSB_10TensorBaseESF_lENKUlvE_clEvENKUlvE0_clEvEUlffE_fEEDaPvRmT3_T4_T5_mT6_P12ihipStream_tbENKUlT_T0_E_clISt17integral_constantIbLb1EESV_IbLb0EEEEDaSR_SS_EUlSR_E0_NS1_11comp_targetILNS1_3genE10ELNS1_11target_archE1201ELNS1_3gpuE5ELNS1_3repE0EEENS1_30default_config_static_selectorELNS0_4arch9wavefront6targetE1EEEvT1_.num_named_barrier, 0
	.set _ZN7rocprim17ROCPRIM_400000_NS6detail17trampoline_kernelINS0_14default_configENS1_20scan_config_selectorIfEEZZNS1_9scan_implILNS1_25lookback_scan_determinismE0ELb0ELb0ES3_PKfPffZZZN2at6native31launch_logcumsumexp_cuda_kernelERKNSB_10TensorBaseESF_lENKUlvE_clEvENKUlvE0_clEvEUlffE_fEEDaPvRmT3_T4_T5_mT6_P12ihipStream_tbENKUlT_T0_E_clISt17integral_constantIbLb1EESV_IbLb0EEEEDaSR_SS_EUlSR_E0_NS1_11comp_targetILNS1_3genE10ELNS1_11target_archE1201ELNS1_3gpuE5ELNS1_3repE0EEENS1_30default_config_static_selectorELNS0_4arch9wavefront6targetE1EEEvT1_.private_seg_size, 0
	.set _ZN7rocprim17ROCPRIM_400000_NS6detail17trampoline_kernelINS0_14default_configENS1_20scan_config_selectorIfEEZZNS1_9scan_implILNS1_25lookback_scan_determinismE0ELb0ELb0ES3_PKfPffZZZN2at6native31launch_logcumsumexp_cuda_kernelERKNSB_10TensorBaseESF_lENKUlvE_clEvENKUlvE0_clEvEUlffE_fEEDaPvRmT3_T4_T5_mT6_P12ihipStream_tbENKUlT_T0_E_clISt17integral_constantIbLb1EESV_IbLb0EEEEDaSR_SS_EUlSR_E0_NS1_11comp_targetILNS1_3genE10ELNS1_11target_archE1201ELNS1_3gpuE5ELNS1_3repE0EEENS1_30default_config_static_selectorELNS0_4arch9wavefront6targetE1EEEvT1_.uses_vcc, 0
	.set _ZN7rocprim17ROCPRIM_400000_NS6detail17trampoline_kernelINS0_14default_configENS1_20scan_config_selectorIfEEZZNS1_9scan_implILNS1_25lookback_scan_determinismE0ELb0ELb0ES3_PKfPffZZZN2at6native31launch_logcumsumexp_cuda_kernelERKNSB_10TensorBaseESF_lENKUlvE_clEvENKUlvE0_clEvEUlffE_fEEDaPvRmT3_T4_T5_mT6_P12ihipStream_tbENKUlT_T0_E_clISt17integral_constantIbLb1EESV_IbLb0EEEEDaSR_SS_EUlSR_E0_NS1_11comp_targetILNS1_3genE10ELNS1_11target_archE1201ELNS1_3gpuE5ELNS1_3repE0EEENS1_30default_config_static_selectorELNS0_4arch9wavefront6targetE1EEEvT1_.uses_flat_scratch, 0
	.set _ZN7rocprim17ROCPRIM_400000_NS6detail17trampoline_kernelINS0_14default_configENS1_20scan_config_selectorIfEEZZNS1_9scan_implILNS1_25lookback_scan_determinismE0ELb0ELb0ES3_PKfPffZZZN2at6native31launch_logcumsumexp_cuda_kernelERKNSB_10TensorBaseESF_lENKUlvE_clEvENKUlvE0_clEvEUlffE_fEEDaPvRmT3_T4_T5_mT6_P12ihipStream_tbENKUlT_T0_E_clISt17integral_constantIbLb1EESV_IbLb0EEEEDaSR_SS_EUlSR_E0_NS1_11comp_targetILNS1_3genE10ELNS1_11target_archE1201ELNS1_3gpuE5ELNS1_3repE0EEENS1_30default_config_static_selectorELNS0_4arch9wavefront6targetE1EEEvT1_.has_dyn_sized_stack, 0
	.set _ZN7rocprim17ROCPRIM_400000_NS6detail17trampoline_kernelINS0_14default_configENS1_20scan_config_selectorIfEEZZNS1_9scan_implILNS1_25lookback_scan_determinismE0ELb0ELb0ES3_PKfPffZZZN2at6native31launch_logcumsumexp_cuda_kernelERKNSB_10TensorBaseESF_lENKUlvE_clEvENKUlvE0_clEvEUlffE_fEEDaPvRmT3_T4_T5_mT6_P12ihipStream_tbENKUlT_T0_E_clISt17integral_constantIbLb1EESV_IbLb0EEEEDaSR_SS_EUlSR_E0_NS1_11comp_targetILNS1_3genE10ELNS1_11target_archE1201ELNS1_3gpuE5ELNS1_3repE0EEENS1_30default_config_static_selectorELNS0_4arch9wavefront6targetE1EEEvT1_.has_recursion, 0
	.set _ZN7rocprim17ROCPRIM_400000_NS6detail17trampoline_kernelINS0_14default_configENS1_20scan_config_selectorIfEEZZNS1_9scan_implILNS1_25lookback_scan_determinismE0ELb0ELb0ES3_PKfPffZZZN2at6native31launch_logcumsumexp_cuda_kernelERKNSB_10TensorBaseESF_lENKUlvE_clEvENKUlvE0_clEvEUlffE_fEEDaPvRmT3_T4_T5_mT6_P12ihipStream_tbENKUlT_T0_E_clISt17integral_constantIbLb1EESV_IbLb0EEEEDaSR_SS_EUlSR_E0_NS1_11comp_targetILNS1_3genE10ELNS1_11target_archE1201ELNS1_3gpuE5ELNS1_3repE0EEENS1_30default_config_static_selectorELNS0_4arch9wavefront6targetE1EEEvT1_.has_indirect_call, 0
	.section	.AMDGPU.csdata,"",@progbits
; Kernel info:
; codeLenInByte = 0
; TotalNumSgprs: 6
; NumVgprs: 0
; NumAgprs: 0
; TotalNumVgprs: 0
; ScratchSize: 0
; MemoryBound: 0
; FloatMode: 240
; IeeeMode: 1
; LDSByteSize: 0 bytes/workgroup (compile time only)
; SGPRBlocks: 0
; VGPRBlocks: 0
; NumSGPRsForWavesPerEU: 6
; NumVGPRsForWavesPerEU: 1
; AccumOffset: 4
; Occupancy: 8
; WaveLimiterHint : 0
; COMPUTE_PGM_RSRC2:SCRATCH_EN: 0
; COMPUTE_PGM_RSRC2:USER_SGPR: 2
; COMPUTE_PGM_RSRC2:TRAP_HANDLER: 0
; COMPUTE_PGM_RSRC2:TGID_X_EN: 1
; COMPUTE_PGM_RSRC2:TGID_Y_EN: 0
; COMPUTE_PGM_RSRC2:TGID_Z_EN: 0
; COMPUTE_PGM_RSRC2:TIDIG_COMP_CNT: 0
; COMPUTE_PGM_RSRC3_GFX90A:ACCUM_OFFSET: 0
; COMPUTE_PGM_RSRC3_GFX90A:TG_SPLIT: 0
	.section	.text._ZN7rocprim17ROCPRIM_400000_NS6detail17trampoline_kernelINS0_14default_configENS1_20scan_config_selectorIfEEZZNS1_9scan_implILNS1_25lookback_scan_determinismE0ELb0ELb0ES3_PKfPffZZZN2at6native31launch_logcumsumexp_cuda_kernelERKNSB_10TensorBaseESF_lENKUlvE_clEvENKUlvE0_clEvEUlffE_fEEDaPvRmT3_T4_T5_mT6_P12ihipStream_tbENKUlT_T0_E_clISt17integral_constantIbLb1EESV_IbLb0EEEEDaSR_SS_EUlSR_E0_NS1_11comp_targetILNS1_3genE10ELNS1_11target_archE1200ELNS1_3gpuE4ELNS1_3repE0EEENS1_30default_config_static_selectorELNS0_4arch9wavefront6targetE1EEEvT1_,"axG",@progbits,_ZN7rocprim17ROCPRIM_400000_NS6detail17trampoline_kernelINS0_14default_configENS1_20scan_config_selectorIfEEZZNS1_9scan_implILNS1_25lookback_scan_determinismE0ELb0ELb0ES3_PKfPffZZZN2at6native31launch_logcumsumexp_cuda_kernelERKNSB_10TensorBaseESF_lENKUlvE_clEvENKUlvE0_clEvEUlffE_fEEDaPvRmT3_T4_T5_mT6_P12ihipStream_tbENKUlT_T0_E_clISt17integral_constantIbLb1EESV_IbLb0EEEEDaSR_SS_EUlSR_E0_NS1_11comp_targetILNS1_3genE10ELNS1_11target_archE1200ELNS1_3gpuE4ELNS1_3repE0EEENS1_30default_config_static_selectorELNS0_4arch9wavefront6targetE1EEEvT1_,comdat
	.globl	_ZN7rocprim17ROCPRIM_400000_NS6detail17trampoline_kernelINS0_14default_configENS1_20scan_config_selectorIfEEZZNS1_9scan_implILNS1_25lookback_scan_determinismE0ELb0ELb0ES3_PKfPffZZZN2at6native31launch_logcumsumexp_cuda_kernelERKNSB_10TensorBaseESF_lENKUlvE_clEvENKUlvE0_clEvEUlffE_fEEDaPvRmT3_T4_T5_mT6_P12ihipStream_tbENKUlT_T0_E_clISt17integral_constantIbLb1EESV_IbLb0EEEEDaSR_SS_EUlSR_E0_NS1_11comp_targetILNS1_3genE10ELNS1_11target_archE1200ELNS1_3gpuE4ELNS1_3repE0EEENS1_30default_config_static_selectorELNS0_4arch9wavefront6targetE1EEEvT1_ ; -- Begin function _ZN7rocprim17ROCPRIM_400000_NS6detail17trampoline_kernelINS0_14default_configENS1_20scan_config_selectorIfEEZZNS1_9scan_implILNS1_25lookback_scan_determinismE0ELb0ELb0ES3_PKfPffZZZN2at6native31launch_logcumsumexp_cuda_kernelERKNSB_10TensorBaseESF_lENKUlvE_clEvENKUlvE0_clEvEUlffE_fEEDaPvRmT3_T4_T5_mT6_P12ihipStream_tbENKUlT_T0_E_clISt17integral_constantIbLb1EESV_IbLb0EEEEDaSR_SS_EUlSR_E0_NS1_11comp_targetILNS1_3genE10ELNS1_11target_archE1200ELNS1_3gpuE4ELNS1_3repE0EEENS1_30default_config_static_selectorELNS0_4arch9wavefront6targetE1EEEvT1_
	.p2align	8
	.type	_ZN7rocprim17ROCPRIM_400000_NS6detail17trampoline_kernelINS0_14default_configENS1_20scan_config_selectorIfEEZZNS1_9scan_implILNS1_25lookback_scan_determinismE0ELb0ELb0ES3_PKfPffZZZN2at6native31launch_logcumsumexp_cuda_kernelERKNSB_10TensorBaseESF_lENKUlvE_clEvENKUlvE0_clEvEUlffE_fEEDaPvRmT3_T4_T5_mT6_P12ihipStream_tbENKUlT_T0_E_clISt17integral_constantIbLb1EESV_IbLb0EEEEDaSR_SS_EUlSR_E0_NS1_11comp_targetILNS1_3genE10ELNS1_11target_archE1200ELNS1_3gpuE4ELNS1_3repE0EEENS1_30default_config_static_selectorELNS0_4arch9wavefront6targetE1EEEvT1_,@function
_ZN7rocprim17ROCPRIM_400000_NS6detail17trampoline_kernelINS0_14default_configENS1_20scan_config_selectorIfEEZZNS1_9scan_implILNS1_25lookback_scan_determinismE0ELb0ELb0ES3_PKfPffZZZN2at6native31launch_logcumsumexp_cuda_kernelERKNSB_10TensorBaseESF_lENKUlvE_clEvENKUlvE0_clEvEUlffE_fEEDaPvRmT3_T4_T5_mT6_P12ihipStream_tbENKUlT_T0_E_clISt17integral_constantIbLb1EESV_IbLb0EEEEDaSR_SS_EUlSR_E0_NS1_11comp_targetILNS1_3genE10ELNS1_11target_archE1200ELNS1_3gpuE4ELNS1_3repE0EEENS1_30default_config_static_selectorELNS0_4arch9wavefront6targetE1EEEvT1_: ; @_ZN7rocprim17ROCPRIM_400000_NS6detail17trampoline_kernelINS0_14default_configENS1_20scan_config_selectorIfEEZZNS1_9scan_implILNS1_25lookback_scan_determinismE0ELb0ELb0ES3_PKfPffZZZN2at6native31launch_logcumsumexp_cuda_kernelERKNSB_10TensorBaseESF_lENKUlvE_clEvENKUlvE0_clEvEUlffE_fEEDaPvRmT3_T4_T5_mT6_P12ihipStream_tbENKUlT_T0_E_clISt17integral_constantIbLb1EESV_IbLb0EEEEDaSR_SS_EUlSR_E0_NS1_11comp_targetILNS1_3genE10ELNS1_11target_archE1200ELNS1_3gpuE4ELNS1_3repE0EEENS1_30default_config_static_selectorELNS0_4arch9wavefront6targetE1EEEvT1_
; %bb.0:
	.section	.rodata,"a",@progbits
	.p2align	6, 0x0
	.amdhsa_kernel _ZN7rocprim17ROCPRIM_400000_NS6detail17trampoline_kernelINS0_14default_configENS1_20scan_config_selectorIfEEZZNS1_9scan_implILNS1_25lookback_scan_determinismE0ELb0ELb0ES3_PKfPffZZZN2at6native31launch_logcumsumexp_cuda_kernelERKNSB_10TensorBaseESF_lENKUlvE_clEvENKUlvE0_clEvEUlffE_fEEDaPvRmT3_T4_T5_mT6_P12ihipStream_tbENKUlT_T0_E_clISt17integral_constantIbLb1EESV_IbLb0EEEEDaSR_SS_EUlSR_E0_NS1_11comp_targetILNS1_3genE10ELNS1_11target_archE1200ELNS1_3gpuE4ELNS1_3repE0EEENS1_30default_config_static_selectorELNS0_4arch9wavefront6targetE1EEEvT1_
		.amdhsa_group_segment_fixed_size 0
		.amdhsa_private_segment_fixed_size 0
		.amdhsa_kernarg_size 32
		.amdhsa_user_sgpr_count 2
		.amdhsa_user_sgpr_dispatch_ptr 0
		.amdhsa_user_sgpr_queue_ptr 0
		.amdhsa_user_sgpr_kernarg_segment_ptr 1
		.amdhsa_user_sgpr_dispatch_id 0
		.amdhsa_user_sgpr_kernarg_preload_length 0
		.amdhsa_user_sgpr_kernarg_preload_offset 0
		.amdhsa_user_sgpr_private_segment_size 0
		.amdhsa_uses_dynamic_stack 0
		.amdhsa_enable_private_segment 0
		.amdhsa_system_sgpr_workgroup_id_x 1
		.amdhsa_system_sgpr_workgroup_id_y 0
		.amdhsa_system_sgpr_workgroup_id_z 0
		.amdhsa_system_sgpr_workgroup_info 0
		.amdhsa_system_vgpr_workitem_id 0
		.amdhsa_next_free_vgpr 1
		.amdhsa_next_free_sgpr 0
		.amdhsa_accum_offset 4
		.amdhsa_reserve_vcc 0
		.amdhsa_float_round_mode_32 0
		.amdhsa_float_round_mode_16_64 0
		.amdhsa_float_denorm_mode_32 3
		.amdhsa_float_denorm_mode_16_64 3
		.amdhsa_dx10_clamp 1
		.amdhsa_ieee_mode 1
		.amdhsa_fp16_overflow 0
		.amdhsa_tg_split 0
		.amdhsa_exception_fp_ieee_invalid_op 0
		.amdhsa_exception_fp_denorm_src 0
		.amdhsa_exception_fp_ieee_div_zero 0
		.amdhsa_exception_fp_ieee_overflow 0
		.amdhsa_exception_fp_ieee_underflow 0
		.amdhsa_exception_fp_ieee_inexact 0
		.amdhsa_exception_int_div_zero 0
	.end_amdhsa_kernel
	.section	.text._ZN7rocprim17ROCPRIM_400000_NS6detail17trampoline_kernelINS0_14default_configENS1_20scan_config_selectorIfEEZZNS1_9scan_implILNS1_25lookback_scan_determinismE0ELb0ELb0ES3_PKfPffZZZN2at6native31launch_logcumsumexp_cuda_kernelERKNSB_10TensorBaseESF_lENKUlvE_clEvENKUlvE0_clEvEUlffE_fEEDaPvRmT3_T4_T5_mT6_P12ihipStream_tbENKUlT_T0_E_clISt17integral_constantIbLb1EESV_IbLb0EEEEDaSR_SS_EUlSR_E0_NS1_11comp_targetILNS1_3genE10ELNS1_11target_archE1200ELNS1_3gpuE4ELNS1_3repE0EEENS1_30default_config_static_selectorELNS0_4arch9wavefront6targetE1EEEvT1_,"axG",@progbits,_ZN7rocprim17ROCPRIM_400000_NS6detail17trampoline_kernelINS0_14default_configENS1_20scan_config_selectorIfEEZZNS1_9scan_implILNS1_25lookback_scan_determinismE0ELb0ELb0ES3_PKfPffZZZN2at6native31launch_logcumsumexp_cuda_kernelERKNSB_10TensorBaseESF_lENKUlvE_clEvENKUlvE0_clEvEUlffE_fEEDaPvRmT3_T4_T5_mT6_P12ihipStream_tbENKUlT_T0_E_clISt17integral_constantIbLb1EESV_IbLb0EEEEDaSR_SS_EUlSR_E0_NS1_11comp_targetILNS1_3genE10ELNS1_11target_archE1200ELNS1_3gpuE4ELNS1_3repE0EEENS1_30default_config_static_selectorELNS0_4arch9wavefront6targetE1EEEvT1_,comdat
.Lfunc_end149:
	.size	_ZN7rocprim17ROCPRIM_400000_NS6detail17trampoline_kernelINS0_14default_configENS1_20scan_config_selectorIfEEZZNS1_9scan_implILNS1_25lookback_scan_determinismE0ELb0ELb0ES3_PKfPffZZZN2at6native31launch_logcumsumexp_cuda_kernelERKNSB_10TensorBaseESF_lENKUlvE_clEvENKUlvE0_clEvEUlffE_fEEDaPvRmT3_T4_T5_mT6_P12ihipStream_tbENKUlT_T0_E_clISt17integral_constantIbLb1EESV_IbLb0EEEEDaSR_SS_EUlSR_E0_NS1_11comp_targetILNS1_3genE10ELNS1_11target_archE1200ELNS1_3gpuE4ELNS1_3repE0EEENS1_30default_config_static_selectorELNS0_4arch9wavefront6targetE1EEEvT1_, .Lfunc_end149-_ZN7rocprim17ROCPRIM_400000_NS6detail17trampoline_kernelINS0_14default_configENS1_20scan_config_selectorIfEEZZNS1_9scan_implILNS1_25lookback_scan_determinismE0ELb0ELb0ES3_PKfPffZZZN2at6native31launch_logcumsumexp_cuda_kernelERKNSB_10TensorBaseESF_lENKUlvE_clEvENKUlvE0_clEvEUlffE_fEEDaPvRmT3_T4_T5_mT6_P12ihipStream_tbENKUlT_T0_E_clISt17integral_constantIbLb1EESV_IbLb0EEEEDaSR_SS_EUlSR_E0_NS1_11comp_targetILNS1_3genE10ELNS1_11target_archE1200ELNS1_3gpuE4ELNS1_3repE0EEENS1_30default_config_static_selectorELNS0_4arch9wavefront6targetE1EEEvT1_
                                        ; -- End function
	.set _ZN7rocprim17ROCPRIM_400000_NS6detail17trampoline_kernelINS0_14default_configENS1_20scan_config_selectorIfEEZZNS1_9scan_implILNS1_25lookback_scan_determinismE0ELb0ELb0ES3_PKfPffZZZN2at6native31launch_logcumsumexp_cuda_kernelERKNSB_10TensorBaseESF_lENKUlvE_clEvENKUlvE0_clEvEUlffE_fEEDaPvRmT3_T4_T5_mT6_P12ihipStream_tbENKUlT_T0_E_clISt17integral_constantIbLb1EESV_IbLb0EEEEDaSR_SS_EUlSR_E0_NS1_11comp_targetILNS1_3genE10ELNS1_11target_archE1200ELNS1_3gpuE4ELNS1_3repE0EEENS1_30default_config_static_selectorELNS0_4arch9wavefront6targetE1EEEvT1_.num_vgpr, 0
	.set _ZN7rocprim17ROCPRIM_400000_NS6detail17trampoline_kernelINS0_14default_configENS1_20scan_config_selectorIfEEZZNS1_9scan_implILNS1_25lookback_scan_determinismE0ELb0ELb0ES3_PKfPffZZZN2at6native31launch_logcumsumexp_cuda_kernelERKNSB_10TensorBaseESF_lENKUlvE_clEvENKUlvE0_clEvEUlffE_fEEDaPvRmT3_T4_T5_mT6_P12ihipStream_tbENKUlT_T0_E_clISt17integral_constantIbLb1EESV_IbLb0EEEEDaSR_SS_EUlSR_E0_NS1_11comp_targetILNS1_3genE10ELNS1_11target_archE1200ELNS1_3gpuE4ELNS1_3repE0EEENS1_30default_config_static_selectorELNS0_4arch9wavefront6targetE1EEEvT1_.num_agpr, 0
	.set _ZN7rocprim17ROCPRIM_400000_NS6detail17trampoline_kernelINS0_14default_configENS1_20scan_config_selectorIfEEZZNS1_9scan_implILNS1_25lookback_scan_determinismE0ELb0ELb0ES3_PKfPffZZZN2at6native31launch_logcumsumexp_cuda_kernelERKNSB_10TensorBaseESF_lENKUlvE_clEvENKUlvE0_clEvEUlffE_fEEDaPvRmT3_T4_T5_mT6_P12ihipStream_tbENKUlT_T0_E_clISt17integral_constantIbLb1EESV_IbLb0EEEEDaSR_SS_EUlSR_E0_NS1_11comp_targetILNS1_3genE10ELNS1_11target_archE1200ELNS1_3gpuE4ELNS1_3repE0EEENS1_30default_config_static_selectorELNS0_4arch9wavefront6targetE1EEEvT1_.numbered_sgpr, 0
	.set _ZN7rocprim17ROCPRIM_400000_NS6detail17trampoline_kernelINS0_14default_configENS1_20scan_config_selectorIfEEZZNS1_9scan_implILNS1_25lookback_scan_determinismE0ELb0ELb0ES3_PKfPffZZZN2at6native31launch_logcumsumexp_cuda_kernelERKNSB_10TensorBaseESF_lENKUlvE_clEvENKUlvE0_clEvEUlffE_fEEDaPvRmT3_T4_T5_mT6_P12ihipStream_tbENKUlT_T0_E_clISt17integral_constantIbLb1EESV_IbLb0EEEEDaSR_SS_EUlSR_E0_NS1_11comp_targetILNS1_3genE10ELNS1_11target_archE1200ELNS1_3gpuE4ELNS1_3repE0EEENS1_30default_config_static_selectorELNS0_4arch9wavefront6targetE1EEEvT1_.num_named_barrier, 0
	.set _ZN7rocprim17ROCPRIM_400000_NS6detail17trampoline_kernelINS0_14default_configENS1_20scan_config_selectorIfEEZZNS1_9scan_implILNS1_25lookback_scan_determinismE0ELb0ELb0ES3_PKfPffZZZN2at6native31launch_logcumsumexp_cuda_kernelERKNSB_10TensorBaseESF_lENKUlvE_clEvENKUlvE0_clEvEUlffE_fEEDaPvRmT3_T4_T5_mT6_P12ihipStream_tbENKUlT_T0_E_clISt17integral_constantIbLb1EESV_IbLb0EEEEDaSR_SS_EUlSR_E0_NS1_11comp_targetILNS1_3genE10ELNS1_11target_archE1200ELNS1_3gpuE4ELNS1_3repE0EEENS1_30default_config_static_selectorELNS0_4arch9wavefront6targetE1EEEvT1_.private_seg_size, 0
	.set _ZN7rocprim17ROCPRIM_400000_NS6detail17trampoline_kernelINS0_14default_configENS1_20scan_config_selectorIfEEZZNS1_9scan_implILNS1_25lookback_scan_determinismE0ELb0ELb0ES3_PKfPffZZZN2at6native31launch_logcumsumexp_cuda_kernelERKNSB_10TensorBaseESF_lENKUlvE_clEvENKUlvE0_clEvEUlffE_fEEDaPvRmT3_T4_T5_mT6_P12ihipStream_tbENKUlT_T0_E_clISt17integral_constantIbLb1EESV_IbLb0EEEEDaSR_SS_EUlSR_E0_NS1_11comp_targetILNS1_3genE10ELNS1_11target_archE1200ELNS1_3gpuE4ELNS1_3repE0EEENS1_30default_config_static_selectorELNS0_4arch9wavefront6targetE1EEEvT1_.uses_vcc, 0
	.set _ZN7rocprim17ROCPRIM_400000_NS6detail17trampoline_kernelINS0_14default_configENS1_20scan_config_selectorIfEEZZNS1_9scan_implILNS1_25lookback_scan_determinismE0ELb0ELb0ES3_PKfPffZZZN2at6native31launch_logcumsumexp_cuda_kernelERKNSB_10TensorBaseESF_lENKUlvE_clEvENKUlvE0_clEvEUlffE_fEEDaPvRmT3_T4_T5_mT6_P12ihipStream_tbENKUlT_T0_E_clISt17integral_constantIbLb1EESV_IbLb0EEEEDaSR_SS_EUlSR_E0_NS1_11comp_targetILNS1_3genE10ELNS1_11target_archE1200ELNS1_3gpuE4ELNS1_3repE0EEENS1_30default_config_static_selectorELNS0_4arch9wavefront6targetE1EEEvT1_.uses_flat_scratch, 0
	.set _ZN7rocprim17ROCPRIM_400000_NS6detail17trampoline_kernelINS0_14default_configENS1_20scan_config_selectorIfEEZZNS1_9scan_implILNS1_25lookback_scan_determinismE0ELb0ELb0ES3_PKfPffZZZN2at6native31launch_logcumsumexp_cuda_kernelERKNSB_10TensorBaseESF_lENKUlvE_clEvENKUlvE0_clEvEUlffE_fEEDaPvRmT3_T4_T5_mT6_P12ihipStream_tbENKUlT_T0_E_clISt17integral_constantIbLb1EESV_IbLb0EEEEDaSR_SS_EUlSR_E0_NS1_11comp_targetILNS1_3genE10ELNS1_11target_archE1200ELNS1_3gpuE4ELNS1_3repE0EEENS1_30default_config_static_selectorELNS0_4arch9wavefront6targetE1EEEvT1_.has_dyn_sized_stack, 0
	.set _ZN7rocprim17ROCPRIM_400000_NS6detail17trampoline_kernelINS0_14default_configENS1_20scan_config_selectorIfEEZZNS1_9scan_implILNS1_25lookback_scan_determinismE0ELb0ELb0ES3_PKfPffZZZN2at6native31launch_logcumsumexp_cuda_kernelERKNSB_10TensorBaseESF_lENKUlvE_clEvENKUlvE0_clEvEUlffE_fEEDaPvRmT3_T4_T5_mT6_P12ihipStream_tbENKUlT_T0_E_clISt17integral_constantIbLb1EESV_IbLb0EEEEDaSR_SS_EUlSR_E0_NS1_11comp_targetILNS1_3genE10ELNS1_11target_archE1200ELNS1_3gpuE4ELNS1_3repE0EEENS1_30default_config_static_selectorELNS0_4arch9wavefront6targetE1EEEvT1_.has_recursion, 0
	.set _ZN7rocprim17ROCPRIM_400000_NS6detail17trampoline_kernelINS0_14default_configENS1_20scan_config_selectorIfEEZZNS1_9scan_implILNS1_25lookback_scan_determinismE0ELb0ELb0ES3_PKfPffZZZN2at6native31launch_logcumsumexp_cuda_kernelERKNSB_10TensorBaseESF_lENKUlvE_clEvENKUlvE0_clEvEUlffE_fEEDaPvRmT3_T4_T5_mT6_P12ihipStream_tbENKUlT_T0_E_clISt17integral_constantIbLb1EESV_IbLb0EEEEDaSR_SS_EUlSR_E0_NS1_11comp_targetILNS1_3genE10ELNS1_11target_archE1200ELNS1_3gpuE4ELNS1_3repE0EEENS1_30default_config_static_selectorELNS0_4arch9wavefront6targetE1EEEvT1_.has_indirect_call, 0
	.section	.AMDGPU.csdata,"",@progbits
; Kernel info:
; codeLenInByte = 0
; TotalNumSgprs: 6
; NumVgprs: 0
; NumAgprs: 0
; TotalNumVgprs: 0
; ScratchSize: 0
; MemoryBound: 0
; FloatMode: 240
; IeeeMode: 1
; LDSByteSize: 0 bytes/workgroup (compile time only)
; SGPRBlocks: 0
; VGPRBlocks: 0
; NumSGPRsForWavesPerEU: 6
; NumVGPRsForWavesPerEU: 1
; AccumOffset: 4
; Occupancy: 8
; WaveLimiterHint : 0
; COMPUTE_PGM_RSRC2:SCRATCH_EN: 0
; COMPUTE_PGM_RSRC2:USER_SGPR: 2
; COMPUTE_PGM_RSRC2:TRAP_HANDLER: 0
; COMPUTE_PGM_RSRC2:TGID_X_EN: 1
; COMPUTE_PGM_RSRC2:TGID_Y_EN: 0
; COMPUTE_PGM_RSRC2:TGID_Z_EN: 0
; COMPUTE_PGM_RSRC2:TIDIG_COMP_CNT: 0
; COMPUTE_PGM_RSRC3_GFX90A:ACCUM_OFFSET: 0
; COMPUTE_PGM_RSRC3_GFX90A:TG_SPLIT: 0
	.section	.text._ZN7rocprim17ROCPRIM_400000_NS6detail17trampoline_kernelINS0_14default_configENS1_20scan_config_selectorIfEEZZNS1_9scan_implILNS1_25lookback_scan_determinismE0ELb0ELb0ES3_PKfPffZZZN2at6native31launch_logcumsumexp_cuda_kernelERKNSB_10TensorBaseESF_lENKUlvE_clEvENKUlvE0_clEvEUlffE_fEEDaPvRmT3_T4_T5_mT6_P12ihipStream_tbENKUlT_T0_E_clISt17integral_constantIbLb1EESV_IbLb0EEEEDaSR_SS_EUlSR_E0_NS1_11comp_targetILNS1_3genE9ELNS1_11target_archE1100ELNS1_3gpuE3ELNS1_3repE0EEENS1_30default_config_static_selectorELNS0_4arch9wavefront6targetE1EEEvT1_,"axG",@progbits,_ZN7rocprim17ROCPRIM_400000_NS6detail17trampoline_kernelINS0_14default_configENS1_20scan_config_selectorIfEEZZNS1_9scan_implILNS1_25lookback_scan_determinismE0ELb0ELb0ES3_PKfPffZZZN2at6native31launch_logcumsumexp_cuda_kernelERKNSB_10TensorBaseESF_lENKUlvE_clEvENKUlvE0_clEvEUlffE_fEEDaPvRmT3_T4_T5_mT6_P12ihipStream_tbENKUlT_T0_E_clISt17integral_constantIbLb1EESV_IbLb0EEEEDaSR_SS_EUlSR_E0_NS1_11comp_targetILNS1_3genE9ELNS1_11target_archE1100ELNS1_3gpuE3ELNS1_3repE0EEENS1_30default_config_static_selectorELNS0_4arch9wavefront6targetE1EEEvT1_,comdat
	.globl	_ZN7rocprim17ROCPRIM_400000_NS6detail17trampoline_kernelINS0_14default_configENS1_20scan_config_selectorIfEEZZNS1_9scan_implILNS1_25lookback_scan_determinismE0ELb0ELb0ES3_PKfPffZZZN2at6native31launch_logcumsumexp_cuda_kernelERKNSB_10TensorBaseESF_lENKUlvE_clEvENKUlvE0_clEvEUlffE_fEEDaPvRmT3_T4_T5_mT6_P12ihipStream_tbENKUlT_T0_E_clISt17integral_constantIbLb1EESV_IbLb0EEEEDaSR_SS_EUlSR_E0_NS1_11comp_targetILNS1_3genE9ELNS1_11target_archE1100ELNS1_3gpuE3ELNS1_3repE0EEENS1_30default_config_static_selectorELNS0_4arch9wavefront6targetE1EEEvT1_ ; -- Begin function _ZN7rocprim17ROCPRIM_400000_NS6detail17trampoline_kernelINS0_14default_configENS1_20scan_config_selectorIfEEZZNS1_9scan_implILNS1_25lookback_scan_determinismE0ELb0ELb0ES3_PKfPffZZZN2at6native31launch_logcumsumexp_cuda_kernelERKNSB_10TensorBaseESF_lENKUlvE_clEvENKUlvE0_clEvEUlffE_fEEDaPvRmT3_T4_T5_mT6_P12ihipStream_tbENKUlT_T0_E_clISt17integral_constantIbLb1EESV_IbLb0EEEEDaSR_SS_EUlSR_E0_NS1_11comp_targetILNS1_3genE9ELNS1_11target_archE1100ELNS1_3gpuE3ELNS1_3repE0EEENS1_30default_config_static_selectorELNS0_4arch9wavefront6targetE1EEEvT1_
	.p2align	8
	.type	_ZN7rocprim17ROCPRIM_400000_NS6detail17trampoline_kernelINS0_14default_configENS1_20scan_config_selectorIfEEZZNS1_9scan_implILNS1_25lookback_scan_determinismE0ELb0ELb0ES3_PKfPffZZZN2at6native31launch_logcumsumexp_cuda_kernelERKNSB_10TensorBaseESF_lENKUlvE_clEvENKUlvE0_clEvEUlffE_fEEDaPvRmT3_T4_T5_mT6_P12ihipStream_tbENKUlT_T0_E_clISt17integral_constantIbLb1EESV_IbLb0EEEEDaSR_SS_EUlSR_E0_NS1_11comp_targetILNS1_3genE9ELNS1_11target_archE1100ELNS1_3gpuE3ELNS1_3repE0EEENS1_30default_config_static_selectorELNS0_4arch9wavefront6targetE1EEEvT1_,@function
_ZN7rocprim17ROCPRIM_400000_NS6detail17trampoline_kernelINS0_14default_configENS1_20scan_config_selectorIfEEZZNS1_9scan_implILNS1_25lookback_scan_determinismE0ELb0ELb0ES3_PKfPffZZZN2at6native31launch_logcumsumexp_cuda_kernelERKNSB_10TensorBaseESF_lENKUlvE_clEvENKUlvE0_clEvEUlffE_fEEDaPvRmT3_T4_T5_mT6_P12ihipStream_tbENKUlT_T0_E_clISt17integral_constantIbLb1EESV_IbLb0EEEEDaSR_SS_EUlSR_E0_NS1_11comp_targetILNS1_3genE9ELNS1_11target_archE1100ELNS1_3gpuE3ELNS1_3repE0EEENS1_30default_config_static_selectorELNS0_4arch9wavefront6targetE1EEEvT1_: ; @_ZN7rocprim17ROCPRIM_400000_NS6detail17trampoline_kernelINS0_14default_configENS1_20scan_config_selectorIfEEZZNS1_9scan_implILNS1_25lookback_scan_determinismE0ELb0ELb0ES3_PKfPffZZZN2at6native31launch_logcumsumexp_cuda_kernelERKNSB_10TensorBaseESF_lENKUlvE_clEvENKUlvE0_clEvEUlffE_fEEDaPvRmT3_T4_T5_mT6_P12ihipStream_tbENKUlT_T0_E_clISt17integral_constantIbLb1EESV_IbLb0EEEEDaSR_SS_EUlSR_E0_NS1_11comp_targetILNS1_3genE9ELNS1_11target_archE1100ELNS1_3gpuE3ELNS1_3repE0EEENS1_30default_config_static_selectorELNS0_4arch9wavefront6targetE1EEEvT1_
; %bb.0:
	.section	.rodata,"a",@progbits
	.p2align	6, 0x0
	.amdhsa_kernel _ZN7rocprim17ROCPRIM_400000_NS6detail17trampoline_kernelINS0_14default_configENS1_20scan_config_selectorIfEEZZNS1_9scan_implILNS1_25lookback_scan_determinismE0ELb0ELb0ES3_PKfPffZZZN2at6native31launch_logcumsumexp_cuda_kernelERKNSB_10TensorBaseESF_lENKUlvE_clEvENKUlvE0_clEvEUlffE_fEEDaPvRmT3_T4_T5_mT6_P12ihipStream_tbENKUlT_T0_E_clISt17integral_constantIbLb1EESV_IbLb0EEEEDaSR_SS_EUlSR_E0_NS1_11comp_targetILNS1_3genE9ELNS1_11target_archE1100ELNS1_3gpuE3ELNS1_3repE0EEENS1_30default_config_static_selectorELNS0_4arch9wavefront6targetE1EEEvT1_
		.amdhsa_group_segment_fixed_size 0
		.amdhsa_private_segment_fixed_size 0
		.amdhsa_kernarg_size 32
		.amdhsa_user_sgpr_count 2
		.amdhsa_user_sgpr_dispatch_ptr 0
		.amdhsa_user_sgpr_queue_ptr 0
		.amdhsa_user_sgpr_kernarg_segment_ptr 1
		.amdhsa_user_sgpr_dispatch_id 0
		.amdhsa_user_sgpr_kernarg_preload_length 0
		.amdhsa_user_sgpr_kernarg_preload_offset 0
		.amdhsa_user_sgpr_private_segment_size 0
		.amdhsa_uses_dynamic_stack 0
		.amdhsa_enable_private_segment 0
		.amdhsa_system_sgpr_workgroup_id_x 1
		.amdhsa_system_sgpr_workgroup_id_y 0
		.amdhsa_system_sgpr_workgroup_id_z 0
		.amdhsa_system_sgpr_workgroup_info 0
		.amdhsa_system_vgpr_workitem_id 0
		.amdhsa_next_free_vgpr 1
		.amdhsa_next_free_sgpr 0
		.amdhsa_accum_offset 4
		.amdhsa_reserve_vcc 0
		.amdhsa_float_round_mode_32 0
		.amdhsa_float_round_mode_16_64 0
		.amdhsa_float_denorm_mode_32 3
		.amdhsa_float_denorm_mode_16_64 3
		.amdhsa_dx10_clamp 1
		.amdhsa_ieee_mode 1
		.amdhsa_fp16_overflow 0
		.amdhsa_tg_split 0
		.amdhsa_exception_fp_ieee_invalid_op 0
		.amdhsa_exception_fp_denorm_src 0
		.amdhsa_exception_fp_ieee_div_zero 0
		.amdhsa_exception_fp_ieee_overflow 0
		.amdhsa_exception_fp_ieee_underflow 0
		.amdhsa_exception_fp_ieee_inexact 0
		.amdhsa_exception_int_div_zero 0
	.end_amdhsa_kernel
	.section	.text._ZN7rocprim17ROCPRIM_400000_NS6detail17trampoline_kernelINS0_14default_configENS1_20scan_config_selectorIfEEZZNS1_9scan_implILNS1_25lookback_scan_determinismE0ELb0ELb0ES3_PKfPffZZZN2at6native31launch_logcumsumexp_cuda_kernelERKNSB_10TensorBaseESF_lENKUlvE_clEvENKUlvE0_clEvEUlffE_fEEDaPvRmT3_T4_T5_mT6_P12ihipStream_tbENKUlT_T0_E_clISt17integral_constantIbLb1EESV_IbLb0EEEEDaSR_SS_EUlSR_E0_NS1_11comp_targetILNS1_3genE9ELNS1_11target_archE1100ELNS1_3gpuE3ELNS1_3repE0EEENS1_30default_config_static_selectorELNS0_4arch9wavefront6targetE1EEEvT1_,"axG",@progbits,_ZN7rocprim17ROCPRIM_400000_NS6detail17trampoline_kernelINS0_14default_configENS1_20scan_config_selectorIfEEZZNS1_9scan_implILNS1_25lookback_scan_determinismE0ELb0ELb0ES3_PKfPffZZZN2at6native31launch_logcumsumexp_cuda_kernelERKNSB_10TensorBaseESF_lENKUlvE_clEvENKUlvE0_clEvEUlffE_fEEDaPvRmT3_T4_T5_mT6_P12ihipStream_tbENKUlT_T0_E_clISt17integral_constantIbLb1EESV_IbLb0EEEEDaSR_SS_EUlSR_E0_NS1_11comp_targetILNS1_3genE9ELNS1_11target_archE1100ELNS1_3gpuE3ELNS1_3repE0EEENS1_30default_config_static_selectorELNS0_4arch9wavefront6targetE1EEEvT1_,comdat
.Lfunc_end150:
	.size	_ZN7rocprim17ROCPRIM_400000_NS6detail17trampoline_kernelINS0_14default_configENS1_20scan_config_selectorIfEEZZNS1_9scan_implILNS1_25lookback_scan_determinismE0ELb0ELb0ES3_PKfPffZZZN2at6native31launch_logcumsumexp_cuda_kernelERKNSB_10TensorBaseESF_lENKUlvE_clEvENKUlvE0_clEvEUlffE_fEEDaPvRmT3_T4_T5_mT6_P12ihipStream_tbENKUlT_T0_E_clISt17integral_constantIbLb1EESV_IbLb0EEEEDaSR_SS_EUlSR_E0_NS1_11comp_targetILNS1_3genE9ELNS1_11target_archE1100ELNS1_3gpuE3ELNS1_3repE0EEENS1_30default_config_static_selectorELNS0_4arch9wavefront6targetE1EEEvT1_, .Lfunc_end150-_ZN7rocprim17ROCPRIM_400000_NS6detail17trampoline_kernelINS0_14default_configENS1_20scan_config_selectorIfEEZZNS1_9scan_implILNS1_25lookback_scan_determinismE0ELb0ELb0ES3_PKfPffZZZN2at6native31launch_logcumsumexp_cuda_kernelERKNSB_10TensorBaseESF_lENKUlvE_clEvENKUlvE0_clEvEUlffE_fEEDaPvRmT3_T4_T5_mT6_P12ihipStream_tbENKUlT_T0_E_clISt17integral_constantIbLb1EESV_IbLb0EEEEDaSR_SS_EUlSR_E0_NS1_11comp_targetILNS1_3genE9ELNS1_11target_archE1100ELNS1_3gpuE3ELNS1_3repE0EEENS1_30default_config_static_selectorELNS0_4arch9wavefront6targetE1EEEvT1_
                                        ; -- End function
	.set _ZN7rocprim17ROCPRIM_400000_NS6detail17trampoline_kernelINS0_14default_configENS1_20scan_config_selectorIfEEZZNS1_9scan_implILNS1_25lookback_scan_determinismE0ELb0ELb0ES3_PKfPffZZZN2at6native31launch_logcumsumexp_cuda_kernelERKNSB_10TensorBaseESF_lENKUlvE_clEvENKUlvE0_clEvEUlffE_fEEDaPvRmT3_T4_T5_mT6_P12ihipStream_tbENKUlT_T0_E_clISt17integral_constantIbLb1EESV_IbLb0EEEEDaSR_SS_EUlSR_E0_NS1_11comp_targetILNS1_3genE9ELNS1_11target_archE1100ELNS1_3gpuE3ELNS1_3repE0EEENS1_30default_config_static_selectorELNS0_4arch9wavefront6targetE1EEEvT1_.num_vgpr, 0
	.set _ZN7rocprim17ROCPRIM_400000_NS6detail17trampoline_kernelINS0_14default_configENS1_20scan_config_selectorIfEEZZNS1_9scan_implILNS1_25lookback_scan_determinismE0ELb0ELb0ES3_PKfPffZZZN2at6native31launch_logcumsumexp_cuda_kernelERKNSB_10TensorBaseESF_lENKUlvE_clEvENKUlvE0_clEvEUlffE_fEEDaPvRmT3_T4_T5_mT6_P12ihipStream_tbENKUlT_T0_E_clISt17integral_constantIbLb1EESV_IbLb0EEEEDaSR_SS_EUlSR_E0_NS1_11comp_targetILNS1_3genE9ELNS1_11target_archE1100ELNS1_3gpuE3ELNS1_3repE0EEENS1_30default_config_static_selectorELNS0_4arch9wavefront6targetE1EEEvT1_.num_agpr, 0
	.set _ZN7rocprim17ROCPRIM_400000_NS6detail17trampoline_kernelINS0_14default_configENS1_20scan_config_selectorIfEEZZNS1_9scan_implILNS1_25lookback_scan_determinismE0ELb0ELb0ES3_PKfPffZZZN2at6native31launch_logcumsumexp_cuda_kernelERKNSB_10TensorBaseESF_lENKUlvE_clEvENKUlvE0_clEvEUlffE_fEEDaPvRmT3_T4_T5_mT6_P12ihipStream_tbENKUlT_T0_E_clISt17integral_constantIbLb1EESV_IbLb0EEEEDaSR_SS_EUlSR_E0_NS1_11comp_targetILNS1_3genE9ELNS1_11target_archE1100ELNS1_3gpuE3ELNS1_3repE0EEENS1_30default_config_static_selectorELNS0_4arch9wavefront6targetE1EEEvT1_.numbered_sgpr, 0
	.set _ZN7rocprim17ROCPRIM_400000_NS6detail17trampoline_kernelINS0_14default_configENS1_20scan_config_selectorIfEEZZNS1_9scan_implILNS1_25lookback_scan_determinismE0ELb0ELb0ES3_PKfPffZZZN2at6native31launch_logcumsumexp_cuda_kernelERKNSB_10TensorBaseESF_lENKUlvE_clEvENKUlvE0_clEvEUlffE_fEEDaPvRmT3_T4_T5_mT6_P12ihipStream_tbENKUlT_T0_E_clISt17integral_constantIbLb1EESV_IbLb0EEEEDaSR_SS_EUlSR_E0_NS1_11comp_targetILNS1_3genE9ELNS1_11target_archE1100ELNS1_3gpuE3ELNS1_3repE0EEENS1_30default_config_static_selectorELNS0_4arch9wavefront6targetE1EEEvT1_.num_named_barrier, 0
	.set _ZN7rocprim17ROCPRIM_400000_NS6detail17trampoline_kernelINS0_14default_configENS1_20scan_config_selectorIfEEZZNS1_9scan_implILNS1_25lookback_scan_determinismE0ELb0ELb0ES3_PKfPffZZZN2at6native31launch_logcumsumexp_cuda_kernelERKNSB_10TensorBaseESF_lENKUlvE_clEvENKUlvE0_clEvEUlffE_fEEDaPvRmT3_T4_T5_mT6_P12ihipStream_tbENKUlT_T0_E_clISt17integral_constantIbLb1EESV_IbLb0EEEEDaSR_SS_EUlSR_E0_NS1_11comp_targetILNS1_3genE9ELNS1_11target_archE1100ELNS1_3gpuE3ELNS1_3repE0EEENS1_30default_config_static_selectorELNS0_4arch9wavefront6targetE1EEEvT1_.private_seg_size, 0
	.set _ZN7rocprim17ROCPRIM_400000_NS6detail17trampoline_kernelINS0_14default_configENS1_20scan_config_selectorIfEEZZNS1_9scan_implILNS1_25lookback_scan_determinismE0ELb0ELb0ES3_PKfPffZZZN2at6native31launch_logcumsumexp_cuda_kernelERKNSB_10TensorBaseESF_lENKUlvE_clEvENKUlvE0_clEvEUlffE_fEEDaPvRmT3_T4_T5_mT6_P12ihipStream_tbENKUlT_T0_E_clISt17integral_constantIbLb1EESV_IbLb0EEEEDaSR_SS_EUlSR_E0_NS1_11comp_targetILNS1_3genE9ELNS1_11target_archE1100ELNS1_3gpuE3ELNS1_3repE0EEENS1_30default_config_static_selectorELNS0_4arch9wavefront6targetE1EEEvT1_.uses_vcc, 0
	.set _ZN7rocprim17ROCPRIM_400000_NS6detail17trampoline_kernelINS0_14default_configENS1_20scan_config_selectorIfEEZZNS1_9scan_implILNS1_25lookback_scan_determinismE0ELb0ELb0ES3_PKfPffZZZN2at6native31launch_logcumsumexp_cuda_kernelERKNSB_10TensorBaseESF_lENKUlvE_clEvENKUlvE0_clEvEUlffE_fEEDaPvRmT3_T4_T5_mT6_P12ihipStream_tbENKUlT_T0_E_clISt17integral_constantIbLb1EESV_IbLb0EEEEDaSR_SS_EUlSR_E0_NS1_11comp_targetILNS1_3genE9ELNS1_11target_archE1100ELNS1_3gpuE3ELNS1_3repE0EEENS1_30default_config_static_selectorELNS0_4arch9wavefront6targetE1EEEvT1_.uses_flat_scratch, 0
	.set _ZN7rocprim17ROCPRIM_400000_NS6detail17trampoline_kernelINS0_14default_configENS1_20scan_config_selectorIfEEZZNS1_9scan_implILNS1_25lookback_scan_determinismE0ELb0ELb0ES3_PKfPffZZZN2at6native31launch_logcumsumexp_cuda_kernelERKNSB_10TensorBaseESF_lENKUlvE_clEvENKUlvE0_clEvEUlffE_fEEDaPvRmT3_T4_T5_mT6_P12ihipStream_tbENKUlT_T0_E_clISt17integral_constantIbLb1EESV_IbLb0EEEEDaSR_SS_EUlSR_E0_NS1_11comp_targetILNS1_3genE9ELNS1_11target_archE1100ELNS1_3gpuE3ELNS1_3repE0EEENS1_30default_config_static_selectorELNS0_4arch9wavefront6targetE1EEEvT1_.has_dyn_sized_stack, 0
	.set _ZN7rocprim17ROCPRIM_400000_NS6detail17trampoline_kernelINS0_14default_configENS1_20scan_config_selectorIfEEZZNS1_9scan_implILNS1_25lookback_scan_determinismE0ELb0ELb0ES3_PKfPffZZZN2at6native31launch_logcumsumexp_cuda_kernelERKNSB_10TensorBaseESF_lENKUlvE_clEvENKUlvE0_clEvEUlffE_fEEDaPvRmT3_T4_T5_mT6_P12ihipStream_tbENKUlT_T0_E_clISt17integral_constantIbLb1EESV_IbLb0EEEEDaSR_SS_EUlSR_E0_NS1_11comp_targetILNS1_3genE9ELNS1_11target_archE1100ELNS1_3gpuE3ELNS1_3repE0EEENS1_30default_config_static_selectorELNS0_4arch9wavefront6targetE1EEEvT1_.has_recursion, 0
	.set _ZN7rocprim17ROCPRIM_400000_NS6detail17trampoline_kernelINS0_14default_configENS1_20scan_config_selectorIfEEZZNS1_9scan_implILNS1_25lookback_scan_determinismE0ELb0ELb0ES3_PKfPffZZZN2at6native31launch_logcumsumexp_cuda_kernelERKNSB_10TensorBaseESF_lENKUlvE_clEvENKUlvE0_clEvEUlffE_fEEDaPvRmT3_T4_T5_mT6_P12ihipStream_tbENKUlT_T0_E_clISt17integral_constantIbLb1EESV_IbLb0EEEEDaSR_SS_EUlSR_E0_NS1_11comp_targetILNS1_3genE9ELNS1_11target_archE1100ELNS1_3gpuE3ELNS1_3repE0EEENS1_30default_config_static_selectorELNS0_4arch9wavefront6targetE1EEEvT1_.has_indirect_call, 0
	.section	.AMDGPU.csdata,"",@progbits
; Kernel info:
; codeLenInByte = 0
; TotalNumSgprs: 6
; NumVgprs: 0
; NumAgprs: 0
; TotalNumVgprs: 0
; ScratchSize: 0
; MemoryBound: 0
; FloatMode: 240
; IeeeMode: 1
; LDSByteSize: 0 bytes/workgroup (compile time only)
; SGPRBlocks: 0
; VGPRBlocks: 0
; NumSGPRsForWavesPerEU: 6
; NumVGPRsForWavesPerEU: 1
; AccumOffset: 4
; Occupancy: 8
; WaveLimiterHint : 0
; COMPUTE_PGM_RSRC2:SCRATCH_EN: 0
; COMPUTE_PGM_RSRC2:USER_SGPR: 2
; COMPUTE_PGM_RSRC2:TRAP_HANDLER: 0
; COMPUTE_PGM_RSRC2:TGID_X_EN: 1
; COMPUTE_PGM_RSRC2:TGID_Y_EN: 0
; COMPUTE_PGM_RSRC2:TGID_Z_EN: 0
; COMPUTE_PGM_RSRC2:TIDIG_COMP_CNT: 0
; COMPUTE_PGM_RSRC3_GFX90A:ACCUM_OFFSET: 0
; COMPUTE_PGM_RSRC3_GFX90A:TG_SPLIT: 0
	.section	.text._ZN7rocprim17ROCPRIM_400000_NS6detail17trampoline_kernelINS0_14default_configENS1_20scan_config_selectorIfEEZZNS1_9scan_implILNS1_25lookback_scan_determinismE0ELb0ELb0ES3_PKfPffZZZN2at6native31launch_logcumsumexp_cuda_kernelERKNSB_10TensorBaseESF_lENKUlvE_clEvENKUlvE0_clEvEUlffE_fEEDaPvRmT3_T4_T5_mT6_P12ihipStream_tbENKUlT_T0_E_clISt17integral_constantIbLb1EESV_IbLb0EEEEDaSR_SS_EUlSR_E0_NS1_11comp_targetILNS1_3genE8ELNS1_11target_archE1030ELNS1_3gpuE2ELNS1_3repE0EEENS1_30default_config_static_selectorELNS0_4arch9wavefront6targetE1EEEvT1_,"axG",@progbits,_ZN7rocprim17ROCPRIM_400000_NS6detail17trampoline_kernelINS0_14default_configENS1_20scan_config_selectorIfEEZZNS1_9scan_implILNS1_25lookback_scan_determinismE0ELb0ELb0ES3_PKfPffZZZN2at6native31launch_logcumsumexp_cuda_kernelERKNSB_10TensorBaseESF_lENKUlvE_clEvENKUlvE0_clEvEUlffE_fEEDaPvRmT3_T4_T5_mT6_P12ihipStream_tbENKUlT_T0_E_clISt17integral_constantIbLb1EESV_IbLb0EEEEDaSR_SS_EUlSR_E0_NS1_11comp_targetILNS1_3genE8ELNS1_11target_archE1030ELNS1_3gpuE2ELNS1_3repE0EEENS1_30default_config_static_selectorELNS0_4arch9wavefront6targetE1EEEvT1_,comdat
	.globl	_ZN7rocprim17ROCPRIM_400000_NS6detail17trampoline_kernelINS0_14default_configENS1_20scan_config_selectorIfEEZZNS1_9scan_implILNS1_25lookback_scan_determinismE0ELb0ELb0ES3_PKfPffZZZN2at6native31launch_logcumsumexp_cuda_kernelERKNSB_10TensorBaseESF_lENKUlvE_clEvENKUlvE0_clEvEUlffE_fEEDaPvRmT3_T4_T5_mT6_P12ihipStream_tbENKUlT_T0_E_clISt17integral_constantIbLb1EESV_IbLb0EEEEDaSR_SS_EUlSR_E0_NS1_11comp_targetILNS1_3genE8ELNS1_11target_archE1030ELNS1_3gpuE2ELNS1_3repE0EEENS1_30default_config_static_selectorELNS0_4arch9wavefront6targetE1EEEvT1_ ; -- Begin function _ZN7rocprim17ROCPRIM_400000_NS6detail17trampoline_kernelINS0_14default_configENS1_20scan_config_selectorIfEEZZNS1_9scan_implILNS1_25lookback_scan_determinismE0ELb0ELb0ES3_PKfPffZZZN2at6native31launch_logcumsumexp_cuda_kernelERKNSB_10TensorBaseESF_lENKUlvE_clEvENKUlvE0_clEvEUlffE_fEEDaPvRmT3_T4_T5_mT6_P12ihipStream_tbENKUlT_T0_E_clISt17integral_constantIbLb1EESV_IbLb0EEEEDaSR_SS_EUlSR_E0_NS1_11comp_targetILNS1_3genE8ELNS1_11target_archE1030ELNS1_3gpuE2ELNS1_3repE0EEENS1_30default_config_static_selectorELNS0_4arch9wavefront6targetE1EEEvT1_
	.p2align	8
	.type	_ZN7rocprim17ROCPRIM_400000_NS6detail17trampoline_kernelINS0_14default_configENS1_20scan_config_selectorIfEEZZNS1_9scan_implILNS1_25lookback_scan_determinismE0ELb0ELb0ES3_PKfPffZZZN2at6native31launch_logcumsumexp_cuda_kernelERKNSB_10TensorBaseESF_lENKUlvE_clEvENKUlvE0_clEvEUlffE_fEEDaPvRmT3_T4_T5_mT6_P12ihipStream_tbENKUlT_T0_E_clISt17integral_constantIbLb1EESV_IbLb0EEEEDaSR_SS_EUlSR_E0_NS1_11comp_targetILNS1_3genE8ELNS1_11target_archE1030ELNS1_3gpuE2ELNS1_3repE0EEENS1_30default_config_static_selectorELNS0_4arch9wavefront6targetE1EEEvT1_,@function
_ZN7rocprim17ROCPRIM_400000_NS6detail17trampoline_kernelINS0_14default_configENS1_20scan_config_selectorIfEEZZNS1_9scan_implILNS1_25lookback_scan_determinismE0ELb0ELb0ES3_PKfPffZZZN2at6native31launch_logcumsumexp_cuda_kernelERKNSB_10TensorBaseESF_lENKUlvE_clEvENKUlvE0_clEvEUlffE_fEEDaPvRmT3_T4_T5_mT6_P12ihipStream_tbENKUlT_T0_E_clISt17integral_constantIbLb1EESV_IbLb0EEEEDaSR_SS_EUlSR_E0_NS1_11comp_targetILNS1_3genE8ELNS1_11target_archE1030ELNS1_3gpuE2ELNS1_3repE0EEENS1_30default_config_static_selectorELNS0_4arch9wavefront6targetE1EEEvT1_: ; @_ZN7rocprim17ROCPRIM_400000_NS6detail17trampoline_kernelINS0_14default_configENS1_20scan_config_selectorIfEEZZNS1_9scan_implILNS1_25lookback_scan_determinismE0ELb0ELb0ES3_PKfPffZZZN2at6native31launch_logcumsumexp_cuda_kernelERKNSB_10TensorBaseESF_lENKUlvE_clEvENKUlvE0_clEvEUlffE_fEEDaPvRmT3_T4_T5_mT6_P12ihipStream_tbENKUlT_T0_E_clISt17integral_constantIbLb1EESV_IbLb0EEEEDaSR_SS_EUlSR_E0_NS1_11comp_targetILNS1_3genE8ELNS1_11target_archE1030ELNS1_3gpuE2ELNS1_3repE0EEENS1_30default_config_static_selectorELNS0_4arch9wavefront6targetE1EEEvT1_
; %bb.0:
	.section	.rodata,"a",@progbits
	.p2align	6, 0x0
	.amdhsa_kernel _ZN7rocprim17ROCPRIM_400000_NS6detail17trampoline_kernelINS0_14default_configENS1_20scan_config_selectorIfEEZZNS1_9scan_implILNS1_25lookback_scan_determinismE0ELb0ELb0ES3_PKfPffZZZN2at6native31launch_logcumsumexp_cuda_kernelERKNSB_10TensorBaseESF_lENKUlvE_clEvENKUlvE0_clEvEUlffE_fEEDaPvRmT3_T4_T5_mT6_P12ihipStream_tbENKUlT_T0_E_clISt17integral_constantIbLb1EESV_IbLb0EEEEDaSR_SS_EUlSR_E0_NS1_11comp_targetILNS1_3genE8ELNS1_11target_archE1030ELNS1_3gpuE2ELNS1_3repE0EEENS1_30default_config_static_selectorELNS0_4arch9wavefront6targetE1EEEvT1_
		.amdhsa_group_segment_fixed_size 0
		.amdhsa_private_segment_fixed_size 0
		.amdhsa_kernarg_size 32
		.amdhsa_user_sgpr_count 2
		.amdhsa_user_sgpr_dispatch_ptr 0
		.amdhsa_user_sgpr_queue_ptr 0
		.amdhsa_user_sgpr_kernarg_segment_ptr 1
		.amdhsa_user_sgpr_dispatch_id 0
		.amdhsa_user_sgpr_kernarg_preload_length 0
		.amdhsa_user_sgpr_kernarg_preload_offset 0
		.amdhsa_user_sgpr_private_segment_size 0
		.amdhsa_uses_dynamic_stack 0
		.amdhsa_enable_private_segment 0
		.amdhsa_system_sgpr_workgroup_id_x 1
		.amdhsa_system_sgpr_workgroup_id_y 0
		.amdhsa_system_sgpr_workgroup_id_z 0
		.amdhsa_system_sgpr_workgroup_info 0
		.amdhsa_system_vgpr_workitem_id 0
		.amdhsa_next_free_vgpr 1
		.amdhsa_next_free_sgpr 0
		.amdhsa_accum_offset 4
		.amdhsa_reserve_vcc 0
		.amdhsa_float_round_mode_32 0
		.amdhsa_float_round_mode_16_64 0
		.amdhsa_float_denorm_mode_32 3
		.amdhsa_float_denorm_mode_16_64 3
		.amdhsa_dx10_clamp 1
		.amdhsa_ieee_mode 1
		.amdhsa_fp16_overflow 0
		.amdhsa_tg_split 0
		.amdhsa_exception_fp_ieee_invalid_op 0
		.amdhsa_exception_fp_denorm_src 0
		.amdhsa_exception_fp_ieee_div_zero 0
		.amdhsa_exception_fp_ieee_overflow 0
		.amdhsa_exception_fp_ieee_underflow 0
		.amdhsa_exception_fp_ieee_inexact 0
		.amdhsa_exception_int_div_zero 0
	.end_amdhsa_kernel
	.section	.text._ZN7rocprim17ROCPRIM_400000_NS6detail17trampoline_kernelINS0_14default_configENS1_20scan_config_selectorIfEEZZNS1_9scan_implILNS1_25lookback_scan_determinismE0ELb0ELb0ES3_PKfPffZZZN2at6native31launch_logcumsumexp_cuda_kernelERKNSB_10TensorBaseESF_lENKUlvE_clEvENKUlvE0_clEvEUlffE_fEEDaPvRmT3_T4_T5_mT6_P12ihipStream_tbENKUlT_T0_E_clISt17integral_constantIbLb1EESV_IbLb0EEEEDaSR_SS_EUlSR_E0_NS1_11comp_targetILNS1_3genE8ELNS1_11target_archE1030ELNS1_3gpuE2ELNS1_3repE0EEENS1_30default_config_static_selectorELNS0_4arch9wavefront6targetE1EEEvT1_,"axG",@progbits,_ZN7rocprim17ROCPRIM_400000_NS6detail17trampoline_kernelINS0_14default_configENS1_20scan_config_selectorIfEEZZNS1_9scan_implILNS1_25lookback_scan_determinismE0ELb0ELb0ES3_PKfPffZZZN2at6native31launch_logcumsumexp_cuda_kernelERKNSB_10TensorBaseESF_lENKUlvE_clEvENKUlvE0_clEvEUlffE_fEEDaPvRmT3_T4_T5_mT6_P12ihipStream_tbENKUlT_T0_E_clISt17integral_constantIbLb1EESV_IbLb0EEEEDaSR_SS_EUlSR_E0_NS1_11comp_targetILNS1_3genE8ELNS1_11target_archE1030ELNS1_3gpuE2ELNS1_3repE0EEENS1_30default_config_static_selectorELNS0_4arch9wavefront6targetE1EEEvT1_,comdat
.Lfunc_end151:
	.size	_ZN7rocprim17ROCPRIM_400000_NS6detail17trampoline_kernelINS0_14default_configENS1_20scan_config_selectorIfEEZZNS1_9scan_implILNS1_25lookback_scan_determinismE0ELb0ELb0ES3_PKfPffZZZN2at6native31launch_logcumsumexp_cuda_kernelERKNSB_10TensorBaseESF_lENKUlvE_clEvENKUlvE0_clEvEUlffE_fEEDaPvRmT3_T4_T5_mT6_P12ihipStream_tbENKUlT_T0_E_clISt17integral_constantIbLb1EESV_IbLb0EEEEDaSR_SS_EUlSR_E0_NS1_11comp_targetILNS1_3genE8ELNS1_11target_archE1030ELNS1_3gpuE2ELNS1_3repE0EEENS1_30default_config_static_selectorELNS0_4arch9wavefront6targetE1EEEvT1_, .Lfunc_end151-_ZN7rocprim17ROCPRIM_400000_NS6detail17trampoline_kernelINS0_14default_configENS1_20scan_config_selectorIfEEZZNS1_9scan_implILNS1_25lookback_scan_determinismE0ELb0ELb0ES3_PKfPffZZZN2at6native31launch_logcumsumexp_cuda_kernelERKNSB_10TensorBaseESF_lENKUlvE_clEvENKUlvE0_clEvEUlffE_fEEDaPvRmT3_T4_T5_mT6_P12ihipStream_tbENKUlT_T0_E_clISt17integral_constantIbLb1EESV_IbLb0EEEEDaSR_SS_EUlSR_E0_NS1_11comp_targetILNS1_3genE8ELNS1_11target_archE1030ELNS1_3gpuE2ELNS1_3repE0EEENS1_30default_config_static_selectorELNS0_4arch9wavefront6targetE1EEEvT1_
                                        ; -- End function
	.set _ZN7rocprim17ROCPRIM_400000_NS6detail17trampoline_kernelINS0_14default_configENS1_20scan_config_selectorIfEEZZNS1_9scan_implILNS1_25lookback_scan_determinismE0ELb0ELb0ES3_PKfPffZZZN2at6native31launch_logcumsumexp_cuda_kernelERKNSB_10TensorBaseESF_lENKUlvE_clEvENKUlvE0_clEvEUlffE_fEEDaPvRmT3_T4_T5_mT6_P12ihipStream_tbENKUlT_T0_E_clISt17integral_constantIbLb1EESV_IbLb0EEEEDaSR_SS_EUlSR_E0_NS1_11comp_targetILNS1_3genE8ELNS1_11target_archE1030ELNS1_3gpuE2ELNS1_3repE0EEENS1_30default_config_static_selectorELNS0_4arch9wavefront6targetE1EEEvT1_.num_vgpr, 0
	.set _ZN7rocprim17ROCPRIM_400000_NS6detail17trampoline_kernelINS0_14default_configENS1_20scan_config_selectorIfEEZZNS1_9scan_implILNS1_25lookback_scan_determinismE0ELb0ELb0ES3_PKfPffZZZN2at6native31launch_logcumsumexp_cuda_kernelERKNSB_10TensorBaseESF_lENKUlvE_clEvENKUlvE0_clEvEUlffE_fEEDaPvRmT3_T4_T5_mT6_P12ihipStream_tbENKUlT_T0_E_clISt17integral_constantIbLb1EESV_IbLb0EEEEDaSR_SS_EUlSR_E0_NS1_11comp_targetILNS1_3genE8ELNS1_11target_archE1030ELNS1_3gpuE2ELNS1_3repE0EEENS1_30default_config_static_selectorELNS0_4arch9wavefront6targetE1EEEvT1_.num_agpr, 0
	.set _ZN7rocprim17ROCPRIM_400000_NS6detail17trampoline_kernelINS0_14default_configENS1_20scan_config_selectorIfEEZZNS1_9scan_implILNS1_25lookback_scan_determinismE0ELb0ELb0ES3_PKfPffZZZN2at6native31launch_logcumsumexp_cuda_kernelERKNSB_10TensorBaseESF_lENKUlvE_clEvENKUlvE0_clEvEUlffE_fEEDaPvRmT3_T4_T5_mT6_P12ihipStream_tbENKUlT_T0_E_clISt17integral_constantIbLb1EESV_IbLb0EEEEDaSR_SS_EUlSR_E0_NS1_11comp_targetILNS1_3genE8ELNS1_11target_archE1030ELNS1_3gpuE2ELNS1_3repE0EEENS1_30default_config_static_selectorELNS0_4arch9wavefront6targetE1EEEvT1_.numbered_sgpr, 0
	.set _ZN7rocprim17ROCPRIM_400000_NS6detail17trampoline_kernelINS0_14default_configENS1_20scan_config_selectorIfEEZZNS1_9scan_implILNS1_25lookback_scan_determinismE0ELb0ELb0ES3_PKfPffZZZN2at6native31launch_logcumsumexp_cuda_kernelERKNSB_10TensorBaseESF_lENKUlvE_clEvENKUlvE0_clEvEUlffE_fEEDaPvRmT3_T4_T5_mT6_P12ihipStream_tbENKUlT_T0_E_clISt17integral_constantIbLb1EESV_IbLb0EEEEDaSR_SS_EUlSR_E0_NS1_11comp_targetILNS1_3genE8ELNS1_11target_archE1030ELNS1_3gpuE2ELNS1_3repE0EEENS1_30default_config_static_selectorELNS0_4arch9wavefront6targetE1EEEvT1_.num_named_barrier, 0
	.set _ZN7rocprim17ROCPRIM_400000_NS6detail17trampoline_kernelINS0_14default_configENS1_20scan_config_selectorIfEEZZNS1_9scan_implILNS1_25lookback_scan_determinismE0ELb0ELb0ES3_PKfPffZZZN2at6native31launch_logcumsumexp_cuda_kernelERKNSB_10TensorBaseESF_lENKUlvE_clEvENKUlvE0_clEvEUlffE_fEEDaPvRmT3_T4_T5_mT6_P12ihipStream_tbENKUlT_T0_E_clISt17integral_constantIbLb1EESV_IbLb0EEEEDaSR_SS_EUlSR_E0_NS1_11comp_targetILNS1_3genE8ELNS1_11target_archE1030ELNS1_3gpuE2ELNS1_3repE0EEENS1_30default_config_static_selectorELNS0_4arch9wavefront6targetE1EEEvT1_.private_seg_size, 0
	.set _ZN7rocprim17ROCPRIM_400000_NS6detail17trampoline_kernelINS0_14default_configENS1_20scan_config_selectorIfEEZZNS1_9scan_implILNS1_25lookback_scan_determinismE0ELb0ELb0ES3_PKfPffZZZN2at6native31launch_logcumsumexp_cuda_kernelERKNSB_10TensorBaseESF_lENKUlvE_clEvENKUlvE0_clEvEUlffE_fEEDaPvRmT3_T4_T5_mT6_P12ihipStream_tbENKUlT_T0_E_clISt17integral_constantIbLb1EESV_IbLb0EEEEDaSR_SS_EUlSR_E0_NS1_11comp_targetILNS1_3genE8ELNS1_11target_archE1030ELNS1_3gpuE2ELNS1_3repE0EEENS1_30default_config_static_selectorELNS0_4arch9wavefront6targetE1EEEvT1_.uses_vcc, 0
	.set _ZN7rocprim17ROCPRIM_400000_NS6detail17trampoline_kernelINS0_14default_configENS1_20scan_config_selectorIfEEZZNS1_9scan_implILNS1_25lookback_scan_determinismE0ELb0ELb0ES3_PKfPffZZZN2at6native31launch_logcumsumexp_cuda_kernelERKNSB_10TensorBaseESF_lENKUlvE_clEvENKUlvE0_clEvEUlffE_fEEDaPvRmT3_T4_T5_mT6_P12ihipStream_tbENKUlT_T0_E_clISt17integral_constantIbLb1EESV_IbLb0EEEEDaSR_SS_EUlSR_E0_NS1_11comp_targetILNS1_3genE8ELNS1_11target_archE1030ELNS1_3gpuE2ELNS1_3repE0EEENS1_30default_config_static_selectorELNS0_4arch9wavefront6targetE1EEEvT1_.uses_flat_scratch, 0
	.set _ZN7rocprim17ROCPRIM_400000_NS6detail17trampoline_kernelINS0_14default_configENS1_20scan_config_selectorIfEEZZNS1_9scan_implILNS1_25lookback_scan_determinismE0ELb0ELb0ES3_PKfPffZZZN2at6native31launch_logcumsumexp_cuda_kernelERKNSB_10TensorBaseESF_lENKUlvE_clEvENKUlvE0_clEvEUlffE_fEEDaPvRmT3_T4_T5_mT6_P12ihipStream_tbENKUlT_T0_E_clISt17integral_constantIbLb1EESV_IbLb0EEEEDaSR_SS_EUlSR_E0_NS1_11comp_targetILNS1_3genE8ELNS1_11target_archE1030ELNS1_3gpuE2ELNS1_3repE0EEENS1_30default_config_static_selectorELNS0_4arch9wavefront6targetE1EEEvT1_.has_dyn_sized_stack, 0
	.set _ZN7rocprim17ROCPRIM_400000_NS6detail17trampoline_kernelINS0_14default_configENS1_20scan_config_selectorIfEEZZNS1_9scan_implILNS1_25lookback_scan_determinismE0ELb0ELb0ES3_PKfPffZZZN2at6native31launch_logcumsumexp_cuda_kernelERKNSB_10TensorBaseESF_lENKUlvE_clEvENKUlvE0_clEvEUlffE_fEEDaPvRmT3_T4_T5_mT6_P12ihipStream_tbENKUlT_T0_E_clISt17integral_constantIbLb1EESV_IbLb0EEEEDaSR_SS_EUlSR_E0_NS1_11comp_targetILNS1_3genE8ELNS1_11target_archE1030ELNS1_3gpuE2ELNS1_3repE0EEENS1_30default_config_static_selectorELNS0_4arch9wavefront6targetE1EEEvT1_.has_recursion, 0
	.set _ZN7rocprim17ROCPRIM_400000_NS6detail17trampoline_kernelINS0_14default_configENS1_20scan_config_selectorIfEEZZNS1_9scan_implILNS1_25lookback_scan_determinismE0ELb0ELb0ES3_PKfPffZZZN2at6native31launch_logcumsumexp_cuda_kernelERKNSB_10TensorBaseESF_lENKUlvE_clEvENKUlvE0_clEvEUlffE_fEEDaPvRmT3_T4_T5_mT6_P12ihipStream_tbENKUlT_T0_E_clISt17integral_constantIbLb1EESV_IbLb0EEEEDaSR_SS_EUlSR_E0_NS1_11comp_targetILNS1_3genE8ELNS1_11target_archE1030ELNS1_3gpuE2ELNS1_3repE0EEENS1_30default_config_static_selectorELNS0_4arch9wavefront6targetE1EEEvT1_.has_indirect_call, 0
	.section	.AMDGPU.csdata,"",@progbits
; Kernel info:
; codeLenInByte = 0
; TotalNumSgprs: 6
; NumVgprs: 0
; NumAgprs: 0
; TotalNumVgprs: 0
; ScratchSize: 0
; MemoryBound: 0
; FloatMode: 240
; IeeeMode: 1
; LDSByteSize: 0 bytes/workgroup (compile time only)
; SGPRBlocks: 0
; VGPRBlocks: 0
; NumSGPRsForWavesPerEU: 6
; NumVGPRsForWavesPerEU: 1
; AccumOffset: 4
; Occupancy: 8
; WaveLimiterHint : 0
; COMPUTE_PGM_RSRC2:SCRATCH_EN: 0
; COMPUTE_PGM_RSRC2:USER_SGPR: 2
; COMPUTE_PGM_RSRC2:TRAP_HANDLER: 0
; COMPUTE_PGM_RSRC2:TGID_X_EN: 1
; COMPUTE_PGM_RSRC2:TGID_Y_EN: 0
; COMPUTE_PGM_RSRC2:TGID_Z_EN: 0
; COMPUTE_PGM_RSRC2:TIDIG_COMP_CNT: 0
; COMPUTE_PGM_RSRC3_GFX90A:ACCUM_OFFSET: 0
; COMPUTE_PGM_RSRC3_GFX90A:TG_SPLIT: 0
	.section	.text._ZN7rocprim17ROCPRIM_400000_NS6detail31init_lookback_scan_state_kernelINS1_19lookback_scan_stateIfLb0ELb1EEENS1_16block_id_wrapperIjLb1EEEEEvT_jT0_jPNS7_10value_typeE,"axG",@progbits,_ZN7rocprim17ROCPRIM_400000_NS6detail31init_lookback_scan_state_kernelINS1_19lookback_scan_stateIfLb0ELb1EEENS1_16block_id_wrapperIjLb1EEEEEvT_jT0_jPNS7_10value_typeE,comdat
	.protected	_ZN7rocprim17ROCPRIM_400000_NS6detail31init_lookback_scan_state_kernelINS1_19lookback_scan_stateIfLb0ELb1EEENS1_16block_id_wrapperIjLb1EEEEEvT_jT0_jPNS7_10value_typeE ; -- Begin function _ZN7rocprim17ROCPRIM_400000_NS6detail31init_lookback_scan_state_kernelINS1_19lookback_scan_stateIfLb0ELb1EEENS1_16block_id_wrapperIjLb1EEEEEvT_jT0_jPNS7_10value_typeE
	.globl	_ZN7rocprim17ROCPRIM_400000_NS6detail31init_lookback_scan_state_kernelINS1_19lookback_scan_stateIfLb0ELb1EEENS1_16block_id_wrapperIjLb1EEEEEvT_jT0_jPNS7_10value_typeE
	.p2align	8
	.type	_ZN7rocprim17ROCPRIM_400000_NS6detail31init_lookback_scan_state_kernelINS1_19lookback_scan_stateIfLb0ELb1EEENS1_16block_id_wrapperIjLb1EEEEEvT_jT0_jPNS7_10value_typeE,@function
_ZN7rocprim17ROCPRIM_400000_NS6detail31init_lookback_scan_state_kernelINS1_19lookback_scan_stateIfLb0ELb1EEENS1_16block_id_wrapperIjLb1EEEEEvT_jT0_jPNS7_10value_typeE: ; @_ZN7rocprim17ROCPRIM_400000_NS6detail31init_lookback_scan_state_kernelINS1_19lookback_scan_stateIfLb0ELb1EEENS1_16block_id_wrapperIjLb1EEEEEvT_jT0_jPNS7_10value_typeE
; %bb.0:
	s_load_dword s3, s[0:1], 0x34
	s_load_dwordx2 s[6:7], s[0:1], 0x20
	s_load_dwordx2 s[4:5], s[0:1], 0x0
	s_load_dword s10, s[0:1], 0x8
	s_waitcnt lgkmcnt(0)
	s_and_b32 s3, s3, 0xffff
	s_mul_i32 s2, s2, s3
	s_cmp_eq_u64 s[6:7], 0
	v_add_u32_e32 v0, s2, v0
	s_cbranch_scc1 .LBB152_6
; %bb.1:
	s_load_dword s8, s[0:1], 0x18
	s_mov_b32 s9, 0
	s_waitcnt lgkmcnt(0)
	s_cmp_lt_u32 s8, s10
	s_cselect_b32 s2, s8, 0
	v_cmp_eq_u32_e32 vcc, s2, v0
	s_and_saveexec_b64 s[2:3], vcc
	s_cbranch_execz .LBB152_5
; %bb.2:
	s_add_i32 s8, s8, 64
	s_lshl_b64 s[8:9], s[8:9], 3
	s_add_u32 s8, s4, s8
	s_addc_u32 s9, s5, s9
	v_mov_b32_e32 v4, 0
	global_load_dwordx2 v[2:3], v4, s[8:9] sc1
	s_waitcnt vmcnt(0)
	v_and_b32_e32 v5, 0xff, v3
	v_cmp_ne_u64_e32 vcc, 0, v[4:5]
	s_cbranch_vccnz .LBB152_4
.LBB152_3:                              ; =>This Inner Loop Header: Depth=1
	global_load_dwordx2 v[2:3], v4, s[8:9] sc1
	s_waitcnt vmcnt(0)
	v_and_b32_e32 v5, 0xff, v3
	v_cmp_eq_u64_e32 vcc, 0, v[4:5]
	s_cbranch_vccnz .LBB152_3
.LBB152_4:
	v_mov_b32_e32 v1, 0
	global_store_dword v1, v2, s[6:7]
.LBB152_5:
	s_or_b64 exec, exec, s[2:3]
.LBB152_6:
	v_cmp_eq_u32_e32 vcc, 0, v0
	s_and_saveexec_b64 s[2:3], vcc
	s_cbranch_execnz .LBB152_10
; %bb.7:
	s_or_b64 exec, exec, s[2:3]
	v_cmp_gt_u32_e32 vcc, s10, v0
	s_and_saveexec_b64 s[0:1], vcc
	s_cbranch_execnz .LBB152_11
.LBB152_8:
	s_or_b64 exec, exec, s[0:1]
	v_cmp_gt_u32_e32 vcc, 64, v0
	s_and_saveexec_b64 s[0:1], vcc
	s_cbranch_execnz .LBB152_12
.LBB152_9:
	s_endpgm
.LBB152_10:
	s_load_dwordx2 s[0:1], s[0:1], 0x10
	v_mov_b32_e32 v1, 0
	s_waitcnt lgkmcnt(0)
	global_store_dword v1, v1, s[0:1]
	s_or_b64 exec, exec, s[2:3]
	v_cmp_gt_u32_e32 vcc, s10, v0
	s_and_saveexec_b64 s[0:1], vcc
	s_cbranch_execz .LBB152_8
.LBB152_11:
	v_add_u32_e32 v2, 64, v0
	v_mov_b32_e32 v3, 0
	v_lshl_add_u64 v[4:5], v[2:3], 3, s[4:5]
	v_mov_b32_e32 v2, v3
	global_store_dwordx2 v[4:5], v[2:3], off
	s_or_b64 exec, exec, s[0:1]
	v_cmp_gt_u32_e32 vcc, 64, v0
	s_and_saveexec_b64 s[0:1], vcc
	s_cbranch_execz .LBB152_9
.LBB152_12:
	v_mov_b32_e32 v1, 0
	v_lshl_add_u64 v[2:3], v[0:1], 3, s[4:5]
	v_mov_b32_e32 v5, 0xff
	v_mov_b32_e32 v4, v1
	global_store_dwordx2 v[2:3], v[4:5], off
	s_endpgm
	.section	.rodata,"a",@progbits
	.p2align	6, 0x0
	.amdhsa_kernel _ZN7rocprim17ROCPRIM_400000_NS6detail31init_lookback_scan_state_kernelINS1_19lookback_scan_stateIfLb0ELb1EEENS1_16block_id_wrapperIjLb1EEEEEvT_jT0_jPNS7_10value_typeE
		.amdhsa_group_segment_fixed_size 0
		.amdhsa_private_segment_fixed_size 0
		.amdhsa_kernarg_size 296
		.amdhsa_user_sgpr_count 2
		.amdhsa_user_sgpr_dispatch_ptr 0
		.amdhsa_user_sgpr_queue_ptr 0
		.amdhsa_user_sgpr_kernarg_segment_ptr 1
		.amdhsa_user_sgpr_dispatch_id 0
		.amdhsa_user_sgpr_kernarg_preload_length 0
		.amdhsa_user_sgpr_kernarg_preload_offset 0
		.amdhsa_user_sgpr_private_segment_size 0
		.amdhsa_uses_dynamic_stack 0
		.amdhsa_enable_private_segment 0
		.amdhsa_system_sgpr_workgroup_id_x 1
		.amdhsa_system_sgpr_workgroup_id_y 0
		.amdhsa_system_sgpr_workgroup_id_z 0
		.amdhsa_system_sgpr_workgroup_info 0
		.amdhsa_system_vgpr_workitem_id 0
		.amdhsa_next_free_vgpr 6
		.amdhsa_next_free_sgpr 11
		.amdhsa_accum_offset 8
		.amdhsa_reserve_vcc 1
		.amdhsa_float_round_mode_32 0
		.amdhsa_float_round_mode_16_64 0
		.amdhsa_float_denorm_mode_32 3
		.amdhsa_float_denorm_mode_16_64 3
		.amdhsa_dx10_clamp 1
		.amdhsa_ieee_mode 1
		.amdhsa_fp16_overflow 0
		.amdhsa_tg_split 0
		.amdhsa_exception_fp_ieee_invalid_op 0
		.amdhsa_exception_fp_denorm_src 0
		.amdhsa_exception_fp_ieee_div_zero 0
		.amdhsa_exception_fp_ieee_overflow 0
		.amdhsa_exception_fp_ieee_underflow 0
		.amdhsa_exception_fp_ieee_inexact 0
		.amdhsa_exception_int_div_zero 0
	.end_amdhsa_kernel
	.section	.text._ZN7rocprim17ROCPRIM_400000_NS6detail31init_lookback_scan_state_kernelINS1_19lookback_scan_stateIfLb0ELb1EEENS1_16block_id_wrapperIjLb1EEEEEvT_jT0_jPNS7_10value_typeE,"axG",@progbits,_ZN7rocprim17ROCPRIM_400000_NS6detail31init_lookback_scan_state_kernelINS1_19lookback_scan_stateIfLb0ELb1EEENS1_16block_id_wrapperIjLb1EEEEEvT_jT0_jPNS7_10value_typeE,comdat
.Lfunc_end152:
	.size	_ZN7rocprim17ROCPRIM_400000_NS6detail31init_lookback_scan_state_kernelINS1_19lookback_scan_stateIfLb0ELb1EEENS1_16block_id_wrapperIjLb1EEEEEvT_jT0_jPNS7_10value_typeE, .Lfunc_end152-_ZN7rocprim17ROCPRIM_400000_NS6detail31init_lookback_scan_state_kernelINS1_19lookback_scan_stateIfLb0ELb1EEENS1_16block_id_wrapperIjLb1EEEEEvT_jT0_jPNS7_10value_typeE
                                        ; -- End function
	.set _ZN7rocprim17ROCPRIM_400000_NS6detail31init_lookback_scan_state_kernelINS1_19lookback_scan_stateIfLb0ELb1EEENS1_16block_id_wrapperIjLb1EEEEEvT_jT0_jPNS7_10value_typeE.num_vgpr, 6
	.set _ZN7rocprim17ROCPRIM_400000_NS6detail31init_lookback_scan_state_kernelINS1_19lookback_scan_stateIfLb0ELb1EEENS1_16block_id_wrapperIjLb1EEEEEvT_jT0_jPNS7_10value_typeE.num_agpr, 0
	.set _ZN7rocprim17ROCPRIM_400000_NS6detail31init_lookback_scan_state_kernelINS1_19lookback_scan_stateIfLb0ELb1EEENS1_16block_id_wrapperIjLb1EEEEEvT_jT0_jPNS7_10value_typeE.numbered_sgpr, 11
	.set _ZN7rocprim17ROCPRIM_400000_NS6detail31init_lookback_scan_state_kernelINS1_19lookback_scan_stateIfLb0ELb1EEENS1_16block_id_wrapperIjLb1EEEEEvT_jT0_jPNS7_10value_typeE.num_named_barrier, 0
	.set _ZN7rocprim17ROCPRIM_400000_NS6detail31init_lookback_scan_state_kernelINS1_19lookback_scan_stateIfLb0ELb1EEENS1_16block_id_wrapperIjLb1EEEEEvT_jT0_jPNS7_10value_typeE.private_seg_size, 0
	.set _ZN7rocprim17ROCPRIM_400000_NS6detail31init_lookback_scan_state_kernelINS1_19lookback_scan_stateIfLb0ELb1EEENS1_16block_id_wrapperIjLb1EEEEEvT_jT0_jPNS7_10value_typeE.uses_vcc, 1
	.set _ZN7rocprim17ROCPRIM_400000_NS6detail31init_lookback_scan_state_kernelINS1_19lookback_scan_stateIfLb0ELb1EEENS1_16block_id_wrapperIjLb1EEEEEvT_jT0_jPNS7_10value_typeE.uses_flat_scratch, 0
	.set _ZN7rocprim17ROCPRIM_400000_NS6detail31init_lookback_scan_state_kernelINS1_19lookback_scan_stateIfLb0ELb1EEENS1_16block_id_wrapperIjLb1EEEEEvT_jT0_jPNS7_10value_typeE.has_dyn_sized_stack, 0
	.set _ZN7rocprim17ROCPRIM_400000_NS6detail31init_lookback_scan_state_kernelINS1_19lookback_scan_stateIfLb0ELb1EEENS1_16block_id_wrapperIjLb1EEEEEvT_jT0_jPNS7_10value_typeE.has_recursion, 0
	.set _ZN7rocprim17ROCPRIM_400000_NS6detail31init_lookback_scan_state_kernelINS1_19lookback_scan_stateIfLb0ELb1EEENS1_16block_id_wrapperIjLb1EEEEEvT_jT0_jPNS7_10value_typeE.has_indirect_call, 0
	.section	.AMDGPU.csdata,"",@progbits
; Kernel info:
; codeLenInByte = 356
; TotalNumSgprs: 17
; NumVgprs: 6
; NumAgprs: 0
; TotalNumVgprs: 6
; ScratchSize: 0
; MemoryBound: 0
; FloatMode: 240
; IeeeMode: 1
; LDSByteSize: 0 bytes/workgroup (compile time only)
; SGPRBlocks: 2
; VGPRBlocks: 0
; NumSGPRsForWavesPerEU: 17
; NumVGPRsForWavesPerEU: 6
; AccumOffset: 8
; Occupancy: 8
; WaveLimiterHint : 0
; COMPUTE_PGM_RSRC2:SCRATCH_EN: 0
; COMPUTE_PGM_RSRC2:USER_SGPR: 2
; COMPUTE_PGM_RSRC2:TRAP_HANDLER: 0
; COMPUTE_PGM_RSRC2:TGID_X_EN: 1
; COMPUTE_PGM_RSRC2:TGID_Y_EN: 0
; COMPUTE_PGM_RSRC2:TGID_Z_EN: 0
; COMPUTE_PGM_RSRC2:TIDIG_COMP_CNT: 0
; COMPUTE_PGM_RSRC3_GFX90A:ACCUM_OFFSET: 1
; COMPUTE_PGM_RSRC3_GFX90A:TG_SPLIT: 0
	.section	.text._ZN7rocprim17ROCPRIM_400000_NS6detail17trampoline_kernelINS0_14default_configENS1_20scan_config_selectorIfEEZZNS1_9scan_implILNS1_25lookback_scan_determinismE0ELb0ELb0ES3_PKfPffZZZN2at6native31launch_logcumsumexp_cuda_kernelERKNSB_10TensorBaseESF_lENKUlvE_clEvENKUlvE0_clEvEUlffE_fEEDaPvRmT3_T4_T5_mT6_P12ihipStream_tbENKUlT_T0_E_clISt17integral_constantIbLb0EESV_IbLb1EEEEDaSR_SS_EUlSR_E_NS1_11comp_targetILNS1_3genE0ELNS1_11target_archE4294967295ELNS1_3gpuE0ELNS1_3repE0EEENS1_30default_config_static_selectorELNS0_4arch9wavefront6targetE1EEEvT1_,"axG",@progbits,_ZN7rocprim17ROCPRIM_400000_NS6detail17trampoline_kernelINS0_14default_configENS1_20scan_config_selectorIfEEZZNS1_9scan_implILNS1_25lookback_scan_determinismE0ELb0ELb0ES3_PKfPffZZZN2at6native31launch_logcumsumexp_cuda_kernelERKNSB_10TensorBaseESF_lENKUlvE_clEvENKUlvE0_clEvEUlffE_fEEDaPvRmT3_T4_T5_mT6_P12ihipStream_tbENKUlT_T0_E_clISt17integral_constantIbLb0EESV_IbLb1EEEEDaSR_SS_EUlSR_E_NS1_11comp_targetILNS1_3genE0ELNS1_11target_archE4294967295ELNS1_3gpuE0ELNS1_3repE0EEENS1_30default_config_static_selectorELNS0_4arch9wavefront6targetE1EEEvT1_,comdat
	.globl	_ZN7rocprim17ROCPRIM_400000_NS6detail17trampoline_kernelINS0_14default_configENS1_20scan_config_selectorIfEEZZNS1_9scan_implILNS1_25lookback_scan_determinismE0ELb0ELb0ES3_PKfPffZZZN2at6native31launch_logcumsumexp_cuda_kernelERKNSB_10TensorBaseESF_lENKUlvE_clEvENKUlvE0_clEvEUlffE_fEEDaPvRmT3_T4_T5_mT6_P12ihipStream_tbENKUlT_T0_E_clISt17integral_constantIbLb0EESV_IbLb1EEEEDaSR_SS_EUlSR_E_NS1_11comp_targetILNS1_3genE0ELNS1_11target_archE4294967295ELNS1_3gpuE0ELNS1_3repE0EEENS1_30default_config_static_selectorELNS0_4arch9wavefront6targetE1EEEvT1_ ; -- Begin function _ZN7rocprim17ROCPRIM_400000_NS6detail17trampoline_kernelINS0_14default_configENS1_20scan_config_selectorIfEEZZNS1_9scan_implILNS1_25lookback_scan_determinismE0ELb0ELb0ES3_PKfPffZZZN2at6native31launch_logcumsumexp_cuda_kernelERKNSB_10TensorBaseESF_lENKUlvE_clEvENKUlvE0_clEvEUlffE_fEEDaPvRmT3_T4_T5_mT6_P12ihipStream_tbENKUlT_T0_E_clISt17integral_constantIbLb0EESV_IbLb1EEEEDaSR_SS_EUlSR_E_NS1_11comp_targetILNS1_3genE0ELNS1_11target_archE4294967295ELNS1_3gpuE0ELNS1_3repE0EEENS1_30default_config_static_selectorELNS0_4arch9wavefront6targetE1EEEvT1_
	.p2align	8
	.type	_ZN7rocprim17ROCPRIM_400000_NS6detail17trampoline_kernelINS0_14default_configENS1_20scan_config_selectorIfEEZZNS1_9scan_implILNS1_25lookback_scan_determinismE0ELb0ELb0ES3_PKfPffZZZN2at6native31launch_logcumsumexp_cuda_kernelERKNSB_10TensorBaseESF_lENKUlvE_clEvENKUlvE0_clEvEUlffE_fEEDaPvRmT3_T4_T5_mT6_P12ihipStream_tbENKUlT_T0_E_clISt17integral_constantIbLb0EESV_IbLb1EEEEDaSR_SS_EUlSR_E_NS1_11comp_targetILNS1_3genE0ELNS1_11target_archE4294967295ELNS1_3gpuE0ELNS1_3repE0EEENS1_30default_config_static_selectorELNS0_4arch9wavefront6targetE1EEEvT1_,@function
_ZN7rocprim17ROCPRIM_400000_NS6detail17trampoline_kernelINS0_14default_configENS1_20scan_config_selectorIfEEZZNS1_9scan_implILNS1_25lookback_scan_determinismE0ELb0ELb0ES3_PKfPffZZZN2at6native31launch_logcumsumexp_cuda_kernelERKNSB_10TensorBaseESF_lENKUlvE_clEvENKUlvE0_clEvEUlffE_fEEDaPvRmT3_T4_T5_mT6_P12ihipStream_tbENKUlT_T0_E_clISt17integral_constantIbLb0EESV_IbLb1EEEEDaSR_SS_EUlSR_E_NS1_11comp_targetILNS1_3genE0ELNS1_11target_archE4294967295ELNS1_3gpuE0ELNS1_3repE0EEENS1_30default_config_static_selectorELNS0_4arch9wavefront6targetE1EEEvT1_: ; @_ZN7rocprim17ROCPRIM_400000_NS6detail17trampoline_kernelINS0_14default_configENS1_20scan_config_selectorIfEEZZNS1_9scan_implILNS1_25lookback_scan_determinismE0ELb0ELb0ES3_PKfPffZZZN2at6native31launch_logcumsumexp_cuda_kernelERKNSB_10TensorBaseESF_lENKUlvE_clEvENKUlvE0_clEvEUlffE_fEEDaPvRmT3_T4_T5_mT6_P12ihipStream_tbENKUlT_T0_E_clISt17integral_constantIbLb0EESV_IbLb1EEEEDaSR_SS_EUlSR_E_NS1_11comp_targetILNS1_3genE0ELNS1_11target_archE4294967295ELNS1_3gpuE0ELNS1_3repE0EEENS1_30default_config_static_selectorELNS0_4arch9wavefront6targetE1EEEvT1_
; %bb.0:
	s_load_dwordx2 s[42:43], s[0:1], 0x28
	v_cmp_ne_u32_e64 s[2:3], 0, v0
	v_cmp_eq_u32_e64 s[4:5], 0, v0
	s_and_saveexec_b64 s[6:7], s[4:5]
	s_cbranch_execz .LBB153_4
; %bb.1:
	s_mov_b64 s[10:11], exec
	v_mbcnt_lo_u32_b32 v1, s10, 0
	v_mbcnt_hi_u32_b32 v1, s11, v1
	v_cmp_eq_u32_e32 vcc, 0, v1
                                        ; implicit-def: $vgpr2
	s_and_saveexec_b64 s[8:9], vcc
	s_cbranch_execz .LBB153_3
; %bb.2:
	s_load_dwordx2 s[12:13], s[0:1], 0x58
	s_bcnt1_i32_b64 s10, s[10:11]
	v_mov_b32_e32 v2, 0
	v_mov_b32_e32 v3, s10
	s_waitcnt lgkmcnt(0)
	global_atomic_add v2, v2, v3, s[12:13] sc0
.LBB153_3:
	s_or_b64 exec, exec, s[8:9]
	s_waitcnt vmcnt(0)
	v_readfirstlane_b32 s8, v2
	v_mov_b32_e32 v2, 0
	s_nop 0
	v_add_u32_e32 v1, s8, v1
	ds_write_b32 v2, v1
.LBB153_4:
	s_or_b64 exec, exec, s[6:7]
	s_load_dwordx8 s[52:59], s[0:1], 0x0
	s_load_dword s6, s[0:1], 0x30
	s_load_dwordx8 s[44:51], s[0:1], 0x38
	v_mov_b32_e32 v31, 0
	s_waitcnt lgkmcnt(0)
	s_barrier
	ds_read_b32 v1, v31
	s_lshl_b64 s[54:55], s[54:55], 2
	s_add_u32 s7, s52, s54
	s_addc_u32 s10, s53, s55
	s_add_i32 s0, s6, -1
	s_waitcnt lgkmcnt(0)
	v_readfirstlane_b32 s63, v1
	s_mul_i32 s1, s0, 0xe00
	s_mul_i32 s8, s63, 0xe00
	s_mov_b32 s9, 0
	s_sub_u32 s33, s58, s1
	s_subb_u32 s62, s59, 0
	s_lshl_b64 s[52:53], s[8:9], 2
	v_cmp_ne_u32_e64 s[0:1], s0, v1
	s_add_u32 s8, s7, s52
	s_addc_u32 s9, s10, s53
	s_mov_b64 s[6:7], -1
	s_and_b64 vcc, exec, s[0:1]
	v_lshlrev_b32_e32 v30, 2, v0
	s_barrier
	s_cbranch_vccz .LBB153_6
; %bb.5:
	v_lshl_add_u64 v[2:3], s[8:9], 0, v[30:31]
	v_add_co_u32_e32 v4, vcc, 0x1000, v2
	global_load_dword v1, v30, s[8:9]
	global_load_dword v8, v30, s[8:9] offset:1024
	global_load_dword v9, v30, s[8:9] offset:2048
	;; [unrolled: 1-line block ×3, first 2 shown]
	v_addc_co_u32_e32 v5, vcc, 0, v3, vcc
	v_add_co_u32_e32 v6, vcc, 0x2000, v2
	s_mov_b64 s[6:7], 0
	s_nop 0
	v_addc_co_u32_e32 v7, vcc, 0, v3, vcc
	v_add_co_u32_e32 v2, vcc, 0x3000, v2
	global_load_dword v11, v[4:5], off
	global_load_dword v12, v[4:5], off offset:1024
	global_load_dword v13, v[4:5], off offset:2048
	;; [unrolled: 1-line block ×3, first 2 shown]
	global_load_dword v15, v[6:7], off
	global_load_dword v16, v[6:7], off offset:1024
	global_load_dword v17, v[6:7], off offset:2048
	;; [unrolled: 1-line block ×3, first 2 shown]
	v_addc_co_u32_e32 v3, vcc, 0, v3, vcc
	global_load_dword v4, v[2:3], off
	global_load_dword v5, v[2:3], off offset:1024
	s_waitcnt vmcnt(12)
	ds_write2st64_b32 v30, v1, v8 offset1:4
	s_waitcnt vmcnt(10)
	ds_write2st64_b32 v30, v9, v10 offset0:8 offset1:12
	s_waitcnt vmcnt(8)
	ds_write2st64_b32 v30, v11, v12 offset0:16 offset1:20
	;; [unrolled: 2-line block ×6, first 2 shown]
	s_waitcnt lgkmcnt(0)
	s_barrier
.LBB153_6:
	s_andn2_b64 vcc, exec, s[6:7]
	v_cmp_gt_u32_e64 s[6:7], s33, v0
	s_cbranch_vccnz .LBB153_36
; %bb.7:
	v_mov_b32_e32 v1, 0
	global_load_dword v1, v1, s[8:9]
	s_waitcnt vmcnt(0)
	v_mov_b32_e32 v2, v1
	v_mov_b32_e32 v3, v1
	;; [unrolled: 1-line block ×12, first 2 shown]
	v_mov_b64_e32 v[16:17], v[14:15]
	v_mov_b64_e32 v[14:15], v[12:13]
	;; [unrolled: 1-line block ×8, first 2 shown]
	s_and_saveexec_b64 s[10:11], s[6:7]
	s_cbranch_execz .LBB153_9
; %bb.8:
	global_load_dword v18, v30, s[8:9]
	v_mov_b32_e32 v2, v1
	v_mov_b32_e32 v3, v1
	;; [unrolled: 1-line block ×12, first 2 shown]
	v_mov_b64_e32 v[16:17], v[14:15]
	v_mov_b64_e32 v[14:15], v[12:13]
	;; [unrolled: 1-line block ×8, first 2 shown]
	s_waitcnt vmcnt(0)
	v_mov_b32_e32 v1, v18
.LBB153_9:
	s_or_b64 exec, exec, s[10:11]
	v_or_b32_e32 v2, 0x100, v0
	v_cmp_gt_u32_e32 vcc, s33, v2
	s_and_saveexec_b64 s[6:7], vcc
	s_cbranch_execz .LBB153_11
; %bb.10:
	global_load_dword v3, v30, s[8:9] offset:1024
.LBB153_11:
	s_or_b64 exec, exec, s[6:7]
	v_or_b32_e32 v2, 0x200, v0
	v_cmp_gt_u32_e32 vcc, s33, v2
	s_and_saveexec_b64 s[6:7], vcc
	s_cbranch_execz .LBB153_13
; %bb.12:
	global_load_dword v4, v30, s[8:9] offset:2048
.LBB153_13:
	;; [unrolled: 8-line block ×3, first 2 shown]
	s_or_b64 exec, exec, s[6:7]
	v_or_b32_e32 v2, 0x400, v0
	v_cmp_gt_u32_e32 vcc, s33, v2
	s_and_saveexec_b64 s[6:7], vcc
	s_cbranch_execz .LBB153_17
; %bb.16:
	v_lshlrev_b32_e32 v2, 2, v2
	global_load_dword v6, v2, s[8:9]
.LBB153_17:
	s_or_b64 exec, exec, s[6:7]
	v_or_b32_e32 v2, 0x500, v0
	v_cmp_gt_u32_e32 vcc, s33, v2
	s_and_saveexec_b64 s[6:7], vcc
	s_cbranch_execz .LBB153_19
; %bb.18:
	v_lshlrev_b32_e32 v2, 2, v2
	global_load_dword v7, v2, s[8:9]
.LBB153_19:
	;; [unrolled: 9-line block ×10, first 2 shown]
	s_or_b64 exec, exec, s[6:7]
	s_waitcnt vmcnt(0)
	ds_write2st64_b32 v30, v1, v3 offset1:4
	ds_write2st64_b32 v30, v4, v5 offset0:8 offset1:12
	ds_write2st64_b32 v30, v6, v7 offset0:16 offset1:20
	;; [unrolled: 1-line block ×6, first 2 shown]
	s_waitcnt lgkmcnt(0)
	s_barrier
.LBB153_36:
	v_mul_u32_u24_e32 v1, 56, v0
	ds_read2_b64 v[2:5], v1 offset1:1
	ds_read2_b64 v[26:29], v1 offset0:2 offset1:3
	ds_read2_b64 v[22:25], v1 offset0:4 offset1:5
	ds_read_b64 v[32:33], v1 offset:48
	s_cmp_lg_u32 s63, 0
	s_waitcnt lgkmcnt(0)
	s_barrier
	s_cbranch_scc0 .LBB153_170
; %bb.37:
	v_max_f32_e32 v42, v2, v2
	v_max_f32_e32 v18, v3, v3
	v_min_f32_e32 v6, v42, v18
	v_cmp_u_f32_e64 s[34:35], v2, v2
	v_cmp_u_f32_e64 s[6:7], v3, v3
	s_movk_i32 s10, 0x1f8
	v_cndmask_b32_e64 v6, v6, v2, s[34:35]
	v_cndmask_b32_e64 v7, v6, v3, s[6:7]
	v_max_f32_e32 v6, v42, v18
	v_cndmask_b32_e64 v6, v6, v2, s[34:35]
	v_cndmask_b32_e64 v6, v6, v3, s[6:7]
	v_cmp_neq_f32_e32 vcc, v7, v6
	v_cmp_class_f32_e64 s[8:9], v7, s10
	s_or_b64 s[12:13], vcc, s[8:9]
	v_mov_b32_e32 v43, v2
	s_and_saveexec_b64 s[8:9], s[12:13]
	s_cbranch_execz .LBB153_39
; %bb.38:
	v_sub_f32_e32 v7, v7, v6
	s_mov_b32 s11, 0x3fb8aa3b
	v_mul_f32_e32 v8, 0x3fb8aa3b, v7
	v_fma_f32 v9, v7, s11, -v8
	v_rndne_f32_e32 v10, v8
	v_fmamk_f32 v9, v7, 0x32a5705f, v9
	v_sub_f32_e32 v8, v8, v10
	v_add_f32_e32 v8, v8, v9
	v_exp_f32_e32 v8, v8
	v_cvt_i32_f32_e32 v9, v10
	s_mov_b32 s11, 0xc2ce8ed0
	v_cmp_ngt_f32_e32 vcc, s11, v7
	s_mov_b32 s11, 0x42b17218
	v_ldexp_f32 v8, v8, v9
	v_cndmask_b32_e32 v8, 0, v8, vcc
	v_mov_b32_e32 v19, 0x7f800000
	v_cmp_nlt_f32_e32 vcc, s11, v7
	s_mov_b32 s11, 0x3f2aaaab
	s_mov_b32 s12, 0x7f800000
	v_cndmask_b32_e32 v7, v19, v8, vcc
	v_add_f32_e32 v10, 1.0, v7
	v_add_f32_e32 v8, -1.0, v10
	v_sub_f32_e32 v9, v8, v10
	v_add_f32_e32 v9, 1.0, v9
	v_sub_f32_e32 v8, v7, v8
	v_add_f32_e32 v11, v8, v9
	v_frexp_mant_f32_e32 v12, v10
	v_cvt_f64_f32_e32 v[8:9], v10
	v_frexp_exp_i32_f64_e32 v8, v[8:9]
	v_cmp_gt_f32_e32 vcc, s11, v12
	s_mov_b32 s11, 0x3f317218
	s_nop 0
	v_subbrev_co_u32_e32 v16, vcc, 0, v8, vcc
	v_sub_u32_e32 v8, 0, v16
	v_ldexp_f32 v9, v10, v8
	v_add_f32_e32 v10, -1.0, v9
	v_add_f32_e32 v12, 1.0, v9
	v_ldexp_f32 v8, v11, v8
	v_add_f32_e32 v11, 1.0, v10
	v_add_f32_e32 v13, -1.0, v12
	v_sub_f32_e32 v11, v9, v11
	v_sub_f32_e32 v9, v9, v13
	v_add_f32_e32 v11, v8, v11
	v_add_f32_e32 v8, v8, v9
	;; [unrolled: 1-line block ×3, first 2 shown]
	v_rcp_f32_e32 v21, v17
	v_sub_f32_e32 v9, v12, v17
	v_add_f32_e32 v20, v8, v9
	v_add_f32_e32 v9, v10, v11
	v_mul_f32_e32 v34, v9, v21
	v_sub_f32_e32 v8, v10, v9
	v_mul_f32_e32 v10, v17, v34
	v_fma_f32 v12, v34, v17, -v10
	v_fmac_f32_e32 v12, v34, v20
	v_add_f32_e32 v31, v11, v8
	v_add_f32_e32 v8, v10, v12
	v_sub_f32_e32 v11, v9, v8
	v_pk_add_f32 v[14:15], v[8:9], v[10:11] neg_lo:[0,1] neg_hi:[0,1]
	v_mov_b32_e32 v13, v8
	v_pk_add_f32 v[8:9], v[14:15], v[12:13] neg_lo:[0,1] neg_hi:[0,1]
	v_cmp_neq_f32_e32 vcc, s12, v7
	v_add_f32_e32 v9, v31, v9
	v_add_f32_e32 v8, v8, v9
	;; [unrolled: 1-line block ×3, first 2 shown]
	v_mul_f32_e32 v31, v21, v9
	v_mul_f32_e32 v10, v17, v31
	v_fma_f32 v12, v31, v17, -v10
	v_fmac_f32_e32 v12, v31, v20
	v_sub_f32_e32 v11, v11, v9
	v_add_f32_e32 v17, v8, v11
	v_add_f32_e32 v8, v10, v12
	v_sub_f32_e32 v11, v9, v8
	v_pk_add_f32 v[14:15], v[8:9], v[10:11] neg_lo:[0,1] neg_hi:[0,1]
	v_mov_b32_e32 v13, v8
	v_pk_add_f32 v[8:9], v[14:15], v[12:13] neg_lo:[0,1] neg_hi:[0,1]
	v_cvt_f32_i32_e32 v10, v16
	v_add_f32_e32 v9, v17, v9
	v_add_f32_e32 v8, v8, v9
	;; [unrolled: 1-line block ×4, first 2 shown]
	v_sub_f32_e32 v9, v11, v34
	v_mul_f32_e32 v8, v21, v8
	v_sub_f32_e32 v9, v31, v9
	v_add_f32_e32 v8, v9, v8
	v_add_f32_e32 v12, v11, v8
	v_mul_f32_e32 v14, v12, v12
	v_mov_b32_e32 v9, 0x3ecc95a3
	v_sub_f32_e32 v11, v12, v11
	v_fmac_f32_e32 v9, 0x3e9b6dac, v14
	v_sub_f32_e32 v8, v8, v11
	v_fmaak_f32 v9, v14, v9, 0x3f2aaada
	v_ldexp_f32 v15, v8, 1
	v_mul_f32_e32 v11, v12, v14
	v_mov_b32_e32 v8, 0x3f317218
	v_pk_mul_f32 v[8:9], v[10:11], v[8:9]
	v_ldexp_f32 v13, v12, 1
	v_fma_f32 v11, v10, s11, -v8
	v_fmamk_f32 v12, v10, 0xb102e308, v11
	v_pk_add_f32 v[10:11], v[8:9], v[12:13]
	v_mov_b32_e32 v14, v8
	v_sub_f32_e32 v13, v11, v13
	v_sub_f32_e32 v13, v9, v13
	v_add_f32_e32 v15, v15, v13
	v_pk_add_f32 v[8:9], v[10:11], v[8:9] neg_lo:[0,1] neg_hi:[0,1]
	v_pk_add_f32 v[16:17], v[10:11], v[14:15]
	v_mov_b32_e32 v13, v10
	v_mov_b32_e32 v9, v17
	v_pk_add_f32 v[20:21], v[12:13], v[8:9] neg_lo:[0,1] neg_hi:[0,1]
	v_pk_add_f32 v[8:9], v[12:13], v[8:9]
	v_mov_b32_e32 v14, v15
	v_pk_add_f32 v[12:13], v[8:9], v[10:11] op_sel:[1,0] op_sel_hi:[0,1] neg_lo:[0,1] neg_hi:[0,1]
	v_pk_add_f32 v[34:35], v[16:17], v[12:13] op_sel_hi:[1,0] neg_lo:[0,1] neg_hi:[0,1]
	v_mov_b32_e32 v16, v17
	v_mov_b32_e32 v17, v9
	v_pk_mov_b32 v[12:13], v[10:11], v[12:13] op_sel:[1,0]
	v_mov_b32_e32 v15, v10
	v_pk_add_f32 v[12:13], v[16:17], v[12:13] neg_lo:[0,1] neg_hi:[0,1]
	v_mov_b32_e32 v34, v20
	v_pk_add_f32 v[10:11], v[14:15], v[12:13] neg_lo:[0,1] neg_hi:[0,1]
	v_mov_b32_e32 v21, v9
	v_pk_add_f32 v[12:13], v[34:35], v[10:11]
	s_mov_b32 s11, 0x33800000
	v_pk_add_f32 v[14:15], v[12:13], v[12:13] op_sel:[0,1] op_sel_hi:[1,0]
	s_nop 0
	v_pk_add_f32 v[8:9], v[8:9], v[14:15] op_sel:[1,0] op_sel_hi:[0,1]
	v_mov_b32_e32 v13, v8
	v_pk_add_f32 v[16:17], v[12:13], v[20:21] neg_lo:[0,1] neg_hi:[0,1]
	v_mov_b32_e32 v11, v14
	v_sub_f32_e32 v9, v12, v16
	v_pk_add_f32 v[10:11], v[10:11], v[16:17] neg_lo:[0,1] neg_hi:[0,1]
	v_sub_f32_e32 v9, v20, v9
	v_add_f32_e32 v9, v10, v9
	v_add_f32_e32 v9, v9, v11
	;; [unrolled: 1-line block ×3, first 2 shown]
	v_cndmask_b32_e32 v8, v19, v8, vcc
	v_cmp_lt_f32_e64 vcc, |v7|, s11
	s_nop 1
	v_cndmask_b32_e32 v7, v8, v7, vcc
	v_add_f32_e32 v43, v6, v7
.LBB153_39:
	s_or_b64 exec, exec, s[8:9]
	v_max_f32_e32 v6, v43, v43
	v_max_f32_e32 v19, v4, v4
	v_min_f32_e32 v7, v6, v19
	v_cmp_u_f32_e32 vcc, v43, v43
	v_max_f32_e32 v6, v6, v19
	v_cmp_u_f32_e64 s[8:9], v4, v4
	v_cndmask_b32_e32 v7, v7, v43, vcc
	v_cndmask_b32_e32 v6, v6, v43, vcc
	v_cndmask_b32_e64 v7, v7, v4, s[8:9]
	v_cndmask_b32_e64 v6, v6, v4, s[8:9]
	v_cmp_neq_f32_e32 vcc, v7, v6
	v_cmp_class_f32_e64 s[10:11], v7, s10
	s_or_b64 s[12:13], vcc, s[10:11]
	s_and_saveexec_b64 s[10:11], s[12:13]
	s_cbranch_execz .LBB153_41
; %bb.40:
	v_sub_f32_e32 v7, v7, v6
	s_mov_b32 s12, 0x3fb8aa3b
	v_mul_f32_e32 v8, 0x3fb8aa3b, v7
	v_fma_f32 v9, v7, s12, -v8
	v_rndne_f32_e32 v10, v8
	v_fmamk_f32 v9, v7, 0x32a5705f, v9
	v_sub_f32_e32 v8, v8, v10
	v_add_f32_e32 v8, v8, v9
	v_exp_f32_e32 v8, v8
	v_cvt_i32_f32_e32 v9, v10
	s_mov_b32 s12, 0xc2ce8ed0
	v_cmp_ngt_f32_e32 vcc, s12, v7
	s_mov_b32 s12, 0x42b17218
	v_ldexp_f32 v8, v8, v9
	v_cndmask_b32_e32 v8, 0, v8, vcc
	v_mov_b32_e32 v31, 0x7f800000
	v_cmp_nlt_f32_e32 vcc, s12, v7
	s_mov_b32 s12, 0x3f2aaaab
	s_mov_b32 s13, 0x7f800000
	v_cndmask_b32_e32 v7, v31, v8, vcc
	v_add_f32_e32 v10, 1.0, v7
	v_add_f32_e32 v8, -1.0, v10
	v_sub_f32_e32 v9, v8, v10
	v_add_f32_e32 v9, 1.0, v9
	v_sub_f32_e32 v8, v7, v8
	v_add_f32_e32 v11, v8, v9
	v_frexp_mant_f32_e32 v12, v10
	v_cvt_f64_f32_e32 v[8:9], v10
	v_frexp_exp_i32_f64_e32 v8, v[8:9]
	v_cmp_gt_f32_e32 vcc, s12, v12
	s_mov_b32 s12, 0x3f317218
	s_nop 0
	v_subbrev_co_u32_e32 v16, vcc, 0, v8, vcc
	v_sub_u32_e32 v8, 0, v16
	v_ldexp_f32 v9, v10, v8
	v_add_f32_e32 v10, -1.0, v9
	v_add_f32_e32 v12, 1.0, v9
	v_ldexp_f32 v8, v11, v8
	v_add_f32_e32 v11, 1.0, v10
	v_add_f32_e32 v13, -1.0, v12
	v_sub_f32_e32 v11, v9, v11
	v_sub_f32_e32 v9, v9, v13
	v_add_f32_e32 v11, v8, v11
	v_add_f32_e32 v8, v8, v9
	;; [unrolled: 1-line block ×3, first 2 shown]
	v_rcp_f32_e32 v21, v17
	v_sub_f32_e32 v9, v12, v17
	v_add_f32_e32 v20, v8, v9
	v_add_f32_e32 v9, v10, v11
	v_mul_f32_e32 v35, v9, v21
	v_sub_f32_e32 v8, v10, v9
	v_mul_f32_e32 v10, v17, v35
	v_fma_f32 v12, v35, v17, -v10
	v_fmac_f32_e32 v12, v35, v20
	v_add_f32_e32 v34, v11, v8
	v_add_f32_e32 v8, v10, v12
	v_sub_f32_e32 v11, v9, v8
	v_pk_add_f32 v[14:15], v[8:9], v[10:11] neg_lo:[0,1] neg_hi:[0,1]
	v_mov_b32_e32 v13, v8
	v_pk_add_f32 v[8:9], v[14:15], v[12:13] neg_lo:[0,1] neg_hi:[0,1]
	v_cmp_neq_f32_e32 vcc, s13, v7
	v_add_f32_e32 v9, v34, v9
	v_add_f32_e32 v8, v8, v9
	;; [unrolled: 1-line block ×3, first 2 shown]
	v_mul_f32_e32 v34, v21, v9
	v_mul_f32_e32 v10, v17, v34
	v_fma_f32 v12, v34, v17, -v10
	v_fmac_f32_e32 v12, v34, v20
	v_sub_f32_e32 v11, v11, v9
	v_add_f32_e32 v17, v8, v11
	v_add_f32_e32 v8, v10, v12
	v_sub_f32_e32 v11, v9, v8
	v_pk_add_f32 v[14:15], v[8:9], v[10:11] neg_lo:[0,1] neg_hi:[0,1]
	v_mov_b32_e32 v13, v8
	v_pk_add_f32 v[8:9], v[14:15], v[12:13] neg_lo:[0,1] neg_hi:[0,1]
	v_cvt_f32_i32_e32 v10, v16
	v_add_f32_e32 v9, v17, v9
	v_add_f32_e32 v8, v8, v9
	;; [unrolled: 1-line block ×4, first 2 shown]
	v_sub_f32_e32 v9, v11, v35
	v_mul_f32_e32 v8, v21, v8
	v_sub_f32_e32 v9, v34, v9
	v_add_f32_e32 v8, v9, v8
	v_add_f32_e32 v12, v11, v8
	v_mul_f32_e32 v14, v12, v12
	v_mov_b32_e32 v9, 0x3ecc95a3
	v_sub_f32_e32 v11, v12, v11
	v_fmac_f32_e32 v9, 0x3e9b6dac, v14
	v_sub_f32_e32 v8, v8, v11
	v_fmaak_f32 v9, v14, v9, 0x3f2aaada
	v_ldexp_f32 v15, v8, 1
	v_mul_f32_e32 v11, v12, v14
	v_mov_b32_e32 v8, 0x3f317218
	v_pk_mul_f32 v[8:9], v[10:11], v[8:9]
	v_ldexp_f32 v13, v12, 1
	v_fma_f32 v11, v10, s12, -v8
	v_fmamk_f32 v12, v10, 0xb102e308, v11
	v_pk_add_f32 v[10:11], v[8:9], v[12:13]
	v_mov_b32_e32 v14, v8
	v_sub_f32_e32 v13, v11, v13
	v_sub_f32_e32 v13, v9, v13
	v_add_f32_e32 v15, v15, v13
	v_pk_add_f32 v[8:9], v[10:11], v[8:9] neg_lo:[0,1] neg_hi:[0,1]
	v_pk_add_f32 v[16:17], v[10:11], v[14:15]
	v_mov_b32_e32 v13, v10
	v_mov_b32_e32 v9, v17
	v_pk_add_f32 v[20:21], v[12:13], v[8:9] neg_lo:[0,1] neg_hi:[0,1]
	v_pk_add_f32 v[8:9], v[12:13], v[8:9]
	v_mov_b32_e32 v14, v15
	v_pk_add_f32 v[12:13], v[8:9], v[10:11] op_sel:[1,0] op_sel_hi:[0,1] neg_lo:[0,1] neg_hi:[0,1]
	v_pk_add_f32 v[34:35], v[16:17], v[12:13] op_sel_hi:[1,0] neg_lo:[0,1] neg_hi:[0,1]
	v_mov_b32_e32 v16, v17
	v_mov_b32_e32 v17, v9
	v_pk_mov_b32 v[12:13], v[10:11], v[12:13] op_sel:[1,0]
	v_mov_b32_e32 v15, v10
	v_pk_add_f32 v[12:13], v[16:17], v[12:13] neg_lo:[0,1] neg_hi:[0,1]
	v_mov_b32_e32 v34, v20
	v_pk_add_f32 v[10:11], v[14:15], v[12:13] neg_lo:[0,1] neg_hi:[0,1]
	v_mov_b32_e32 v21, v9
	v_pk_add_f32 v[12:13], v[34:35], v[10:11]
	s_mov_b32 s12, 0x33800000
	v_pk_add_f32 v[14:15], v[12:13], v[12:13] op_sel:[0,1] op_sel_hi:[1,0]
	s_nop 0
	v_pk_add_f32 v[8:9], v[8:9], v[14:15] op_sel:[1,0] op_sel_hi:[0,1]
	v_mov_b32_e32 v13, v8
	v_pk_add_f32 v[16:17], v[12:13], v[20:21] neg_lo:[0,1] neg_hi:[0,1]
	v_mov_b32_e32 v11, v14
	v_sub_f32_e32 v9, v12, v16
	v_pk_add_f32 v[10:11], v[10:11], v[16:17] neg_lo:[0,1] neg_hi:[0,1]
	v_sub_f32_e32 v9, v20, v9
	v_add_f32_e32 v9, v10, v9
	v_add_f32_e32 v9, v9, v11
	v_add_f32_e32 v8, v8, v9
	v_cndmask_b32_e32 v8, v31, v8, vcc
	v_cmp_lt_f32_e64 vcc, |v7|, s12
	s_nop 1
	v_cndmask_b32_e32 v7, v8, v7, vcc
	v_add_f32_e32 v43, v6, v7
.LBB153_41:
	s_or_b64 exec, exec, s[10:11]
	v_max_f32_e32 v6, v43, v43
	v_max_f32_e32 v20, v5, v5
	v_min_f32_e32 v7, v6, v20
	v_cmp_u_f32_e32 vcc, v43, v43
	v_max_f32_e32 v6, v6, v20
	v_cmp_u_f32_e64 s[10:11], v5, v5
	v_cndmask_b32_e32 v7, v7, v43, vcc
	v_cndmask_b32_e32 v6, v6, v43, vcc
	v_cndmask_b32_e64 v7, v7, v5, s[10:11]
	v_cndmask_b32_e64 v6, v6, v5, s[10:11]
	s_movk_i32 s14, 0x1f8
	v_cmp_neq_f32_e32 vcc, v7, v6
	v_cmp_class_f32_e64 s[12:13], v7, s14
	s_or_b64 s[16:17], vcc, s[12:13]
	s_and_saveexec_b64 s[12:13], s[16:17]
	s_cbranch_execz .LBB153_43
; %bb.42:
	v_sub_f32_e32 v7, v7, v6
	s_mov_b32 s15, 0x3fb8aa3b
	v_mul_f32_e32 v8, 0x3fb8aa3b, v7
	v_fma_f32 v9, v7, s15, -v8
	v_rndne_f32_e32 v10, v8
	v_fmamk_f32 v9, v7, 0x32a5705f, v9
	v_sub_f32_e32 v8, v8, v10
	v_add_f32_e32 v8, v8, v9
	v_exp_f32_e32 v8, v8
	v_cvt_i32_f32_e32 v9, v10
	s_mov_b32 s15, 0xc2ce8ed0
	v_cmp_ngt_f32_e32 vcc, s15, v7
	s_mov_b32 s15, 0x42b17218
	v_ldexp_f32 v8, v8, v9
	v_cndmask_b32_e32 v8, 0, v8, vcc
	v_mov_b32_e32 v21, 0x7f800000
	v_cmp_nlt_f32_e32 vcc, s15, v7
	s_mov_b32 s15, 0x3f2aaaab
	s_mov_b32 s16, 0x7f800000
	v_cndmask_b32_e32 v7, v21, v8, vcc
	v_add_f32_e32 v10, 1.0, v7
	v_add_f32_e32 v8, -1.0, v10
	v_sub_f32_e32 v9, v8, v10
	v_add_f32_e32 v9, 1.0, v9
	v_sub_f32_e32 v8, v7, v8
	v_add_f32_e32 v11, v8, v9
	v_frexp_mant_f32_e32 v12, v10
	v_cvt_f64_f32_e32 v[8:9], v10
	v_frexp_exp_i32_f64_e32 v8, v[8:9]
	v_cmp_gt_f32_e32 vcc, s15, v12
	s_mov_b32 s15, 0x3f317218
	s_nop 0
	v_subbrev_co_u32_e32 v16, vcc, 0, v8, vcc
	v_sub_u32_e32 v8, 0, v16
	v_ldexp_f32 v9, v10, v8
	v_add_f32_e32 v10, -1.0, v9
	v_add_f32_e32 v12, 1.0, v9
	v_ldexp_f32 v8, v11, v8
	v_add_f32_e32 v11, 1.0, v10
	v_add_f32_e32 v13, -1.0, v12
	v_sub_f32_e32 v11, v9, v11
	v_sub_f32_e32 v9, v9, v13
	v_add_f32_e32 v11, v8, v11
	v_add_f32_e32 v8, v8, v9
	;; [unrolled: 1-line block ×3, first 2 shown]
	v_rcp_f32_e32 v34, v17
	v_sub_f32_e32 v9, v12, v17
	v_add_f32_e32 v31, v8, v9
	v_add_f32_e32 v9, v10, v11
	v_mul_f32_e32 v36, v9, v34
	v_sub_f32_e32 v8, v10, v9
	v_mul_f32_e32 v10, v17, v36
	v_fma_f32 v12, v36, v17, -v10
	v_fmac_f32_e32 v12, v36, v31
	v_add_f32_e32 v35, v11, v8
	v_add_f32_e32 v8, v10, v12
	v_sub_f32_e32 v11, v9, v8
	v_pk_add_f32 v[14:15], v[8:9], v[10:11] neg_lo:[0,1] neg_hi:[0,1]
	v_mov_b32_e32 v13, v8
	v_pk_add_f32 v[8:9], v[14:15], v[12:13] neg_lo:[0,1] neg_hi:[0,1]
	v_cmp_neq_f32_e32 vcc, s16, v7
	v_add_f32_e32 v9, v35, v9
	v_add_f32_e32 v8, v8, v9
	;; [unrolled: 1-line block ×3, first 2 shown]
	v_mul_f32_e32 v35, v34, v9
	v_mul_f32_e32 v10, v17, v35
	v_fma_f32 v12, v35, v17, -v10
	v_fmac_f32_e32 v12, v35, v31
	v_sub_f32_e32 v11, v11, v9
	v_add_f32_e32 v17, v8, v11
	v_add_f32_e32 v8, v10, v12
	v_sub_f32_e32 v11, v9, v8
	v_pk_add_f32 v[14:15], v[8:9], v[10:11] neg_lo:[0,1] neg_hi:[0,1]
	v_mov_b32_e32 v13, v8
	v_pk_add_f32 v[8:9], v[14:15], v[12:13] neg_lo:[0,1] neg_hi:[0,1]
	v_cvt_f32_i32_e32 v10, v16
	v_add_f32_e32 v9, v17, v9
	v_add_f32_e32 v8, v8, v9
	;; [unrolled: 1-line block ×4, first 2 shown]
	v_sub_f32_e32 v9, v11, v36
	v_mul_f32_e32 v8, v34, v8
	v_sub_f32_e32 v9, v35, v9
	v_add_f32_e32 v8, v9, v8
	v_add_f32_e32 v12, v11, v8
	v_mul_f32_e32 v14, v12, v12
	v_mov_b32_e32 v9, 0x3ecc95a3
	v_sub_f32_e32 v11, v12, v11
	v_fmac_f32_e32 v9, 0x3e9b6dac, v14
	v_sub_f32_e32 v8, v8, v11
	v_fmaak_f32 v9, v14, v9, 0x3f2aaada
	v_ldexp_f32 v15, v8, 1
	v_mul_f32_e32 v11, v12, v14
	v_mov_b32_e32 v8, 0x3f317218
	v_pk_mul_f32 v[8:9], v[10:11], v[8:9]
	v_ldexp_f32 v13, v12, 1
	v_fma_f32 v11, v10, s15, -v8
	v_fmamk_f32 v12, v10, 0xb102e308, v11
	v_pk_add_f32 v[10:11], v[8:9], v[12:13]
	v_mov_b32_e32 v14, v8
	v_sub_f32_e32 v13, v11, v13
	v_sub_f32_e32 v13, v9, v13
	v_add_f32_e32 v15, v15, v13
	v_pk_add_f32 v[8:9], v[10:11], v[8:9] neg_lo:[0,1] neg_hi:[0,1]
	v_pk_add_f32 v[16:17], v[10:11], v[14:15]
	v_mov_b32_e32 v13, v10
	v_mov_b32_e32 v9, v17
	v_pk_add_f32 v[34:35], v[12:13], v[8:9] neg_lo:[0,1] neg_hi:[0,1]
	v_pk_add_f32 v[8:9], v[12:13], v[8:9]
	v_mov_b32_e32 v14, v15
	v_pk_add_f32 v[12:13], v[8:9], v[10:11] op_sel:[1,0] op_sel_hi:[0,1] neg_lo:[0,1] neg_hi:[0,1]
	v_pk_add_f32 v[36:37], v[16:17], v[12:13] op_sel_hi:[1,0] neg_lo:[0,1] neg_hi:[0,1]
	v_mov_b32_e32 v16, v17
	v_mov_b32_e32 v17, v9
	v_pk_mov_b32 v[12:13], v[10:11], v[12:13] op_sel:[1,0]
	v_mov_b32_e32 v15, v10
	v_pk_add_f32 v[12:13], v[16:17], v[12:13] neg_lo:[0,1] neg_hi:[0,1]
	v_mov_b32_e32 v36, v34
	v_pk_add_f32 v[10:11], v[14:15], v[12:13] neg_lo:[0,1] neg_hi:[0,1]
	v_mov_b32_e32 v35, v9
	v_pk_add_f32 v[12:13], v[36:37], v[10:11]
	s_mov_b32 s15, 0x33800000
	v_pk_add_f32 v[14:15], v[12:13], v[12:13] op_sel:[0,1] op_sel_hi:[1,0]
	s_nop 0
	v_pk_add_f32 v[8:9], v[8:9], v[14:15] op_sel:[1,0] op_sel_hi:[0,1]
	v_mov_b32_e32 v13, v8
	v_pk_add_f32 v[16:17], v[12:13], v[34:35] neg_lo:[0,1] neg_hi:[0,1]
	v_mov_b32_e32 v11, v14
	v_sub_f32_e32 v9, v12, v16
	v_pk_add_f32 v[10:11], v[10:11], v[16:17] neg_lo:[0,1] neg_hi:[0,1]
	v_sub_f32_e32 v9, v34, v9
	v_add_f32_e32 v9, v10, v9
	v_add_f32_e32 v9, v9, v11
	;; [unrolled: 1-line block ×3, first 2 shown]
	v_cndmask_b32_e32 v8, v21, v8, vcc
	v_cmp_lt_f32_e64 vcc, |v7|, s15
	s_nop 1
	v_cndmask_b32_e32 v7, v8, v7, vcc
	v_add_f32_e32 v43, v6, v7
.LBB153_43:
	s_or_b64 exec, exec, s[12:13]
	v_max_f32_e32 v6, v43, v43
	v_max_f32_e32 v21, v26, v26
	v_min_f32_e32 v7, v6, v21
	v_cmp_u_f32_e32 vcc, v43, v43
	v_max_f32_e32 v6, v6, v21
	v_cmp_u_f32_e64 s[12:13], v26, v26
	v_cndmask_b32_e32 v7, v7, v43, vcc
	v_cndmask_b32_e32 v6, v6, v43, vcc
	v_cndmask_b32_e64 v7, v7, v26, s[12:13]
	v_cndmask_b32_e64 v6, v6, v26, s[12:13]
	v_cmp_neq_f32_e32 vcc, v7, v6
	v_cmp_class_f32_e64 s[14:15], v7, s14
	s_or_b64 s[16:17], vcc, s[14:15]
	s_and_saveexec_b64 s[14:15], s[16:17]
	s_cbranch_execz .LBB153_45
; %bb.44:
	v_sub_f32_e32 v7, v7, v6
	s_mov_b32 s16, 0x3fb8aa3b
	v_mul_f32_e32 v8, 0x3fb8aa3b, v7
	v_fma_f32 v9, v7, s16, -v8
	v_rndne_f32_e32 v10, v8
	v_fmamk_f32 v9, v7, 0x32a5705f, v9
	v_sub_f32_e32 v8, v8, v10
	v_add_f32_e32 v8, v8, v9
	v_exp_f32_e32 v8, v8
	v_cvt_i32_f32_e32 v9, v10
	s_mov_b32 s16, 0xc2ce8ed0
	v_cmp_ngt_f32_e32 vcc, s16, v7
	s_mov_b32 s16, 0x42b17218
	v_ldexp_f32 v8, v8, v9
	v_cndmask_b32_e32 v8, 0, v8, vcc
	v_mov_b32_e32 v31, 0x7f800000
	v_cmp_nlt_f32_e32 vcc, s16, v7
	s_mov_b32 s16, 0x3f2aaaab
	s_mov_b32 s17, 0x7f800000
	v_cndmask_b32_e32 v7, v31, v8, vcc
	v_add_f32_e32 v10, 1.0, v7
	v_add_f32_e32 v8, -1.0, v10
	v_sub_f32_e32 v9, v8, v10
	v_add_f32_e32 v9, 1.0, v9
	v_sub_f32_e32 v8, v7, v8
	v_add_f32_e32 v11, v8, v9
	v_frexp_mant_f32_e32 v12, v10
	v_cvt_f64_f32_e32 v[8:9], v10
	v_frexp_exp_i32_f64_e32 v8, v[8:9]
	v_cmp_gt_f32_e32 vcc, s16, v12
	s_mov_b32 s16, 0x3f317218
	s_nop 0
	v_subbrev_co_u32_e32 v16, vcc, 0, v8, vcc
	v_sub_u32_e32 v8, 0, v16
	v_ldexp_f32 v9, v10, v8
	v_add_f32_e32 v10, -1.0, v9
	v_add_f32_e32 v12, 1.0, v9
	v_ldexp_f32 v8, v11, v8
	v_add_f32_e32 v11, 1.0, v10
	v_add_f32_e32 v13, -1.0, v12
	v_sub_f32_e32 v11, v9, v11
	v_sub_f32_e32 v9, v9, v13
	v_add_f32_e32 v11, v8, v11
	v_add_f32_e32 v8, v8, v9
	;; [unrolled: 1-line block ×3, first 2 shown]
	v_rcp_f32_e32 v35, v17
	v_sub_f32_e32 v9, v12, v17
	v_add_f32_e32 v34, v8, v9
	v_add_f32_e32 v9, v10, v11
	v_mul_f32_e32 v37, v9, v35
	v_sub_f32_e32 v8, v10, v9
	v_mul_f32_e32 v10, v17, v37
	v_fma_f32 v12, v37, v17, -v10
	v_fmac_f32_e32 v12, v37, v34
	v_add_f32_e32 v36, v11, v8
	v_add_f32_e32 v8, v10, v12
	v_sub_f32_e32 v11, v9, v8
	v_pk_add_f32 v[14:15], v[8:9], v[10:11] neg_lo:[0,1] neg_hi:[0,1]
	v_mov_b32_e32 v13, v8
	v_pk_add_f32 v[8:9], v[14:15], v[12:13] neg_lo:[0,1] neg_hi:[0,1]
	v_cmp_neq_f32_e32 vcc, s17, v7
	v_add_f32_e32 v9, v36, v9
	v_add_f32_e32 v8, v8, v9
	;; [unrolled: 1-line block ×3, first 2 shown]
	v_mul_f32_e32 v36, v35, v9
	v_mul_f32_e32 v10, v17, v36
	v_fma_f32 v12, v36, v17, -v10
	v_fmac_f32_e32 v12, v36, v34
	v_sub_f32_e32 v11, v11, v9
	v_add_f32_e32 v17, v8, v11
	v_add_f32_e32 v8, v10, v12
	v_sub_f32_e32 v11, v9, v8
	v_pk_add_f32 v[14:15], v[8:9], v[10:11] neg_lo:[0,1] neg_hi:[0,1]
	v_mov_b32_e32 v13, v8
	v_pk_add_f32 v[8:9], v[14:15], v[12:13] neg_lo:[0,1] neg_hi:[0,1]
	v_cvt_f32_i32_e32 v10, v16
	v_add_f32_e32 v9, v17, v9
	v_add_f32_e32 v8, v8, v9
	;; [unrolled: 1-line block ×4, first 2 shown]
	v_sub_f32_e32 v9, v11, v37
	v_mul_f32_e32 v8, v35, v8
	v_sub_f32_e32 v9, v36, v9
	v_add_f32_e32 v8, v9, v8
	v_add_f32_e32 v12, v11, v8
	v_mul_f32_e32 v14, v12, v12
	v_mov_b32_e32 v9, 0x3ecc95a3
	v_sub_f32_e32 v11, v12, v11
	v_fmac_f32_e32 v9, 0x3e9b6dac, v14
	v_sub_f32_e32 v8, v8, v11
	v_fmaak_f32 v9, v14, v9, 0x3f2aaada
	v_ldexp_f32 v15, v8, 1
	v_mul_f32_e32 v11, v12, v14
	v_mov_b32_e32 v8, 0x3f317218
	v_pk_mul_f32 v[8:9], v[10:11], v[8:9]
	v_ldexp_f32 v13, v12, 1
	v_fma_f32 v11, v10, s16, -v8
	v_fmamk_f32 v12, v10, 0xb102e308, v11
	v_pk_add_f32 v[10:11], v[8:9], v[12:13]
	v_mov_b32_e32 v14, v8
	v_sub_f32_e32 v13, v11, v13
	v_sub_f32_e32 v13, v9, v13
	v_add_f32_e32 v15, v15, v13
	v_pk_add_f32 v[8:9], v[10:11], v[8:9] neg_lo:[0,1] neg_hi:[0,1]
	v_pk_add_f32 v[16:17], v[10:11], v[14:15]
	v_mov_b32_e32 v13, v10
	v_mov_b32_e32 v9, v17
	v_pk_add_f32 v[34:35], v[12:13], v[8:9] neg_lo:[0,1] neg_hi:[0,1]
	v_pk_add_f32 v[8:9], v[12:13], v[8:9]
	v_mov_b32_e32 v14, v15
	v_pk_add_f32 v[12:13], v[8:9], v[10:11] op_sel:[1,0] op_sel_hi:[0,1] neg_lo:[0,1] neg_hi:[0,1]
	v_pk_add_f32 v[36:37], v[16:17], v[12:13] op_sel_hi:[1,0] neg_lo:[0,1] neg_hi:[0,1]
	v_mov_b32_e32 v16, v17
	v_mov_b32_e32 v17, v9
	v_pk_mov_b32 v[12:13], v[10:11], v[12:13] op_sel:[1,0]
	v_mov_b32_e32 v15, v10
	v_pk_add_f32 v[12:13], v[16:17], v[12:13] neg_lo:[0,1] neg_hi:[0,1]
	v_mov_b32_e32 v36, v34
	v_pk_add_f32 v[10:11], v[14:15], v[12:13] neg_lo:[0,1] neg_hi:[0,1]
	v_mov_b32_e32 v35, v9
	v_pk_add_f32 v[12:13], v[36:37], v[10:11]
	s_mov_b32 s16, 0x33800000
	v_pk_add_f32 v[14:15], v[12:13], v[12:13] op_sel:[0,1] op_sel_hi:[1,0]
	s_nop 0
	v_pk_add_f32 v[8:9], v[8:9], v[14:15] op_sel:[1,0] op_sel_hi:[0,1]
	v_mov_b32_e32 v13, v8
	v_pk_add_f32 v[16:17], v[12:13], v[34:35] neg_lo:[0,1] neg_hi:[0,1]
	v_mov_b32_e32 v11, v14
	v_sub_f32_e32 v9, v12, v16
	v_pk_add_f32 v[10:11], v[10:11], v[16:17] neg_lo:[0,1] neg_hi:[0,1]
	v_sub_f32_e32 v9, v34, v9
	v_add_f32_e32 v9, v10, v9
	v_add_f32_e32 v9, v9, v11
	;; [unrolled: 1-line block ×3, first 2 shown]
	v_cndmask_b32_e32 v8, v31, v8, vcc
	v_cmp_lt_f32_e64 vcc, |v7|, s16
	s_nop 1
	v_cndmask_b32_e32 v7, v8, v7, vcc
	v_add_f32_e32 v43, v6, v7
.LBB153_45:
	s_or_b64 exec, exec, s[14:15]
	v_max_f32_e32 v6, v43, v43
	v_max_f32_e32 v31, v27, v27
	v_min_f32_e32 v7, v6, v31
	v_cmp_u_f32_e32 vcc, v43, v43
	v_max_f32_e32 v6, v6, v31
	v_cmp_u_f32_e64 s[14:15], v27, v27
	v_cndmask_b32_e32 v7, v7, v43, vcc
	v_cndmask_b32_e32 v6, v6, v43, vcc
	v_cndmask_b32_e64 v7, v7, v27, s[14:15]
	v_cndmask_b32_e64 v6, v6, v27, s[14:15]
	s_movk_i32 s18, 0x1f8
	v_cmp_neq_f32_e32 vcc, v7, v6
	v_cmp_class_f32_e64 s[16:17], v7, s18
	s_or_b64 s[20:21], vcc, s[16:17]
	s_and_saveexec_b64 s[16:17], s[20:21]
	s_cbranch_execz .LBB153_47
; %bb.46:
	v_sub_f32_e32 v7, v7, v6
	s_mov_b32 s19, 0x3fb8aa3b
	v_mul_f32_e32 v8, 0x3fb8aa3b, v7
	v_fma_f32 v9, v7, s19, -v8
	v_rndne_f32_e32 v10, v8
	v_fmamk_f32 v9, v7, 0x32a5705f, v9
	v_sub_f32_e32 v8, v8, v10
	v_add_f32_e32 v8, v8, v9
	v_exp_f32_e32 v8, v8
	v_cvt_i32_f32_e32 v9, v10
	s_mov_b32 s19, 0xc2ce8ed0
	v_cmp_ngt_f32_e32 vcc, s19, v7
	s_mov_b32 s19, 0x42b17218
	v_ldexp_f32 v8, v8, v9
	v_cndmask_b32_e32 v8, 0, v8, vcc
	v_mov_b32_e32 v38, 0x7f800000
	v_cmp_nlt_f32_e32 vcc, s19, v7
	s_mov_b32 s19, 0x3f2aaaab
	s_mov_b32 s20, 0x7f800000
	v_cndmask_b32_e32 v7, v38, v8, vcc
	v_add_f32_e32 v10, 1.0, v7
	v_add_f32_e32 v8, -1.0, v10
	v_sub_f32_e32 v9, v8, v10
	v_add_f32_e32 v9, 1.0, v9
	v_sub_f32_e32 v8, v7, v8
	v_add_f32_e32 v11, v8, v9
	v_frexp_mant_f32_e32 v12, v10
	v_cvt_f64_f32_e32 v[8:9], v10
	v_frexp_exp_i32_f64_e32 v8, v[8:9]
	v_cmp_gt_f32_e32 vcc, s19, v12
	s_mov_b32 s19, 0x3f317218
	s_nop 0
	v_subbrev_co_u32_e32 v16, vcc, 0, v8, vcc
	v_sub_u32_e32 v8, 0, v16
	v_ldexp_f32 v9, v10, v8
	v_add_f32_e32 v10, -1.0, v9
	v_add_f32_e32 v12, 1.0, v9
	v_ldexp_f32 v8, v11, v8
	v_add_f32_e32 v11, 1.0, v10
	v_add_f32_e32 v13, -1.0, v12
	v_sub_f32_e32 v11, v9, v11
	v_sub_f32_e32 v9, v9, v13
	v_add_f32_e32 v11, v8, v11
	v_add_f32_e32 v8, v8, v9
	;; [unrolled: 1-line block ×3, first 2 shown]
	v_rcp_f32_e32 v35, v17
	v_sub_f32_e32 v9, v12, v17
	v_add_f32_e32 v34, v8, v9
	v_add_f32_e32 v9, v10, v11
	v_mul_f32_e32 v37, v9, v35
	v_sub_f32_e32 v8, v10, v9
	v_mul_f32_e32 v10, v17, v37
	v_fma_f32 v12, v37, v17, -v10
	v_fmac_f32_e32 v12, v37, v34
	v_add_f32_e32 v36, v11, v8
	v_add_f32_e32 v8, v10, v12
	v_sub_f32_e32 v11, v9, v8
	v_pk_add_f32 v[14:15], v[8:9], v[10:11] neg_lo:[0,1] neg_hi:[0,1]
	v_mov_b32_e32 v13, v8
	v_pk_add_f32 v[8:9], v[14:15], v[12:13] neg_lo:[0,1] neg_hi:[0,1]
	v_cmp_neq_f32_e32 vcc, s20, v7
	v_add_f32_e32 v9, v36, v9
	v_add_f32_e32 v8, v8, v9
	;; [unrolled: 1-line block ×3, first 2 shown]
	v_mul_f32_e32 v36, v35, v9
	v_mul_f32_e32 v10, v17, v36
	v_fma_f32 v12, v36, v17, -v10
	v_fmac_f32_e32 v12, v36, v34
	v_sub_f32_e32 v11, v11, v9
	v_add_f32_e32 v17, v8, v11
	v_add_f32_e32 v8, v10, v12
	v_sub_f32_e32 v11, v9, v8
	v_pk_add_f32 v[14:15], v[8:9], v[10:11] neg_lo:[0,1] neg_hi:[0,1]
	v_mov_b32_e32 v13, v8
	v_pk_add_f32 v[8:9], v[14:15], v[12:13] neg_lo:[0,1] neg_hi:[0,1]
	v_cvt_f32_i32_e32 v10, v16
	v_add_f32_e32 v9, v17, v9
	v_add_f32_e32 v8, v8, v9
	;; [unrolled: 1-line block ×4, first 2 shown]
	v_sub_f32_e32 v9, v11, v37
	v_mul_f32_e32 v8, v35, v8
	v_sub_f32_e32 v9, v36, v9
	v_add_f32_e32 v8, v9, v8
	v_add_f32_e32 v12, v11, v8
	v_mul_f32_e32 v14, v12, v12
	v_mov_b32_e32 v9, 0x3ecc95a3
	v_sub_f32_e32 v11, v12, v11
	v_fmac_f32_e32 v9, 0x3e9b6dac, v14
	v_sub_f32_e32 v8, v8, v11
	v_fmaak_f32 v9, v14, v9, 0x3f2aaada
	v_ldexp_f32 v15, v8, 1
	v_mul_f32_e32 v11, v12, v14
	v_mov_b32_e32 v8, 0x3f317218
	v_pk_mul_f32 v[8:9], v[10:11], v[8:9]
	v_ldexp_f32 v13, v12, 1
	v_fma_f32 v11, v10, s19, -v8
	v_fmamk_f32 v12, v10, 0xb102e308, v11
	v_pk_add_f32 v[10:11], v[8:9], v[12:13]
	v_mov_b32_e32 v14, v8
	v_sub_f32_e32 v13, v11, v13
	v_sub_f32_e32 v13, v9, v13
	v_add_f32_e32 v15, v15, v13
	v_pk_add_f32 v[8:9], v[10:11], v[8:9] neg_lo:[0,1] neg_hi:[0,1]
	v_pk_add_f32 v[16:17], v[10:11], v[14:15]
	v_mov_b32_e32 v13, v10
	v_mov_b32_e32 v9, v17
	v_pk_add_f32 v[34:35], v[12:13], v[8:9] neg_lo:[0,1] neg_hi:[0,1]
	v_pk_add_f32 v[8:9], v[12:13], v[8:9]
	v_mov_b32_e32 v14, v15
	v_pk_add_f32 v[12:13], v[8:9], v[10:11] op_sel:[1,0] op_sel_hi:[0,1] neg_lo:[0,1] neg_hi:[0,1]
	v_pk_add_f32 v[36:37], v[16:17], v[12:13] op_sel_hi:[1,0] neg_lo:[0,1] neg_hi:[0,1]
	v_mov_b32_e32 v16, v17
	v_mov_b32_e32 v17, v9
	v_pk_mov_b32 v[12:13], v[10:11], v[12:13] op_sel:[1,0]
	v_mov_b32_e32 v15, v10
	v_pk_add_f32 v[12:13], v[16:17], v[12:13] neg_lo:[0,1] neg_hi:[0,1]
	v_mov_b32_e32 v36, v34
	v_pk_add_f32 v[10:11], v[14:15], v[12:13] neg_lo:[0,1] neg_hi:[0,1]
	v_mov_b32_e32 v35, v9
	v_pk_add_f32 v[12:13], v[36:37], v[10:11]
	s_mov_b32 s19, 0x33800000
	v_pk_add_f32 v[14:15], v[12:13], v[12:13] op_sel:[0,1] op_sel_hi:[1,0]
	s_nop 0
	v_pk_add_f32 v[8:9], v[8:9], v[14:15] op_sel:[1,0] op_sel_hi:[0,1]
	v_mov_b32_e32 v13, v8
	v_pk_add_f32 v[16:17], v[12:13], v[34:35] neg_lo:[0,1] neg_hi:[0,1]
	v_mov_b32_e32 v11, v14
	v_sub_f32_e32 v9, v12, v16
	v_pk_add_f32 v[10:11], v[10:11], v[16:17] neg_lo:[0,1] neg_hi:[0,1]
	v_sub_f32_e32 v9, v34, v9
	v_add_f32_e32 v9, v10, v9
	v_add_f32_e32 v9, v9, v11
	;; [unrolled: 1-line block ×3, first 2 shown]
	v_cndmask_b32_e32 v8, v38, v8, vcc
	v_cmp_lt_f32_e64 vcc, |v7|, s19
	s_nop 1
	v_cndmask_b32_e32 v7, v8, v7, vcc
	v_add_f32_e32 v43, v6, v7
.LBB153_47:
	s_or_b64 exec, exec, s[16:17]
	v_max_f32_e32 v6, v43, v43
	v_max_f32_e32 v34, v28, v28
	v_min_f32_e32 v7, v6, v34
	v_cmp_u_f32_e32 vcc, v43, v43
	v_max_f32_e32 v6, v6, v34
	v_cmp_u_f32_e64 s[16:17], v28, v28
	v_cndmask_b32_e32 v7, v7, v43, vcc
	v_cndmask_b32_e32 v6, v6, v43, vcc
	v_cndmask_b32_e64 v7, v7, v28, s[16:17]
	v_cndmask_b32_e64 v6, v6, v28, s[16:17]
	v_cmp_neq_f32_e32 vcc, v7, v6
	v_cmp_class_f32_e64 s[18:19], v7, s18
	s_or_b64 s[20:21], vcc, s[18:19]
	s_and_saveexec_b64 s[18:19], s[20:21]
	s_cbranch_execz .LBB153_49
; %bb.48:
	v_sub_f32_e32 v7, v7, v6
	s_mov_b32 s20, 0x3fb8aa3b
	v_mul_f32_e32 v8, 0x3fb8aa3b, v7
	v_fma_f32 v9, v7, s20, -v8
	v_rndne_f32_e32 v10, v8
	v_fmamk_f32 v9, v7, 0x32a5705f, v9
	v_sub_f32_e32 v8, v8, v10
	v_add_f32_e32 v8, v8, v9
	v_exp_f32_e32 v8, v8
	v_cvt_i32_f32_e32 v9, v10
	s_mov_b32 s20, 0xc2ce8ed0
	v_cmp_ngt_f32_e32 vcc, s20, v7
	s_mov_b32 s20, 0x42b17218
	v_ldexp_f32 v8, v8, v9
	v_cndmask_b32_e32 v8, 0, v8, vcc
	v_mov_b32_e32 v35, 0x7f800000
	v_cmp_nlt_f32_e32 vcc, s20, v7
	s_mov_b32 s20, 0x3f2aaaab
	s_mov_b32 s21, 0x7f800000
	v_cndmask_b32_e32 v7, v35, v8, vcc
	v_add_f32_e32 v10, 1.0, v7
	v_add_f32_e32 v8, -1.0, v10
	v_sub_f32_e32 v9, v8, v10
	v_add_f32_e32 v9, 1.0, v9
	v_sub_f32_e32 v8, v7, v8
	v_add_f32_e32 v11, v8, v9
	v_frexp_mant_f32_e32 v12, v10
	v_cvt_f64_f32_e32 v[8:9], v10
	v_frexp_exp_i32_f64_e32 v8, v[8:9]
	v_cmp_gt_f32_e32 vcc, s20, v12
	s_mov_b32 s20, 0x3f317218
	s_nop 0
	v_subbrev_co_u32_e32 v16, vcc, 0, v8, vcc
	v_sub_u32_e32 v8, 0, v16
	v_ldexp_f32 v9, v10, v8
	v_add_f32_e32 v10, -1.0, v9
	v_add_f32_e32 v12, 1.0, v9
	v_ldexp_f32 v8, v11, v8
	v_add_f32_e32 v11, 1.0, v10
	v_add_f32_e32 v13, -1.0, v12
	v_sub_f32_e32 v11, v9, v11
	v_sub_f32_e32 v9, v9, v13
	v_add_f32_e32 v11, v8, v11
	v_add_f32_e32 v8, v8, v9
	v_add_f32_e32 v17, v12, v8
	v_rcp_f32_e32 v37, v17
	v_sub_f32_e32 v9, v12, v17
	v_add_f32_e32 v36, v8, v9
	v_add_f32_e32 v9, v10, v11
	v_mul_f32_e32 v39, v9, v37
	v_sub_f32_e32 v8, v10, v9
	v_mul_f32_e32 v10, v17, v39
	v_fma_f32 v12, v39, v17, -v10
	v_fmac_f32_e32 v12, v39, v36
	v_add_f32_e32 v38, v11, v8
	v_add_f32_e32 v8, v10, v12
	v_sub_f32_e32 v11, v9, v8
	v_pk_add_f32 v[14:15], v[8:9], v[10:11] neg_lo:[0,1] neg_hi:[0,1]
	v_mov_b32_e32 v13, v8
	v_pk_add_f32 v[8:9], v[14:15], v[12:13] neg_lo:[0,1] neg_hi:[0,1]
	v_cmp_neq_f32_e32 vcc, s21, v7
	v_add_f32_e32 v9, v38, v9
	v_add_f32_e32 v8, v8, v9
	;; [unrolled: 1-line block ×3, first 2 shown]
	v_mul_f32_e32 v38, v37, v9
	v_mul_f32_e32 v10, v17, v38
	v_fma_f32 v12, v38, v17, -v10
	v_fmac_f32_e32 v12, v38, v36
	v_sub_f32_e32 v11, v11, v9
	v_add_f32_e32 v17, v8, v11
	v_add_f32_e32 v8, v10, v12
	v_sub_f32_e32 v11, v9, v8
	v_pk_add_f32 v[14:15], v[8:9], v[10:11] neg_lo:[0,1] neg_hi:[0,1]
	v_mov_b32_e32 v13, v8
	v_pk_add_f32 v[8:9], v[14:15], v[12:13] neg_lo:[0,1] neg_hi:[0,1]
	v_cvt_f32_i32_e32 v10, v16
	v_add_f32_e32 v9, v17, v9
	v_add_f32_e32 v8, v8, v9
	;; [unrolled: 1-line block ×4, first 2 shown]
	v_sub_f32_e32 v9, v11, v39
	v_mul_f32_e32 v8, v37, v8
	v_sub_f32_e32 v9, v38, v9
	v_add_f32_e32 v8, v9, v8
	v_add_f32_e32 v12, v11, v8
	v_mul_f32_e32 v14, v12, v12
	v_mov_b32_e32 v9, 0x3ecc95a3
	v_sub_f32_e32 v11, v12, v11
	v_fmac_f32_e32 v9, 0x3e9b6dac, v14
	v_sub_f32_e32 v8, v8, v11
	v_fmaak_f32 v9, v14, v9, 0x3f2aaada
	v_ldexp_f32 v15, v8, 1
	v_mul_f32_e32 v11, v12, v14
	v_mov_b32_e32 v8, 0x3f317218
	v_pk_mul_f32 v[8:9], v[10:11], v[8:9]
	v_ldexp_f32 v13, v12, 1
	v_fma_f32 v11, v10, s20, -v8
	v_fmamk_f32 v12, v10, 0xb102e308, v11
	v_pk_add_f32 v[10:11], v[8:9], v[12:13]
	v_mov_b32_e32 v14, v8
	v_sub_f32_e32 v13, v11, v13
	v_sub_f32_e32 v13, v9, v13
	v_add_f32_e32 v15, v15, v13
	v_pk_add_f32 v[8:9], v[10:11], v[8:9] neg_lo:[0,1] neg_hi:[0,1]
	v_pk_add_f32 v[16:17], v[10:11], v[14:15]
	v_mov_b32_e32 v13, v10
	v_mov_b32_e32 v9, v17
	v_pk_add_f32 v[36:37], v[12:13], v[8:9] neg_lo:[0,1] neg_hi:[0,1]
	v_pk_add_f32 v[8:9], v[12:13], v[8:9]
	v_mov_b32_e32 v14, v15
	v_pk_add_f32 v[12:13], v[8:9], v[10:11] op_sel:[1,0] op_sel_hi:[0,1] neg_lo:[0,1] neg_hi:[0,1]
	v_pk_add_f32 v[38:39], v[16:17], v[12:13] op_sel_hi:[1,0] neg_lo:[0,1] neg_hi:[0,1]
	v_mov_b32_e32 v16, v17
	v_mov_b32_e32 v17, v9
	v_pk_mov_b32 v[12:13], v[10:11], v[12:13] op_sel:[1,0]
	v_mov_b32_e32 v15, v10
	v_pk_add_f32 v[12:13], v[16:17], v[12:13] neg_lo:[0,1] neg_hi:[0,1]
	v_mov_b32_e32 v38, v36
	v_pk_add_f32 v[10:11], v[14:15], v[12:13] neg_lo:[0,1] neg_hi:[0,1]
	v_mov_b32_e32 v37, v9
	v_pk_add_f32 v[12:13], v[38:39], v[10:11]
	s_mov_b32 s20, 0x33800000
	v_pk_add_f32 v[14:15], v[12:13], v[12:13] op_sel:[0,1] op_sel_hi:[1,0]
	s_nop 0
	v_pk_add_f32 v[8:9], v[8:9], v[14:15] op_sel:[1,0] op_sel_hi:[0,1]
	v_mov_b32_e32 v13, v8
	v_pk_add_f32 v[16:17], v[12:13], v[36:37] neg_lo:[0,1] neg_hi:[0,1]
	v_mov_b32_e32 v11, v14
	v_sub_f32_e32 v9, v12, v16
	v_pk_add_f32 v[10:11], v[10:11], v[16:17] neg_lo:[0,1] neg_hi:[0,1]
	v_sub_f32_e32 v9, v36, v9
	v_add_f32_e32 v9, v10, v9
	v_add_f32_e32 v9, v9, v11
	;; [unrolled: 1-line block ×3, first 2 shown]
	v_cndmask_b32_e32 v8, v35, v8, vcc
	v_cmp_lt_f32_e64 vcc, |v7|, s20
	s_nop 1
	v_cndmask_b32_e32 v7, v8, v7, vcc
	v_add_f32_e32 v43, v6, v7
.LBB153_49:
	s_or_b64 exec, exec, s[18:19]
	v_max_f32_e32 v6, v43, v43
	v_max_f32_e32 v35, v29, v29
	v_min_f32_e32 v7, v6, v35
	v_cmp_u_f32_e32 vcc, v43, v43
	v_max_f32_e32 v6, v6, v35
	v_cmp_u_f32_e64 s[18:19], v29, v29
	v_cndmask_b32_e32 v7, v7, v43, vcc
	v_cndmask_b32_e32 v6, v6, v43, vcc
	v_cndmask_b32_e64 v7, v7, v29, s[18:19]
	v_cndmask_b32_e64 v6, v6, v29, s[18:19]
	s_movk_i32 s22, 0x1f8
	v_cmp_neq_f32_e32 vcc, v7, v6
	v_cmp_class_f32_e64 s[20:21], v7, s22
	s_or_b64 s[24:25], vcc, s[20:21]
	s_and_saveexec_b64 s[20:21], s[24:25]
	s_cbranch_execz .LBB153_51
; %bb.50:
	v_sub_f32_e32 v7, v7, v6
	s_mov_b32 s23, 0x3fb8aa3b
	v_mul_f32_e32 v8, 0x3fb8aa3b, v7
	v_fma_f32 v9, v7, s23, -v8
	v_rndne_f32_e32 v10, v8
	v_fmamk_f32 v9, v7, 0x32a5705f, v9
	v_sub_f32_e32 v8, v8, v10
	v_add_f32_e32 v8, v8, v9
	v_exp_f32_e32 v8, v8
	v_cvt_i32_f32_e32 v9, v10
	s_mov_b32 s23, 0xc2ce8ed0
	v_cmp_ngt_f32_e32 vcc, s23, v7
	s_mov_b32 s23, 0x42b17218
	v_ldexp_f32 v8, v8, v9
	v_cndmask_b32_e32 v8, 0, v8, vcc
	v_mov_b32_e32 v40, 0x7f800000
	v_cmp_nlt_f32_e32 vcc, s23, v7
	s_mov_b32 s23, 0x3f2aaaab
	s_mov_b32 s24, 0x7f800000
	v_cndmask_b32_e32 v7, v40, v8, vcc
	v_add_f32_e32 v10, 1.0, v7
	v_add_f32_e32 v8, -1.0, v10
	v_sub_f32_e32 v9, v8, v10
	v_add_f32_e32 v9, 1.0, v9
	v_sub_f32_e32 v8, v7, v8
	v_add_f32_e32 v11, v8, v9
	v_frexp_mant_f32_e32 v12, v10
	v_cvt_f64_f32_e32 v[8:9], v10
	v_frexp_exp_i32_f64_e32 v8, v[8:9]
	v_cmp_gt_f32_e32 vcc, s23, v12
	s_mov_b32 s23, 0x3f317218
	s_nop 0
	v_subbrev_co_u32_e32 v16, vcc, 0, v8, vcc
	v_sub_u32_e32 v8, 0, v16
	v_ldexp_f32 v9, v10, v8
	v_add_f32_e32 v10, -1.0, v9
	v_add_f32_e32 v12, 1.0, v9
	v_ldexp_f32 v8, v11, v8
	v_add_f32_e32 v11, 1.0, v10
	v_add_f32_e32 v13, -1.0, v12
	v_sub_f32_e32 v11, v9, v11
	v_sub_f32_e32 v9, v9, v13
	v_add_f32_e32 v11, v8, v11
	v_add_f32_e32 v8, v8, v9
	;; [unrolled: 1-line block ×3, first 2 shown]
	v_rcp_f32_e32 v37, v17
	v_sub_f32_e32 v9, v12, v17
	v_add_f32_e32 v36, v8, v9
	v_add_f32_e32 v9, v10, v11
	v_mul_f32_e32 v39, v9, v37
	v_sub_f32_e32 v8, v10, v9
	v_mul_f32_e32 v10, v17, v39
	v_fma_f32 v12, v39, v17, -v10
	v_fmac_f32_e32 v12, v39, v36
	v_add_f32_e32 v38, v11, v8
	v_add_f32_e32 v8, v10, v12
	v_sub_f32_e32 v11, v9, v8
	v_pk_add_f32 v[14:15], v[8:9], v[10:11] neg_lo:[0,1] neg_hi:[0,1]
	v_mov_b32_e32 v13, v8
	v_pk_add_f32 v[8:9], v[14:15], v[12:13] neg_lo:[0,1] neg_hi:[0,1]
	v_cmp_neq_f32_e32 vcc, s24, v7
	v_add_f32_e32 v9, v38, v9
	v_add_f32_e32 v8, v8, v9
	;; [unrolled: 1-line block ×3, first 2 shown]
	v_mul_f32_e32 v38, v37, v9
	v_mul_f32_e32 v10, v17, v38
	v_fma_f32 v12, v38, v17, -v10
	v_fmac_f32_e32 v12, v38, v36
	v_sub_f32_e32 v11, v11, v9
	v_add_f32_e32 v17, v8, v11
	v_add_f32_e32 v8, v10, v12
	v_sub_f32_e32 v11, v9, v8
	v_pk_add_f32 v[14:15], v[8:9], v[10:11] neg_lo:[0,1] neg_hi:[0,1]
	v_mov_b32_e32 v13, v8
	v_pk_add_f32 v[8:9], v[14:15], v[12:13] neg_lo:[0,1] neg_hi:[0,1]
	v_cvt_f32_i32_e32 v10, v16
	v_add_f32_e32 v9, v17, v9
	v_add_f32_e32 v8, v8, v9
	;; [unrolled: 1-line block ×4, first 2 shown]
	v_sub_f32_e32 v9, v11, v39
	v_mul_f32_e32 v8, v37, v8
	v_sub_f32_e32 v9, v38, v9
	v_add_f32_e32 v8, v9, v8
	v_add_f32_e32 v12, v11, v8
	v_mul_f32_e32 v14, v12, v12
	v_mov_b32_e32 v9, 0x3ecc95a3
	v_sub_f32_e32 v11, v12, v11
	v_fmac_f32_e32 v9, 0x3e9b6dac, v14
	v_sub_f32_e32 v8, v8, v11
	v_fmaak_f32 v9, v14, v9, 0x3f2aaada
	v_ldexp_f32 v15, v8, 1
	v_mul_f32_e32 v11, v12, v14
	v_mov_b32_e32 v8, 0x3f317218
	v_pk_mul_f32 v[8:9], v[10:11], v[8:9]
	v_ldexp_f32 v13, v12, 1
	v_fma_f32 v11, v10, s23, -v8
	v_fmamk_f32 v12, v10, 0xb102e308, v11
	v_pk_add_f32 v[10:11], v[8:9], v[12:13]
	v_mov_b32_e32 v14, v8
	v_sub_f32_e32 v13, v11, v13
	v_sub_f32_e32 v13, v9, v13
	v_add_f32_e32 v15, v15, v13
	v_pk_add_f32 v[8:9], v[10:11], v[8:9] neg_lo:[0,1] neg_hi:[0,1]
	v_pk_add_f32 v[16:17], v[10:11], v[14:15]
	v_mov_b32_e32 v13, v10
	v_mov_b32_e32 v9, v17
	v_pk_add_f32 v[36:37], v[12:13], v[8:9] neg_lo:[0,1] neg_hi:[0,1]
	v_pk_add_f32 v[8:9], v[12:13], v[8:9]
	v_mov_b32_e32 v14, v15
	v_pk_add_f32 v[12:13], v[8:9], v[10:11] op_sel:[1,0] op_sel_hi:[0,1] neg_lo:[0,1] neg_hi:[0,1]
	v_pk_add_f32 v[38:39], v[16:17], v[12:13] op_sel_hi:[1,0] neg_lo:[0,1] neg_hi:[0,1]
	v_mov_b32_e32 v16, v17
	v_mov_b32_e32 v17, v9
	v_pk_mov_b32 v[12:13], v[10:11], v[12:13] op_sel:[1,0]
	v_mov_b32_e32 v15, v10
	v_pk_add_f32 v[12:13], v[16:17], v[12:13] neg_lo:[0,1] neg_hi:[0,1]
	v_mov_b32_e32 v38, v36
	v_pk_add_f32 v[10:11], v[14:15], v[12:13] neg_lo:[0,1] neg_hi:[0,1]
	v_mov_b32_e32 v37, v9
	v_pk_add_f32 v[12:13], v[38:39], v[10:11]
	s_mov_b32 s23, 0x33800000
	v_pk_add_f32 v[14:15], v[12:13], v[12:13] op_sel:[0,1] op_sel_hi:[1,0]
	s_nop 0
	v_pk_add_f32 v[8:9], v[8:9], v[14:15] op_sel:[1,0] op_sel_hi:[0,1]
	v_mov_b32_e32 v13, v8
	v_pk_add_f32 v[16:17], v[12:13], v[36:37] neg_lo:[0,1] neg_hi:[0,1]
	v_mov_b32_e32 v11, v14
	v_sub_f32_e32 v9, v12, v16
	v_pk_add_f32 v[10:11], v[10:11], v[16:17] neg_lo:[0,1] neg_hi:[0,1]
	v_sub_f32_e32 v9, v36, v9
	v_add_f32_e32 v9, v10, v9
	v_add_f32_e32 v9, v9, v11
	;; [unrolled: 1-line block ×3, first 2 shown]
	v_cndmask_b32_e32 v8, v40, v8, vcc
	v_cmp_lt_f32_e64 vcc, |v7|, s23
	s_nop 1
	v_cndmask_b32_e32 v7, v8, v7, vcc
	v_add_f32_e32 v43, v6, v7
.LBB153_51:
	s_or_b64 exec, exec, s[20:21]
	v_max_f32_e32 v6, v43, v43
	v_max_f32_e32 v36, v22, v22
	v_min_f32_e32 v7, v6, v36
	v_cmp_u_f32_e32 vcc, v43, v43
	v_max_f32_e32 v6, v6, v36
	v_cmp_u_f32_e64 s[20:21], v22, v22
	v_cndmask_b32_e32 v7, v7, v43, vcc
	v_cndmask_b32_e32 v6, v6, v43, vcc
	v_cndmask_b32_e64 v7, v7, v22, s[20:21]
	v_cndmask_b32_e64 v6, v6, v22, s[20:21]
	v_cmp_neq_f32_e32 vcc, v7, v6
	v_cmp_class_f32_e64 s[22:23], v7, s22
	s_or_b64 s[24:25], vcc, s[22:23]
	s_and_saveexec_b64 s[22:23], s[24:25]
	s_cbranch_execz .LBB153_53
; %bb.52:
	v_sub_f32_e32 v7, v7, v6
	s_mov_b32 s24, 0x3fb8aa3b
	v_mul_f32_e32 v8, 0x3fb8aa3b, v7
	v_fma_f32 v9, v7, s24, -v8
	v_rndne_f32_e32 v10, v8
	v_fmamk_f32 v9, v7, 0x32a5705f, v9
	v_sub_f32_e32 v8, v8, v10
	v_add_f32_e32 v8, v8, v9
	v_exp_f32_e32 v8, v8
	v_cvt_i32_f32_e32 v9, v10
	s_mov_b32 s24, 0xc2ce8ed0
	v_cmp_ngt_f32_e32 vcc, s24, v7
	s_mov_b32 s24, 0x42b17218
	v_ldexp_f32 v8, v8, v9
	v_cndmask_b32_e32 v8, 0, v8, vcc
	v_mov_b32_e32 v37, 0x7f800000
	v_cmp_nlt_f32_e32 vcc, s24, v7
	s_mov_b32 s24, 0x3f2aaaab
	s_mov_b32 s25, 0x7f800000
	v_cndmask_b32_e32 v7, v37, v8, vcc
	v_add_f32_e32 v10, 1.0, v7
	v_add_f32_e32 v8, -1.0, v10
	v_sub_f32_e32 v9, v8, v10
	v_add_f32_e32 v9, 1.0, v9
	v_sub_f32_e32 v8, v7, v8
	v_add_f32_e32 v11, v8, v9
	v_frexp_mant_f32_e32 v12, v10
	v_cvt_f64_f32_e32 v[8:9], v10
	v_frexp_exp_i32_f64_e32 v8, v[8:9]
	v_cmp_gt_f32_e32 vcc, s24, v12
	s_mov_b32 s24, 0x3f317218
	s_nop 0
	v_subbrev_co_u32_e32 v16, vcc, 0, v8, vcc
	v_sub_u32_e32 v8, 0, v16
	v_ldexp_f32 v9, v10, v8
	v_add_f32_e32 v10, -1.0, v9
	v_add_f32_e32 v12, 1.0, v9
	v_ldexp_f32 v8, v11, v8
	v_add_f32_e32 v11, 1.0, v10
	v_add_f32_e32 v13, -1.0, v12
	v_sub_f32_e32 v11, v9, v11
	v_sub_f32_e32 v9, v9, v13
	v_add_f32_e32 v11, v8, v11
	v_add_f32_e32 v8, v8, v9
	;; [unrolled: 1-line block ×3, first 2 shown]
	v_rcp_f32_e32 v39, v17
	v_sub_f32_e32 v9, v12, v17
	v_add_f32_e32 v38, v8, v9
	v_add_f32_e32 v9, v10, v11
	v_mul_f32_e32 v41, v9, v39
	v_sub_f32_e32 v8, v10, v9
	v_mul_f32_e32 v10, v17, v41
	v_fma_f32 v12, v41, v17, -v10
	v_fmac_f32_e32 v12, v41, v38
	v_add_f32_e32 v40, v11, v8
	v_add_f32_e32 v8, v10, v12
	v_sub_f32_e32 v11, v9, v8
	v_pk_add_f32 v[14:15], v[8:9], v[10:11] neg_lo:[0,1] neg_hi:[0,1]
	v_mov_b32_e32 v13, v8
	v_pk_add_f32 v[8:9], v[14:15], v[12:13] neg_lo:[0,1] neg_hi:[0,1]
	v_cmp_neq_f32_e32 vcc, s25, v7
	v_add_f32_e32 v9, v40, v9
	v_add_f32_e32 v8, v8, v9
	;; [unrolled: 1-line block ×3, first 2 shown]
	v_mul_f32_e32 v40, v39, v9
	v_mul_f32_e32 v10, v17, v40
	v_fma_f32 v12, v40, v17, -v10
	v_fmac_f32_e32 v12, v40, v38
	v_sub_f32_e32 v11, v11, v9
	v_add_f32_e32 v17, v8, v11
	v_add_f32_e32 v8, v10, v12
	v_sub_f32_e32 v11, v9, v8
	v_pk_add_f32 v[14:15], v[8:9], v[10:11] neg_lo:[0,1] neg_hi:[0,1]
	v_mov_b32_e32 v13, v8
	v_pk_add_f32 v[8:9], v[14:15], v[12:13] neg_lo:[0,1] neg_hi:[0,1]
	v_cvt_f32_i32_e32 v10, v16
	v_add_f32_e32 v9, v17, v9
	v_add_f32_e32 v8, v8, v9
	;; [unrolled: 1-line block ×4, first 2 shown]
	v_sub_f32_e32 v9, v11, v41
	v_mul_f32_e32 v8, v39, v8
	v_sub_f32_e32 v9, v40, v9
	v_add_f32_e32 v8, v9, v8
	v_add_f32_e32 v12, v11, v8
	v_mul_f32_e32 v14, v12, v12
	v_mov_b32_e32 v9, 0x3ecc95a3
	v_sub_f32_e32 v11, v12, v11
	v_fmac_f32_e32 v9, 0x3e9b6dac, v14
	v_sub_f32_e32 v8, v8, v11
	v_fmaak_f32 v9, v14, v9, 0x3f2aaada
	v_ldexp_f32 v15, v8, 1
	v_mul_f32_e32 v11, v12, v14
	v_mov_b32_e32 v8, 0x3f317218
	v_pk_mul_f32 v[8:9], v[10:11], v[8:9]
	v_ldexp_f32 v13, v12, 1
	v_fma_f32 v11, v10, s24, -v8
	v_fmamk_f32 v12, v10, 0xb102e308, v11
	v_pk_add_f32 v[10:11], v[8:9], v[12:13]
	v_mov_b32_e32 v14, v8
	v_sub_f32_e32 v13, v11, v13
	v_sub_f32_e32 v13, v9, v13
	v_add_f32_e32 v15, v15, v13
	v_pk_add_f32 v[8:9], v[10:11], v[8:9] neg_lo:[0,1] neg_hi:[0,1]
	v_pk_add_f32 v[16:17], v[10:11], v[14:15]
	v_mov_b32_e32 v13, v10
	v_mov_b32_e32 v9, v17
	v_pk_add_f32 v[38:39], v[12:13], v[8:9] neg_lo:[0,1] neg_hi:[0,1]
	v_pk_add_f32 v[8:9], v[12:13], v[8:9]
	v_mov_b32_e32 v14, v15
	v_pk_add_f32 v[12:13], v[8:9], v[10:11] op_sel:[1,0] op_sel_hi:[0,1] neg_lo:[0,1] neg_hi:[0,1]
	v_pk_add_f32 v[40:41], v[16:17], v[12:13] op_sel_hi:[1,0] neg_lo:[0,1] neg_hi:[0,1]
	v_mov_b32_e32 v16, v17
	v_mov_b32_e32 v17, v9
	v_pk_mov_b32 v[12:13], v[10:11], v[12:13] op_sel:[1,0]
	v_mov_b32_e32 v15, v10
	v_pk_add_f32 v[12:13], v[16:17], v[12:13] neg_lo:[0,1] neg_hi:[0,1]
	v_mov_b32_e32 v40, v38
	v_pk_add_f32 v[10:11], v[14:15], v[12:13] neg_lo:[0,1] neg_hi:[0,1]
	v_mov_b32_e32 v39, v9
	v_pk_add_f32 v[12:13], v[40:41], v[10:11]
	s_mov_b32 s24, 0x33800000
	v_pk_add_f32 v[14:15], v[12:13], v[12:13] op_sel:[0,1] op_sel_hi:[1,0]
	s_nop 0
	v_pk_add_f32 v[8:9], v[8:9], v[14:15] op_sel:[1,0] op_sel_hi:[0,1]
	v_mov_b32_e32 v13, v8
	v_pk_add_f32 v[16:17], v[12:13], v[38:39] neg_lo:[0,1] neg_hi:[0,1]
	v_mov_b32_e32 v11, v14
	v_sub_f32_e32 v9, v12, v16
	v_pk_add_f32 v[10:11], v[10:11], v[16:17] neg_lo:[0,1] neg_hi:[0,1]
	v_sub_f32_e32 v9, v38, v9
	v_add_f32_e32 v9, v10, v9
	v_add_f32_e32 v9, v9, v11
	;; [unrolled: 1-line block ×3, first 2 shown]
	v_cndmask_b32_e32 v8, v37, v8, vcc
	v_cmp_lt_f32_e64 vcc, |v7|, s24
	s_nop 1
	v_cndmask_b32_e32 v7, v8, v7, vcc
	v_add_f32_e32 v43, v6, v7
.LBB153_53:
	s_or_b64 exec, exec, s[22:23]
	v_max_f32_e32 v6, v43, v43
	v_max_f32_e32 v37, v23, v23
	v_min_f32_e32 v7, v6, v37
	v_cmp_u_f32_e32 vcc, v43, v43
	v_max_f32_e32 v6, v6, v37
	v_cmp_u_f32_e64 s[22:23], v23, v23
	v_cndmask_b32_e32 v7, v7, v43, vcc
	v_cndmask_b32_e32 v6, v6, v43, vcc
	v_cndmask_b32_e64 v7, v7, v23, s[22:23]
	v_cndmask_b32_e64 v6, v6, v23, s[22:23]
	s_movk_i32 s26, 0x1f8
	v_cmp_neq_f32_e32 vcc, v7, v6
	v_cmp_class_f32_e64 s[24:25], v7, s26
	s_or_b64 s[28:29], vcc, s[24:25]
	s_and_saveexec_b64 s[24:25], s[28:29]
	s_cbranch_execz .LBB153_55
; %bb.54:
	v_sub_f32_e32 v7, v7, v6
	s_mov_b32 s27, 0x3fb8aa3b
	v_mul_f32_e32 v8, 0x3fb8aa3b, v7
	v_fma_f32 v9, v7, s27, -v8
	v_rndne_f32_e32 v10, v8
	v_fmamk_f32 v9, v7, 0x32a5705f, v9
	v_sub_f32_e32 v8, v8, v10
	v_add_f32_e32 v8, v8, v9
	v_exp_f32_e32 v8, v8
	v_cvt_i32_f32_e32 v9, v10
	s_mov_b32 s27, 0xc2ce8ed0
	v_cmp_ngt_f32_e32 vcc, s27, v7
	s_mov_b32 s27, 0x42b17218
	v_ldexp_f32 v8, v8, v9
	v_cndmask_b32_e32 v8, 0, v8, vcc
	v_mov_b32_e32 v43, 0x7f800000
	v_cmp_nlt_f32_e32 vcc, s27, v7
	s_mov_b32 s27, 0x3f2aaaab
	s_mov_b32 s28, 0x7f800000
	v_cndmask_b32_e32 v7, v43, v8, vcc
	v_add_f32_e32 v10, 1.0, v7
	v_add_f32_e32 v8, -1.0, v10
	v_sub_f32_e32 v9, v8, v10
	v_add_f32_e32 v9, 1.0, v9
	v_sub_f32_e32 v8, v7, v8
	v_add_f32_e32 v11, v8, v9
	v_frexp_mant_f32_e32 v12, v10
	v_cvt_f64_f32_e32 v[8:9], v10
	v_frexp_exp_i32_f64_e32 v8, v[8:9]
	v_cmp_gt_f32_e32 vcc, s27, v12
	s_mov_b32 s27, 0x3f317218
	s_nop 0
	v_subbrev_co_u32_e32 v16, vcc, 0, v8, vcc
	v_sub_u32_e32 v8, 0, v16
	v_ldexp_f32 v9, v10, v8
	v_add_f32_e32 v10, -1.0, v9
	v_add_f32_e32 v12, 1.0, v9
	v_ldexp_f32 v8, v11, v8
	v_add_f32_e32 v11, 1.0, v10
	v_add_f32_e32 v13, -1.0, v12
	v_sub_f32_e32 v11, v9, v11
	v_sub_f32_e32 v9, v9, v13
	v_add_f32_e32 v11, v8, v11
	v_add_f32_e32 v8, v8, v9
	;; [unrolled: 1-line block ×3, first 2 shown]
	v_rcp_f32_e32 v39, v17
	v_sub_f32_e32 v9, v12, v17
	v_add_f32_e32 v38, v8, v9
	v_add_f32_e32 v9, v10, v11
	v_mul_f32_e32 v41, v9, v39
	v_sub_f32_e32 v8, v10, v9
	v_mul_f32_e32 v10, v17, v41
	v_fma_f32 v12, v41, v17, -v10
	v_fmac_f32_e32 v12, v41, v38
	v_add_f32_e32 v40, v11, v8
	v_add_f32_e32 v8, v10, v12
	v_sub_f32_e32 v11, v9, v8
	v_pk_add_f32 v[14:15], v[8:9], v[10:11] neg_lo:[0,1] neg_hi:[0,1]
	v_mov_b32_e32 v13, v8
	v_pk_add_f32 v[8:9], v[14:15], v[12:13] neg_lo:[0,1] neg_hi:[0,1]
	v_cmp_neq_f32_e32 vcc, s28, v7
	v_add_f32_e32 v9, v40, v9
	v_add_f32_e32 v8, v8, v9
	;; [unrolled: 1-line block ×3, first 2 shown]
	v_mul_f32_e32 v40, v39, v9
	v_mul_f32_e32 v10, v17, v40
	v_fma_f32 v12, v40, v17, -v10
	v_fmac_f32_e32 v12, v40, v38
	v_sub_f32_e32 v11, v11, v9
	v_add_f32_e32 v17, v8, v11
	v_add_f32_e32 v8, v10, v12
	v_sub_f32_e32 v11, v9, v8
	v_pk_add_f32 v[14:15], v[8:9], v[10:11] neg_lo:[0,1] neg_hi:[0,1]
	v_mov_b32_e32 v13, v8
	v_pk_add_f32 v[8:9], v[14:15], v[12:13] neg_lo:[0,1] neg_hi:[0,1]
	v_cvt_f32_i32_e32 v10, v16
	v_add_f32_e32 v9, v17, v9
	v_add_f32_e32 v8, v8, v9
	;; [unrolled: 1-line block ×4, first 2 shown]
	v_sub_f32_e32 v9, v11, v41
	v_mul_f32_e32 v8, v39, v8
	v_sub_f32_e32 v9, v40, v9
	v_add_f32_e32 v8, v9, v8
	v_add_f32_e32 v12, v11, v8
	v_mul_f32_e32 v14, v12, v12
	v_mov_b32_e32 v9, 0x3ecc95a3
	v_sub_f32_e32 v11, v12, v11
	v_fmac_f32_e32 v9, 0x3e9b6dac, v14
	v_sub_f32_e32 v8, v8, v11
	v_fmaak_f32 v9, v14, v9, 0x3f2aaada
	v_ldexp_f32 v15, v8, 1
	v_mul_f32_e32 v11, v12, v14
	v_mov_b32_e32 v8, 0x3f317218
	v_pk_mul_f32 v[8:9], v[10:11], v[8:9]
	v_ldexp_f32 v13, v12, 1
	v_fma_f32 v11, v10, s27, -v8
	v_fmamk_f32 v12, v10, 0xb102e308, v11
	v_pk_add_f32 v[10:11], v[8:9], v[12:13]
	v_mov_b32_e32 v14, v8
	v_sub_f32_e32 v13, v11, v13
	v_sub_f32_e32 v13, v9, v13
	v_add_f32_e32 v15, v15, v13
	v_pk_add_f32 v[8:9], v[10:11], v[8:9] neg_lo:[0,1] neg_hi:[0,1]
	v_pk_add_f32 v[16:17], v[10:11], v[14:15]
	v_mov_b32_e32 v13, v10
	v_mov_b32_e32 v9, v17
	v_pk_add_f32 v[38:39], v[12:13], v[8:9] neg_lo:[0,1] neg_hi:[0,1]
	v_pk_add_f32 v[8:9], v[12:13], v[8:9]
	v_mov_b32_e32 v14, v15
	v_pk_add_f32 v[12:13], v[8:9], v[10:11] op_sel:[1,0] op_sel_hi:[0,1] neg_lo:[0,1] neg_hi:[0,1]
	v_pk_add_f32 v[40:41], v[16:17], v[12:13] op_sel_hi:[1,0] neg_lo:[0,1] neg_hi:[0,1]
	v_mov_b32_e32 v16, v17
	v_mov_b32_e32 v17, v9
	v_pk_mov_b32 v[12:13], v[10:11], v[12:13] op_sel:[1,0]
	v_mov_b32_e32 v15, v10
	v_pk_add_f32 v[12:13], v[16:17], v[12:13] neg_lo:[0,1] neg_hi:[0,1]
	v_mov_b32_e32 v40, v38
	v_pk_add_f32 v[10:11], v[14:15], v[12:13] neg_lo:[0,1] neg_hi:[0,1]
	v_mov_b32_e32 v39, v9
	v_pk_add_f32 v[12:13], v[40:41], v[10:11]
	s_mov_b32 s27, 0x33800000
	v_pk_add_f32 v[14:15], v[12:13], v[12:13] op_sel:[0,1] op_sel_hi:[1,0]
	s_nop 0
	v_pk_add_f32 v[8:9], v[8:9], v[14:15] op_sel:[1,0] op_sel_hi:[0,1]
	v_mov_b32_e32 v13, v8
	v_pk_add_f32 v[16:17], v[12:13], v[38:39] neg_lo:[0,1] neg_hi:[0,1]
	v_mov_b32_e32 v11, v14
	v_sub_f32_e32 v9, v12, v16
	v_pk_add_f32 v[10:11], v[10:11], v[16:17] neg_lo:[0,1] neg_hi:[0,1]
	v_sub_f32_e32 v9, v38, v9
	v_add_f32_e32 v9, v10, v9
	v_add_f32_e32 v9, v9, v11
	;; [unrolled: 1-line block ×3, first 2 shown]
	v_cndmask_b32_e32 v8, v43, v8, vcc
	v_cmp_lt_f32_e64 vcc, |v7|, s27
	s_nop 1
	v_cndmask_b32_e32 v7, v8, v7, vcc
	v_add_f32_e32 v43, v6, v7
.LBB153_55:
	s_or_b64 exec, exec, s[24:25]
	v_max_f32_e32 v6, v43, v43
	v_max_f32_e32 v38, v24, v24
	v_min_f32_e32 v7, v6, v38
	v_cmp_u_f32_e32 vcc, v43, v43
	v_max_f32_e32 v6, v6, v38
	v_cmp_u_f32_e64 s[24:25], v24, v24
	v_cndmask_b32_e32 v7, v7, v43, vcc
	v_cndmask_b32_e32 v6, v6, v43, vcc
	v_cndmask_b32_e64 v7, v7, v24, s[24:25]
	v_cndmask_b32_e64 v6, v6, v24, s[24:25]
	v_cmp_neq_f32_e32 vcc, v7, v6
	v_cmp_class_f32_e64 s[26:27], v7, s26
	s_or_b64 s[28:29], vcc, s[26:27]
	s_and_saveexec_b64 s[26:27], s[28:29]
	s_cbranch_execz .LBB153_57
; %bb.56:
	v_sub_f32_e32 v7, v7, v6
	s_mov_b32 s28, 0x3fb8aa3b
	v_mul_f32_e32 v8, 0x3fb8aa3b, v7
	v_fma_f32 v9, v7, s28, -v8
	v_rndne_f32_e32 v10, v8
	v_fmamk_f32 v9, v7, 0x32a5705f, v9
	v_sub_f32_e32 v8, v8, v10
	v_add_f32_e32 v8, v8, v9
	v_exp_f32_e32 v8, v8
	v_cvt_i32_f32_e32 v9, v10
	s_mov_b32 s28, 0xc2ce8ed0
	v_cmp_ngt_f32_e32 vcc, s28, v7
	s_mov_b32 s28, 0x42b17218
	v_ldexp_f32 v8, v8, v9
	v_cndmask_b32_e32 v8, 0, v8, vcc
	v_mov_b32_e32 v39, 0x7f800000
	v_cmp_nlt_f32_e32 vcc, s28, v7
	s_mov_b32 s28, 0x3f2aaaab
	s_mov_b32 s29, 0x7f800000
	v_cndmask_b32_e32 v7, v39, v8, vcc
	v_add_f32_e32 v10, 1.0, v7
	v_add_f32_e32 v8, -1.0, v10
	v_sub_f32_e32 v9, v8, v10
	v_add_f32_e32 v9, 1.0, v9
	v_sub_f32_e32 v8, v7, v8
	v_add_f32_e32 v11, v8, v9
	v_frexp_mant_f32_e32 v12, v10
	v_cvt_f64_f32_e32 v[8:9], v10
	v_frexp_exp_i32_f64_e32 v8, v[8:9]
	v_cmp_gt_f32_e32 vcc, s28, v12
	s_mov_b32 s28, 0x3f317218
	s_nop 0
	v_subbrev_co_u32_e32 v16, vcc, 0, v8, vcc
	v_sub_u32_e32 v8, 0, v16
	v_ldexp_f32 v9, v10, v8
	v_add_f32_e32 v10, -1.0, v9
	v_add_f32_e32 v12, 1.0, v9
	v_ldexp_f32 v8, v11, v8
	v_add_f32_e32 v11, 1.0, v10
	v_add_f32_e32 v13, -1.0, v12
	v_sub_f32_e32 v11, v9, v11
	v_sub_f32_e32 v9, v9, v13
	v_add_f32_e32 v11, v8, v11
	v_add_f32_e32 v8, v8, v9
	;; [unrolled: 1-line block ×3, first 2 shown]
	v_rcp_f32_e32 v41, v17
	v_sub_f32_e32 v9, v12, v17
	v_add_f32_e32 v40, v8, v9
	v_add_f32_e32 v9, v10, v11
	v_mul_f32_e32 v44, v9, v41
	v_sub_f32_e32 v8, v10, v9
	v_mul_f32_e32 v10, v17, v44
	v_fma_f32 v12, v44, v17, -v10
	v_fmac_f32_e32 v12, v44, v40
	v_add_f32_e32 v43, v11, v8
	v_add_f32_e32 v8, v10, v12
	v_sub_f32_e32 v11, v9, v8
	v_pk_add_f32 v[14:15], v[8:9], v[10:11] neg_lo:[0,1] neg_hi:[0,1]
	v_mov_b32_e32 v13, v8
	v_pk_add_f32 v[8:9], v[14:15], v[12:13] neg_lo:[0,1] neg_hi:[0,1]
	v_cmp_neq_f32_e32 vcc, s29, v7
	v_add_f32_e32 v9, v43, v9
	v_add_f32_e32 v8, v8, v9
	;; [unrolled: 1-line block ×3, first 2 shown]
	v_mul_f32_e32 v43, v41, v9
	v_mul_f32_e32 v10, v17, v43
	v_fma_f32 v12, v43, v17, -v10
	v_fmac_f32_e32 v12, v43, v40
	v_sub_f32_e32 v11, v11, v9
	v_add_f32_e32 v17, v8, v11
	v_add_f32_e32 v8, v10, v12
	v_sub_f32_e32 v11, v9, v8
	v_pk_add_f32 v[14:15], v[8:9], v[10:11] neg_lo:[0,1] neg_hi:[0,1]
	v_mov_b32_e32 v13, v8
	v_pk_add_f32 v[8:9], v[14:15], v[12:13] neg_lo:[0,1] neg_hi:[0,1]
	v_cvt_f32_i32_e32 v10, v16
	v_add_f32_e32 v9, v17, v9
	v_add_f32_e32 v8, v8, v9
	;; [unrolled: 1-line block ×4, first 2 shown]
	v_sub_f32_e32 v9, v11, v44
	v_mul_f32_e32 v8, v41, v8
	v_sub_f32_e32 v9, v43, v9
	v_add_f32_e32 v8, v9, v8
	v_add_f32_e32 v12, v11, v8
	v_mul_f32_e32 v14, v12, v12
	v_mov_b32_e32 v9, 0x3ecc95a3
	v_sub_f32_e32 v11, v12, v11
	v_fmac_f32_e32 v9, 0x3e9b6dac, v14
	v_sub_f32_e32 v8, v8, v11
	v_fmaak_f32 v9, v14, v9, 0x3f2aaada
	v_ldexp_f32 v15, v8, 1
	v_mul_f32_e32 v11, v12, v14
	v_mov_b32_e32 v8, 0x3f317218
	v_pk_mul_f32 v[8:9], v[10:11], v[8:9]
	v_ldexp_f32 v13, v12, 1
	v_fma_f32 v11, v10, s28, -v8
	v_fmamk_f32 v12, v10, 0xb102e308, v11
	v_pk_add_f32 v[10:11], v[8:9], v[12:13]
	v_mov_b32_e32 v14, v8
	v_sub_f32_e32 v13, v11, v13
	v_sub_f32_e32 v13, v9, v13
	v_add_f32_e32 v15, v15, v13
	v_pk_add_f32 v[8:9], v[10:11], v[8:9] neg_lo:[0,1] neg_hi:[0,1]
	v_pk_add_f32 v[16:17], v[10:11], v[14:15]
	v_mov_b32_e32 v13, v10
	v_mov_b32_e32 v9, v17
	v_pk_add_f32 v[40:41], v[12:13], v[8:9] neg_lo:[0,1] neg_hi:[0,1]
	v_pk_add_f32 v[8:9], v[12:13], v[8:9]
	v_mov_b32_e32 v14, v15
	v_pk_add_f32 v[12:13], v[8:9], v[10:11] op_sel:[1,0] op_sel_hi:[0,1] neg_lo:[0,1] neg_hi:[0,1]
	v_pk_add_f32 v[44:45], v[16:17], v[12:13] op_sel_hi:[1,0] neg_lo:[0,1] neg_hi:[0,1]
	v_mov_b32_e32 v16, v17
	v_mov_b32_e32 v17, v9
	v_pk_mov_b32 v[12:13], v[10:11], v[12:13] op_sel:[1,0]
	v_mov_b32_e32 v15, v10
	v_pk_add_f32 v[12:13], v[16:17], v[12:13] neg_lo:[0,1] neg_hi:[0,1]
	v_mov_b32_e32 v44, v40
	v_pk_add_f32 v[10:11], v[14:15], v[12:13] neg_lo:[0,1] neg_hi:[0,1]
	v_mov_b32_e32 v41, v9
	v_pk_add_f32 v[12:13], v[44:45], v[10:11]
	s_mov_b32 s28, 0x33800000
	v_pk_add_f32 v[14:15], v[12:13], v[12:13] op_sel:[0,1] op_sel_hi:[1,0]
	s_nop 0
	v_pk_add_f32 v[8:9], v[8:9], v[14:15] op_sel:[1,0] op_sel_hi:[0,1]
	v_mov_b32_e32 v13, v8
	v_pk_add_f32 v[16:17], v[12:13], v[40:41] neg_lo:[0,1] neg_hi:[0,1]
	v_mov_b32_e32 v11, v14
	v_sub_f32_e32 v9, v12, v16
	v_pk_add_f32 v[10:11], v[10:11], v[16:17] neg_lo:[0,1] neg_hi:[0,1]
	v_sub_f32_e32 v9, v40, v9
	v_add_f32_e32 v9, v10, v9
	v_add_f32_e32 v9, v9, v11
	;; [unrolled: 1-line block ×3, first 2 shown]
	v_cndmask_b32_e32 v8, v39, v8, vcc
	v_cmp_lt_f32_e64 vcc, |v7|, s28
	s_nop 1
	v_cndmask_b32_e32 v7, v8, v7, vcc
	v_add_f32_e32 v43, v6, v7
.LBB153_57:
	s_or_b64 exec, exec, s[26:27]
	v_max_f32_e32 v6, v43, v43
	v_max_f32_e32 v39, v25, v25
	v_min_f32_e32 v7, v6, v39
	v_cmp_u_f32_e32 vcc, v43, v43
	v_max_f32_e32 v6, v6, v39
	v_cmp_u_f32_e64 s[26:27], v25, v25
	v_cndmask_b32_e32 v7, v7, v43, vcc
	v_cndmask_b32_e32 v6, v6, v43, vcc
	v_cndmask_b32_e64 v7, v7, v25, s[26:27]
	v_cndmask_b32_e64 v6, v6, v25, s[26:27]
	s_movk_i32 s30, 0x1f8
	v_cmp_neq_f32_e32 vcc, v7, v6
	v_cmp_class_f32_e64 s[28:29], v7, s30
	s_or_b64 s[36:37], vcc, s[28:29]
	s_and_saveexec_b64 s[28:29], s[36:37]
	s_cbranch_execz .LBB153_59
; %bb.58:
	v_sub_f32_e32 v7, v7, v6
	s_mov_b32 s31, 0x3fb8aa3b
	v_mul_f32_e32 v8, 0x3fb8aa3b, v7
	v_fma_f32 v9, v7, s31, -v8
	v_rndne_f32_e32 v10, v8
	v_fmamk_f32 v9, v7, 0x32a5705f, v9
	v_sub_f32_e32 v8, v8, v10
	v_add_f32_e32 v8, v8, v9
	v_exp_f32_e32 v8, v8
	v_cvt_i32_f32_e32 v9, v10
	s_mov_b32 s31, 0xc2ce8ed0
	v_cmp_ngt_f32_e32 vcc, s31, v7
	s_mov_b32 s31, 0x42b17218
	v_ldexp_f32 v8, v8, v9
	v_cndmask_b32_e32 v8, 0, v8, vcc
	v_mov_b32_e32 v43, 0x7f800000
	v_cmp_nlt_f32_e32 vcc, s31, v7
	s_mov_b32 s31, 0x3f2aaaab
	s_mov_b32 s36, 0x7f800000
	v_cndmask_b32_e32 v7, v43, v8, vcc
	v_add_f32_e32 v10, 1.0, v7
	v_add_f32_e32 v8, -1.0, v10
	v_sub_f32_e32 v9, v8, v10
	v_add_f32_e32 v9, 1.0, v9
	v_sub_f32_e32 v8, v7, v8
	v_add_f32_e32 v11, v8, v9
	v_frexp_mant_f32_e32 v12, v10
	v_cvt_f64_f32_e32 v[8:9], v10
	v_frexp_exp_i32_f64_e32 v8, v[8:9]
	v_cmp_gt_f32_e32 vcc, s31, v12
	s_mov_b32 s31, 0x3f317218
	s_nop 0
	v_subbrev_co_u32_e32 v16, vcc, 0, v8, vcc
	v_sub_u32_e32 v8, 0, v16
	v_ldexp_f32 v9, v10, v8
	v_add_f32_e32 v10, -1.0, v9
	v_add_f32_e32 v12, 1.0, v9
	v_ldexp_f32 v8, v11, v8
	v_add_f32_e32 v11, 1.0, v10
	v_add_f32_e32 v13, -1.0, v12
	v_sub_f32_e32 v11, v9, v11
	v_sub_f32_e32 v9, v9, v13
	v_add_f32_e32 v11, v8, v11
	v_add_f32_e32 v8, v8, v9
	v_add_f32_e32 v17, v12, v8
	v_rcp_f32_e32 v41, v17
	v_sub_f32_e32 v9, v12, v17
	v_add_f32_e32 v40, v8, v9
	v_add_f32_e32 v9, v10, v11
	v_mul_f32_e32 v45, v9, v41
	v_sub_f32_e32 v8, v10, v9
	v_mul_f32_e32 v10, v17, v45
	v_fma_f32 v12, v45, v17, -v10
	v_fmac_f32_e32 v12, v45, v40
	v_add_f32_e32 v44, v11, v8
	v_add_f32_e32 v8, v10, v12
	v_sub_f32_e32 v11, v9, v8
	v_pk_add_f32 v[14:15], v[8:9], v[10:11] neg_lo:[0,1] neg_hi:[0,1]
	v_mov_b32_e32 v13, v8
	v_pk_add_f32 v[8:9], v[14:15], v[12:13] neg_lo:[0,1] neg_hi:[0,1]
	v_cmp_neq_f32_e32 vcc, s36, v7
	v_add_f32_e32 v9, v44, v9
	v_add_f32_e32 v8, v8, v9
	;; [unrolled: 1-line block ×3, first 2 shown]
	v_mul_f32_e32 v44, v41, v9
	v_mul_f32_e32 v10, v17, v44
	v_fma_f32 v12, v44, v17, -v10
	v_fmac_f32_e32 v12, v44, v40
	v_sub_f32_e32 v11, v11, v9
	v_add_f32_e32 v17, v8, v11
	v_add_f32_e32 v8, v10, v12
	v_sub_f32_e32 v11, v9, v8
	v_pk_add_f32 v[14:15], v[8:9], v[10:11] neg_lo:[0,1] neg_hi:[0,1]
	v_mov_b32_e32 v13, v8
	v_pk_add_f32 v[8:9], v[14:15], v[12:13] neg_lo:[0,1] neg_hi:[0,1]
	v_cvt_f32_i32_e32 v10, v16
	v_add_f32_e32 v9, v17, v9
	v_add_f32_e32 v8, v8, v9
	;; [unrolled: 1-line block ×4, first 2 shown]
	v_sub_f32_e32 v9, v11, v45
	v_mul_f32_e32 v8, v41, v8
	v_sub_f32_e32 v9, v44, v9
	v_add_f32_e32 v8, v9, v8
	v_add_f32_e32 v12, v11, v8
	v_mul_f32_e32 v14, v12, v12
	v_mov_b32_e32 v9, 0x3ecc95a3
	v_sub_f32_e32 v11, v12, v11
	v_fmac_f32_e32 v9, 0x3e9b6dac, v14
	v_sub_f32_e32 v8, v8, v11
	v_fmaak_f32 v9, v14, v9, 0x3f2aaada
	v_ldexp_f32 v15, v8, 1
	v_mul_f32_e32 v11, v12, v14
	v_mov_b32_e32 v8, 0x3f317218
	v_pk_mul_f32 v[8:9], v[10:11], v[8:9]
	v_ldexp_f32 v13, v12, 1
	v_fma_f32 v11, v10, s31, -v8
	v_fmamk_f32 v12, v10, 0xb102e308, v11
	v_pk_add_f32 v[10:11], v[8:9], v[12:13]
	v_mov_b32_e32 v14, v8
	v_sub_f32_e32 v13, v11, v13
	v_sub_f32_e32 v13, v9, v13
	v_add_f32_e32 v15, v15, v13
	v_pk_add_f32 v[8:9], v[10:11], v[8:9] neg_lo:[0,1] neg_hi:[0,1]
	v_pk_add_f32 v[16:17], v[10:11], v[14:15]
	v_mov_b32_e32 v13, v10
	v_mov_b32_e32 v9, v17
	v_pk_add_f32 v[40:41], v[12:13], v[8:9] neg_lo:[0,1] neg_hi:[0,1]
	v_pk_add_f32 v[8:9], v[12:13], v[8:9]
	v_mov_b32_e32 v14, v15
	v_pk_add_f32 v[12:13], v[8:9], v[10:11] op_sel:[1,0] op_sel_hi:[0,1] neg_lo:[0,1] neg_hi:[0,1]
	v_pk_add_f32 v[44:45], v[16:17], v[12:13] op_sel_hi:[1,0] neg_lo:[0,1] neg_hi:[0,1]
	v_mov_b32_e32 v16, v17
	v_mov_b32_e32 v17, v9
	v_pk_mov_b32 v[12:13], v[10:11], v[12:13] op_sel:[1,0]
	v_mov_b32_e32 v15, v10
	v_pk_add_f32 v[12:13], v[16:17], v[12:13] neg_lo:[0,1] neg_hi:[0,1]
	v_mov_b32_e32 v44, v40
	v_pk_add_f32 v[10:11], v[14:15], v[12:13] neg_lo:[0,1] neg_hi:[0,1]
	v_mov_b32_e32 v41, v9
	v_pk_add_f32 v[12:13], v[44:45], v[10:11]
	s_mov_b32 s31, 0x33800000
	v_pk_add_f32 v[14:15], v[12:13], v[12:13] op_sel:[0,1] op_sel_hi:[1,0]
	s_nop 0
	v_pk_add_f32 v[8:9], v[8:9], v[14:15] op_sel:[1,0] op_sel_hi:[0,1]
	v_mov_b32_e32 v13, v8
	v_pk_add_f32 v[16:17], v[12:13], v[40:41] neg_lo:[0,1] neg_hi:[0,1]
	v_mov_b32_e32 v11, v14
	v_sub_f32_e32 v9, v12, v16
	v_pk_add_f32 v[10:11], v[10:11], v[16:17] neg_lo:[0,1] neg_hi:[0,1]
	v_sub_f32_e32 v9, v40, v9
	v_add_f32_e32 v9, v10, v9
	v_add_f32_e32 v9, v9, v11
	;; [unrolled: 1-line block ×3, first 2 shown]
	v_cndmask_b32_e32 v8, v43, v8, vcc
	v_cmp_lt_f32_e64 vcc, |v7|, s31
	s_nop 1
	v_cndmask_b32_e32 v7, v8, v7, vcc
	v_add_f32_e32 v43, v6, v7
.LBB153_59:
	s_or_b64 exec, exec, s[28:29]
	v_max_f32_e32 v6, v43, v43
	v_max_f32_e32 v40, v32, v32
	v_min_f32_e32 v7, v6, v40
	v_cmp_u_f32_e32 vcc, v43, v43
	v_max_f32_e32 v6, v6, v40
	v_cmp_u_f32_e64 s[28:29], v32, v32
	v_cndmask_b32_e32 v7, v7, v43, vcc
	v_cndmask_b32_e32 v6, v6, v43, vcc
	v_cndmask_b32_e64 v7, v7, v32, s[28:29]
	v_cndmask_b32_e64 v6, v6, v32, s[28:29]
	v_cmp_neq_f32_e32 vcc, v7, v6
	v_cmp_class_f32_e64 s[30:31], v7, s30
	s_or_b64 s[36:37], vcc, s[30:31]
	s_and_saveexec_b64 s[30:31], s[36:37]
	s_cbranch_execz .LBB153_61
; %bb.60:
	v_sub_f32_e32 v7, v7, v6
	s_mov_b32 s36, 0x3fb8aa3b
	v_mul_f32_e32 v8, 0x3fb8aa3b, v7
	v_fma_f32 v9, v7, s36, -v8
	v_rndne_f32_e32 v10, v8
	v_fmamk_f32 v9, v7, 0x32a5705f, v9
	v_sub_f32_e32 v8, v8, v10
	v_add_f32_e32 v8, v8, v9
	v_exp_f32_e32 v8, v8
	v_cvt_i32_f32_e32 v9, v10
	s_mov_b32 s36, 0xc2ce8ed0
	v_cmp_ngt_f32_e32 vcc, s36, v7
	s_mov_b32 s36, 0x42b17218
	v_ldexp_f32 v8, v8, v9
	v_cndmask_b32_e32 v8, 0, v8, vcc
	v_mov_b32_e32 v41, 0x7f800000
	v_cmp_nlt_f32_e32 vcc, s36, v7
	s_mov_b32 s36, 0x3f2aaaab
	s_mov_b32 s37, 0x7f800000
	v_cndmask_b32_e32 v7, v41, v8, vcc
	v_add_f32_e32 v10, 1.0, v7
	v_add_f32_e32 v8, -1.0, v10
	v_sub_f32_e32 v9, v8, v10
	v_add_f32_e32 v9, 1.0, v9
	v_sub_f32_e32 v8, v7, v8
	v_add_f32_e32 v11, v8, v9
	v_frexp_mant_f32_e32 v12, v10
	v_cvt_f64_f32_e32 v[8:9], v10
	v_frexp_exp_i32_f64_e32 v8, v[8:9]
	v_cmp_gt_f32_e32 vcc, s36, v12
	s_mov_b32 s36, 0x3f317218
	s_nop 0
	v_subbrev_co_u32_e32 v16, vcc, 0, v8, vcc
	v_sub_u32_e32 v8, 0, v16
	v_ldexp_f32 v9, v10, v8
	v_add_f32_e32 v10, -1.0, v9
	v_add_f32_e32 v12, 1.0, v9
	v_ldexp_f32 v8, v11, v8
	v_add_f32_e32 v11, 1.0, v10
	v_add_f32_e32 v13, -1.0, v12
	v_sub_f32_e32 v11, v9, v11
	v_sub_f32_e32 v9, v9, v13
	v_add_f32_e32 v11, v8, v11
	v_add_f32_e32 v8, v8, v9
	;; [unrolled: 1-line block ×3, first 2 shown]
	v_rcp_f32_e32 v44, v17
	v_sub_f32_e32 v9, v12, v17
	v_add_f32_e32 v43, v8, v9
	v_add_f32_e32 v9, v10, v11
	v_mul_f32_e32 v46, v9, v44
	v_sub_f32_e32 v8, v10, v9
	v_mul_f32_e32 v10, v17, v46
	v_fma_f32 v12, v46, v17, -v10
	v_fmac_f32_e32 v12, v46, v43
	v_add_f32_e32 v45, v11, v8
	v_add_f32_e32 v8, v10, v12
	v_sub_f32_e32 v11, v9, v8
	v_pk_add_f32 v[14:15], v[8:9], v[10:11] neg_lo:[0,1] neg_hi:[0,1]
	v_mov_b32_e32 v13, v8
	v_pk_add_f32 v[8:9], v[14:15], v[12:13] neg_lo:[0,1] neg_hi:[0,1]
	v_cmp_neq_f32_e32 vcc, s37, v7
	v_add_f32_e32 v9, v45, v9
	v_add_f32_e32 v8, v8, v9
	;; [unrolled: 1-line block ×3, first 2 shown]
	v_mul_f32_e32 v45, v44, v9
	v_mul_f32_e32 v10, v17, v45
	v_fma_f32 v12, v45, v17, -v10
	v_fmac_f32_e32 v12, v45, v43
	v_sub_f32_e32 v11, v11, v9
	v_add_f32_e32 v17, v8, v11
	v_add_f32_e32 v8, v10, v12
	v_sub_f32_e32 v11, v9, v8
	v_pk_add_f32 v[14:15], v[8:9], v[10:11] neg_lo:[0,1] neg_hi:[0,1]
	v_mov_b32_e32 v13, v8
	v_pk_add_f32 v[8:9], v[14:15], v[12:13] neg_lo:[0,1] neg_hi:[0,1]
	v_cvt_f32_i32_e32 v10, v16
	v_add_f32_e32 v9, v17, v9
	v_add_f32_e32 v8, v8, v9
	;; [unrolled: 1-line block ×4, first 2 shown]
	v_sub_f32_e32 v9, v11, v46
	v_mul_f32_e32 v8, v44, v8
	v_sub_f32_e32 v9, v45, v9
	v_add_f32_e32 v8, v9, v8
	v_add_f32_e32 v12, v11, v8
	v_mul_f32_e32 v14, v12, v12
	v_mov_b32_e32 v9, 0x3ecc95a3
	v_sub_f32_e32 v11, v12, v11
	v_fmac_f32_e32 v9, 0x3e9b6dac, v14
	v_sub_f32_e32 v8, v8, v11
	v_fmaak_f32 v9, v14, v9, 0x3f2aaada
	v_ldexp_f32 v15, v8, 1
	v_mul_f32_e32 v11, v12, v14
	v_mov_b32_e32 v8, 0x3f317218
	v_pk_mul_f32 v[8:9], v[10:11], v[8:9]
	v_ldexp_f32 v13, v12, 1
	v_fma_f32 v11, v10, s36, -v8
	v_fmamk_f32 v12, v10, 0xb102e308, v11
	v_pk_add_f32 v[10:11], v[8:9], v[12:13]
	v_mov_b32_e32 v14, v8
	v_sub_f32_e32 v13, v11, v13
	v_sub_f32_e32 v13, v9, v13
	v_add_f32_e32 v15, v15, v13
	v_pk_add_f32 v[8:9], v[10:11], v[8:9] neg_lo:[0,1] neg_hi:[0,1]
	v_pk_add_f32 v[16:17], v[10:11], v[14:15]
	v_mov_b32_e32 v13, v10
	v_mov_b32_e32 v9, v17
	v_pk_add_f32 v[44:45], v[12:13], v[8:9] neg_lo:[0,1] neg_hi:[0,1]
	v_pk_add_f32 v[8:9], v[12:13], v[8:9]
	v_mov_b32_e32 v14, v15
	v_pk_add_f32 v[12:13], v[8:9], v[10:11] op_sel:[1,0] op_sel_hi:[0,1] neg_lo:[0,1] neg_hi:[0,1]
	v_pk_add_f32 v[46:47], v[16:17], v[12:13] op_sel_hi:[1,0] neg_lo:[0,1] neg_hi:[0,1]
	v_mov_b32_e32 v16, v17
	v_mov_b32_e32 v17, v9
	v_pk_mov_b32 v[12:13], v[10:11], v[12:13] op_sel:[1,0]
	v_mov_b32_e32 v15, v10
	v_pk_add_f32 v[12:13], v[16:17], v[12:13] neg_lo:[0,1] neg_hi:[0,1]
	v_mov_b32_e32 v46, v44
	v_pk_add_f32 v[10:11], v[14:15], v[12:13] neg_lo:[0,1] neg_hi:[0,1]
	v_mov_b32_e32 v45, v9
	v_pk_add_f32 v[12:13], v[46:47], v[10:11]
	s_mov_b32 s36, 0x33800000
	v_pk_add_f32 v[14:15], v[12:13], v[12:13] op_sel:[0,1] op_sel_hi:[1,0]
	s_nop 0
	v_pk_add_f32 v[8:9], v[8:9], v[14:15] op_sel:[1,0] op_sel_hi:[0,1]
	v_mov_b32_e32 v13, v8
	v_pk_add_f32 v[16:17], v[12:13], v[44:45] neg_lo:[0,1] neg_hi:[0,1]
	v_mov_b32_e32 v11, v14
	v_sub_f32_e32 v9, v12, v16
	v_pk_add_f32 v[10:11], v[10:11], v[16:17] neg_lo:[0,1] neg_hi:[0,1]
	v_sub_f32_e32 v9, v44, v9
	v_add_f32_e32 v9, v10, v9
	v_add_f32_e32 v9, v9, v11
	;; [unrolled: 1-line block ×3, first 2 shown]
	v_cndmask_b32_e32 v8, v41, v8, vcc
	v_cmp_lt_f32_e64 vcc, |v7|, s36
	s_nop 1
	v_cndmask_b32_e32 v7, v8, v7, vcc
	v_add_f32_e32 v43, v6, v7
.LBB153_61:
	s_or_b64 exec, exec, s[30:31]
	v_max_f32_e32 v6, v43, v43
	v_max_f32_e32 v41, v33, v33
	v_min_f32_e32 v7, v6, v41
	v_cmp_u_f32_e32 vcc, v43, v43
	v_max_f32_e32 v6, v6, v41
	v_cmp_u_f32_e64 s[30:31], v33, v33
	v_cndmask_b32_e32 v7, v7, v43, vcc
	v_cndmask_b32_e32 v6, v6, v43, vcc
	v_cndmask_b32_e64 v7, v7, v33, s[30:31]
	v_cndmask_b32_e64 v6, v6, v33, s[30:31]
	s_movk_i32 s36, 0x1f8
	v_cmp_neq_f32_e32 vcc, v7, v6
	v_cmp_class_f32_e64 s[36:37], v7, s36
	s_or_b64 s[38:39], vcc, s[36:37]
	s_and_saveexec_b64 s[36:37], s[38:39]
	s_cbranch_execz .LBB153_63
; %bb.62:
	v_sub_f32_e32 v7, v7, v6
	s_mov_b32 s38, 0x3fb8aa3b
	v_mul_f32_e32 v8, 0x3fb8aa3b, v7
	v_fma_f32 v9, v7, s38, -v8
	v_rndne_f32_e32 v10, v8
	v_fmamk_f32 v9, v7, 0x32a5705f, v9
	v_sub_f32_e32 v8, v8, v10
	v_add_f32_e32 v8, v8, v9
	v_exp_f32_e32 v8, v8
	v_cvt_i32_f32_e32 v9, v10
	s_mov_b32 s38, 0xc2ce8ed0
	v_cmp_ngt_f32_e32 vcc, s38, v7
	s_mov_b32 s38, 0x42b17218
	v_ldexp_f32 v8, v8, v9
	v_cndmask_b32_e32 v8, 0, v8, vcc
	v_mov_b32_e32 v43, 0x7f800000
	v_cmp_nlt_f32_e32 vcc, s38, v7
	s_mov_b32 s38, 0x3f2aaaab
	s_mov_b32 s39, 0x7f800000
	v_cndmask_b32_e32 v7, v43, v8, vcc
	v_add_f32_e32 v10, 1.0, v7
	v_add_f32_e32 v8, -1.0, v10
	v_sub_f32_e32 v9, v8, v10
	v_add_f32_e32 v9, 1.0, v9
	v_sub_f32_e32 v8, v7, v8
	v_add_f32_e32 v11, v8, v9
	v_frexp_mant_f32_e32 v12, v10
	v_cvt_f64_f32_e32 v[8:9], v10
	v_frexp_exp_i32_f64_e32 v8, v[8:9]
	v_cmp_gt_f32_e32 vcc, s38, v12
	s_mov_b32 s38, 0x3f317218
	s_nop 0
	v_subbrev_co_u32_e32 v16, vcc, 0, v8, vcc
	v_sub_u32_e32 v8, 0, v16
	v_ldexp_f32 v9, v10, v8
	v_add_f32_e32 v10, -1.0, v9
	v_add_f32_e32 v12, 1.0, v9
	v_ldexp_f32 v8, v11, v8
	v_add_f32_e32 v11, 1.0, v10
	v_add_f32_e32 v13, -1.0, v12
	v_sub_f32_e32 v11, v9, v11
	v_sub_f32_e32 v9, v9, v13
	v_add_f32_e32 v11, v8, v11
	v_add_f32_e32 v8, v8, v9
	;; [unrolled: 1-line block ×3, first 2 shown]
	v_rcp_f32_e32 v45, v17
	v_sub_f32_e32 v9, v12, v17
	v_add_f32_e32 v44, v8, v9
	v_add_f32_e32 v9, v10, v11
	v_mul_f32_e32 v47, v9, v45
	v_sub_f32_e32 v8, v10, v9
	v_mul_f32_e32 v10, v17, v47
	v_fma_f32 v12, v47, v17, -v10
	v_fmac_f32_e32 v12, v47, v44
	v_add_f32_e32 v46, v11, v8
	v_add_f32_e32 v8, v10, v12
	v_sub_f32_e32 v11, v9, v8
	v_pk_add_f32 v[14:15], v[8:9], v[10:11] neg_lo:[0,1] neg_hi:[0,1]
	v_mov_b32_e32 v13, v8
	v_pk_add_f32 v[8:9], v[14:15], v[12:13] neg_lo:[0,1] neg_hi:[0,1]
	v_cmp_neq_f32_e32 vcc, s39, v7
	v_add_f32_e32 v9, v46, v9
	v_add_f32_e32 v8, v8, v9
	;; [unrolled: 1-line block ×3, first 2 shown]
	v_mul_f32_e32 v46, v45, v9
	v_mul_f32_e32 v10, v17, v46
	v_fma_f32 v12, v46, v17, -v10
	v_fmac_f32_e32 v12, v46, v44
	v_sub_f32_e32 v11, v11, v9
	v_add_f32_e32 v17, v8, v11
	v_add_f32_e32 v8, v10, v12
	v_sub_f32_e32 v11, v9, v8
	v_pk_add_f32 v[14:15], v[8:9], v[10:11] neg_lo:[0,1] neg_hi:[0,1]
	v_mov_b32_e32 v13, v8
	v_pk_add_f32 v[8:9], v[14:15], v[12:13] neg_lo:[0,1] neg_hi:[0,1]
	v_cvt_f32_i32_e32 v10, v16
	v_add_f32_e32 v9, v17, v9
	v_add_f32_e32 v8, v8, v9
	v_add_f32_e32 v8, v11, v8
	v_add_f32_e32 v11, v47, v46
	v_sub_f32_e32 v9, v11, v47
	v_mul_f32_e32 v8, v45, v8
	v_sub_f32_e32 v9, v46, v9
	v_add_f32_e32 v8, v9, v8
	v_add_f32_e32 v12, v11, v8
	v_mul_f32_e32 v14, v12, v12
	v_mov_b32_e32 v9, 0x3ecc95a3
	v_sub_f32_e32 v11, v12, v11
	v_fmac_f32_e32 v9, 0x3e9b6dac, v14
	v_sub_f32_e32 v8, v8, v11
	v_fmaak_f32 v9, v14, v9, 0x3f2aaada
	v_ldexp_f32 v15, v8, 1
	v_mul_f32_e32 v11, v12, v14
	v_mov_b32_e32 v8, 0x3f317218
	v_pk_mul_f32 v[8:9], v[10:11], v[8:9]
	v_ldexp_f32 v13, v12, 1
	v_fma_f32 v11, v10, s38, -v8
	v_fmamk_f32 v12, v10, 0xb102e308, v11
	v_pk_add_f32 v[10:11], v[8:9], v[12:13]
	v_mov_b32_e32 v14, v8
	v_sub_f32_e32 v13, v11, v13
	v_sub_f32_e32 v13, v9, v13
	v_add_f32_e32 v15, v15, v13
	v_pk_add_f32 v[8:9], v[10:11], v[8:9] neg_lo:[0,1] neg_hi:[0,1]
	v_pk_add_f32 v[16:17], v[10:11], v[14:15]
	v_mov_b32_e32 v13, v10
	v_mov_b32_e32 v9, v17
	v_pk_add_f32 v[44:45], v[12:13], v[8:9] neg_lo:[0,1] neg_hi:[0,1]
	v_pk_add_f32 v[8:9], v[12:13], v[8:9]
	v_mov_b32_e32 v14, v15
	v_pk_add_f32 v[12:13], v[8:9], v[10:11] op_sel:[1,0] op_sel_hi:[0,1] neg_lo:[0,1] neg_hi:[0,1]
	v_pk_add_f32 v[46:47], v[16:17], v[12:13] op_sel_hi:[1,0] neg_lo:[0,1] neg_hi:[0,1]
	v_mov_b32_e32 v16, v17
	v_mov_b32_e32 v17, v9
	v_pk_mov_b32 v[12:13], v[10:11], v[12:13] op_sel:[1,0]
	v_mov_b32_e32 v15, v10
	v_pk_add_f32 v[12:13], v[16:17], v[12:13] neg_lo:[0,1] neg_hi:[0,1]
	v_mov_b32_e32 v46, v44
	v_pk_add_f32 v[10:11], v[14:15], v[12:13] neg_lo:[0,1] neg_hi:[0,1]
	v_mov_b32_e32 v45, v9
	v_pk_add_f32 v[12:13], v[46:47], v[10:11]
	s_mov_b32 s38, 0x33800000
	v_pk_add_f32 v[14:15], v[12:13], v[12:13] op_sel:[0,1] op_sel_hi:[1,0]
	s_nop 0
	v_pk_add_f32 v[8:9], v[8:9], v[14:15] op_sel:[1,0] op_sel_hi:[0,1]
	v_mov_b32_e32 v13, v8
	v_pk_add_f32 v[16:17], v[12:13], v[44:45] neg_lo:[0,1] neg_hi:[0,1]
	v_mov_b32_e32 v11, v14
	v_sub_f32_e32 v9, v12, v16
	v_pk_add_f32 v[10:11], v[10:11], v[16:17] neg_lo:[0,1] neg_hi:[0,1]
	v_sub_f32_e32 v9, v44, v9
	v_add_f32_e32 v9, v10, v9
	v_add_f32_e32 v9, v9, v11
	;; [unrolled: 1-line block ×3, first 2 shown]
	v_cndmask_b32_e32 v8, v43, v8, vcc
	v_cmp_lt_f32_e64 vcc, |v7|, s38
	s_nop 1
	v_cndmask_b32_e32 v7, v8, v7, vcc
	v_add_f32_e32 v43, v6, v7
.LBB153_63:
	s_or_b64 exec, exec, s[36:37]
	v_lshrrev_b32_e32 v6, 3, v0
	v_and_b32_e32 v6, 28, v6
	v_lshl_add_u32 v6, v0, 2, v6
	v_cmp_gt_u32_e32 vcc, 64, v0
	ds_write_b32 v6, v43
	s_waitcnt lgkmcnt(0)
	s_barrier
	s_and_saveexec_b64 s[58:59], vcc
	s_cbranch_execz .LBB153_103
; %bb.64:
	v_lshrrev_b32_e32 v6, 1, v0
	v_and_b32_e32 v6, 0x7c, v6
	v_lshlrev_b32_e32 v7, 4, v0
	v_add_u32_e32 v8, v6, v7
	ds_read2_b32 v[6:7], v8 offset1:1
	s_movk_i32 s60, 0x1f8
	s_waitcnt lgkmcnt(0)
	v_max_f32_e32 v11, v7, v7
	v_max_f32_e32 v9, v6, v6
	v_min_f32_e32 v10, v9, v11
	v_cmp_u_f32_e64 s[36:37], v6, v6
	v_max_f32_e32 v11, v9, v11
	v_cmp_u_f32_e64 s[38:39], v7, v7
	v_cndmask_b32_e64 v10, v10, v6, s[36:37]
	v_cndmask_b32_e64 v11, v11, v6, s[36:37]
	;; [unrolled: 1-line block ×4, first 2 shown]
	v_cmp_neq_f32_e64 s[38:39], v10, v7
	v_cmp_class_f32_e64 s[40:41], v10, s60
	s_or_b64 s[38:39], s[38:39], s[40:41]
	v_mov_b32_e32 v11, v6
	s_and_saveexec_b64 s[40:41], s[38:39]
	s_cbranch_execz .LBB153_66
; %bb.65:
	v_sub_f32_e32 v10, v10, v7
	s_mov_b32 s38, 0x3fb8aa3b
	v_mul_f32_e32 v11, 0x3fb8aa3b, v10
	v_fma_f32 v12, v10, s38, -v11
	v_rndne_f32_e32 v13, v11
	v_fmamk_f32 v12, v10, 0x32a5705f, v12
	v_sub_f32_e32 v11, v11, v13
	v_add_f32_e32 v11, v11, v12
	v_exp_f32_e32 v11, v11
	v_cvt_i32_f32_e32 v12, v13
	s_mov_b32 s38, 0xc2ce8ed0
	v_cmp_ngt_f32_e64 s[38:39], s38, v10
	v_mov_b32_e32 v50, 0x7f800000
	v_ldexp_f32 v11, v11, v12
	v_cndmask_b32_e64 v11, 0, v11, s[38:39]
	s_mov_b32 s38, 0x42b17218
	v_cmp_nlt_f32_e64 s[38:39], s38, v10
	s_mov_b32 s61, 0x7f800000
	s_nop 0
	v_cndmask_b32_e64 v51, v50, v11, s[38:39]
	v_add_f32_e32 v12, 1.0, v51
	v_add_f32_e32 v10, -1.0, v12
	v_sub_f32_e32 v11, v10, v12
	v_add_f32_e32 v11, 1.0, v11
	v_sub_f32_e32 v10, v51, v10
	v_add_f32_e32 v13, v10, v11
	v_frexp_mant_f32_e32 v14, v12
	s_mov_b32 s38, 0x3f2aaaab
	v_cvt_f64_f32_e32 v[10:11], v12
	v_frexp_exp_i32_f64_e32 v10, v[10:11]
	v_cmp_gt_f32_e64 s[38:39], s38, v14
	s_nop 1
	v_subbrev_co_u32_e64 v44, s[38:39], 0, v10, s[38:39]
	v_sub_u32_e32 v10, 0, v44
	v_ldexp_f32 v11, v12, v10
	v_add_f32_e32 v12, -1.0, v11
	v_add_f32_e32 v14, 1.0, v11
	v_ldexp_f32 v10, v13, v10
	v_add_f32_e32 v13, 1.0, v12
	v_add_f32_e32 v15, -1.0, v14
	v_sub_f32_e32 v13, v11, v13
	v_sub_f32_e32 v11, v11, v15
	v_add_f32_e32 v13, v10, v13
	v_add_f32_e32 v10, v10, v11
	;; [unrolled: 1-line block ×3, first 2 shown]
	v_rcp_f32_e32 v47, v45
	v_sub_f32_e32 v11, v14, v45
	v_add_f32_e32 v46, v10, v11
	v_add_f32_e32 v11, v12, v13
	v_mul_f32_e32 v49, v11, v47
	v_sub_f32_e32 v10, v12, v11
	v_mul_f32_e32 v12, v45, v49
	v_fma_f32 v14, v49, v45, -v12
	v_fmac_f32_e32 v14, v49, v46
	v_add_f32_e32 v48, v13, v10
	v_add_f32_e32 v10, v12, v14
	v_sub_f32_e32 v13, v11, v10
	v_pk_add_f32 v[16:17], v[10:11], v[12:13] neg_lo:[0,1] neg_hi:[0,1]
	v_mov_b32_e32 v15, v10
	v_pk_add_f32 v[10:11], v[16:17], v[14:15] neg_lo:[0,1] neg_hi:[0,1]
	s_mov_b32 s38, 0x3f317218
	v_add_f32_e32 v11, v48, v11
	v_add_f32_e32 v10, v10, v11
	;; [unrolled: 1-line block ×3, first 2 shown]
	v_mul_f32_e32 v48, v47, v11
	v_mul_f32_e32 v12, v45, v48
	v_fma_f32 v14, v48, v45, -v12
	v_fmac_f32_e32 v14, v48, v46
	v_sub_f32_e32 v13, v13, v11
	v_add_f32_e32 v45, v10, v13
	v_add_f32_e32 v10, v12, v14
	v_sub_f32_e32 v13, v11, v10
	v_pk_add_f32 v[16:17], v[10:11], v[12:13] neg_lo:[0,1] neg_hi:[0,1]
	v_mov_b32_e32 v15, v10
	v_pk_add_f32 v[10:11], v[16:17], v[14:15] neg_lo:[0,1] neg_hi:[0,1]
	v_cvt_f32_i32_e32 v12, v44
	v_add_f32_e32 v11, v45, v11
	v_add_f32_e32 v10, v10, v11
	;; [unrolled: 1-line block ×4, first 2 shown]
	v_sub_f32_e32 v11, v13, v49
	v_mul_f32_e32 v10, v47, v10
	v_sub_f32_e32 v11, v48, v11
	v_add_f32_e32 v10, v11, v10
	v_add_f32_e32 v14, v13, v10
	v_mul_f32_e32 v16, v14, v14
	v_mov_b32_e32 v11, 0x3ecc95a3
	v_sub_f32_e32 v13, v14, v13
	v_fmac_f32_e32 v11, 0x3e9b6dac, v16
	v_sub_f32_e32 v10, v10, v13
	v_fmaak_f32 v11, v16, v11, 0x3f2aaada
	v_ldexp_f32 v17, v10, 1
	v_mul_f32_e32 v13, v14, v16
	v_mov_b32_e32 v10, 0x3f317218
	v_pk_mul_f32 v[10:11], v[12:13], v[10:11]
	v_ldexp_f32 v15, v14, 1
	v_fma_f32 v13, v12, s38, -v10
	v_fmamk_f32 v14, v12, 0xb102e308, v13
	v_pk_add_f32 v[12:13], v[10:11], v[14:15]
	v_mov_b32_e32 v16, v10
	v_sub_f32_e32 v15, v13, v15
	v_sub_f32_e32 v15, v11, v15
	v_add_f32_e32 v17, v17, v15
	v_pk_add_f32 v[10:11], v[12:13], v[10:11] neg_lo:[0,1] neg_hi:[0,1]
	v_pk_add_f32 v[44:45], v[12:13], v[16:17]
	v_mov_b32_e32 v15, v12
	v_mov_b32_e32 v11, v45
	v_pk_add_f32 v[46:47], v[14:15], v[10:11] neg_lo:[0,1] neg_hi:[0,1]
	v_pk_add_f32 v[10:11], v[14:15], v[10:11]
	v_mov_b32_e32 v16, v17
	v_pk_add_f32 v[14:15], v[10:11], v[12:13] op_sel:[1,0] op_sel_hi:[0,1] neg_lo:[0,1] neg_hi:[0,1]
	v_pk_add_f32 v[48:49], v[44:45], v[14:15] op_sel_hi:[1,0] neg_lo:[0,1] neg_hi:[0,1]
	v_mov_b32_e32 v44, v45
	v_mov_b32_e32 v45, v11
	v_pk_mov_b32 v[14:15], v[12:13], v[14:15] op_sel:[1,0]
	v_mov_b32_e32 v17, v12
	v_pk_add_f32 v[14:15], v[44:45], v[14:15] neg_lo:[0,1] neg_hi:[0,1]
	v_mov_b32_e32 v48, v46
	v_pk_add_f32 v[12:13], v[16:17], v[14:15] neg_lo:[0,1] neg_hi:[0,1]
	v_mov_b32_e32 v47, v11
	v_pk_add_f32 v[14:15], v[48:49], v[12:13]
	v_cmp_neq_f32_e64 s[38:39], s61, v51
	v_pk_add_f32 v[16:17], v[14:15], v[14:15] op_sel:[0,1] op_sel_hi:[1,0]
	s_nop 0
	v_pk_add_f32 v[10:11], v[10:11], v[16:17] op_sel:[1,0] op_sel_hi:[0,1]
	v_mov_b32_e32 v15, v10
	v_pk_add_f32 v[44:45], v[14:15], v[46:47] neg_lo:[0,1] neg_hi:[0,1]
	v_mov_b32_e32 v13, v16
	v_sub_f32_e32 v11, v14, v44
	v_pk_add_f32 v[12:13], v[12:13], v[44:45] neg_lo:[0,1] neg_hi:[0,1]
	v_sub_f32_e32 v11, v46, v11
	v_add_f32_e32 v11, v12, v11
	v_add_f32_e32 v11, v11, v13
	;; [unrolled: 1-line block ×3, first 2 shown]
	v_cndmask_b32_e64 v10, v50, v10, s[38:39]
	s_mov_b32 s38, 0x33800000
	v_cmp_lt_f32_e64 s[38:39], |v51|, s38
	s_nop 1
	v_cndmask_b32_e64 v10, v10, v51, s[38:39]
	v_add_f32_e32 v11, v7, v10
.LBB153_66:
	s_or_b64 exec, exec, s[40:41]
	ds_read_b32 v7, v8 offset:8
	v_max_f32_e32 v10, v11, v11
	v_cmp_u_f32_e64 s[38:39], v11, v11
	s_waitcnt lgkmcnt(0)
	v_max_f32_e32 v12, v7, v7
	v_min_f32_e32 v13, v10, v12
	v_max_f32_e32 v12, v10, v12
	v_cndmask_b32_e64 v10, v13, v11, s[38:39]
	v_cmp_u_f32_e64 s[40:41], v7, v7
	v_cndmask_b32_e64 v12, v12, v11, s[38:39]
	s_nop 0
	v_cndmask_b32_e64 v10, v10, v7, s[40:41]
	v_cndmask_b32_e64 v7, v12, v7, s[40:41]
	v_cmp_neq_f32_e64 s[38:39], v10, v7
	v_cmp_class_f32_e64 s[40:41], v10, s60
	s_or_b64 s[38:39], s[38:39], s[40:41]
	s_and_saveexec_b64 s[40:41], s[38:39]
	s_cbranch_execz .LBB153_68
; %bb.67:
	v_sub_f32_e32 v10, v10, v7
	s_mov_b32 s38, 0x3fb8aa3b
	v_mul_f32_e32 v11, 0x3fb8aa3b, v10
	v_fma_f32 v12, v10, s38, -v11
	v_rndne_f32_e32 v13, v11
	v_fmamk_f32 v12, v10, 0x32a5705f, v12
	v_sub_f32_e32 v11, v11, v13
	v_add_f32_e32 v11, v11, v12
	v_exp_f32_e32 v11, v11
	v_cvt_i32_f32_e32 v12, v13
	s_mov_b32 s38, 0xc2ce8ed0
	v_cmp_ngt_f32_e64 s[38:39], s38, v10
	v_mov_b32_e32 v50, 0x7f800000
	v_ldexp_f32 v11, v11, v12
	v_cndmask_b32_e64 v11, 0, v11, s[38:39]
	s_mov_b32 s38, 0x42b17218
	v_cmp_nlt_f32_e64 s[38:39], s38, v10
	s_mov_b32 s60, 0x7f800000
	s_nop 0
	v_cndmask_b32_e64 v51, v50, v11, s[38:39]
	v_add_f32_e32 v12, 1.0, v51
	v_add_f32_e32 v10, -1.0, v12
	v_sub_f32_e32 v11, v10, v12
	v_add_f32_e32 v11, 1.0, v11
	v_sub_f32_e32 v10, v51, v10
	v_add_f32_e32 v13, v10, v11
	v_frexp_mant_f32_e32 v14, v12
	s_mov_b32 s38, 0x3f2aaaab
	v_cvt_f64_f32_e32 v[10:11], v12
	v_frexp_exp_i32_f64_e32 v10, v[10:11]
	v_cmp_gt_f32_e64 s[38:39], s38, v14
	s_nop 1
	v_subbrev_co_u32_e64 v44, s[38:39], 0, v10, s[38:39]
	v_sub_u32_e32 v10, 0, v44
	v_ldexp_f32 v11, v12, v10
	v_add_f32_e32 v12, -1.0, v11
	v_add_f32_e32 v14, 1.0, v11
	v_ldexp_f32 v10, v13, v10
	v_add_f32_e32 v13, 1.0, v12
	v_add_f32_e32 v15, -1.0, v14
	v_sub_f32_e32 v13, v11, v13
	v_sub_f32_e32 v11, v11, v15
	v_add_f32_e32 v13, v10, v13
	v_add_f32_e32 v10, v10, v11
	;; [unrolled: 1-line block ×3, first 2 shown]
	v_rcp_f32_e32 v47, v45
	v_sub_f32_e32 v11, v14, v45
	v_add_f32_e32 v46, v10, v11
	v_add_f32_e32 v11, v12, v13
	v_mul_f32_e32 v49, v11, v47
	v_sub_f32_e32 v10, v12, v11
	v_mul_f32_e32 v12, v45, v49
	v_fma_f32 v14, v49, v45, -v12
	v_fmac_f32_e32 v14, v49, v46
	v_add_f32_e32 v48, v13, v10
	v_add_f32_e32 v10, v12, v14
	v_sub_f32_e32 v13, v11, v10
	v_pk_add_f32 v[16:17], v[10:11], v[12:13] neg_lo:[0,1] neg_hi:[0,1]
	v_mov_b32_e32 v15, v10
	v_pk_add_f32 v[10:11], v[16:17], v[14:15] neg_lo:[0,1] neg_hi:[0,1]
	s_mov_b32 s38, 0x3f317218
	v_add_f32_e32 v11, v48, v11
	v_add_f32_e32 v10, v10, v11
	v_add_f32_e32 v11, v13, v10
	v_mul_f32_e32 v48, v47, v11
	v_mul_f32_e32 v12, v45, v48
	v_fma_f32 v14, v48, v45, -v12
	v_fmac_f32_e32 v14, v48, v46
	v_sub_f32_e32 v13, v13, v11
	v_add_f32_e32 v45, v10, v13
	v_add_f32_e32 v10, v12, v14
	v_sub_f32_e32 v13, v11, v10
	v_pk_add_f32 v[16:17], v[10:11], v[12:13] neg_lo:[0,1] neg_hi:[0,1]
	v_mov_b32_e32 v15, v10
	v_pk_add_f32 v[10:11], v[16:17], v[14:15] neg_lo:[0,1] neg_hi:[0,1]
	v_cvt_f32_i32_e32 v12, v44
	v_add_f32_e32 v11, v45, v11
	v_add_f32_e32 v10, v10, v11
	;; [unrolled: 1-line block ×4, first 2 shown]
	v_sub_f32_e32 v11, v13, v49
	v_mul_f32_e32 v10, v47, v10
	v_sub_f32_e32 v11, v48, v11
	v_add_f32_e32 v10, v11, v10
	v_add_f32_e32 v14, v13, v10
	v_mul_f32_e32 v16, v14, v14
	v_mov_b32_e32 v11, 0x3ecc95a3
	v_sub_f32_e32 v13, v14, v13
	v_fmac_f32_e32 v11, 0x3e9b6dac, v16
	v_sub_f32_e32 v10, v10, v13
	v_fmaak_f32 v11, v16, v11, 0x3f2aaada
	v_ldexp_f32 v17, v10, 1
	v_mul_f32_e32 v13, v14, v16
	v_mov_b32_e32 v10, 0x3f317218
	v_pk_mul_f32 v[10:11], v[12:13], v[10:11]
	v_ldexp_f32 v15, v14, 1
	v_fma_f32 v13, v12, s38, -v10
	v_fmamk_f32 v14, v12, 0xb102e308, v13
	v_pk_add_f32 v[12:13], v[10:11], v[14:15]
	v_mov_b32_e32 v16, v10
	v_sub_f32_e32 v15, v13, v15
	v_sub_f32_e32 v15, v11, v15
	v_add_f32_e32 v17, v17, v15
	v_pk_add_f32 v[10:11], v[12:13], v[10:11] neg_lo:[0,1] neg_hi:[0,1]
	v_pk_add_f32 v[44:45], v[12:13], v[16:17]
	v_mov_b32_e32 v15, v12
	v_mov_b32_e32 v11, v45
	v_pk_add_f32 v[46:47], v[14:15], v[10:11] neg_lo:[0,1] neg_hi:[0,1]
	v_pk_add_f32 v[10:11], v[14:15], v[10:11]
	v_mov_b32_e32 v16, v17
	v_pk_add_f32 v[14:15], v[10:11], v[12:13] op_sel:[1,0] op_sel_hi:[0,1] neg_lo:[0,1] neg_hi:[0,1]
	v_pk_add_f32 v[48:49], v[44:45], v[14:15] op_sel_hi:[1,0] neg_lo:[0,1] neg_hi:[0,1]
	v_mov_b32_e32 v44, v45
	v_mov_b32_e32 v45, v11
	v_pk_mov_b32 v[14:15], v[12:13], v[14:15] op_sel:[1,0]
	v_mov_b32_e32 v17, v12
	v_pk_add_f32 v[14:15], v[44:45], v[14:15] neg_lo:[0,1] neg_hi:[0,1]
	v_mov_b32_e32 v48, v46
	v_pk_add_f32 v[12:13], v[16:17], v[14:15] neg_lo:[0,1] neg_hi:[0,1]
	v_mov_b32_e32 v47, v11
	v_pk_add_f32 v[14:15], v[48:49], v[12:13]
	v_cmp_neq_f32_e64 s[38:39], s60, v51
	v_pk_add_f32 v[16:17], v[14:15], v[14:15] op_sel:[0,1] op_sel_hi:[1,0]
	s_nop 0
	v_pk_add_f32 v[10:11], v[10:11], v[16:17] op_sel:[1,0] op_sel_hi:[0,1]
	v_mov_b32_e32 v15, v10
	v_pk_add_f32 v[44:45], v[14:15], v[46:47] neg_lo:[0,1] neg_hi:[0,1]
	v_mov_b32_e32 v13, v16
	v_sub_f32_e32 v11, v14, v44
	v_pk_add_f32 v[12:13], v[12:13], v[44:45] neg_lo:[0,1] neg_hi:[0,1]
	v_sub_f32_e32 v11, v46, v11
	v_add_f32_e32 v11, v12, v11
	v_add_f32_e32 v11, v11, v13
	;; [unrolled: 1-line block ×3, first 2 shown]
	v_cndmask_b32_e64 v10, v50, v10, s[38:39]
	s_mov_b32 s38, 0x33800000
	v_cmp_lt_f32_e64 s[38:39], |v51|, s38
	s_nop 1
	v_cndmask_b32_e64 v10, v10, v51, s[38:39]
	v_add_f32_e32 v11, v7, v10
.LBB153_68:
	s_or_b64 exec, exec, s[40:41]
	ds_read_b32 v7, v8 offset:12
	v_max_f32_e32 v10, v11, v11
	v_cmp_u_f32_e64 s[38:39], v11, v11
	s_waitcnt lgkmcnt(0)
	v_max_f32_e32 v12, v7, v7
	v_min_f32_e32 v13, v10, v12
	v_max_f32_e32 v12, v10, v12
	v_cndmask_b32_e64 v10, v13, v11, s[38:39]
	v_cmp_u_f32_e64 s[40:41], v7, v7
	v_cndmask_b32_e64 v12, v12, v11, s[38:39]
	s_nop 0
	v_cndmask_b32_e64 v10, v10, v7, s[40:41]
	v_cndmask_b32_e64 v7, v12, v7, s[40:41]
	s_movk_i32 s40, 0x1f8
	v_cmp_neq_f32_e64 s[38:39], v10, v7
	v_cmp_class_f32_e64 s[40:41], v10, s40
	s_or_b64 s[38:39], s[38:39], s[40:41]
	s_and_saveexec_b64 s[40:41], s[38:39]
	s_cbranch_execz .LBB153_70
; %bb.69:
	v_sub_f32_e32 v10, v10, v7
	s_mov_b32 s38, 0x3fb8aa3b
	v_mul_f32_e32 v11, 0x3fb8aa3b, v10
	v_fma_f32 v12, v10, s38, -v11
	v_rndne_f32_e32 v13, v11
	v_fmamk_f32 v12, v10, 0x32a5705f, v12
	v_sub_f32_e32 v11, v11, v13
	v_add_f32_e32 v11, v11, v12
	v_exp_f32_e32 v11, v11
	v_cvt_i32_f32_e32 v12, v13
	s_mov_b32 s38, 0xc2ce8ed0
	v_cmp_ngt_f32_e64 s[38:39], s38, v10
	v_mov_b32_e32 v50, 0x7f800000
	v_ldexp_f32 v11, v11, v12
	v_cndmask_b32_e64 v11, 0, v11, s[38:39]
	s_mov_b32 s38, 0x42b17218
	v_cmp_nlt_f32_e64 s[38:39], s38, v10
	s_mov_b32 s60, 0x7f800000
	s_nop 0
	v_cndmask_b32_e64 v51, v50, v11, s[38:39]
	v_add_f32_e32 v12, 1.0, v51
	v_add_f32_e32 v10, -1.0, v12
	v_sub_f32_e32 v11, v10, v12
	v_add_f32_e32 v11, 1.0, v11
	v_sub_f32_e32 v10, v51, v10
	v_add_f32_e32 v13, v10, v11
	v_frexp_mant_f32_e32 v14, v12
	s_mov_b32 s38, 0x3f2aaaab
	v_cvt_f64_f32_e32 v[10:11], v12
	v_frexp_exp_i32_f64_e32 v10, v[10:11]
	v_cmp_gt_f32_e64 s[38:39], s38, v14
	s_nop 1
	v_subbrev_co_u32_e64 v44, s[38:39], 0, v10, s[38:39]
	v_sub_u32_e32 v10, 0, v44
	v_ldexp_f32 v11, v12, v10
	v_add_f32_e32 v12, -1.0, v11
	v_add_f32_e32 v14, 1.0, v11
	v_ldexp_f32 v10, v13, v10
	v_add_f32_e32 v13, 1.0, v12
	v_add_f32_e32 v15, -1.0, v14
	v_sub_f32_e32 v13, v11, v13
	v_sub_f32_e32 v11, v11, v15
	v_add_f32_e32 v13, v10, v13
	v_add_f32_e32 v10, v10, v11
	;; [unrolled: 1-line block ×3, first 2 shown]
	v_rcp_f32_e32 v47, v45
	v_sub_f32_e32 v11, v14, v45
	v_add_f32_e32 v46, v10, v11
	v_add_f32_e32 v11, v12, v13
	v_mul_f32_e32 v49, v11, v47
	v_sub_f32_e32 v10, v12, v11
	v_mul_f32_e32 v12, v45, v49
	v_fma_f32 v14, v49, v45, -v12
	v_fmac_f32_e32 v14, v49, v46
	v_add_f32_e32 v48, v13, v10
	v_add_f32_e32 v10, v12, v14
	v_sub_f32_e32 v13, v11, v10
	v_pk_add_f32 v[16:17], v[10:11], v[12:13] neg_lo:[0,1] neg_hi:[0,1]
	v_mov_b32_e32 v15, v10
	v_pk_add_f32 v[10:11], v[16:17], v[14:15] neg_lo:[0,1] neg_hi:[0,1]
	s_mov_b32 s38, 0x3f317218
	v_add_f32_e32 v11, v48, v11
	v_add_f32_e32 v10, v10, v11
	;; [unrolled: 1-line block ×3, first 2 shown]
	v_mul_f32_e32 v48, v47, v11
	v_mul_f32_e32 v12, v45, v48
	v_fma_f32 v14, v48, v45, -v12
	v_fmac_f32_e32 v14, v48, v46
	v_sub_f32_e32 v13, v13, v11
	v_add_f32_e32 v45, v10, v13
	v_add_f32_e32 v10, v12, v14
	v_sub_f32_e32 v13, v11, v10
	v_pk_add_f32 v[16:17], v[10:11], v[12:13] neg_lo:[0,1] neg_hi:[0,1]
	v_mov_b32_e32 v15, v10
	v_pk_add_f32 v[10:11], v[16:17], v[14:15] neg_lo:[0,1] neg_hi:[0,1]
	v_cvt_f32_i32_e32 v12, v44
	v_add_f32_e32 v11, v45, v11
	v_add_f32_e32 v10, v10, v11
	;; [unrolled: 1-line block ×4, first 2 shown]
	v_sub_f32_e32 v11, v13, v49
	v_mul_f32_e32 v10, v47, v10
	v_sub_f32_e32 v11, v48, v11
	v_add_f32_e32 v10, v11, v10
	v_add_f32_e32 v14, v13, v10
	v_mul_f32_e32 v16, v14, v14
	v_mov_b32_e32 v11, 0x3ecc95a3
	v_sub_f32_e32 v13, v14, v13
	v_fmac_f32_e32 v11, 0x3e9b6dac, v16
	v_sub_f32_e32 v10, v10, v13
	v_fmaak_f32 v11, v16, v11, 0x3f2aaada
	v_ldexp_f32 v17, v10, 1
	v_mul_f32_e32 v13, v14, v16
	v_mov_b32_e32 v10, 0x3f317218
	v_pk_mul_f32 v[10:11], v[12:13], v[10:11]
	v_ldexp_f32 v15, v14, 1
	v_fma_f32 v13, v12, s38, -v10
	v_fmamk_f32 v14, v12, 0xb102e308, v13
	v_pk_add_f32 v[12:13], v[10:11], v[14:15]
	v_mov_b32_e32 v16, v10
	v_sub_f32_e32 v15, v13, v15
	v_sub_f32_e32 v15, v11, v15
	v_add_f32_e32 v17, v17, v15
	v_pk_add_f32 v[10:11], v[12:13], v[10:11] neg_lo:[0,1] neg_hi:[0,1]
	v_pk_add_f32 v[44:45], v[12:13], v[16:17]
	v_mov_b32_e32 v15, v12
	v_mov_b32_e32 v11, v45
	v_pk_add_f32 v[46:47], v[14:15], v[10:11] neg_lo:[0,1] neg_hi:[0,1]
	v_pk_add_f32 v[10:11], v[14:15], v[10:11]
	v_mov_b32_e32 v16, v17
	v_pk_add_f32 v[14:15], v[10:11], v[12:13] op_sel:[1,0] op_sel_hi:[0,1] neg_lo:[0,1] neg_hi:[0,1]
	v_pk_add_f32 v[48:49], v[44:45], v[14:15] op_sel_hi:[1,0] neg_lo:[0,1] neg_hi:[0,1]
	v_mov_b32_e32 v44, v45
	v_mov_b32_e32 v45, v11
	v_pk_mov_b32 v[14:15], v[12:13], v[14:15] op_sel:[1,0]
	v_mov_b32_e32 v17, v12
	v_pk_add_f32 v[14:15], v[44:45], v[14:15] neg_lo:[0,1] neg_hi:[0,1]
	v_mov_b32_e32 v48, v46
	v_pk_add_f32 v[12:13], v[16:17], v[14:15] neg_lo:[0,1] neg_hi:[0,1]
	v_mov_b32_e32 v47, v11
	v_pk_add_f32 v[14:15], v[48:49], v[12:13]
	v_cmp_neq_f32_e64 s[38:39], s60, v51
	v_pk_add_f32 v[16:17], v[14:15], v[14:15] op_sel:[0,1] op_sel_hi:[1,0]
	s_nop 0
	v_pk_add_f32 v[10:11], v[10:11], v[16:17] op_sel:[1,0] op_sel_hi:[0,1]
	v_mov_b32_e32 v15, v10
	v_pk_add_f32 v[44:45], v[14:15], v[46:47] neg_lo:[0,1] neg_hi:[0,1]
	v_mov_b32_e32 v13, v16
	v_sub_f32_e32 v11, v14, v44
	v_pk_add_f32 v[12:13], v[12:13], v[44:45] neg_lo:[0,1] neg_hi:[0,1]
	v_sub_f32_e32 v11, v46, v11
	v_add_f32_e32 v11, v12, v11
	v_add_f32_e32 v11, v11, v13
	;; [unrolled: 1-line block ×3, first 2 shown]
	v_cndmask_b32_e64 v10, v50, v10, s[38:39]
	s_mov_b32 s38, 0x33800000
	v_cmp_lt_f32_e64 s[38:39], |v51|, s38
	s_nop 1
	v_cndmask_b32_e64 v10, v10, v51, s[38:39]
	v_add_f32_e32 v11, v7, v10
.LBB153_70:
	s_or_b64 exec, exec, s[40:41]
	v_mbcnt_lo_u32_b32 v7, -1, 0
	v_mbcnt_hi_u32_b32 v7, -1, v7
	v_and_b32_e32 v10, 15, v7
	v_mov_b32_dpp v12, v11 row_shr:1 row_mask:0xf bank_mask:0xf
	v_cmp_ne_u32_e64 s[38:39], 0, v10
	s_and_saveexec_b64 s[40:41], s[38:39]
	s_xor_b64 s[60:61], exec, s[40:41]
	s_cbranch_execz .LBB153_74
; %bb.71:
	v_max_f32_e32 v14, v11, v11
	v_max_f32_e32 v15, v12, v12
	v_min_f32_e32 v13, v15, v14
	v_cmp_u_f32_e64 s[38:39], v12, v12
	v_max_f32_e32 v14, v15, v14
	v_cmp_u_f32_e64 s[40:41], v11, v11
	v_cndmask_b32_e64 v13, v13, v12, s[38:39]
	v_cndmask_b32_e64 v14, v14, v12, s[38:39]
	;; [unrolled: 1-line block ×4, first 2 shown]
	s_movk_i32 s40, 0x1f8
	v_cmp_neq_f32_e64 s[38:39], v13, v11
	v_cmp_class_f32_e64 s[40:41], v13, s40
	s_or_b64 s[38:39], s[38:39], s[40:41]
	s_and_saveexec_b64 s[40:41], s[38:39]
	s_cbranch_execz .LBB153_73
; %bb.72:
	v_sub_f32_e32 v12, v13, v11
	s_mov_b32 s38, 0x3fb8aa3b
	v_mul_f32_e32 v13, 0x3fb8aa3b, v12
	v_fma_f32 v14, v12, s38, -v13
	v_rndne_f32_e32 v15, v13
	v_fmamk_f32 v14, v12, 0x32a5705f, v14
	v_sub_f32_e32 v13, v13, v15
	v_add_f32_e32 v13, v13, v14
	v_exp_f32_e32 v13, v13
	v_cvt_i32_f32_e32 v14, v15
	s_mov_b32 s38, 0xc2ce8ed0
	v_cmp_ngt_f32_e64 s[38:39], s38, v12
	v_mov_b32_e32 v52, 0x7f800000
	v_ldexp_f32 v13, v13, v14
	v_cndmask_b32_e64 v13, 0, v13, s[38:39]
	s_mov_b32 s38, 0x42b17218
	v_cmp_nlt_f32_e64 s[38:39], s38, v12
	s_mov_b32 s64, 0x7f800000
	s_nop 0
	v_cndmask_b32_e64 v53, v52, v13, s[38:39]
	v_add_f32_e32 v14, 1.0, v53
	v_add_f32_e32 v12, -1.0, v14
	v_sub_f32_e32 v13, v12, v14
	v_add_f32_e32 v13, 1.0, v13
	v_sub_f32_e32 v12, v53, v12
	v_add_f32_e32 v15, v12, v13
	v_frexp_mant_f32_e32 v16, v14
	s_mov_b32 s38, 0x3f2aaaab
	v_cvt_f64_f32_e32 v[12:13], v14
	v_frexp_exp_i32_f64_e32 v12, v[12:13]
	v_cmp_gt_f32_e64 s[38:39], s38, v16
	s_nop 1
	v_subbrev_co_u32_e64 v46, s[38:39], 0, v12, s[38:39]
	v_sub_u32_e32 v12, 0, v46
	v_ldexp_f32 v13, v14, v12
	v_add_f32_e32 v14, -1.0, v13
	v_add_f32_e32 v16, 1.0, v13
	v_ldexp_f32 v12, v15, v12
	v_add_f32_e32 v15, 1.0, v14
	v_add_f32_e32 v17, -1.0, v16
	v_sub_f32_e32 v15, v13, v15
	v_sub_f32_e32 v13, v13, v17
	v_add_f32_e32 v15, v12, v15
	v_add_f32_e32 v12, v12, v13
	;; [unrolled: 1-line block ×3, first 2 shown]
	v_rcp_f32_e32 v49, v47
	v_sub_f32_e32 v13, v16, v47
	v_add_f32_e32 v48, v12, v13
	v_add_f32_e32 v13, v14, v15
	v_mul_f32_e32 v51, v13, v49
	v_sub_f32_e32 v12, v14, v13
	v_mul_f32_e32 v14, v47, v51
	v_fma_f32 v16, v51, v47, -v14
	v_fmac_f32_e32 v16, v51, v48
	v_add_f32_e32 v50, v15, v12
	v_add_f32_e32 v12, v14, v16
	v_sub_f32_e32 v15, v13, v12
	v_pk_add_f32 v[44:45], v[12:13], v[14:15] neg_lo:[0,1] neg_hi:[0,1]
	v_mov_b32_e32 v17, v12
	v_pk_add_f32 v[12:13], v[44:45], v[16:17] neg_lo:[0,1] neg_hi:[0,1]
	s_mov_b32 s38, 0x3f317218
	v_add_f32_e32 v13, v50, v13
	v_add_f32_e32 v12, v12, v13
	;; [unrolled: 1-line block ×3, first 2 shown]
	v_mul_f32_e32 v50, v49, v13
	v_mul_f32_e32 v14, v47, v50
	v_fma_f32 v16, v50, v47, -v14
	v_fmac_f32_e32 v16, v50, v48
	v_sub_f32_e32 v15, v15, v13
	v_add_f32_e32 v47, v12, v15
	v_add_f32_e32 v12, v14, v16
	v_sub_f32_e32 v15, v13, v12
	v_pk_add_f32 v[44:45], v[12:13], v[14:15] neg_lo:[0,1] neg_hi:[0,1]
	v_mov_b32_e32 v17, v12
	v_pk_add_f32 v[12:13], v[44:45], v[16:17] neg_lo:[0,1] neg_hi:[0,1]
	v_cvt_f32_i32_e32 v14, v46
	v_add_f32_e32 v13, v47, v13
	v_add_f32_e32 v12, v12, v13
	;; [unrolled: 1-line block ×4, first 2 shown]
	v_sub_f32_e32 v13, v15, v51
	v_mul_f32_e32 v12, v49, v12
	v_sub_f32_e32 v13, v50, v13
	v_add_f32_e32 v12, v13, v12
	v_add_f32_e32 v16, v15, v12
	v_mul_f32_e32 v44, v16, v16
	v_mov_b32_e32 v13, 0x3ecc95a3
	v_sub_f32_e32 v15, v16, v15
	v_fmac_f32_e32 v13, 0x3e9b6dac, v44
	v_sub_f32_e32 v12, v12, v15
	v_fmaak_f32 v13, v44, v13, 0x3f2aaada
	v_ldexp_f32 v45, v12, 1
	v_mul_f32_e32 v15, v16, v44
	v_mov_b32_e32 v12, 0x3f317218
	v_pk_mul_f32 v[12:13], v[14:15], v[12:13]
	v_ldexp_f32 v17, v16, 1
	v_fma_f32 v15, v14, s38, -v12
	v_fmamk_f32 v16, v14, 0xb102e308, v15
	v_pk_add_f32 v[14:15], v[12:13], v[16:17]
	v_mov_b32_e32 v44, v12
	v_sub_f32_e32 v17, v15, v17
	v_sub_f32_e32 v17, v13, v17
	v_add_f32_e32 v45, v45, v17
	v_pk_add_f32 v[12:13], v[14:15], v[12:13] neg_lo:[0,1] neg_hi:[0,1]
	v_pk_add_f32 v[46:47], v[14:15], v[44:45]
	v_mov_b32_e32 v17, v14
	v_mov_b32_e32 v13, v47
	v_pk_add_f32 v[48:49], v[16:17], v[12:13] neg_lo:[0,1] neg_hi:[0,1]
	v_pk_add_f32 v[12:13], v[16:17], v[12:13]
	v_mov_b32_e32 v44, v45
	v_pk_add_f32 v[16:17], v[12:13], v[14:15] op_sel:[1,0] op_sel_hi:[0,1] neg_lo:[0,1] neg_hi:[0,1]
	v_pk_add_f32 v[50:51], v[46:47], v[16:17] op_sel_hi:[1,0] neg_lo:[0,1] neg_hi:[0,1]
	v_mov_b32_e32 v46, v47
	v_mov_b32_e32 v47, v13
	v_pk_mov_b32 v[16:17], v[14:15], v[16:17] op_sel:[1,0]
	v_mov_b32_e32 v45, v14
	v_pk_add_f32 v[16:17], v[46:47], v[16:17] neg_lo:[0,1] neg_hi:[0,1]
	v_mov_b32_e32 v50, v48
	v_pk_add_f32 v[14:15], v[44:45], v[16:17] neg_lo:[0,1] neg_hi:[0,1]
	v_mov_b32_e32 v49, v13
	v_pk_add_f32 v[16:17], v[50:51], v[14:15]
	v_cmp_neq_f32_e64 s[38:39], s64, v53
	v_pk_add_f32 v[44:45], v[16:17], v[16:17] op_sel:[0,1] op_sel_hi:[1,0]
	s_nop 0
	v_pk_add_f32 v[12:13], v[12:13], v[44:45] op_sel:[1,0] op_sel_hi:[0,1]
	v_mov_b32_e32 v17, v12
	v_pk_add_f32 v[46:47], v[16:17], v[48:49] neg_lo:[0,1] neg_hi:[0,1]
	v_mov_b32_e32 v15, v44
	v_sub_f32_e32 v13, v16, v46
	v_pk_add_f32 v[14:15], v[14:15], v[46:47] neg_lo:[0,1] neg_hi:[0,1]
	v_sub_f32_e32 v13, v48, v13
	v_add_f32_e32 v13, v14, v13
	v_add_f32_e32 v13, v13, v15
	;; [unrolled: 1-line block ×3, first 2 shown]
	v_cndmask_b32_e64 v12, v52, v12, s[38:39]
	s_mov_b32 s38, 0x33800000
	v_cmp_lt_f32_e64 s[38:39], |v53|, s38
	s_nop 1
	v_cndmask_b32_e64 v12, v12, v53, s[38:39]
	v_add_f32_e32 v12, v11, v12
.LBB153_73:
	s_or_b64 exec, exec, s[40:41]
	v_mov_b32_e32 v11, v12
.LBB153_74:
	s_or_b64 exec, exec, s[60:61]
	s_nop 0
	v_mov_b32_dpp v12, v11 row_shr:2 row_mask:0xf bank_mask:0xf
	v_cmp_lt_u32_e64 s[38:39], 1, v10
	s_and_saveexec_b64 s[60:61], s[38:39]
	s_cbranch_execz .LBB153_78
; %bb.75:
	v_max_f32_e32 v14, v11, v11
	v_max_f32_e32 v15, v12, v12
	v_min_f32_e32 v13, v15, v14
	v_cmp_u_f32_e64 s[38:39], v12, v12
	v_max_f32_e32 v14, v15, v14
	v_cmp_u_f32_e64 s[40:41], v11, v11
	v_cndmask_b32_e64 v13, v13, v12, s[38:39]
	v_cndmask_b32_e64 v14, v14, v12, s[38:39]
	;; [unrolled: 1-line block ×4, first 2 shown]
	s_movk_i32 s40, 0x1f8
	v_cmp_neq_f32_e64 s[38:39], v13, v11
	v_cmp_class_f32_e64 s[40:41], v13, s40
	s_or_b64 s[38:39], s[38:39], s[40:41]
	s_and_saveexec_b64 s[40:41], s[38:39]
	s_cbranch_execz .LBB153_77
; %bb.76:
	v_sub_f32_e32 v12, v13, v11
	s_mov_b32 s38, 0x3fb8aa3b
	v_mul_f32_e32 v13, 0x3fb8aa3b, v12
	v_fma_f32 v14, v12, s38, -v13
	v_rndne_f32_e32 v15, v13
	v_fmamk_f32 v14, v12, 0x32a5705f, v14
	v_sub_f32_e32 v13, v13, v15
	v_add_f32_e32 v13, v13, v14
	v_exp_f32_e32 v13, v13
	v_cvt_i32_f32_e32 v14, v15
	s_mov_b32 s38, 0xc2ce8ed0
	v_cmp_ngt_f32_e64 s[38:39], s38, v12
	v_mov_b32_e32 v52, 0x7f800000
	v_ldexp_f32 v13, v13, v14
	v_cndmask_b32_e64 v13, 0, v13, s[38:39]
	s_mov_b32 s38, 0x42b17218
	v_cmp_nlt_f32_e64 s[38:39], s38, v12
	s_mov_b32 s64, 0x7f800000
	s_nop 0
	v_cndmask_b32_e64 v53, v52, v13, s[38:39]
	v_add_f32_e32 v14, 1.0, v53
	v_add_f32_e32 v12, -1.0, v14
	v_sub_f32_e32 v13, v12, v14
	v_add_f32_e32 v13, 1.0, v13
	v_sub_f32_e32 v12, v53, v12
	v_add_f32_e32 v15, v12, v13
	v_frexp_mant_f32_e32 v16, v14
	s_mov_b32 s38, 0x3f2aaaab
	v_cvt_f64_f32_e32 v[12:13], v14
	v_frexp_exp_i32_f64_e32 v12, v[12:13]
	v_cmp_gt_f32_e64 s[38:39], s38, v16
	s_nop 1
	v_subbrev_co_u32_e64 v46, s[38:39], 0, v12, s[38:39]
	v_sub_u32_e32 v12, 0, v46
	v_ldexp_f32 v13, v14, v12
	v_add_f32_e32 v14, -1.0, v13
	v_add_f32_e32 v16, 1.0, v13
	v_ldexp_f32 v12, v15, v12
	v_add_f32_e32 v15, 1.0, v14
	v_add_f32_e32 v17, -1.0, v16
	v_sub_f32_e32 v15, v13, v15
	v_sub_f32_e32 v13, v13, v17
	v_add_f32_e32 v15, v12, v15
	v_add_f32_e32 v12, v12, v13
	;; [unrolled: 1-line block ×3, first 2 shown]
	v_rcp_f32_e32 v49, v47
	v_sub_f32_e32 v13, v16, v47
	v_add_f32_e32 v48, v12, v13
	v_add_f32_e32 v13, v14, v15
	v_mul_f32_e32 v51, v13, v49
	v_sub_f32_e32 v12, v14, v13
	v_mul_f32_e32 v14, v47, v51
	v_fma_f32 v16, v51, v47, -v14
	v_fmac_f32_e32 v16, v51, v48
	v_add_f32_e32 v50, v15, v12
	v_add_f32_e32 v12, v14, v16
	v_sub_f32_e32 v15, v13, v12
	v_pk_add_f32 v[44:45], v[12:13], v[14:15] neg_lo:[0,1] neg_hi:[0,1]
	v_mov_b32_e32 v17, v12
	v_pk_add_f32 v[12:13], v[44:45], v[16:17] neg_lo:[0,1] neg_hi:[0,1]
	s_mov_b32 s38, 0x3f317218
	v_add_f32_e32 v13, v50, v13
	v_add_f32_e32 v12, v12, v13
	v_add_f32_e32 v13, v15, v12
	v_mul_f32_e32 v50, v49, v13
	v_mul_f32_e32 v14, v47, v50
	v_fma_f32 v16, v50, v47, -v14
	v_fmac_f32_e32 v16, v50, v48
	v_sub_f32_e32 v15, v15, v13
	v_add_f32_e32 v47, v12, v15
	v_add_f32_e32 v12, v14, v16
	v_sub_f32_e32 v15, v13, v12
	v_pk_add_f32 v[44:45], v[12:13], v[14:15] neg_lo:[0,1] neg_hi:[0,1]
	v_mov_b32_e32 v17, v12
	v_pk_add_f32 v[12:13], v[44:45], v[16:17] neg_lo:[0,1] neg_hi:[0,1]
	v_cvt_f32_i32_e32 v14, v46
	v_add_f32_e32 v13, v47, v13
	v_add_f32_e32 v12, v12, v13
	;; [unrolled: 1-line block ×4, first 2 shown]
	v_sub_f32_e32 v13, v15, v51
	v_mul_f32_e32 v12, v49, v12
	v_sub_f32_e32 v13, v50, v13
	v_add_f32_e32 v12, v13, v12
	v_add_f32_e32 v16, v15, v12
	v_mul_f32_e32 v44, v16, v16
	v_mov_b32_e32 v13, 0x3ecc95a3
	v_sub_f32_e32 v15, v16, v15
	v_fmac_f32_e32 v13, 0x3e9b6dac, v44
	v_sub_f32_e32 v12, v12, v15
	v_fmaak_f32 v13, v44, v13, 0x3f2aaada
	v_ldexp_f32 v45, v12, 1
	v_mul_f32_e32 v15, v16, v44
	v_mov_b32_e32 v12, 0x3f317218
	v_pk_mul_f32 v[12:13], v[14:15], v[12:13]
	v_ldexp_f32 v17, v16, 1
	v_fma_f32 v15, v14, s38, -v12
	v_fmamk_f32 v16, v14, 0xb102e308, v15
	v_pk_add_f32 v[14:15], v[12:13], v[16:17]
	v_mov_b32_e32 v44, v12
	v_sub_f32_e32 v17, v15, v17
	v_sub_f32_e32 v17, v13, v17
	v_add_f32_e32 v45, v45, v17
	v_pk_add_f32 v[12:13], v[14:15], v[12:13] neg_lo:[0,1] neg_hi:[0,1]
	v_pk_add_f32 v[46:47], v[14:15], v[44:45]
	v_mov_b32_e32 v17, v14
	v_mov_b32_e32 v13, v47
	v_pk_add_f32 v[48:49], v[16:17], v[12:13] neg_lo:[0,1] neg_hi:[0,1]
	v_pk_add_f32 v[12:13], v[16:17], v[12:13]
	v_mov_b32_e32 v44, v45
	v_pk_add_f32 v[16:17], v[12:13], v[14:15] op_sel:[1,0] op_sel_hi:[0,1] neg_lo:[0,1] neg_hi:[0,1]
	v_pk_add_f32 v[50:51], v[46:47], v[16:17] op_sel_hi:[1,0] neg_lo:[0,1] neg_hi:[0,1]
	v_mov_b32_e32 v46, v47
	v_mov_b32_e32 v47, v13
	v_pk_mov_b32 v[16:17], v[14:15], v[16:17] op_sel:[1,0]
	v_mov_b32_e32 v45, v14
	v_pk_add_f32 v[16:17], v[46:47], v[16:17] neg_lo:[0,1] neg_hi:[0,1]
	v_mov_b32_e32 v50, v48
	v_pk_add_f32 v[14:15], v[44:45], v[16:17] neg_lo:[0,1] neg_hi:[0,1]
	v_mov_b32_e32 v49, v13
	v_pk_add_f32 v[16:17], v[50:51], v[14:15]
	v_cmp_neq_f32_e64 s[38:39], s64, v53
	v_pk_add_f32 v[44:45], v[16:17], v[16:17] op_sel:[0,1] op_sel_hi:[1,0]
	s_nop 0
	v_pk_add_f32 v[12:13], v[12:13], v[44:45] op_sel:[1,0] op_sel_hi:[0,1]
	v_mov_b32_e32 v17, v12
	v_pk_add_f32 v[46:47], v[16:17], v[48:49] neg_lo:[0,1] neg_hi:[0,1]
	v_mov_b32_e32 v15, v44
	v_sub_f32_e32 v13, v16, v46
	v_pk_add_f32 v[14:15], v[14:15], v[46:47] neg_lo:[0,1] neg_hi:[0,1]
	v_sub_f32_e32 v13, v48, v13
	v_add_f32_e32 v13, v14, v13
	v_add_f32_e32 v13, v13, v15
	;; [unrolled: 1-line block ×3, first 2 shown]
	v_cndmask_b32_e64 v12, v52, v12, s[38:39]
	s_mov_b32 s38, 0x33800000
	v_cmp_lt_f32_e64 s[38:39], |v53|, s38
	s_nop 1
	v_cndmask_b32_e64 v12, v12, v53, s[38:39]
	v_add_f32_e32 v12, v11, v12
.LBB153_77:
	s_or_b64 exec, exec, s[40:41]
	v_mov_b32_e32 v11, v12
.LBB153_78:
	s_or_b64 exec, exec, s[60:61]
	s_nop 0
	v_mov_b32_dpp v12, v11 row_shr:4 row_mask:0xf bank_mask:0xf
	v_cmp_lt_u32_e64 s[38:39], 3, v10
	s_and_saveexec_b64 s[60:61], s[38:39]
	s_cbranch_execz .LBB153_82
; %bb.79:
	v_max_f32_e32 v14, v11, v11
	v_max_f32_e32 v15, v12, v12
	v_min_f32_e32 v13, v15, v14
	v_cmp_u_f32_e64 s[38:39], v12, v12
	v_max_f32_e32 v14, v15, v14
	v_cmp_u_f32_e64 s[40:41], v11, v11
	v_cndmask_b32_e64 v13, v13, v12, s[38:39]
	v_cndmask_b32_e64 v14, v14, v12, s[38:39]
	;; [unrolled: 1-line block ×4, first 2 shown]
	s_movk_i32 s40, 0x1f8
	v_cmp_neq_f32_e64 s[38:39], v13, v11
	v_cmp_class_f32_e64 s[40:41], v13, s40
	s_or_b64 s[38:39], s[38:39], s[40:41]
	s_and_saveexec_b64 s[40:41], s[38:39]
	s_cbranch_execz .LBB153_81
; %bb.80:
	v_sub_f32_e32 v12, v13, v11
	s_mov_b32 s38, 0x3fb8aa3b
	v_mul_f32_e32 v13, 0x3fb8aa3b, v12
	v_fma_f32 v14, v12, s38, -v13
	v_rndne_f32_e32 v15, v13
	v_fmamk_f32 v14, v12, 0x32a5705f, v14
	v_sub_f32_e32 v13, v13, v15
	v_add_f32_e32 v13, v13, v14
	v_exp_f32_e32 v13, v13
	v_cvt_i32_f32_e32 v14, v15
	s_mov_b32 s38, 0xc2ce8ed0
	v_cmp_ngt_f32_e64 s[38:39], s38, v12
	v_mov_b32_e32 v52, 0x7f800000
	v_ldexp_f32 v13, v13, v14
	v_cndmask_b32_e64 v13, 0, v13, s[38:39]
	s_mov_b32 s38, 0x42b17218
	v_cmp_nlt_f32_e64 s[38:39], s38, v12
	s_mov_b32 s64, 0x7f800000
	s_nop 0
	v_cndmask_b32_e64 v53, v52, v13, s[38:39]
	v_add_f32_e32 v14, 1.0, v53
	v_add_f32_e32 v12, -1.0, v14
	v_sub_f32_e32 v13, v12, v14
	v_add_f32_e32 v13, 1.0, v13
	v_sub_f32_e32 v12, v53, v12
	v_add_f32_e32 v15, v12, v13
	v_frexp_mant_f32_e32 v16, v14
	s_mov_b32 s38, 0x3f2aaaab
	v_cvt_f64_f32_e32 v[12:13], v14
	v_frexp_exp_i32_f64_e32 v12, v[12:13]
	v_cmp_gt_f32_e64 s[38:39], s38, v16
	s_nop 1
	v_subbrev_co_u32_e64 v46, s[38:39], 0, v12, s[38:39]
	v_sub_u32_e32 v12, 0, v46
	v_ldexp_f32 v13, v14, v12
	v_add_f32_e32 v14, -1.0, v13
	v_add_f32_e32 v16, 1.0, v13
	v_ldexp_f32 v12, v15, v12
	v_add_f32_e32 v15, 1.0, v14
	v_add_f32_e32 v17, -1.0, v16
	v_sub_f32_e32 v15, v13, v15
	v_sub_f32_e32 v13, v13, v17
	v_add_f32_e32 v15, v12, v15
	v_add_f32_e32 v12, v12, v13
	;; [unrolled: 1-line block ×3, first 2 shown]
	v_rcp_f32_e32 v49, v47
	v_sub_f32_e32 v13, v16, v47
	v_add_f32_e32 v48, v12, v13
	v_add_f32_e32 v13, v14, v15
	v_mul_f32_e32 v51, v13, v49
	v_sub_f32_e32 v12, v14, v13
	v_mul_f32_e32 v14, v47, v51
	v_fma_f32 v16, v51, v47, -v14
	v_fmac_f32_e32 v16, v51, v48
	v_add_f32_e32 v50, v15, v12
	v_add_f32_e32 v12, v14, v16
	v_sub_f32_e32 v15, v13, v12
	v_pk_add_f32 v[44:45], v[12:13], v[14:15] neg_lo:[0,1] neg_hi:[0,1]
	v_mov_b32_e32 v17, v12
	v_pk_add_f32 v[12:13], v[44:45], v[16:17] neg_lo:[0,1] neg_hi:[0,1]
	s_mov_b32 s38, 0x3f317218
	v_add_f32_e32 v13, v50, v13
	v_add_f32_e32 v12, v12, v13
	;; [unrolled: 1-line block ×3, first 2 shown]
	v_mul_f32_e32 v50, v49, v13
	v_mul_f32_e32 v14, v47, v50
	v_fma_f32 v16, v50, v47, -v14
	v_fmac_f32_e32 v16, v50, v48
	v_sub_f32_e32 v15, v15, v13
	v_add_f32_e32 v47, v12, v15
	v_add_f32_e32 v12, v14, v16
	v_sub_f32_e32 v15, v13, v12
	v_pk_add_f32 v[44:45], v[12:13], v[14:15] neg_lo:[0,1] neg_hi:[0,1]
	v_mov_b32_e32 v17, v12
	v_pk_add_f32 v[12:13], v[44:45], v[16:17] neg_lo:[0,1] neg_hi:[0,1]
	v_cvt_f32_i32_e32 v14, v46
	v_add_f32_e32 v13, v47, v13
	v_add_f32_e32 v12, v12, v13
	;; [unrolled: 1-line block ×4, first 2 shown]
	v_sub_f32_e32 v13, v15, v51
	v_mul_f32_e32 v12, v49, v12
	v_sub_f32_e32 v13, v50, v13
	v_add_f32_e32 v12, v13, v12
	v_add_f32_e32 v16, v15, v12
	v_mul_f32_e32 v44, v16, v16
	v_mov_b32_e32 v13, 0x3ecc95a3
	v_sub_f32_e32 v15, v16, v15
	v_fmac_f32_e32 v13, 0x3e9b6dac, v44
	v_sub_f32_e32 v12, v12, v15
	v_fmaak_f32 v13, v44, v13, 0x3f2aaada
	v_ldexp_f32 v45, v12, 1
	v_mul_f32_e32 v15, v16, v44
	v_mov_b32_e32 v12, 0x3f317218
	v_pk_mul_f32 v[12:13], v[14:15], v[12:13]
	v_ldexp_f32 v17, v16, 1
	v_fma_f32 v15, v14, s38, -v12
	v_fmamk_f32 v16, v14, 0xb102e308, v15
	v_pk_add_f32 v[14:15], v[12:13], v[16:17]
	v_mov_b32_e32 v44, v12
	v_sub_f32_e32 v17, v15, v17
	v_sub_f32_e32 v17, v13, v17
	v_add_f32_e32 v45, v45, v17
	v_pk_add_f32 v[12:13], v[14:15], v[12:13] neg_lo:[0,1] neg_hi:[0,1]
	v_pk_add_f32 v[46:47], v[14:15], v[44:45]
	v_mov_b32_e32 v17, v14
	v_mov_b32_e32 v13, v47
	v_pk_add_f32 v[48:49], v[16:17], v[12:13] neg_lo:[0,1] neg_hi:[0,1]
	v_pk_add_f32 v[12:13], v[16:17], v[12:13]
	v_mov_b32_e32 v44, v45
	v_pk_add_f32 v[16:17], v[12:13], v[14:15] op_sel:[1,0] op_sel_hi:[0,1] neg_lo:[0,1] neg_hi:[0,1]
	v_pk_add_f32 v[50:51], v[46:47], v[16:17] op_sel_hi:[1,0] neg_lo:[0,1] neg_hi:[0,1]
	v_mov_b32_e32 v46, v47
	v_mov_b32_e32 v47, v13
	v_pk_mov_b32 v[16:17], v[14:15], v[16:17] op_sel:[1,0]
	v_mov_b32_e32 v45, v14
	v_pk_add_f32 v[16:17], v[46:47], v[16:17] neg_lo:[0,1] neg_hi:[0,1]
	v_mov_b32_e32 v50, v48
	v_pk_add_f32 v[14:15], v[44:45], v[16:17] neg_lo:[0,1] neg_hi:[0,1]
	v_mov_b32_e32 v49, v13
	v_pk_add_f32 v[16:17], v[50:51], v[14:15]
	v_cmp_neq_f32_e64 s[38:39], s64, v53
	v_pk_add_f32 v[44:45], v[16:17], v[16:17] op_sel:[0,1] op_sel_hi:[1,0]
	s_nop 0
	v_pk_add_f32 v[12:13], v[12:13], v[44:45] op_sel:[1,0] op_sel_hi:[0,1]
	v_mov_b32_e32 v17, v12
	v_pk_add_f32 v[46:47], v[16:17], v[48:49] neg_lo:[0,1] neg_hi:[0,1]
	v_mov_b32_e32 v15, v44
	v_sub_f32_e32 v13, v16, v46
	v_pk_add_f32 v[14:15], v[14:15], v[46:47] neg_lo:[0,1] neg_hi:[0,1]
	v_sub_f32_e32 v13, v48, v13
	v_add_f32_e32 v13, v14, v13
	v_add_f32_e32 v13, v13, v15
	;; [unrolled: 1-line block ×3, first 2 shown]
	v_cndmask_b32_e64 v12, v52, v12, s[38:39]
	s_mov_b32 s38, 0x33800000
	v_cmp_lt_f32_e64 s[38:39], |v53|, s38
	s_nop 1
	v_cndmask_b32_e64 v12, v12, v53, s[38:39]
	v_add_f32_e32 v12, v11, v12
.LBB153_81:
	s_or_b64 exec, exec, s[40:41]
	v_mov_b32_e32 v11, v12
.LBB153_82:
	s_or_b64 exec, exec, s[60:61]
	s_nop 0
	v_mov_b32_dpp v12, v11 row_shr:8 row_mask:0xf bank_mask:0xf
	v_cmp_lt_u32_e64 s[38:39], 7, v10
	s_and_saveexec_b64 s[60:61], s[38:39]
	s_cbranch_execz .LBB153_86
; %bb.83:
	v_max_f32_e32 v10, v11, v11
	v_max_f32_e32 v14, v12, v12
	v_min_f32_e32 v13, v14, v10
	v_cmp_u_f32_e64 s[38:39], v12, v12
	v_max_f32_e32 v10, v14, v10
	v_cmp_u_f32_e64 s[40:41], v11, v11
	v_cndmask_b32_e64 v13, v13, v12, s[38:39]
	v_cndmask_b32_e64 v10, v10, v12, s[38:39]
	;; [unrolled: 1-line block ×4, first 2 shown]
	s_movk_i32 s40, 0x1f8
	v_cmp_neq_f32_e64 s[38:39], v13, v10
	v_cmp_class_f32_e64 s[40:41], v13, s40
	s_or_b64 s[38:39], s[38:39], s[40:41]
	s_and_saveexec_b64 s[40:41], s[38:39]
	s_cbranch_execz .LBB153_85
; %bb.84:
	v_sub_f32_e32 v11, v13, v10
	s_mov_b32 s38, 0x3fb8aa3b
	v_mul_f32_e32 v12, 0x3fb8aa3b, v11
	v_fma_f32 v13, v11, s38, -v12
	v_rndne_f32_e32 v14, v12
	v_fmamk_f32 v13, v11, 0x32a5705f, v13
	v_sub_f32_e32 v12, v12, v14
	v_add_f32_e32 v12, v12, v13
	v_exp_f32_e32 v12, v12
	v_cvt_i32_f32_e32 v13, v14
	s_mov_b32 s38, 0xc2ce8ed0
	v_cmp_ngt_f32_e64 s[38:39], s38, v11
	v_mov_b32_e32 v52, 0x7f800000
	v_ldexp_f32 v12, v12, v13
	v_cndmask_b32_e64 v12, 0, v12, s[38:39]
	s_mov_b32 s38, 0x42b17218
	v_cmp_nlt_f32_e64 s[38:39], s38, v11
	s_mov_b32 s64, 0x7f800000
	s_nop 0
	v_cndmask_b32_e64 v11, v52, v12, s[38:39]
	v_add_f32_e32 v14, 1.0, v11
	v_add_f32_e32 v12, -1.0, v14
	v_sub_f32_e32 v13, v12, v14
	v_add_f32_e32 v13, 1.0, v13
	v_sub_f32_e32 v12, v11, v12
	v_add_f32_e32 v15, v12, v13
	v_frexp_mant_f32_e32 v16, v14
	s_mov_b32 s38, 0x3f2aaaab
	v_cvt_f64_f32_e32 v[12:13], v14
	v_frexp_exp_i32_f64_e32 v12, v[12:13]
	v_cmp_gt_f32_e64 s[38:39], s38, v16
	s_nop 1
	v_subbrev_co_u32_e64 v46, s[38:39], 0, v12, s[38:39]
	v_sub_u32_e32 v12, 0, v46
	v_ldexp_f32 v13, v14, v12
	v_add_f32_e32 v14, -1.0, v13
	v_add_f32_e32 v16, 1.0, v13
	v_ldexp_f32 v12, v15, v12
	v_add_f32_e32 v15, 1.0, v14
	v_add_f32_e32 v17, -1.0, v16
	v_sub_f32_e32 v15, v13, v15
	v_sub_f32_e32 v13, v13, v17
	v_add_f32_e32 v15, v12, v15
	v_add_f32_e32 v12, v12, v13
	;; [unrolled: 1-line block ×3, first 2 shown]
	v_rcp_f32_e32 v49, v47
	v_sub_f32_e32 v13, v16, v47
	v_add_f32_e32 v48, v12, v13
	v_add_f32_e32 v13, v14, v15
	v_mul_f32_e32 v51, v13, v49
	v_sub_f32_e32 v12, v14, v13
	v_mul_f32_e32 v14, v47, v51
	v_fma_f32 v16, v51, v47, -v14
	v_fmac_f32_e32 v16, v51, v48
	v_add_f32_e32 v50, v15, v12
	v_add_f32_e32 v12, v14, v16
	v_sub_f32_e32 v15, v13, v12
	v_pk_add_f32 v[44:45], v[12:13], v[14:15] neg_lo:[0,1] neg_hi:[0,1]
	v_mov_b32_e32 v17, v12
	v_pk_add_f32 v[12:13], v[44:45], v[16:17] neg_lo:[0,1] neg_hi:[0,1]
	s_mov_b32 s38, 0x3f317218
	v_add_f32_e32 v13, v50, v13
	v_add_f32_e32 v12, v12, v13
	;; [unrolled: 1-line block ×3, first 2 shown]
	v_mul_f32_e32 v50, v49, v13
	v_mul_f32_e32 v14, v47, v50
	v_fma_f32 v16, v50, v47, -v14
	v_fmac_f32_e32 v16, v50, v48
	v_sub_f32_e32 v15, v15, v13
	v_add_f32_e32 v47, v12, v15
	v_add_f32_e32 v12, v14, v16
	v_sub_f32_e32 v15, v13, v12
	v_pk_add_f32 v[44:45], v[12:13], v[14:15] neg_lo:[0,1] neg_hi:[0,1]
	v_mov_b32_e32 v17, v12
	v_pk_add_f32 v[12:13], v[44:45], v[16:17] neg_lo:[0,1] neg_hi:[0,1]
	v_cvt_f32_i32_e32 v14, v46
	v_add_f32_e32 v13, v47, v13
	v_add_f32_e32 v12, v12, v13
	v_add_f32_e32 v12, v15, v12
	v_add_f32_e32 v15, v51, v50
	v_sub_f32_e32 v13, v15, v51
	v_mul_f32_e32 v12, v49, v12
	v_sub_f32_e32 v13, v50, v13
	v_add_f32_e32 v12, v13, v12
	v_add_f32_e32 v16, v15, v12
	v_mul_f32_e32 v44, v16, v16
	v_mov_b32_e32 v13, 0x3ecc95a3
	v_sub_f32_e32 v15, v16, v15
	v_fmac_f32_e32 v13, 0x3e9b6dac, v44
	v_sub_f32_e32 v12, v12, v15
	v_fmaak_f32 v13, v44, v13, 0x3f2aaada
	v_ldexp_f32 v45, v12, 1
	v_mul_f32_e32 v15, v16, v44
	v_mov_b32_e32 v12, 0x3f317218
	v_pk_mul_f32 v[12:13], v[14:15], v[12:13]
	v_ldexp_f32 v17, v16, 1
	v_fma_f32 v15, v14, s38, -v12
	v_fmamk_f32 v16, v14, 0xb102e308, v15
	v_pk_add_f32 v[14:15], v[12:13], v[16:17]
	v_mov_b32_e32 v44, v12
	v_sub_f32_e32 v17, v15, v17
	v_sub_f32_e32 v17, v13, v17
	v_add_f32_e32 v45, v45, v17
	v_pk_add_f32 v[12:13], v[14:15], v[12:13] neg_lo:[0,1] neg_hi:[0,1]
	v_pk_add_f32 v[46:47], v[14:15], v[44:45]
	v_mov_b32_e32 v17, v14
	v_mov_b32_e32 v13, v47
	v_pk_add_f32 v[48:49], v[16:17], v[12:13] neg_lo:[0,1] neg_hi:[0,1]
	v_pk_add_f32 v[12:13], v[16:17], v[12:13]
	v_mov_b32_e32 v44, v45
	v_pk_add_f32 v[16:17], v[12:13], v[14:15] op_sel:[1,0] op_sel_hi:[0,1] neg_lo:[0,1] neg_hi:[0,1]
	v_pk_add_f32 v[50:51], v[46:47], v[16:17] op_sel_hi:[1,0] neg_lo:[0,1] neg_hi:[0,1]
	v_mov_b32_e32 v46, v47
	v_mov_b32_e32 v47, v13
	v_pk_mov_b32 v[16:17], v[14:15], v[16:17] op_sel:[1,0]
	v_mov_b32_e32 v45, v14
	v_pk_add_f32 v[16:17], v[46:47], v[16:17] neg_lo:[0,1] neg_hi:[0,1]
	v_mov_b32_e32 v50, v48
	v_pk_add_f32 v[14:15], v[44:45], v[16:17] neg_lo:[0,1] neg_hi:[0,1]
	v_mov_b32_e32 v49, v13
	v_pk_add_f32 v[16:17], v[50:51], v[14:15]
	v_cmp_neq_f32_e64 s[38:39], s64, v11
	v_pk_add_f32 v[44:45], v[16:17], v[16:17] op_sel:[0,1] op_sel_hi:[1,0]
	s_nop 0
	v_pk_add_f32 v[12:13], v[12:13], v[44:45] op_sel:[1,0] op_sel_hi:[0,1]
	v_mov_b32_e32 v17, v12
	v_pk_add_f32 v[46:47], v[16:17], v[48:49] neg_lo:[0,1] neg_hi:[0,1]
	v_mov_b32_e32 v15, v44
	v_sub_f32_e32 v13, v16, v46
	v_pk_add_f32 v[14:15], v[14:15], v[46:47] neg_lo:[0,1] neg_hi:[0,1]
	v_sub_f32_e32 v13, v48, v13
	v_add_f32_e32 v13, v14, v13
	v_add_f32_e32 v13, v13, v15
	;; [unrolled: 1-line block ×3, first 2 shown]
	v_cndmask_b32_e64 v12, v52, v12, s[38:39]
	s_mov_b32 s38, 0x33800000
	v_cmp_lt_f32_e64 s[38:39], |v11|, s38
	s_nop 1
	v_cndmask_b32_e64 v11, v12, v11, s[38:39]
	v_add_f32_e32 v12, v10, v11
.LBB153_85:
	s_or_b64 exec, exec, s[40:41]
	v_mov_b32_e32 v11, v12
.LBB153_86:
	s_or_b64 exec, exec, s[60:61]
	v_and_b32_e32 v10, 16, v7
	v_mov_b32_dpp v12, v11 row_bcast:15 row_mask:0xf bank_mask:0xf
	v_cmp_ne_u32_e64 s[38:39], 0, v10
	s_and_saveexec_b64 s[60:61], s[38:39]
	s_cbranch_execz .LBB153_90
; %bb.87:
	v_max_f32_e32 v10, v11, v11
	v_max_f32_e32 v14, v12, v12
	v_min_f32_e32 v13, v14, v10
	v_cmp_u_f32_e64 s[38:39], v12, v12
	v_max_f32_e32 v10, v14, v10
	v_cmp_u_f32_e64 s[40:41], v11, v11
	v_cndmask_b32_e64 v13, v13, v12, s[38:39]
	v_cndmask_b32_e64 v10, v10, v12, s[38:39]
	;; [unrolled: 1-line block ×4, first 2 shown]
	s_movk_i32 s40, 0x1f8
	v_cmp_neq_f32_e64 s[38:39], v13, v10
	v_cmp_class_f32_e64 s[40:41], v13, s40
	s_or_b64 s[38:39], s[38:39], s[40:41]
	s_and_saveexec_b64 s[40:41], s[38:39]
	s_cbranch_execz .LBB153_89
; %bb.88:
	v_sub_f32_e32 v11, v13, v10
	s_mov_b32 s38, 0x3fb8aa3b
	v_mul_f32_e32 v12, 0x3fb8aa3b, v11
	v_fma_f32 v13, v11, s38, -v12
	v_rndne_f32_e32 v14, v12
	v_fmamk_f32 v13, v11, 0x32a5705f, v13
	v_sub_f32_e32 v12, v12, v14
	v_add_f32_e32 v12, v12, v13
	v_exp_f32_e32 v12, v12
	v_cvt_i32_f32_e32 v13, v14
	s_mov_b32 s38, 0xc2ce8ed0
	v_cmp_ngt_f32_e64 s[38:39], s38, v11
	v_mov_b32_e32 v52, 0x7f800000
	v_ldexp_f32 v12, v12, v13
	v_cndmask_b32_e64 v12, 0, v12, s[38:39]
	s_mov_b32 s38, 0x42b17218
	v_cmp_nlt_f32_e64 s[38:39], s38, v11
	s_mov_b32 s64, 0x7f800000
	s_nop 0
	v_cndmask_b32_e64 v11, v52, v12, s[38:39]
	v_add_f32_e32 v14, 1.0, v11
	v_add_f32_e32 v12, -1.0, v14
	v_sub_f32_e32 v13, v12, v14
	v_add_f32_e32 v13, 1.0, v13
	v_sub_f32_e32 v12, v11, v12
	v_add_f32_e32 v15, v12, v13
	v_frexp_mant_f32_e32 v16, v14
	s_mov_b32 s38, 0x3f2aaaab
	v_cvt_f64_f32_e32 v[12:13], v14
	v_frexp_exp_i32_f64_e32 v12, v[12:13]
	v_cmp_gt_f32_e64 s[38:39], s38, v16
	s_nop 1
	v_subbrev_co_u32_e64 v46, s[38:39], 0, v12, s[38:39]
	v_sub_u32_e32 v12, 0, v46
	v_ldexp_f32 v13, v14, v12
	v_add_f32_e32 v14, -1.0, v13
	v_add_f32_e32 v16, 1.0, v13
	v_ldexp_f32 v12, v15, v12
	v_add_f32_e32 v15, 1.0, v14
	v_add_f32_e32 v17, -1.0, v16
	v_sub_f32_e32 v15, v13, v15
	v_sub_f32_e32 v13, v13, v17
	v_add_f32_e32 v15, v12, v15
	v_add_f32_e32 v12, v12, v13
	;; [unrolled: 1-line block ×3, first 2 shown]
	v_rcp_f32_e32 v49, v47
	v_sub_f32_e32 v13, v16, v47
	v_add_f32_e32 v48, v12, v13
	v_add_f32_e32 v13, v14, v15
	v_mul_f32_e32 v51, v13, v49
	v_sub_f32_e32 v12, v14, v13
	v_mul_f32_e32 v14, v47, v51
	v_fma_f32 v16, v51, v47, -v14
	v_fmac_f32_e32 v16, v51, v48
	v_add_f32_e32 v50, v15, v12
	v_add_f32_e32 v12, v14, v16
	v_sub_f32_e32 v15, v13, v12
	v_pk_add_f32 v[44:45], v[12:13], v[14:15] neg_lo:[0,1] neg_hi:[0,1]
	v_mov_b32_e32 v17, v12
	v_pk_add_f32 v[12:13], v[44:45], v[16:17] neg_lo:[0,1] neg_hi:[0,1]
	s_mov_b32 s38, 0x3f317218
	v_add_f32_e32 v13, v50, v13
	v_add_f32_e32 v12, v12, v13
	;; [unrolled: 1-line block ×3, first 2 shown]
	v_mul_f32_e32 v50, v49, v13
	v_mul_f32_e32 v14, v47, v50
	v_fma_f32 v16, v50, v47, -v14
	v_fmac_f32_e32 v16, v50, v48
	v_sub_f32_e32 v15, v15, v13
	v_add_f32_e32 v47, v12, v15
	v_add_f32_e32 v12, v14, v16
	v_sub_f32_e32 v15, v13, v12
	v_pk_add_f32 v[44:45], v[12:13], v[14:15] neg_lo:[0,1] neg_hi:[0,1]
	v_mov_b32_e32 v17, v12
	v_pk_add_f32 v[12:13], v[44:45], v[16:17] neg_lo:[0,1] neg_hi:[0,1]
	v_cvt_f32_i32_e32 v14, v46
	v_add_f32_e32 v13, v47, v13
	v_add_f32_e32 v12, v12, v13
	;; [unrolled: 1-line block ×4, first 2 shown]
	v_sub_f32_e32 v13, v15, v51
	v_mul_f32_e32 v12, v49, v12
	v_sub_f32_e32 v13, v50, v13
	v_add_f32_e32 v12, v13, v12
	v_add_f32_e32 v16, v15, v12
	v_mul_f32_e32 v44, v16, v16
	v_mov_b32_e32 v13, 0x3ecc95a3
	v_sub_f32_e32 v15, v16, v15
	v_fmac_f32_e32 v13, 0x3e9b6dac, v44
	v_sub_f32_e32 v12, v12, v15
	v_fmaak_f32 v13, v44, v13, 0x3f2aaada
	v_ldexp_f32 v45, v12, 1
	v_mul_f32_e32 v15, v16, v44
	v_mov_b32_e32 v12, 0x3f317218
	v_pk_mul_f32 v[12:13], v[14:15], v[12:13]
	v_ldexp_f32 v17, v16, 1
	v_fma_f32 v15, v14, s38, -v12
	v_fmamk_f32 v16, v14, 0xb102e308, v15
	v_pk_add_f32 v[14:15], v[12:13], v[16:17]
	v_mov_b32_e32 v44, v12
	v_sub_f32_e32 v17, v15, v17
	v_sub_f32_e32 v17, v13, v17
	v_add_f32_e32 v45, v45, v17
	v_pk_add_f32 v[12:13], v[14:15], v[12:13] neg_lo:[0,1] neg_hi:[0,1]
	v_pk_add_f32 v[46:47], v[14:15], v[44:45]
	v_mov_b32_e32 v17, v14
	v_mov_b32_e32 v13, v47
	v_pk_add_f32 v[48:49], v[16:17], v[12:13] neg_lo:[0,1] neg_hi:[0,1]
	v_pk_add_f32 v[12:13], v[16:17], v[12:13]
	v_mov_b32_e32 v44, v45
	v_pk_add_f32 v[16:17], v[12:13], v[14:15] op_sel:[1,0] op_sel_hi:[0,1] neg_lo:[0,1] neg_hi:[0,1]
	v_pk_add_f32 v[50:51], v[46:47], v[16:17] op_sel_hi:[1,0] neg_lo:[0,1] neg_hi:[0,1]
	v_mov_b32_e32 v46, v47
	v_mov_b32_e32 v47, v13
	v_pk_mov_b32 v[16:17], v[14:15], v[16:17] op_sel:[1,0]
	v_mov_b32_e32 v45, v14
	v_pk_add_f32 v[16:17], v[46:47], v[16:17] neg_lo:[0,1] neg_hi:[0,1]
	v_mov_b32_e32 v50, v48
	v_pk_add_f32 v[14:15], v[44:45], v[16:17] neg_lo:[0,1] neg_hi:[0,1]
	v_mov_b32_e32 v49, v13
	v_pk_add_f32 v[16:17], v[50:51], v[14:15]
	v_cmp_neq_f32_e64 s[38:39], s64, v11
	v_pk_add_f32 v[44:45], v[16:17], v[16:17] op_sel:[0,1] op_sel_hi:[1,0]
	s_nop 0
	v_pk_add_f32 v[12:13], v[12:13], v[44:45] op_sel:[1,0] op_sel_hi:[0,1]
	v_mov_b32_e32 v17, v12
	v_pk_add_f32 v[46:47], v[16:17], v[48:49] neg_lo:[0,1] neg_hi:[0,1]
	v_mov_b32_e32 v15, v44
	v_sub_f32_e32 v13, v16, v46
	v_pk_add_f32 v[14:15], v[14:15], v[46:47] neg_lo:[0,1] neg_hi:[0,1]
	v_sub_f32_e32 v13, v48, v13
	v_add_f32_e32 v13, v14, v13
	v_add_f32_e32 v13, v13, v15
	;; [unrolled: 1-line block ×3, first 2 shown]
	v_cndmask_b32_e64 v12, v52, v12, s[38:39]
	s_mov_b32 s38, 0x33800000
	v_cmp_lt_f32_e64 s[38:39], |v11|, s38
	s_nop 1
	v_cndmask_b32_e64 v11, v12, v11, s[38:39]
	v_add_f32_e32 v12, v10, v11
.LBB153_89:
	s_or_b64 exec, exec, s[40:41]
	v_mov_b32_e32 v11, v12
.LBB153_90:
	s_or_b64 exec, exec, s[60:61]
	s_nop 0
	v_mov_b32_dpp v12, v11 row_bcast:31 row_mask:0xf bank_mask:0xf
	v_cmp_lt_u32_e64 s[38:39], 31, v7
	s_and_saveexec_b64 s[60:61], s[38:39]
	s_cbranch_execz .LBB153_94
; %bb.91:
	v_max_f32_e32 v10, v11, v11
	v_max_f32_e32 v14, v12, v12
	v_min_f32_e32 v13, v14, v10
	v_cmp_u_f32_e64 s[38:39], v12, v12
	v_max_f32_e32 v10, v14, v10
	v_cmp_u_f32_e64 s[40:41], v11, v11
	v_cndmask_b32_e64 v13, v13, v12, s[38:39]
	v_cndmask_b32_e64 v10, v10, v12, s[38:39]
	;; [unrolled: 1-line block ×4, first 2 shown]
	s_movk_i32 s40, 0x1f8
	v_cmp_neq_f32_e64 s[38:39], v13, v10
	v_cmp_class_f32_e64 s[40:41], v13, s40
	s_or_b64 s[38:39], s[38:39], s[40:41]
	s_and_saveexec_b64 s[40:41], s[38:39]
	s_cbranch_execz .LBB153_93
; %bb.92:
	v_sub_f32_e32 v11, v13, v10
	s_mov_b32 s38, 0x3fb8aa3b
	v_mul_f32_e32 v12, 0x3fb8aa3b, v11
	v_fma_f32 v13, v11, s38, -v12
	v_rndne_f32_e32 v14, v12
	v_fmamk_f32 v13, v11, 0x32a5705f, v13
	v_sub_f32_e32 v12, v12, v14
	v_add_f32_e32 v12, v12, v13
	v_exp_f32_e32 v12, v12
	v_cvt_i32_f32_e32 v13, v14
	s_mov_b32 s38, 0xc2ce8ed0
	v_cmp_ngt_f32_e64 s[38:39], s38, v11
	v_mov_b32_e32 v52, 0x7f800000
	v_ldexp_f32 v12, v12, v13
	v_cndmask_b32_e64 v12, 0, v12, s[38:39]
	s_mov_b32 s38, 0x42b17218
	v_cmp_nlt_f32_e64 s[38:39], s38, v11
	s_mov_b32 s64, 0x7f800000
	s_nop 0
	v_cndmask_b32_e64 v11, v52, v12, s[38:39]
	v_add_f32_e32 v14, 1.0, v11
	v_add_f32_e32 v12, -1.0, v14
	v_sub_f32_e32 v13, v12, v14
	v_add_f32_e32 v13, 1.0, v13
	v_sub_f32_e32 v12, v11, v12
	v_add_f32_e32 v15, v12, v13
	v_frexp_mant_f32_e32 v16, v14
	s_mov_b32 s38, 0x3f2aaaab
	v_cvt_f64_f32_e32 v[12:13], v14
	v_frexp_exp_i32_f64_e32 v12, v[12:13]
	v_cmp_gt_f32_e64 s[38:39], s38, v16
	s_nop 1
	v_subbrev_co_u32_e64 v46, s[38:39], 0, v12, s[38:39]
	v_sub_u32_e32 v12, 0, v46
	v_ldexp_f32 v13, v14, v12
	v_add_f32_e32 v14, -1.0, v13
	v_add_f32_e32 v16, 1.0, v13
	v_ldexp_f32 v12, v15, v12
	v_add_f32_e32 v15, 1.0, v14
	v_add_f32_e32 v17, -1.0, v16
	v_sub_f32_e32 v15, v13, v15
	v_sub_f32_e32 v13, v13, v17
	v_add_f32_e32 v15, v12, v15
	v_add_f32_e32 v12, v12, v13
	;; [unrolled: 1-line block ×3, first 2 shown]
	v_rcp_f32_e32 v49, v47
	v_sub_f32_e32 v13, v16, v47
	v_add_f32_e32 v48, v12, v13
	v_add_f32_e32 v13, v14, v15
	v_mul_f32_e32 v51, v13, v49
	v_sub_f32_e32 v12, v14, v13
	v_mul_f32_e32 v14, v47, v51
	v_fma_f32 v16, v51, v47, -v14
	v_fmac_f32_e32 v16, v51, v48
	v_add_f32_e32 v50, v15, v12
	v_add_f32_e32 v12, v14, v16
	v_sub_f32_e32 v15, v13, v12
	v_pk_add_f32 v[44:45], v[12:13], v[14:15] neg_lo:[0,1] neg_hi:[0,1]
	v_mov_b32_e32 v17, v12
	v_pk_add_f32 v[12:13], v[44:45], v[16:17] neg_lo:[0,1] neg_hi:[0,1]
	s_mov_b32 s38, 0x3f317218
	v_add_f32_e32 v13, v50, v13
	v_add_f32_e32 v12, v12, v13
	;; [unrolled: 1-line block ×3, first 2 shown]
	v_mul_f32_e32 v50, v49, v13
	v_mul_f32_e32 v14, v47, v50
	v_fma_f32 v16, v50, v47, -v14
	v_fmac_f32_e32 v16, v50, v48
	v_sub_f32_e32 v15, v15, v13
	v_add_f32_e32 v47, v12, v15
	v_add_f32_e32 v12, v14, v16
	v_sub_f32_e32 v15, v13, v12
	v_pk_add_f32 v[44:45], v[12:13], v[14:15] neg_lo:[0,1] neg_hi:[0,1]
	v_mov_b32_e32 v17, v12
	v_pk_add_f32 v[12:13], v[44:45], v[16:17] neg_lo:[0,1] neg_hi:[0,1]
	v_cvt_f32_i32_e32 v14, v46
	v_add_f32_e32 v13, v47, v13
	v_add_f32_e32 v12, v12, v13
	;; [unrolled: 1-line block ×4, first 2 shown]
	v_sub_f32_e32 v13, v15, v51
	v_mul_f32_e32 v12, v49, v12
	v_sub_f32_e32 v13, v50, v13
	v_add_f32_e32 v12, v13, v12
	v_add_f32_e32 v16, v15, v12
	v_mul_f32_e32 v44, v16, v16
	v_mov_b32_e32 v13, 0x3ecc95a3
	v_sub_f32_e32 v15, v16, v15
	v_fmac_f32_e32 v13, 0x3e9b6dac, v44
	v_sub_f32_e32 v12, v12, v15
	v_fmaak_f32 v13, v44, v13, 0x3f2aaada
	v_ldexp_f32 v45, v12, 1
	v_mul_f32_e32 v15, v16, v44
	v_mov_b32_e32 v12, 0x3f317218
	v_pk_mul_f32 v[12:13], v[14:15], v[12:13]
	v_ldexp_f32 v17, v16, 1
	v_fma_f32 v15, v14, s38, -v12
	v_fmamk_f32 v16, v14, 0xb102e308, v15
	v_pk_add_f32 v[14:15], v[12:13], v[16:17]
	v_mov_b32_e32 v44, v12
	v_sub_f32_e32 v17, v15, v17
	v_sub_f32_e32 v17, v13, v17
	v_add_f32_e32 v45, v45, v17
	v_pk_add_f32 v[12:13], v[14:15], v[12:13] neg_lo:[0,1] neg_hi:[0,1]
	v_pk_add_f32 v[46:47], v[14:15], v[44:45]
	v_mov_b32_e32 v17, v14
	v_mov_b32_e32 v13, v47
	v_pk_add_f32 v[48:49], v[16:17], v[12:13] neg_lo:[0,1] neg_hi:[0,1]
	v_pk_add_f32 v[12:13], v[16:17], v[12:13]
	v_mov_b32_e32 v44, v45
	v_pk_add_f32 v[16:17], v[12:13], v[14:15] op_sel:[1,0] op_sel_hi:[0,1] neg_lo:[0,1] neg_hi:[0,1]
	v_pk_add_f32 v[50:51], v[46:47], v[16:17] op_sel_hi:[1,0] neg_lo:[0,1] neg_hi:[0,1]
	v_mov_b32_e32 v46, v47
	v_mov_b32_e32 v47, v13
	v_pk_mov_b32 v[16:17], v[14:15], v[16:17] op_sel:[1,0]
	v_mov_b32_e32 v45, v14
	v_pk_add_f32 v[16:17], v[46:47], v[16:17] neg_lo:[0,1] neg_hi:[0,1]
	v_mov_b32_e32 v50, v48
	v_pk_add_f32 v[14:15], v[44:45], v[16:17] neg_lo:[0,1] neg_hi:[0,1]
	v_mov_b32_e32 v49, v13
	v_pk_add_f32 v[16:17], v[50:51], v[14:15]
	v_cmp_neq_f32_e64 s[38:39], s64, v11
	v_pk_add_f32 v[44:45], v[16:17], v[16:17] op_sel:[0,1] op_sel_hi:[1,0]
	s_nop 0
	v_pk_add_f32 v[12:13], v[12:13], v[44:45] op_sel:[1,0] op_sel_hi:[0,1]
	v_mov_b32_e32 v17, v12
	v_pk_add_f32 v[46:47], v[16:17], v[48:49] neg_lo:[0,1] neg_hi:[0,1]
	v_mov_b32_e32 v15, v44
	v_sub_f32_e32 v13, v16, v46
	v_pk_add_f32 v[14:15], v[14:15], v[46:47] neg_lo:[0,1] neg_hi:[0,1]
	v_sub_f32_e32 v13, v48, v13
	v_add_f32_e32 v13, v14, v13
	v_add_f32_e32 v13, v13, v15
	;; [unrolled: 1-line block ×3, first 2 shown]
	v_cndmask_b32_e64 v12, v52, v12, s[38:39]
	s_mov_b32 s38, 0x33800000
	v_cmp_lt_f32_e64 s[38:39], |v11|, s38
	s_nop 1
	v_cndmask_b32_e64 v11, v12, v11, s[38:39]
	v_add_f32_e32 v12, v10, v11
.LBB153_93:
	s_or_b64 exec, exec, s[40:41]
	v_mov_b32_e32 v11, v12
.LBB153_94:
	s_or_b64 exec, exec, s[60:61]
	v_add_u32_e32 v10, -1, v7
	v_and_b32_e32 v12, 64, v7
	v_cmp_lt_i32_e64 s[38:39], v10, v12
	s_movk_i32 s40, 0x1f8
	s_nop 0
	v_cndmask_b32_e64 v7, v10, v7, s[38:39]
	v_lshlrev_b32_e32 v7, 2, v7
	ds_bpermute_b32 v7, v7, v11
	s_waitcnt lgkmcnt(0)
	v_max_f32_e32 v10, v7, v7
	v_min_f32_e32 v11, v10, v9
	v_max_f32_e32 v10, v10, v9
	v_cmp_u_f32_e64 s[38:39], v7, v7
	s_nop 1
	v_cndmask_b32_e64 v9, v11, v7, s[38:39]
	v_cndmask_b32_e64 v10, v10, v7, s[38:39]
	;; [unrolled: 1-line block ×4, first 2 shown]
	v_cmp_neq_f32_e64 s[36:37], v9, v6
	v_cmp_class_f32_e64 s[38:39], v9, s40
	s_or_b64 s[36:37], s[36:37], s[38:39]
	s_and_saveexec_b64 s[38:39], s[36:37]
	s_cbranch_execz .LBB153_96
; %bb.95:
	v_sub_f32_e32 v7, v9, v6
	s_mov_b32 s36, 0x3fb8aa3b
	v_mul_f32_e32 v9, 0x3fb8aa3b, v7
	v_fma_f32 v10, v7, s36, -v9
	v_rndne_f32_e32 v11, v9
	v_fmamk_f32 v10, v7, 0x32a5705f, v10
	v_sub_f32_e32 v9, v9, v11
	v_add_f32_e32 v9, v9, v10
	v_exp_f32_e32 v9, v9
	v_cvt_i32_f32_e32 v10, v11
	s_mov_b32 s36, 0xc2ce8ed0
	v_cmp_ngt_f32_e64 s[36:37], s36, v7
	v_mov_b32_e32 v50, 0x7f800000
	v_ldexp_f32 v9, v9, v10
	v_cndmask_b32_e64 v9, 0, v9, s[36:37]
	s_mov_b32 s36, 0x42b17218
	v_cmp_nlt_f32_e64 s[36:37], s36, v7
	s_mov_b32 s41, 0x7f800000
	s_nop 0
	v_cndmask_b32_e64 v7, v50, v9, s[36:37]
	v_add_f32_e32 v9, 1.0, v7
	v_add_f32_e32 v10, -1.0, v9
	v_sub_f32_e32 v11, v10, v9
	v_add_f32_e32 v11, 1.0, v11
	v_sub_f32_e32 v10, v7, v10
	v_add_f32_e32 v12, v10, v11
	v_frexp_mant_f32_e32 v13, v9
	s_mov_b32 s36, 0x3f2aaaab
	v_cvt_f64_f32_e32 v[10:11], v9
	v_frexp_exp_i32_f64_e32 v10, v[10:11]
	v_cmp_gt_f32_e64 s[36:37], s36, v13
	s_nop 1
	v_subbrev_co_u32_e64 v44, s[36:37], 0, v10, s[36:37]
	v_sub_u32_e32 v10, 0, v44
	v_ldexp_f32 v9, v9, v10
	v_ldexp_f32 v10, v12, v10
	v_add_f32_e32 v12, -1.0, v9
	v_add_f32_e32 v11, 1.0, v12
	v_sub_f32_e32 v11, v9, v11
	v_add_f32_e32 v13, v10, v11
	v_add_f32_e32 v11, 1.0, v9
	v_add_f32_e32 v14, -1.0, v11
	v_sub_f32_e32 v9, v9, v14
	v_add_f32_e32 v9, v10, v9
	v_add_f32_e32 v45, v11, v9
	v_rcp_f32_e32 v46, v45
	v_sub_f32_e32 v10, v11, v45
	v_add_f32_e32 v11, v12, v13
	v_add_f32_e32 v9, v9, v10
	v_mul_f32_e32 v48, v11, v46
	v_sub_f32_e32 v10, v12, v11
	v_mul_f32_e32 v12, v45, v48
	v_fma_f32 v14, v48, v45, -v12
	v_fmac_f32_e32 v14, v48, v9
	v_add_f32_e32 v47, v13, v10
	v_add_f32_e32 v10, v12, v14
	v_sub_f32_e32 v13, v11, v10
	v_pk_add_f32 v[16:17], v[10:11], v[12:13] neg_lo:[0,1] neg_hi:[0,1]
	v_mov_b32_e32 v15, v10
	v_pk_add_f32 v[10:11], v[16:17], v[14:15] neg_lo:[0,1] neg_hi:[0,1]
	s_mov_b32 s36, 0x3f317218
	v_add_f32_e32 v11, v47, v11
	v_add_f32_e32 v10, v10, v11
	;; [unrolled: 1-line block ×3, first 2 shown]
	v_mul_f32_e32 v47, v46, v11
	v_mul_f32_e32 v12, v45, v47
	v_fma_f32 v14, v47, v45, -v12
	v_fmac_f32_e32 v14, v47, v9
	v_sub_f32_e32 v9, v13, v11
	v_add_f32_e32 v9, v10, v9
	v_add_f32_e32 v10, v12, v14
	v_sub_f32_e32 v13, v11, v10
	v_pk_add_f32 v[16:17], v[10:11], v[12:13] neg_lo:[0,1] neg_hi:[0,1]
	v_mov_b32_e32 v15, v10
	v_pk_add_f32 v[10:11], v[16:17], v[14:15] neg_lo:[0,1] neg_hi:[0,1]
	v_cvt_f32_i32_e32 v12, v44
	v_add_f32_e32 v9, v9, v11
	v_add_f32_e32 v9, v10, v9
	;; [unrolled: 1-line block ×4, first 2 shown]
	v_sub_f32_e32 v11, v10, v48
	v_mul_f32_e32 v9, v46, v9
	v_sub_f32_e32 v11, v47, v11
	v_add_f32_e32 v9, v11, v9
	v_add_f32_e32 v13, v10, v9
	v_mul_f32_e32 v14, v13, v13
	v_mov_b32_e32 v11, 0x3ecc95a3
	v_fmac_f32_e32 v11, 0x3e9b6dac, v14
	v_sub_f32_e32 v10, v13, v10
	v_fmaak_f32 v11, v14, v11, 0x3f2aaada
	v_sub_f32_e32 v9, v9, v10
	v_ldexp_f32 v15, v13, 1
	v_mul_f32_e32 v13, v13, v14
	v_mov_b32_e32 v10, 0x3f317218
	v_pk_mul_f32 v[10:11], v[12:13], v[10:11]
	v_ldexp_f32 v9, v9, 1
	v_fma_f32 v13, v12, s36, -v10
	v_fmamk_f32 v14, v12, 0xb102e308, v13
	v_pk_add_f32 v[12:13], v[10:11], v[14:15]
	v_mov_b32_e32 v16, v10
	v_sub_f32_e32 v15, v13, v15
	v_sub_f32_e32 v15, v11, v15
	v_add_f32_e32 v17, v9, v15
	v_pk_add_f32 v[10:11], v[12:13], v[10:11] neg_lo:[0,1] neg_hi:[0,1]
	v_pk_add_f32 v[44:45], v[12:13], v[16:17]
	v_mov_b32_e32 v15, v12
	v_mov_b32_e32 v11, v45
	v_pk_add_f32 v[46:47], v[14:15], v[10:11] neg_lo:[0,1] neg_hi:[0,1]
	v_pk_add_f32 v[10:11], v[14:15], v[10:11]
	v_mov_b32_e32 v16, v17
	v_pk_add_f32 v[14:15], v[10:11], v[12:13] op_sel:[1,0] op_sel_hi:[0,1] neg_lo:[0,1] neg_hi:[0,1]
	v_pk_add_f32 v[48:49], v[44:45], v[14:15] op_sel_hi:[1,0] neg_lo:[0,1] neg_hi:[0,1]
	v_mov_b32_e32 v44, v45
	v_mov_b32_e32 v45, v11
	v_pk_mov_b32 v[14:15], v[12:13], v[14:15] op_sel:[1,0]
	v_mov_b32_e32 v17, v12
	v_pk_add_f32 v[14:15], v[44:45], v[14:15] neg_lo:[0,1] neg_hi:[0,1]
	v_mov_b32_e32 v48, v46
	v_pk_add_f32 v[12:13], v[16:17], v[14:15] neg_lo:[0,1] neg_hi:[0,1]
	v_mov_b32_e32 v47, v11
	v_pk_add_f32 v[14:15], v[48:49], v[12:13]
	v_cmp_neq_f32_e64 s[36:37], s41, v7
	v_pk_add_f32 v[16:17], v[14:15], v[14:15] op_sel:[0,1] op_sel_hi:[1,0]
	s_nop 0
	v_pk_add_f32 v[10:11], v[10:11], v[16:17] op_sel:[1,0] op_sel_hi:[0,1]
	v_mov_b32_e32 v15, v10
	v_pk_add_f32 v[44:45], v[14:15], v[46:47] neg_lo:[0,1] neg_hi:[0,1]
	v_mov_b32_e32 v13, v16
	v_sub_f32_e32 v9, v14, v44
	v_pk_add_f32 v[12:13], v[12:13], v[44:45] neg_lo:[0,1] neg_hi:[0,1]
	v_sub_f32_e32 v9, v46, v9
	v_add_f32_e32 v9, v12, v9
	v_add_f32_e32 v9, v9, v13
	;; [unrolled: 1-line block ×3, first 2 shown]
	v_cndmask_b32_e64 v9, v50, v9, s[36:37]
	s_mov_b32 s36, 0x33800000
	v_cmp_lt_f32_e64 s[36:37], |v7|, s36
	s_nop 1
	v_cndmask_b32_e64 v7, v9, v7, s[36:37]
	v_add_f32_e32 v7, v6, v7
.LBB153_96:
	s_or_b64 exec, exec, s[38:39]
	v_cndmask_b32_e64 v7, v7, v43, s[4:5]
	; wave barrier
	ds_write_b32 v8, v7
	; wave barrier
	ds_read_b32 v6, v8 offset:4
	v_max_f32_e32 v10, v7, v7
	v_cmp_u_f32_e64 s[36:37], v7, v7
	s_waitcnt lgkmcnt(0)
	v_max_f32_e32 v11, v6, v6
	v_min_f32_e32 v9, v10, v11
	v_max_f32_e32 v10, v10, v11
	v_cndmask_b32_e64 v9, v9, v7, s[36:37]
	v_cmp_u_f32_e64 s[38:39], v6, v6
	v_cndmask_b32_e64 v10, v10, v7, s[36:37]
	s_nop 0
	v_cndmask_b32_e64 v9, v9, v6, s[38:39]
	v_cndmask_b32_e64 v6, v10, v6, s[38:39]
	v_cmp_neq_f32_e64 s[36:37], v9, v6
	v_cmp_class_f32_e64 s[38:39], v9, s40
	s_or_b64 s[36:37], s[36:37], s[38:39]
	s_and_saveexec_b64 s[38:39], s[36:37]
	s_cbranch_execz .LBB153_98
; %bb.97:
	v_sub_f32_e32 v7, v9, v6
	s_mov_b32 s36, 0x3fb8aa3b
	v_mul_f32_e32 v9, 0x3fb8aa3b, v7
	v_fma_f32 v10, v7, s36, -v9
	v_rndne_f32_e32 v11, v9
	v_fmamk_f32 v10, v7, 0x32a5705f, v10
	v_sub_f32_e32 v9, v9, v11
	v_add_f32_e32 v9, v9, v10
	v_exp_f32_e32 v9, v9
	v_cvt_i32_f32_e32 v10, v11
	s_mov_b32 s36, 0xc2ce8ed0
	v_cmp_ngt_f32_e64 s[36:37], s36, v7
	v_mov_b32_e32 v50, 0x7f800000
	v_ldexp_f32 v9, v9, v10
	v_cndmask_b32_e64 v9, 0, v9, s[36:37]
	s_mov_b32 s36, 0x42b17218
	v_cmp_nlt_f32_e64 s[36:37], s36, v7
	s_mov_b32 s40, 0x7f800000
	s_nop 0
	v_cndmask_b32_e64 v7, v50, v9, s[36:37]
	v_add_f32_e32 v9, 1.0, v7
	v_add_f32_e32 v10, -1.0, v9
	v_sub_f32_e32 v11, v10, v9
	v_add_f32_e32 v11, 1.0, v11
	v_sub_f32_e32 v10, v7, v10
	v_add_f32_e32 v12, v10, v11
	v_frexp_mant_f32_e32 v13, v9
	s_mov_b32 s36, 0x3f2aaaab
	v_cvt_f64_f32_e32 v[10:11], v9
	v_frexp_exp_i32_f64_e32 v10, v[10:11]
	v_cmp_gt_f32_e64 s[36:37], s36, v13
	s_nop 1
	v_subbrev_co_u32_e64 v44, s[36:37], 0, v10, s[36:37]
	v_sub_u32_e32 v10, 0, v44
	v_ldexp_f32 v9, v9, v10
	v_ldexp_f32 v10, v12, v10
	v_add_f32_e32 v12, -1.0, v9
	v_add_f32_e32 v11, 1.0, v12
	v_sub_f32_e32 v11, v9, v11
	v_add_f32_e32 v13, v10, v11
	v_add_f32_e32 v11, 1.0, v9
	v_add_f32_e32 v14, -1.0, v11
	v_sub_f32_e32 v9, v9, v14
	v_add_f32_e32 v9, v10, v9
	v_add_f32_e32 v45, v11, v9
	v_rcp_f32_e32 v46, v45
	v_sub_f32_e32 v10, v11, v45
	v_add_f32_e32 v11, v12, v13
	v_add_f32_e32 v9, v9, v10
	v_mul_f32_e32 v48, v11, v46
	v_sub_f32_e32 v10, v12, v11
	v_mul_f32_e32 v12, v45, v48
	v_fma_f32 v14, v48, v45, -v12
	v_fmac_f32_e32 v14, v48, v9
	v_add_f32_e32 v47, v13, v10
	v_add_f32_e32 v10, v12, v14
	v_sub_f32_e32 v13, v11, v10
	v_pk_add_f32 v[16:17], v[10:11], v[12:13] neg_lo:[0,1] neg_hi:[0,1]
	v_mov_b32_e32 v15, v10
	v_pk_add_f32 v[10:11], v[16:17], v[14:15] neg_lo:[0,1] neg_hi:[0,1]
	s_mov_b32 s36, 0x3f317218
	v_add_f32_e32 v11, v47, v11
	v_add_f32_e32 v10, v10, v11
	;; [unrolled: 1-line block ×3, first 2 shown]
	v_mul_f32_e32 v47, v46, v11
	v_mul_f32_e32 v12, v45, v47
	v_fma_f32 v14, v47, v45, -v12
	v_fmac_f32_e32 v14, v47, v9
	v_sub_f32_e32 v9, v13, v11
	v_add_f32_e32 v9, v10, v9
	v_add_f32_e32 v10, v12, v14
	v_sub_f32_e32 v13, v11, v10
	v_pk_add_f32 v[16:17], v[10:11], v[12:13] neg_lo:[0,1] neg_hi:[0,1]
	v_mov_b32_e32 v15, v10
	v_pk_add_f32 v[10:11], v[16:17], v[14:15] neg_lo:[0,1] neg_hi:[0,1]
	v_cvt_f32_i32_e32 v12, v44
	v_add_f32_e32 v9, v9, v11
	v_add_f32_e32 v9, v10, v9
	;; [unrolled: 1-line block ×4, first 2 shown]
	v_sub_f32_e32 v11, v10, v48
	v_mul_f32_e32 v9, v46, v9
	v_sub_f32_e32 v11, v47, v11
	v_add_f32_e32 v9, v11, v9
	v_add_f32_e32 v13, v10, v9
	v_mul_f32_e32 v14, v13, v13
	v_mov_b32_e32 v11, 0x3ecc95a3
	v_fmac_f32_e32 v11, 0x3e9b6dac, v14
	v_sub_f32_e32 v10, v13, v10
	v_fmaak_f32 v11, v14, v11, 0x3f2aaada
	v_sub_f32_e32 v9, v9, v10
	v_ldexp_f32 v15, v13, 1
	v_mul_f32_e32 v13, v13, v14
	v_mov_b32_e32 v10, 0x3f317218
	v_pk_mul_f32 v[10:11], v[12:13], v[10:11]
	v_ldexp_f32 v9, v9, 1
	v_fma_f32 v13, v12, s36, -v10
	v_fmamk_f32 v14, v12, 0xb102e308, v13
	v_pk_add_f32 v[12:13], v[10:11], v[14:15]
	v_mov_b32_e32 v16, v10
	v_sub_f32_e32 v15, v13, v15
	v_sub_f32_e32 v15, v11, v15
	v_add_f32_e32 v17, v9, v15
	v_pk_add_f32 v[10:11], v[12:13], v[10:11] neg_lo:[0,1] neg_hi:[0,1]
	v_pk_add_f32 v[44:45], v[12:13], v[16:17]
	v_mov_b32_e32 v15, v12
	v_mov_b32_e32 v11, v45
	v_pk_add_f32 v[46:47], v[14:15], v[10:11] neg_lo:[0,1] neg_hi:[0,1]
	v_pk_add_f32 v[10:11], v[14:15], v[10:11]
	v_mov_b32_e32 v16, v17
	v_pk_add_f32 v[14:15], v[10:11], v[12:13] op_sel:[1,0] op_sel_hi:[0,1] neg_lo:[0,1] neg_hi:[0,1]
	v_pk_add_f32 v[48:49], v[44:45], v[14:15] op_sel_hi:[1,0] neg_lo:[0,1] neg_hi:[0,1]
	v_mov_b32_e32 v44, v45
	v_mov_b32_e32 v45, v11
	v_pk_mov_b32 v[14:15], v[12:13], v[14:15] op_sel:[1,0]
	v_mov_b32_e32 v17, v12
	v_pk_add_f32 v[14:15], v[44:45], v[14:15] neg_lo:[0,1] neg_hi:[0,1]
	v_mov_b32_e32 v48, v46
	v_pk_add_f32 v[12:13], v[16:17], v[14:15] neg_lo:[0,1] neg_hi:[0,1]
	v_mov_b32_e32 v47, v11
	v_pk_add_f32 v[14:15], v[48:49], v[12:13]
	v_cmp_neq_f32_e64 s[36:37], s40, v7
	v_pk_add_f32 v[16:17], v[14:15], v[14:15] op_sel:[0,1] op_sel_hi:[1,0]
	s_nop 0
	v_pk_add_f32 v[10:11], v[10:11], v[16:17] op_sel:[1,0] op_sel_hi:[0,1]
	v_mov_b32_e32 v15, v10
	v_pk_add_f32 v[44:45], v[14:15], v[46:47] neg_lo:[0,1] neg_hi:[0,1]
	v_mov_b32_e32 v13, v16
	v_sub_f32_e32 v9, v14, v44
	v_pk_add_f32 v[12:13], v[12:13], v[44:45] neg_lo:[0,1] neg_hi:[0,1]
	v_sub_f32_e32 v9, v46, v9
	v_add_f32_e32 v9, v12, v9
	v_add_f32_e32 v9, v9, v13
	;; [unrolled: 1-line block ×3, first 2 shown]
	v_cndmask_b32_e64 v9, v50, v9, s[36:37]
	s_mov_b32 s36, 0x33800000
	v_cmp_lt_f32_e64 s[36:37], |v7|, s36
	s_nop 1
	v_cndmask_b32_e64 v7, v9, v7, s[36:37]
	v_add_f32_e32 v7, v6, v7
.LBB153_98:
	s_or_b64 exec, exec, s[38:39]
	ds_read_b32 v6, v8 offset:8
	v_max_f32_e32 v10, v7, v7
	v_cmp_u_f32_e64 s[36:37], v7, v7
	s_movk_i32 s40, 0x1f8
	ds_write_b32 v8, v7 offset:4
	s_waitcnt lgkmcnt(1)
	v_max_f32_e32 v11, v6, v6
	v_min_f32_e32 v9, v10, v11
	v_max_f32_e32 v10, v10, v11
	v_cndmask_b32_e64 v9, v9, v7, s[36:37]
	v_cmp_u_f32_e64 s[38:39], v6, v6
	v_cndmask_b32_e64 v10, v10, v7, s[36:37]
	s_nop 0
	v_cndmask_b32_e64 v9, v9, v6, s[38:39]
	v_cndmask_b32_e64 v6, v10, v6, s[38:39]
	v_cmp_neq_f32_e64 s[36:37], v9, v6
	v_cmp_class_f32_e64 s[38:39], v9, s40
	s_or_b64 s[36:37], s[36:37], s[38:39]
	s_and_saveexec_b64 s[38:39], s[36:37]
	s_cbranch_execz .LBB153_100
; %bb.99:
	v_sub_f32_e32 v7, v9, v6
	s_mov_b32 s36, 0x3fb8aa3b
	v_mul_f32_e32 v9, 0x3fb8aa3b, v7
	v_fma_f32 v10, v7, s36, -v9
	v_rndne_f32_e32 v11, v9
	v_fmamk_f32 v10, v7, 0x32a5705f, v10
	v_sub_f32_e32 v9, v9, v11
	v_add_f32_e32 v9, v9, v10
	v_exp_f32_e32 v9, v9
	v_cvt_i32_f32_e32 v10, v11
	s_mov_b32 s36, 0xc2ce8ed0
	v_cmp_ngt_f32_e64 s[36:37], s36, v7
	v_mov_b32_e32 v50, 0x7f800000
	v_ldexp_f32 v9, v9, v10
	v_cndmask_b32_e64 v9, 0, v9, s[36:37]
	s_mov_b32 s36, 0x42b17218
	v_cmp_nlt_f32_e64 s[36:37], s36, v7
	s_mov_b32 s41, 0x7f800000
	s_nop 0
	v_cndmask_b32_e64 v7, v50, v9, s[36:37]
	v_add_f32_e32 v9, 1.0, v7
	v_add_f32_e32 v10, -1.0, v9
	v_sub_f32_e32 v11, v10, v9
	v_add_f32_e32 v11, 1.0, v11
	v_sub_f32_e32 v10, v7, v10
	v_add_f32_e32 v12, v10, v11
	v_frexp_mant_f32_e32 v13, v9
	s_mov_b32 s36, 0x3f2aaaab
	v_cvt_f64_f32_e32 v[10:11], v9
	v_frexp_exp_i32_f64_e32 v10, v[10:11]
	v_cmp_gt_f32_e64 s[36:37], s36, v13
	s_nop 1
	v_subbrev_co_u32_e64 v44, s[36:37], 0, v10, s[36:37]
	v_sub_u32_e32 v10, 0, v44
	v_ldexp_f32 v9, v9, v10
	v_ldexp_f32 v10, v12, v10
	v_add_f32_e32 v12, -1.0, v9
	v_add_f32_e32 v11, 1.0, v12
	v_sub_f32_e32 v11, v9, v11
	v_add_f32_e32 v13, v10, v11
	v_add_f32_e32 v11, 1.0, v9
	v_add_f32_e32 v14, -1.0, v11
	v_sub_f32_e32 v9, v9, v14
	v_add_f32_e32 v9, v10, v9
	v_add_f32_e32 v45, v11, v9
	v_rcp_f32_e32 v46, v45
	v_sub_f32_e32 v10, v11, v45
	v_add_f32_e32 v11, v12, v13
	v_add_f32_e32 v9, v9, v10
	v_mul_f32_e32 v48, v11, v46
	v_sub_f32_e32 v10, v12, v11
	v_mul_f32_e32 v12, v45, v48
	v_fma_f32 v14, v48, v45, -v12
	v_fmac_f32_e32 v14, v48, v9
	v_add_f32_e32 v47, v13, v10
	v_add_f32_e32 v10, v12, v14
	v_sub_f32_e32 v13, v11, v10
	v_pk_add_f32 v[16:17], v[10:11], v[12:13] neg_lo:[0,1] neg_hi:[0,1]
	v_mov_b32_e32 v15, v10
	v_pk_add_f32 v[10:11], v[16:17], v[14:15] neg_lo:[0,1] neg_hi:[0,1]
	s_mov_b32 s36, 0x3f317218
	v_add_f32_e32 v11, v47, v11
	v_add_f32_e32 v10, v10, v11
	;; [unrolled: 1-line block ×3, first 2 shown]
	v_mul_f32_e32 v47, v46, v11
	v_mul_f32_e32 v12, v45, v47
	v_fma_f32 v14, v47, v45, -v12
	v_fmac_f32_e32 v14, v47, v9
	v_sub_f32_e32 v9, v13, v11
	v_add_f32_e32 v9, v10, v9
	v_add_f32_e32 v10, v12, v14
	v_sub_f32_e32 v13, v11, v10
	v_pk_add_f32 v[16:17], v[10:11], v[12:13] neg_lo:[0,1] neg_hi:[0,1]
	v_mov_b32_e32 v15, v10
	v_pk_add_f32 v[10:11], v[16:17], v[14:15] neg_lo:[0,1] neg_hi:[0,1]
	v_cvt_f32_i32_e32 v12, v44
	v_add_f32_e32 v9, v9, v11
	v_add_f32_e32 v9, v10, v9
	;; [unrolled: 1-line block ×4, first 2 shown]
	v_sub_f32_e32 v11, v10, v48
	v_mul_f32_e32 v9, v46, v9
	v_sub_f32_e32 v11, v47, v11
	v_add_f32_e32 v9, v11, v9
	v_add_f32_e32 v13, v10, v9
	v_mul_f32_e32 v14, v13, v13
	v_mov_b32_e32 v11, 0x3ecc95a3
	v_fmac_f32_e32 v11, 0x3e9b6dac, v14
	v_sub_f32_e32 v10, v13, v10
	v_fmaak_f32 v11, v14, v11, 0x3f2aaada
	v_sub_f32_e32 v9, v9, v10
	v_ldexp_f32 v15, v13, 1
	v_mul_f32_e32 v13, v13, v14
	v_mov_b32_e32 v10, 0x3f317218
	v_pk_mul_f32 v[10:11], v[12:13], v[10:11]
	v_ldexp_f32 v9, v9, 1
	v_fma_f32 v13, v12, s36, -v10
	v_fmamk_f32 v14, v12, 0xb102e308, v13
	v_pk_add_f32 v[12:13], v[10:11], v[14:15]
	v_mov_b32_e32 v16, v10
	v_sub_f32_e32 v15, v13, v15
	v_sub_f32_e32 v15, v11, v15
	v_add_f32_e32 v17, v9, v15
	v_pk_add_f32 v[10:11], v[12:13], v[10:11] neg_lo:[0,1] neg_hi:[0,1]
	v_pk_add_f32 v[44:45], v[12:13], v[16:17]
	v_mov_b32_e32 v15, v12
	v_mov_b32_e32 v11, v45
	v_pk_add_f32 v[46:47], v[14:15], v[10:11] neg_lo:[0,1] neg_hi:[0,1]
	v_pk_add_f32 v[10:11], v[14:15], v[10:11]
	v_mov_b32_e32 v16, v17
	v_pk_add_f32 v[14:15], v[10:11], v[12:13] op_sel:[1,0] op_sel_hi:[0,1] neg_lo:[0,1] neg_hi:[0,1]
	v_pk_add_f32 v[48:49], v[44:45], v[14:15] op_sel_hi:[1,0] neg_lo:[0,1] neg_hi:[0,1]
	v_mov_b32_e32 v44, v45
	v_mov_b32_e32 v45, v11
	v_pk_mov_b32 v[14:15], v[12:13], v[14:15] op_sel:[1,0]
	v_mov_b32_e32 v17, v12
	v_pk_add_f32 v[14:15], v[44:45], v[14:15] neg_lo:[0,1] neg_hi:[0,1]
	v_mov_b32_e32 v48, v46
	v_pk_add_f32 v[12:13], v[16:17], v[14:15] neg_lo:[0,1] neg_hi:[0,1]
	v_mov_b32_e32 v47, v11
	v_pk_add_f32 v[14:15], v[48:49], v[12:13]
	v_cmp_neq_f32_e64 s[36:37], s41, v7
	v_pk_add_f32 v[16:17], v[14:15], v[14:15] op_sel:[0,1] op_sel_hi:[1,0]
	s_nop 0
	v_pk_add_f32 v[10:11], v[10:11], v[16:17] op_sel:[1,0] op_sel_hi:[0,1]
	v_mov_b32_e32 v15, v10
	v_pk_add_f32 v[44:45], v[14:15], v[46:47] neg_lo:[0,1] neg_hi:[0,1]
	v_mov_b32_e32 v13, v16
	v_sub_f32_e32 v9, v14, v44
	v_pk_add_f32 v[12:13], v[12:13], v[44:45] neg_lo:[0,1] neg_hi:[0,1]
	v_sub_f32_e32 v9, v46, v9
	v_add_f32_e32 v9, v12, v9
	v_add_f32_e32 v9, v9, v13
	;; [unrolled: 1-line block ×3, first 2 shown]
	v_cndmask_b32_e64 v9, v50, v9, s[36:37]
	s_mov_b32 s36, 0x33800000
	v_cmp_lt_f32_e64 s[36:37], |v7|, s36
	s_nop 1
	v_cndmask_b32_e64 v7, v9, v7, s[36:37]
	v_add_f32_e32 v7, v6, v7
.LBB153_100:
	s_or_b64 exec, exec, s[38:39]
	ds_read_b32 v6, v8 offset:12
	v_max_f32_e32 v10, v7, v7
	v_cmp_u_f32_e64 s[36:37], v7, v7
	ds_write_b32 v8, v7 offset:8
	s_waitcnt lgkmcnt(1)
	v_max_f32_e32 v11, v6, v6
	v_min_f32_e32 v9, v10, v11
	v_max_f32_e32 v10, v10, v11
	v_cndmask_b32_e64 v9, v9, v7, s[36:37]
	v_cmp_u_f32_e64 s[38:39], v6, v6
	v_cndmask_b32_e64 v10, v10, v7, s[36:37]
	s_nop 0
	v_cndmask_b32_e64 v9, v9, v6, s[38:39]
	v_cndmask_b32_e64 v6, v10, v6, s[38:39]
	v_cmp_neq_f32_e64 s[36:37], v9, v6
	v_cmp_class_f32_e64 s[38:39], v9, s40
	s_or_b64 s[36:37], s[36:37], s[38:39]
	s_and_saveexec_b64 s[38:39], s[36:37]
	s_cbranch_execz .LBB153_102
; %bb.101:
	v_sub_f32_e32 v7, v9, v6
	s_mov_b32 s36, 0x3fb8aa3b
	v_mul_f32_e32 v9, 0x3fb8aa3b, v7
	v_fma_f32 v10, v7, s36, -v9
	v_rndne_f32_e32 v11, v9
	v_fmamk_f32 v10, v7, 0x32a5705f, v10
	v_sub_f32_e32 v9, v9, v11
	v_add_f32_e32 v9, v9, v10
	v_exp_f32_e32 v9, v9
	v_cvt_i32_f32_e32 v10, v11
	s_mov_b32 s36, 0xc2ce8ed0
	v_cmp_ngt_f32_e64 s[36:37], s36, v7
	v_mov_b32_e32 v50, 0x7f800000
	v_ldexp_f32 v9, v9, v10
	v_cndmask_b32_e64 v9, 0, v9, s[36:37]
	s_mov_b32 s36, 0x42b17218
	v_cmp_nlt_f32_e64 s[36:37], s36, v7
	s_mov_b32 s40, 0x7f800000
	s_nop 0
	v_cndmask_b32_e64 v7, v50, v9, s[36:37]
	v_add_f32_e32 v9, 1.0, v7
	v_add_f32_e32 v10, -1.0, v9
	v_sub_f32_e32 v11, v10, v9
	v_add_f32_e32 v11, 1.0, v11
	v_sub_f32_e32 v10, v7, v10
	v_add_f32_e32 v12, v10, v11
	v_frexp_mant_f32_e32 v13, v9
	s_mov_b32 s36, 0x3f2aaaab
	v_cvt_f64_f32_e32 v[10:11], v9
	v_frexp_exp_i32_f64_e32 v10, v[10:11]
	v_cmp_gt_f32_e64 s[36:37], s36, v13
	s_nop 1
	v_subbrev_co_u32_e64 v44, s[36:37], 0, v10, s[36:37]
	v_sub_u32_e32 v10, 0, v44
	v_ldexp_f32 v9, v9, v10
	v_ldexp_f32 v10, v12, v10
	v_add_f32_e32 v12, -1.0, v9
	v_add_f32_e32 v11, 1.0, v12
	v_sub_f32_e32 v11, v9, v11
	v_add_f32_e32 v13, v10, v11
	v_add_f32_e32 v11, 1.0, v9
	v_add_f32_e32 v14, -1.0, v11
	v_sub_f32_e32 v9, v9, v14
	v_add_f32_e32 v9, v10, v9
	v_add_f32_e32 v45, v11, v9
	v_rcp_f32_e32 v46, v45
	v_sub_f32_e32 v10, v11, v45
	v_add_f32_e32 v11, v12, v13
	v_add_f32_e32 v9, v9, v10
	v_mul_f32_e32 v48, v11, v46
	v_sub_f32_e32 v10, v12, v11
	v_mul_f32_e32 v12, v45, v48
	v_fma_f32 v14, v48, v45, -v12
	v_fmac_f32_e32 v14, v48, v9
	v_add_f32_e32 v47, v13, v10
	v_add_f32_e32 v10, v12, v14
	v_sub_f32_e32 v13, v11, v10
	v_pk_add_f32 v[16:17], v[10:11], v[12:13] neg_lo:[0,1] neg_hi:[0,1]
	v_mov_b32_e32 v15, v10
	v_pk_add_f32 v[10:11], v[16:17], v[14:15] neg_lo:[0,1] neg_hi:[0,1]
	s_mov_b32 s36, 0x3f317218
	v_add_f32_e32 v11, v47, v11
	v_add_f32_e32 v10, v10, v11
	;; [unrolled: 1-line block ×3, first 2 shown]
	v_mul_f32_e32 v47, v46, v11
	v_mul_f32_e32 v12, v45, v47
	v_fma_f32 v14, v47, v45, -v12
	v_fmac_f32_e32 v14, v47, v9
	v_sub_f32_e32 v9, v13, v11
	v_add_f32_e32 v9, v10, v9
	v_add_f32_e32 v10, v12, v14
	v_sub_f32_e32 v13, v11, v10
	v_pk_add_f32 v[16:17], v[10:11], v[12:13] neg_lo:[0,1] neg_hi:[0,1]
	v_mov_b32_e32 v15, v10
	v_pk_add_f32 v[10:11], v[16:17], v[14:15] neg_lo:[0,1] neg_hi:[0,1]
	v_cvt_f32_i32_e32 v12, v44
	v_add_f32_e32 v9, v9, v11
	v_add_f32_e32 v9, v10, v9
	v_add_f32_e32 v10, v48, v47
	v_add_f32_e32 v9, v13, v9
	v_sub_f32_e32 v11, v10, v48
	v_mul_f32_e32 v9, v46, v9
	v_sub_f32_e32 v11, v47, v11
	v_add_f32_e32 v9, v11, v9
	v_add_f32_e32 v13, v10, v9
	v_mul_f32_e32 v14, v13, v13
	v_mov_b32_e32 v11, 0x3ecc95a3
	v_fmac_f32_e32 v11, 0x3e9b6dac, v14
	v_sub_f32_e32 v10, v13, v10
	v_fmaak_f32 v11, v14, v11, 0x3f2aaada
	v_sub_f32_e32 v9, v9, v10
	v_ldexp_f32 v15, v13, 1
	v_mul_f32_e32 v13, v13, v14
	v_mov_b32_e32 v10, 0x3f317218
	v_pk_mul_f32 v[10:11], v[12:13], v[10:11]
	v_ldexp_f32 v9, v9, 1
	v_fma_f32 v13, v12, s36, -v10
	v_fmamk_f32 v14, v12, 0xb102e308, v13
	v_pk_add_f32 v[12:13], v[10:11], v[14:15]
	v_mov_b32_e32 v16, v10
	v_sub_f32_e32 v15, v13, v15
	v_sub_f32_e32 v15, v11, v15
	v_add_f32_e32 v17, v9, v15
	v_pk_add_f32 v[10:11], v[12:13], v[10:11] neg_lo:[0,1] neg_hi:[0,1]
	v_pk_add_f32 v[44:45], v[12:13], v[16:17]
	v_mov_b32_e32 v15, v12
	v_mov_b32_e32 v11, v45
	v_pk_add_f32 v[46:47], v[14:15], v[10:11] neg_lo:[0,1] neg_hi:[0,1]
	v_pk_add_f32 v[10:11], v[14:15], v[10:11]
	v_mov_b32_e32 v16, v17
	v_pk_add_f32 v[14:15], v[10:11], v[12:13] op_sel:[1,0] op_sel_hi:[0,1] neg_lo:[0,1] neg_hi:[0,1]
	v_pk_add_f32 v[48:49], v[44:45], v[14:15] op_sel_hi:[1,0] neg_lo:[0,1] neg_hi:[0,1]
	v_mov_b32_e32 v44, v45
	v_mov_b32_e32 v45, v11
	v_pk_mov_b32 v[14:15], v[12:13], v[14:15] op_sel:[1,0]
	v_mov_b32_e32 v17, v12
	v_pk_add_f32 v[14:15], v[44:45], v[14:15] neg_lo:[0,1] neg_hi:[0,1]
	v_mov_b32_e32 v48, v46
	v_pk_add_f32 v[12:13], v[16:17], v[14:15] neg_lo:[0,1] neg_hi:[0,1]
	v_mov_b32_e32 v47, v11
	v_pk_add_f32 v[14:15], v[48:49], v[12:13]
	v_cmp_neq_f32_e64 s[36:37], s40, v7
	v_pk_add_f32 v[16:17], v[14:15], v[14:15] op_sel:[0,1] op_sel_hi:[1,0]
	s_nop 0
	v_pk_add_f32 v[10:11], v[10:11], v[16:17] op_sel:[1,0] op_sel_hi:[0,1]
	v_mov_b32_e32 v15, v10
	v_pk_add_f32 v[44:45], v[14:15], v[46:47] neg_lo:[0,1] neg_hi:[0,1]
	v_mov_b32_e32 v13, v16
	v_sub_f32_e32 v9, v14, v44
	v_pk_add_f32 v[12:13], v[12:13], v[44:45] neg_lo:[0,1] neg_hi:[0,1]
	v_sub_f32_e32 v9, v46, v9
	v_add_f32_e32 v9, v12, v9
	v_add_f32_e32 v9, v9, v13
	v_add_f32_e32 v9, v10, v9
	v_cndmask_b32_e64 v9, v50, v9, s[36:37]
	s_mov_b32 s36, 0x33800000
	v_cmp_lt_f32_e64 s[36:37], |v7|, s36
	s_nop 1
	v_cndmask_b32_e64 v7, v9, v7, s[36:37]
	v_add_f32_e32 v7, v6, v7
.LBB153_102:
	s_or_b64 exec, exec, s[38:39]
	ds_write_b32 v8, v7 offset:12
.LBB153_103:
	s_or_b64 exec, exec, s[58:59]
	s_waitcnt lgkmcnt(0)
	s_barrier
	s_and_saveexec_b64 s[36:37], s[2:3]
; %bb.104:
	v_add_u32_e32 v6, -1, v0
	v_lshrrev_b32_e32 v7, 3, v6
	v_and_b32_e32 v7, 0x1ffffffc, v7
	v_lshl_add_u32 v6, v6, 2, v7
	ds_read_b32 v43, v6
; %bb.105:
	s_or_b64 exec, exec, s[36:37]
	s_and_saveexec_b64 s[40:41], vcc
	s_cbranch_execz .LBB153_177
; %bb.106:
	v_mov_b32_e32 v13, 0
	ds_read_b32 v6, v13 offset:1048
	v_mbcnt_lo_u32_b32 v7, -1, 0
	v_mbcnt_hi_u32_b32 v9, -1, v7
	s_mov_b32 s59, 0
	v_cmp_eq_u32_e64 s[36:37], 0, v9
	s_and_saveexec_b64 s[38:39], s[36:37]
	s_cbranch_execz .LBB153_108
; %bb.107:
	s_add_i32 s58, s63, 64
	s_lshl_b64 s[58:59], s[58:59], 3
	s_add_u32 s58, s42, s58
	s_addc_u32 s59, s43, s59
	v_mov_b32_e32 v7, 1
	s_waitcnt lgkmcnt(0)
	global_store_dwordx2 v13, v[6:7], s[58:59] sc1
.LBB153_108:
	s_or_b64 exec, exec, s[38:39]
	v_xad_u32 v8, v9, -1, s63
	v_add_u32_e32 v12, 64, v8
	v_lshl_add_u64 v[14:15], v[12:13], 3, s[42:43]
	global_load_dwordx2 v[10:11], v[14:15], off sc1
	s_waitcnt vmcnt(0)
	v_cmp_eq_u16_sdwa s[58:59], v11, v13 src0_sel:BYTE_0 src1_sel:DWORD
	s_and_saveexec_b64 s[38:39], s[58:59]
	s_cbranch_execz .LBB153_112
; %bb.109:
	s_mov_b64 s[58:59], 0
	v_mov_b32_e32 v7, 0
.LBB153_110:                            ; =>This Inner Loop Header: Depth=1
	global_load_dwordx2 v[10:11], v[14:15], off sc1
	s_waitcnt vmcnt(0)
	v_cmp_ne_u16_sdwa s[60:61], v11, v7 src0_sel:BYTE_0 src1_sel:DWORD
	s_or_b64 s[58:59], s[60:61], s[58:59]
	s_andn2_b64 exec, exec, s[58:59]
	s_cbranch_execnz .LBB153_110
; %bb.111:
	s_or_b64 exec, exec, s[58:59]
.LBB153_112:
	s_or_b64 exec, exec, s[38:39]
	v_mov_b32_e32 v7, 2
	v_cmp_eq_u16_sdwa s[38:39], v11, v7 src0_sel:BYTE_0 src1_sel:DWORD
	v_lshlrev_b64 v[12:13], v9, -1
	s_nop 0
	v_and_b32_e32 v7, s39, v13
	v_or_b32_e32 v7, 0x80000000, v7
	v_ffbl_b32_e32 v7, v7
	v_add_u32_e32 v15, 32, v7
	v_and_b32_e32 v7, 63, v9
	v_cmp_ne_u32_e32 vcc, 63, v7
	v_and_b32_e32 v14, s38, v12
	v_ffbl_b32_e32 v14, v14
	v_addc_co_u32_e32 v16, vcc, 0, v9, vcc
	v_lshlrev_b32_e32 v44, 2, v16
	ds_bpermute_b32 v16, v44, v10
	v_min_u32_e32 v14, v14, v15
	v_cmp_lt_u32_e32 vcc, v7, v14
	v_mov_b32_e32 v15, v10
	s_and_saveexec_b64 s[58:59], vcc
	s_cbranch_execz .LBB153_116
; %bb.113:
	v_max_f32_e32 v17, v10, v10
	s_waitcnt lgkmcnt(0)
	v_max_f32_e32 v45, v16, v16
	v_min_f32_e32 v15, v45, v17
	v_cmp_u_f32_e32 vcc, v16, v16
	v_max_f32_e32 v17, v45, v17
	v_cmp_u_f32_e64 s[38:39], v10, v10
	v_cndmask_b32_e32 v15, v15, v16, vcc
	v_cndmask_b32_e32 v17, v17, v16, vcc
	v_cndmask_b32_e64 v15, v15, v10, s[38:39]
	v_cndmask_b32_e64 v10, v17, v10, s[38:39]
	s_movk_i32 s38, 0x1f8
	v_cmp_neq_f32_e32 vcc, v15, v10
	v_cmp_class_f32_e64 s[38:39], v15, s38
	s_or_b64 s[60:61], vcc, s[38:39]
	s_and_saveexec_b64 s[38:39], s[60:61]
	s_cbranch_execz .LBB153_115
; %bb.114:
	v_sub_f32_e32 v15, v15, v10
	s_mov_b32 s60, 0x3fb8aa3b
	v_mul_f32_e32 v16, 0x3fb8aa3b, v15
	v_fma_f32 v17, v15, s60, -v16
	v_rndne_f32_e32 v45, v16
	v_fmamk_f32 v17, v15, 0x32a5705f, v17
	v_sub_f32_e32 v16, v16, v45
	v_add_f32_e32 v16, v16, v17
	v_exp_f32_e32 v16, v16
	v_cvt_i32_f32_e32 v17, v45
	s_mov_b32 s60, 0xc2ce8ed0
	v_cmp_ngt_f32_e32 vcc, s60, v15
	s_mov_b32 s60, 0x42b17218
	v_ldexp_f32 v16, v16, v17
	v_cndmask_b32_e32 v16, 0, v16, vcc
	v_mov_b32_e32 v45, 0x7f800000
	v_cmp_nlt_f32_e32 vcc, s60, v15
	s_mov_b32 s60, 0x3f2aaaab
	s_mov_b32 s61, 0x7f800000
	v_cndmask_b32_e32 v15, v45, v16, vcc
	v_add_f32_e32 v46, 1.0, v15
	v_add_f32_e32 v16, -1.0, v46
	v_sub_f32_e32 v17, v16, v46
	v_add_f32_e32 v17, 1.0, v17
	v_sub_f32_e32 v16, v15, v16
	v_add_f32_e32 v47, v16, v17
	v_frexp_mant_f32_e32 v48, v46
	v_cvt_f64_f32_e32 v[16:17], v46
	v_frexp_exp_i32_f64_e32 v16, v[16:17]
	v_cmp_gt_f32_e32 vcc, s60, v48
	s_mov_b32 s60, 0x3f317218
	s_nop 0
	v_subbrev_co_u32_e32 v52, vcc, 0, v16, vcc
	v_sub_u32_e32 v16, 0, v52
	v_ldexp_f32 v17, v46, v16
	v_add_f32_e32 v46, -1.0, v17
	v_add_f32_e32 v48, 1.0, v17
	v_ldexp_f32 v16, v47, v16
	v_add_f32_e32 v47, 1.0, v46
	v_add_f32_e32 v49, -1.0, v48
	v_sub_f32_e32 v47, v17, v47
	v_sub_f32_e32 v17, v17, v49
	v_add_f32_e32 v47, v16, v47
	v_add_f32_e32 v16, v16, v17
	;; [unrolled: 1-line block ×3, first 2 shown]
	v_rcp_f32_e32 v55, v53
	v_sub_f32_e32 v17, v48, v53
	v_add_f32_e32 v54, v16, v17
	v_add_f32_e32 v17, v46, v47
	v_mul_f32_e32 v57, v17, v55
	v_sub_f32_e32 v16, v46, v17
	v_mul_f32_e32 v46, v53, v57
	v_fma_f32 v48, v57, v53, -v46
	v_fmac_f32_e32 v48, v57, v54
	v_add_f32_e32 v56, v47, v16
	v_add_f32_e32 v16, v46, v48
	v_sub_f32_e32 v47, v17, v16
	v_pk_add_f32 v[50:51], v[16:17], v[46:47] neg_lo:[0,1] neg_hi:[0,1]
	v_mov_b32_e32 v49, v16
	v_pk_add_f32 v[16:17], v[50:51], v[48:49] neg_lo:[0,1] neg_hi:[0,1]
	v_cmp_neq_f32_e32 vcc, s61, v15
	v_add_f32_e32 v17, v56, v17
	v_add_f32_e32 v16, v16, v17
	;; [unrolled: 1-line block ×3, first 2 shown]
	v_mul_f32_e32 v56, v55, v17
	v_mul_f32_e32 v46, v53, v56
	v_fma_f32 v48, v56, v53, -v46
	v_fmac_f32_e32 v48, v56, v54
	v_sub_f32_e32 v47, v47, v17
	v_add_f32_e32 v53, v16, v47
	v_add_f32_e32 v16, v46, v48
	v_sub_f32_e32 v47, v17, v16
	v_pk_add_f32 v[50:51], v[16:17], v[46:47] neg_lo:[0,1] neg_hi:[0,1]
	v_mov_b32_e32 v49, v16
	v_pk_add_f32 v[16:17], v[50:51], v[48:49] neg_lo:[0,1] neg_hi:[0,1]
	v_cvt_f32_i32_e32 v46, v52
	v_add_f32_e32 v17, v53, v17
	v_add_f32_e32 v16, v16, v17
	;; [unrolled: 1-line block ×4, first 2 shown]
	v_sub_f32_e32 v17, v47, v57
	v_mul_f32_e32 v16, v55, v16
	v_sub_f32_e32 v17, v56, v17
	v_add_f32_e32 v16, v17, v16
	v_add_f32_e32 v48, v47, v16
	v_mul_f32_e32 v50, v48, v48
	v_mov_b32_e32 v17, 0x3ecc95a3
	v_sub_f32_e32 v47, v48, v47
	v_fmac_f32_e32 v17, 0x3e9b6dac, v50
	v_sub_f32_e32 v16, v16, v47
	v_fmaak_f32 v17, v50, v17, 0x3f2aaada
	v_ldexp_f32 v51, v16, 1
	v_mul_f32_e32 v47, v48, v50
	v_mov_b32_e32 v16, 0x3f317218
	v_pk_mul_f32 v[16:17], v[46:47], v[16:17]
	v_ldexp_f32 v49, v48, 1
	v_fma_f32 v47, v46, s60, -v16
	v_fmamk_f32 v48, v46, 0xb102e308, v47
	v_pk_add_f32 v[46:47], v[16:17], v[48:49]
	v_mov_b32_e32 v50, v16
	v_sub_f32_e32 v49, v47, v49
	v_sub_f32_e32 v49, v17, v49
	v_add_f32_e32 v51, v51, v49
	v_pk_add_f32 v[16:17], v[46:47], v[16:17] neg_lo:[0,1] neg_hi:[0,1]
	v_pk_add_f32 v[52:53], v[46:47], v[50:51]
	v_mov_b32_e32 v49, v46
	v_mov_b32_e32 v17, v53
	v_pk_add_f32 v[54:55], v[48:49], v[16:17] neg_lo:[0,1] neg_hi:[0,1]
	v_pk_add_f32 v[16:17], v[48:49], v[16:17]
	v_mov_b32_e32 v50, v51
	v_pk_add_f32 v[48:49], v[16:17], v[46:47] op_sel:[1,0] op_sel_hi:[0,1] neg_lo:[0,1] neg_hi:[0,1]
	v_pk_add_f32 v[56:57], v[52:53], v[48:49] op_sel_hi:[1,0] neg_lo:[0,1] neg_hi:[0,1]
	v_mov_b32_e32 v52, v53
	v_mov_b32_e32 v53, v17
	v_pk_mov_b32 v[48:49], v[46:47], v[48:49] op_sel:[1,0]
	v_mov_b32_e32 v51, v46
	v_pk_add_f32 v[48:49], v[52:53], v[48:49] neg_lo:[0,1] neg_hi:[0,1]
	v_mov_b32_e32 v56, v54
	v_pk_add_f32 v[46:47], v[50:51], v[48:49] neg_lo:[0,1] neg_hi:[0,1]
	v_mov_b32_e32 v55, v17
	v_pk_add_f32 v[48:49], v[56:57], v[46:47]
	s_mov_b32 s60, 0x33800000
	v_pk_add_f32 v[50:51], v[48:49], v[48:49] op_sel:[0,1] op_sel_hi:[1,0]
	s_nop 0
	v_pk_add_f32 v[16:17], v[16:17], v[50:51] op_sel:[1,0] op_sel_hi:[0,1]
	v_mov_b32_e32 v49, v16
	v_pk_add_f32 v[52:53], v[48:49], v[54:55] neg_lo:[0,1] neg_hi:[0,1]
	v_mov_b32_e32 v47, v50
	v_sub_f32_e32 v17, v48, v52
	v_pk_add_f32 v[46:47], v[46:47], v[52:53] neg_lo:[0,1] neg_hi:[0,1]
	v_sub_f32_e32 v17, v54, v17
	v_add_f32_e32 v17, v46, v17
	v_add_f32_e32 v17, v17, v47
	;; [unrolled: 1-line block ×3, first 2 shown]
	v_cndmask_b32_e32 v16, v45, v16, vcc
	v_cmp_lt_f32_e64 vcc, |v15|, s60
	s_nop 1
	v_cndmask_b32_e32 v15, v16, v15, vcc
	v_add_f32_e32 v16, v10, v15
.LBB153_115:
	s_or_b64 exec, exec, s[38:39]
	v_mov_b32_e32 v10, v16
	v_mov_b32_e32 v15, v16
.LBB153_116:
	s_or_b64 exec, exec, s[58:59]
	v_cmp_gt_u32_e32 vcc, 62, v7
	v_add_u32_e32 v46, 2, v7
	s_waitcnt lgkmcnt(0)
	v_cndmask_b32_e64 v16, 0, 2, vcc
	v_add_lshl_u32 v45, v16, v9, 2
	ds_bpermute_b32 v16, v45, v10
	v_cmp_le_u32_e32 vcc, v46, v14
	s_and_saveexec_b64 s[58:59], vcc
	s_cbranch_execz .LBB153_120
; %bb.117:
	v_max_f32_e32 v10, v15, v15
	s_waitcnt lgkmcnt(0)
	v_max_f32_e32 v47, v16, v16
	v_min_f32_e32 v17, v47, v10
	v_cmp_u_f32_e32 vcc, v16, v16
	v_max_f32_e32 v10, v47, v10
	v_cmp_u_f32_e64 s[38:39], v15, v15
	v_cndmask_b32_e32 v17, v17, v16, vcc
	v_cndmask_b32_e32 v10, v10, v16, vcc
	v_cndmask_b32_e64 v17, v17, v15, s[38:39]
	v_cndmask_b32_e64 v10, v10, v15, s[38:39]
	s_movk_i32 s38, 0x1f8
	v_cmp_neq_f32_e32 vcc, v17, v10
	v_cmp_class_f32_e64 s[38:39], v17, s38
	s_or_b64 s[60:61], vcc, s[38:39]
	s_and_saveexec_b64 s[38:39], s[60:61]
	s_cbranch_execz .LBB153_119
; %bb.118:
	v_sub_f32_e32 v15, v17, v10
	s_mov_b32 s60, 0x3fb8aa3b
	v_mul_f32_e32 v16, 0x3fb8aa3b, v15
	v_fma_f32 v17, v15, s60, -v16
	v_rndne_f32_e32 v47, v16
	v_fmamk_f32 v17, v15, 0x32a5705f, v17
	v_sub_f32_e32 v16, v16, v47
	v_add_f32_e32 v16, v16, v17
	v_exp_f32_e32 v16, v16
	v_cvt_i32_f32_e32 v17, v47
	s_mov_b32 s60, 0xc2ce8ed0
	v_cmp_ngt_f32_e32 vcc, s60, v15
	s_mov_b32 s60, 0x42b17218
	v_ldexp_f32 v16, v16, v17
	v_cndmask_b32_e32 v16, 0, v16, vcc
	v_mov_b32_e32 v47, 0x7f800000
	v_cmp_nlt_f32_e32 vcc, s60, v15
	s_mov_b32 s60, 0x3f2aaaab
	s_mov_b32 s61, 0x7f800000
	v_cndmask_b32_e32 v15, v47, v16, vcc
	v_add_f32_e32 v48, 1.0, v15
	v_add_f32_e32 v16, -1.0, v48
	v_sub_f32_e32 v17, v16, v48
	v_add_f32_e32 v17, 1.0, v17
	v_sub_f32_e32 v16, v15, v16
	v_add_f32_e32 v49, v16, v17
	v_frexp_mant_f32_e32 v50, v48
	v_cvt_f64_f32_e32 v[16:17], v48
	v_frexp_exp_i32_f64_e32 v16, v[16:17]
	v_cmp_gt_f32_e32 vcc, s60, v50
	s_mov_b32 s60, 0x3f317218
	s_nop 0
	v_subbrev_co_u32_e32 v54, vcc, 0, v16, vcc
	v_sub_u32_e32 v16, 0, v54
	v_ldexp_f32 v17, v48, v16
	v_add_f32_e32 v48, -1.0, v17
	v_add_f32_e32 v50, 1.0, v17
	v_ldexp_f32 v16, v49, v16
	v_add_f32_e32 v49, 1.0, v48
	v_add_f32_e32 v51, -1.0, v50
	v_sub_f32_e32 v49, v17, v49
	v_sub_f32_e32 v17, v17, v51
	v_add_f32_e32 v49, v16, v49
	v_add_f32_e32 v16, v16, v17
	;; [unrolled: 1-line block ×3, first 2 shown]
	v_rcp_f32_e32 v57, v55
	v_sub_f32_e32 v17, v50, v55
	v_add_f32_e32 v56, v16, v17
	v_add_f32_e32 v17, v48, v49
	v_mul_f32_e32 v59, v17, v57
	v_sub_f32_e32 v16, v48, v17
	v_mul_f32_e32 v48, v55, v59
	v_fma_f32 v50, v59, v55, -v48
	v_fmac_f32_e32 v50, v59, v56
	v_add_f32_e32 v58, v49, v16
	v_add_f32_e32 v16, v48, v50
	v_sub_f32_e32 v49, v17, v16
	v_pk_add_f32 v[52:53], v[16:17], v[48:49] neg_lo:[0,1] neg_hi:[0,1]
	v_mov_b32_e32 v51, v16
	v_pk_add_f32 v[16:17], v[52:53], v[50:51] neg_lo:[0,1] neg_hi:[0,1]
	v_cmp_neq_f32_e32 vcc, s61, v15
	v_add_f32_e32 v17, v58, v17
	v_add_f32_e32 v16, v16, v17
	v_add_f32_e32 v17, v49, v16
	v_mul_f32_e32 v58, v57, v17
	v_mul_f32_e32 v48, v55, v58
	v_fma_f32 v50, v58, v55, -v48
	v_fmac_f32_e32 v50, v58, v56
	v_sub_f32_e32 v49, v49, v17
	v_add_f32_e32 v55, v16, v49
	v_add_f32_e32 v16, v48, v50
	v_sub_f32_e32 v49, v17, v16
	v_pk_add_f32 v[52:53], v[16:17], v[48:49] neg_lo:[0,1] neg_hi:[0,1]
	v_mov_b32_e32 v51, v16
	v_pk_add_f32 v[16:17], v[52:53], v[50:51] neg_lo:[0,1] neg_hi:[0,1]
	v_cvt_f32_i32_e32 v48, v54
	v_add_f32_e32 v17, v55, v17
	v_add_f32_e32 v16, v16, v17
	;; [unrolled: 1-line block ×4, first 2 shown]
	v_sub_f32_e32 v17, v49, v59
	v_mul_f32_e32 v16, v57, v16
	v_sub_f32_e32 v17, v58, v17
	v_add_f32_e32 v16, v17, v16
	v_add_f32_e32 v50, v49, v16
	v_mul_f32_e32 v52, v50, v50
	v_mov_b32_e32 v17, 0x3ecc95a3
	v_sub_f32_e32 v49, v50, v49
	v_fmac_f32_e32 v17, 0x3e9b6dac, v52
	v_sub_f32_e32 v16, v16, v49
	v_fmaak_f32 v17, v52, v17, 0x3f2aaada
	v_ldexp_f32 v53, v16, 1
	v_mul_f32_e32 v49, v50, v52
	v_mov_b32_e32 v16, 0x3f317218
	v_pk_mul_f32 v[16:17], v[48:49], v[16:17]
	v_ldexp_f32 v51, v50, 1
	v_fma_f32 v49, v48, s60, -v16
	v_fmamk_f32 v50, v48, 0xb102e308, v49
	v_pk_add_f32 v[48:49], v[16:17], v[50:51]
	v_mov_b32_e32 v52, v16
	v_sub_f32_e32 v51, v49, v51
	v_sub_f32_e32 v51, v17, v51
	v_add_f32_e32 v53, v53, v51
	v_pk_add_f32 v[16:17], v[48:49], v[16:17] neg_lo:[0,1] neg_hi:[0,1]
	v_pk_add_f32 v[54:55], v[48:49], v[52:53]
	v_mov_b32_e32 v51, v48
	v_mov_b32_e32 v17, v55
	v_pk_add_f32 v[56:57], v[50:51], v[16:17] neg_lo:[0,1] neg_hi:[0,1]
	v_pk_add_f32 v[16:17], v[50:51], v[16:17]
	v_mov_b32_e32 v52, v53
	v_pk_add_f32 v[50:51], v[16:17], v[48:49] op_sel:[1,0] op_sel_hi:[0,1] neg_lo:[0,1] neg_hi:[0,1]
	v_pk_add_f32 v[58:59], v[54:55], v[50:51] op_sel_hi:[1,0] neg_lo:[0,1] neg_hi:[0,1]
	v_mov_b32_e32 v54, v55
	v_mov_b32_e32 v55, v17
	v_pk_mov_b32 v[50:51], v[48:49], v[50:51] op_sel:[1,0]
	v_mov_b32_e32 v53, v48
	v_pk_add_f32 v[50:51], v[54:55], v[50:51] neg_lo:[0,1] neg_hi:[0,1]
	v_mov_b32_e32 v58, v56
	v_pk_add_f32 v[48:49], v[52:53], v[50:51] neg_lo:[0,1] neg_hi:[0,1]
	v_mov_b32_e32 v57, v17
	v_pk_add_f32 v[50:51], v[58:59], v[48:49]
	s_mov_b32 s60, 0x33800000
	v_pk_add_f32 v[52:53], v[50:51], v[50:51] op_sel:[0,1] op_sel_hi:[1,0]
	s_nop 0
	v_pk_add_f32 v[16:17], v[16:17], v[52:53] op_sel:[1,0] op_sel_hi:[0,1]
	v_mov_b32_e32 v51, v16
	v_pk_add_f32 v[54:55], v[50:51], v[56:57] neg_lo:[0,1] neg_hi:[0,1]
	v_mov_b32_e32 v49, v52
	v_sub_f32_e32 v17, v50, v54
	v_pk_add_f32 v[48:49], v[48:49], v[54:55] neg_lo:[0,1] neg_hi:[0,1]
	v_sub_f32_e32 v17, v56, v17
	v_add_f32_e32 v17, v48, v17
	v_add_f32_e32 v17, v17, v49
	;; [unrolled: 1-line block ×3, first 2 shown]
	v_cndmask_b32_e32 v16, v47, v16, vcc
	v_cmp_lt_f32_e64 vcc, |v15|, s60
	s_nop 1
	v_cndmask_b32_e32 v15, v16, v15, vcc
	v_add_f32_e32 v16, v10, v15
.LBB153_119:
	s_or_b64 exec, exec, s[38:39]
	v_mov_b32_e32 v10, v16
	v_mov_b32_e32 v15, v16
.LBB153_120:
	s_or_b64 exec, exec, s[58:59]
	v_cmp_gt_u32_e32 vcc, 60, v7
	v_add_u32_e32 v48, 4, v7
	s_waitcnt lgkmcnt(0)
	v_cndmask_b32_e64 v16, 0, 4, vcc
	v_add_lshl_u32 v47, v16, v9, 2
	ds_bpermute_b32 v16, v47, v10
	v_cmp_le_u32_e32 vcc, v48, v14
	s_and_saveexec_b64 s[58:59], vcc
	s_cbranch_execz .LBB153_124
; %bb.121:
	v_max_f32_e32 v10, v15, v15
	s_waitcnt lgkmcnt(0)
	v_max_f32_e32 v49, v16, v16
	v_min_f32_e32 v17, v49, v10
	v_cmp_u_f32_e32 vcc, v16, v16
	v_max_f32_e32 v10, v49, v10
	v_cmp_u_f32_e64 s[38:39], v15, v15
	v_cndmask_b32_e32 v17, v17, v16, vcc
	v_cndmask_b32_e32 v10, v10, v16, vcc
	v_cndmask_b32_e64 v17, v17, v15, s[38:39]
	v_cndmask_b32_e64 v10, v10, v15, s[38:39]
	s_movk_i32 s38, 0x1f8
	v_cmp_neq_f32_e32 vcc, v17, v10
	v_cmp_class_f32_e64 s[38:39], v17, s38
	s_or_b64 s[60:61], vcc, s[38:39]
	s_and_saveexec_b64 s[38:39], s[60:61]
	s_cbranch_execz .LBB153_123
; %bb.122:
	v_sub_f32_e32 v15, v17, v10
	s_mov_b32 s60, 0x3fb8aa3b
	v_mul_f32_e32 v16, 0x3fb8aa3b, v15
	v_fma_f32 v17, v15, s60, -v16
	v_rndne_f32_e32 v49, v16
	v_fmamk_f32 v17, v15, 0x32a5705f, v17
	v_sub_f32_e32 v16, v16, v49
	v_add_f32_e32 v16, v16, v17
	v_exp_f32_e32 v16, v16
	v_cvt_i32_f32_e32 v17, v49
	s_mov_b32 s60, 0xc2ce8ed0
	v_cmp_ngt_f32_e32 vcc, s60, v15
	s_mov_b32 s60, 0x42b17218
	v_ldexp_f32 v16, v16, v17
	v_cndmask_b32_e32 v16, 0, v16, vcc
	v_mov_b32_e32 v49, 0x7f800000
	v_cmp_nlt_f32_e32 vcc, s60, v15
	s_mov_b32 s60, 0x3f2aaaab
	s_mov_b32 s61, 0x7f800000
	v_cndmask_b32_e32 v15, v49, v16, vcc
	v_add_f32_e32 v50, 1.0, v15
	v_add_f32_e32 v16, -1.0, v50
	v_sub_f32_e32 v17, v16, v50
	v_add_f32_e32 v17, 1.0, v17
	v_sub_f32_e32 v16, v15, v16
	v_add_f32_e32 v51, v16, v17
	v_frexp_mant_f32_e32 v52, v50
	v_cvt_f64_f32_e32 v[16:17], v50
	v_frexp_exp_i32_f64_e32 v16, v[16:17]
	v_cmp_gt_f32_e32 vcc, s60, v52
	s_mov_b32 s60, 0x3f317218
	s_nop 0
	v_subbrev_co_u32_e32 v56, vcc, 0, v16, vcc
	v_sub_u32_e32 v16, 0, v56
	v_ldexp_f32 v17, v50, v16
	v_add_f32_e32 v50, -1.0, v17
	v_add_f32_e32 v52, 1.0, v17
	v_ldexp_f32 v16, v51, v16
	v_add_f32_e32 v51, 1.0, v50
	v_add_f32_e32 v53, -1.0, v52
	v_sub_f32_e32 v51, v17, v51
	v_sub_f32_e32 v17, v17, v53
	v_add_f32_e32 v51, v16, v51
	v_add_f32_e32 v16, v16, v17
	;; [unrolled: 1-line block ×3, first 2 shown]
	v_rcp_f32_e32 v59, v57
	v_sub_f32_e32 v17, v52, v57
	v_add_f32_e32 v58, v16, v17
	v_add_f32_e32 v17, v50, v51
	v_mul_f32_e32 v61, v17, v59
	v_sub_f32_e32 v16, v50, v17
	v_mul_f32_e32 v50, v57, v61
	v_fma_f32 v52, v61, v57, -v50
	v_fmac_f32_e32 v52, v61, v58
	v_add_f32_e32 v60, v51, v16
	v_add_f32_e32 v16, v50, v52
	v_sub_f32_e32 v51, v17, v16
	v_pk_add_f32 v[54:55], v[16:17], v[50:51] neg_lo:[0,1] neg_hi:[0,1]
	v_mov_b32_e32 v53, v16
	v_pk_add_f32 v[16:17], v[54:55], v[52:53] neg_lo:[0,1] neg_hi:[0,1]
	v_cmp_neq_f32_e32 vcc, s61, v15
	v_add_f32_e32 v17, v60, v17
	v_add_f32_e32 v16, v16, v17
	;; [unrolled: 1-line block ×3, first 2 shown]
	v_mul_f32_e32 v60, v59, v17
	v_mul_f32_e32 v50, v57, v60
	v_fma_f32 v52, v60, v57, -v50
	v_fmac_f32_e32 v52, v60, v58
	v_sub_f32_e32 v51, v51, v17
	v_add_f32_e32 v57, v16, v51
	v_add_f32_e32 v16, v50, v52
	v_sub_f32_e32 v51, v17, v16
	v_pk_add_f32 v[54:55], v[16:17], v[50:51] neg_lo:[0,1] neg_hi:[0,1]
	v_mov_b32_e32 v53, v16
	v_pk_add_f32 v[16:17], v[54:55], v[52:53] neg_lo:[0,1] neg_hi:[0,1]
	v_cvt_f32_i32_e32 v50, v56
	v_add_f32_e32 v17, v57, v17
	v_add_f32_e32 v16, v16, v17
	;; [unrolled: 1-line block ×4, first 2 shown]
	v_sub_f32_e32 v17, v51, v61
	v_mul_f32_e32 v16, v59, v16
	v_sub_f32_e32 v17, v60, v17
	v_add_f32_e32 v16, v17, v16
	v_add_f32_e32 v52, v51, v16
	v_mul_f32_e32 v54, v52, v52
	v_mov_b32_e32 v17, 0x3ecc95a3
	v_sub_f32_e32 v51, v52, v51
	v_fmac_f32_e32 v17, 0x3e9b6dac, v54
	v_sub_f32_e32 v16, v16, v51
	v_fmaak_f32 v17, v54, v17, 0x3f2aaada
	v_ldexp_f32 v55, v16, 1
	v_mul_f32_e32 v51, v52, v54
	v_mov_b32_e32 v16, 0x3f317218
	v_pk_mul_f32 v[16:17], v[50:51], v[16:17]
	v_ldexp_f32 v53, v52, 1
	v_fma_f32 v51, v50, s60, -v16
	v_fmamk_f32 v52, v50, 0xb102e308, v51
	v_pk_add_f32 v[50:51], v[16:17], v[52:53]
	v_mov_b32_e32 v54, v16
	v_sub_f32_e32 v53, v51, v53
	v_sub_f32_e32 v53, v17, v53
	v_add_f32_e32 v55, v55, v53
	v_pk_add_f32 v[16:17], v[50:51], v[16:17] neg_lo:[0,1] neg_hi:[0,1]
	v_pk_add_f32 v[56:57], v[50:51], v[54:55]
	v_mov_b32_e32 v53, v50
	v_mov_b32_e32 v17, v57
	v_pk_add_f32 v[58:59], v[52:53], v[16:17] neg_lo:[0,1] neg_hi:[0,1]
	v_pk_add_f32 v[16:17], v[52:53], v[16:17]
	v_mov_b32_e32 v54, v55
	v_pk_add_f32 v[52:53], v[16:17], v[50:51] op_sel:[1,0] op_sel_hi:[0,1] neg_lo:[0,1] neg_hi:[0,1]
	v_pk_add_f32 v[60:61], v[56:57], v[52:53] op_sel_hi:[1,0] neg_lo:[0,1] neg_hi:[0,1]
	v_mov_b32_e32 v56, v57
	v_mov_b32_e32 v57, v17
	v_pk_mov_b32 v[52:53], v[50:51], v[52:53] op_sel:[1,0]
	v_mov_b32_e32 v55, v50
	v_pk_add_f32 v[52:53], v[56:57], v[52:53] neg_lo:[0,1] neg_hi:[0,1]
	v_mov_b32_e32 v60, v58
	v_pk_add_f32 v[50:51], v[54:55], v[52:53] neg_lo:[0,1] neg_hi:[0,1]
	v_mov_b32_e32 v59, v17
	v_pk_add_f32 v[52:53], v[60:61], v[50:51]
	s_mov_b32 s60, 0x33800000
	v_pk_add_f32 v[54:55], v[52:53], v[52:53] op_sel:[0,1] op_sel_hi:[1,0]
	s_nop 0
	v_pk_add_f32 v[16:17], v[16:17], v[54:55] op_sel:[1,0] op_sel_hi:[0,1]
	v_mov_b32_e32 v53, v16
	v_pk_add_f32 v[56:57], v[52:53], v[58:59] neg_lo:[0,1] neg_hi:[0,1]
	v_mov_b32_e32 v51, v54
	v_sub_f32_e32 v17, v52, v56
	v_pk_add_f32 v[50:51], v[50:51], v[56:57] neg_lo:[0,1] neg_hi:[0,1]
	v_sub_f32_e32 v17, v58, v17
	v_add_f32_e32 v17, v50, v17
	v_add_f32_e32 v17, v17, v51
	;; [unrolled: 1-line block ×3, first 2 shown]
	v_cndmask_b32_e32 v16, v49, v16, vcc
	v_cmp_lt_f32_e64 vcc, |v15|, s60
	s_nop 1
	v_cndmask_b32_e32 v15, v16, v15, vcc
	v_add_f32_e32 v16, v10, v15
.LBB153_123:
	s_or_b64 exec, exec, s[38:39]
	v_mov_b32_e32 v10, v16
	v_mov_b32_e32 v15, v16
.LBB153_124:
	s_or_b64 exec, exec, s[58:59]
	v_cmp_gt_u32_e32 vcc, 56, v7
	v_add_u32_e32 v50, 8, v7
	s_waitcnt lgkmcnt(0)
	v_cndmask_b32_e64 v16, 0, 8, vcc
	v_add_lshl_u32 v49, v16, v9, 2
	ds_bpermute_b32 v16, v49, v10
	v_cmp_le_u32_e32 vcc, v50, v14
	s_and_saveexec_b64 s[58:59], vcc
	s_cbranch_execz .LBB153_128
; %bb.125:
	v_max_f32_e32 v10, v15, v15
	s_waitcnt lgkmcnt(0)
	v_max_f32_e32 v51, v16, v16
	v_min_f32_e32 v17, v51, v10
	v_cmp_u_f32_e32 vcc, v16, v16
	v_max_f32_e32 v10, v51, v10
	v_cmp_u_f32_e64 s[38:39], v15, v15
	v_cndmask_b32_e32 v17, v17, v16, vcc
	v_cndmask_b32_e32 v10, v10, v16, vcc
	v_cndmask_b32_e64 v17, v17, v15, s[38:39]
	v_cndmask_b32_e64 v10, v10, v15, s[38:39]
	s_movk_i32 s38, 0x1f8
	v_cmp_neq_f32_e32 vcc, v17, v10
	v_cmp_class_f32_e64 s[38:39], v17, s38
	s_or_b64 s[60:61], vcc, s[38:39]
	s_and_saveexec_b64 s[38:39], s[60:61]
	s_cbranch_execz .LBB153_127
; %bb.126:
	v_sub_f32_e32 v15, v17, v10
	s_mov_b32 s60, 0x3fb8aa3b
	v_mul_f32_e32 v16, 0x3fb8aa3b, v15
	v_fma_f32 v17, v15, s60, -v16
	v_rndne_f32_e32 v51, v16
	v_fmamk_f32 v17, v15, 0x32a5705f, v17
	v_sub_f32_e32 v16, v16, v51
	v_add_f32_e32 v16, v16, v17
	v_exp_f32_e32 v16, v16
	v_cvt_i32_f32_e32 v17, v51
	s_mov_b32 s60, 0xc2ce8ed0
	v_cmp_ngt_f32_e32 vcc, s60, v15
	s_mov_b32 s60, 0x42b17218
	v_ldexp_f32 v16, v16, v17
	v_cndmask_b32_e32 v16, 0, v16, vcc
	v_mov_b32_e32 v51, 0x7f800000
	v_cmp_nlt_f32_e32 vcc, s60, v15
	s_mov_b32 s60, 0x3f2aaaab
	s_mov_b32 s61, 0x7f800000
	v_cndmask_b32_e32 v15, v51, v16, vcc
	v_add_f32_e32 v52, 1.0, v15
	v_add_f32_e32 v16, -1.0, v52
	v_sub_f32_e32 v17, v16, v52
	v_add_f32_e32 v17, 1.0, v17
	v_sub_f32_e32 v16, v15, v16
	v_add_f32_e32 v53, v16, v17
	v_frexp_mant_f32_e32 v54, v52
	v_cvt_f64_f32_e32 v[16:17], v52
	v_frexp_exp_i32_f64_e32 v16, v[16:17]
	v_cmp_gt_f32_e32 vcc, s60, v54
	s_mov_b32 s60, 0x3f317218
	s_nop 0
	v_subbrev_co_u32_e32 v58, vcc, 0, v16, vcc
	v_sub_u32_e32 v16, 0, v58
	v_ldexp_f32 v17, v52, v16
	v_add_f32_e32 v52, -1.0, v17
	v_add_f32_e32 v54, 1.0, v17
	v_ldexp_f32 v16, v53, v16
	v_add_f32_e32 v53, 1.0, v52
	v_add_f32_e32 v55, -1.0, v54
	v_sub_f32_e32 v53, v17, v53
	v_sub_f32_e32 v17, v17, v55
	v_add_f32_e32 v53, v16, v53
	v_add_f32_e32 v16, v16, v17
	;; [unrolled: 1-line block ×3, first 2 shown]
	v_rcp_f32_e32 v61, v59
	v_sub_f32_e32 v17, v54, v59
	v_add_f32_e32 v60, v16, v17
	v_add_f32_e32 v17, v52, v53
	v_mul_f32_e32 v63, v17, v61
	v_sub_f32_e32 v16, v52, v17
	v_mul_f32_e32 v52, v59, v63
	v_fma_f32 v54, v63, v59, -v52
	v_fmac_f32_e32 v54, v63, v60
	v_add_f32_e32 v62, v53, v16
	v_add_f32_e32 v16, v52, v54
	v_sub_f32_e32 v53, v17, v16
	v_pk_add_f32 v[56:57], v[16:17], v[52:53] neg_lo:[0,1] neg_hi:[0,1]
	v_mov_b32_e32 v55, v16
	v_pk_add_f32 v[16:17], v[56:57], v[54:55] neg_lo:[0,1] neg_hi:[0,1]
	v_cmp_neq_f32_e32 vcc, s61, v15
	v_add_f32_e32 v17, v62, v17
	v_add_f32_e32 v16, v16, v17
	;; [unrolled: 1-line block ×3, first 2 shown]
	v_mul_f32_e32 v62, v61, v17
	v_mul_f32_e32 v52, v59, v62
	v_fma_f32 v54, v62, v59, -v52
	v_fmac_f32_e32 v54, v62, v60
	v_sub_f32_e32 v53, v53, v17
	v_add_f32_e32 v59, v16, v53
	v_add_f32_e32 v16, v52, v54
	v_sub_f32_e32 v53, v17, v16
	v_pk_add_f32 v[56:57], v[16:17], v[52:53] neg_lo:[0,1] neg_hi:[0,1]
	v_mov_b32_e32 v55, v16
	v_pk_add_f32 v[16:17], v[56:57], v[54:55] neg_lo:[0,1] neg_hi:[0,1]
	v_cvt_f32_i32_e32 v52, v58
	v_add_f32_e32 v17, v59, v17
	v_add_f32_e32 v16, v16, v17
	;; [unrolled: 1-line block ×4, first 2 shown]
	v_sub_f32_e32 v17, v53, v63
	v_mul_f32_e32 v16, v61, v16
	v_sub_f32_e32 v17, v62, v17
	v_add_f32_e32 v16, v17, v16
	v_add_f32_e32 v54, v53, v16
	v_mul_f32_e32 v56, v54, v54
	v_mov_b32_e32 v17, 0x3ecc95a3
	v_sub_f32_e32 v53, v54, v53
	v_fmac_f32_e32 v17, 0x3e9b6dac, v56
	v_sub_f32_e32 v16, v16, v53
	v_fmaak_f32 v17, v56, v17, 0x3f2aaada
	v_ldexp_f32 v57, v16, 1
	v_mul_f32_e32 v53, v54, v56
	v_mov_b32_e32 v16, 0x3f317218
	v_pk_mul_f32 v[16:17], v[52:53], v[16:17]
	v_ldexp_f32 v55, v54, 1
	v_fma_f32 v53, v52, s60, -v16
	v_fmamk_f32 v54, v52, 0xb102e308, v53
	v_pk_add_f32 v[52:53], v[16:17], v[54:55]
	v_mov_b32_e32 v56, v16
	v_sub_f32_e32 v55, v53, v55
	v_sub_f32_e32 v55, v17, v55
	v_add_f32_e32 v57, v57, v55
	v_pk_add_f32 v[16:17], v[52:53], v[16:17] neg_lo:[0,1] neg_hi:[0,1]
	v_pk_add_f32 v[58:59], v[52:53], v[56:57]
	v_mov_b32_e32 v55, v52
	v_mov_b32_e32 v17, v59
	v_pk_add_f32 v[60:61], v[54:55], v[16:17] neg_lo:[0,1] neg_hi:[0,1]
	v_pk_add_f32 v[16:17], v[54:55], v[16:17]
	v_mov_b32_e32 v56, v57
	v_pk_add_f32 v[54:55], v[16:17], v[52:53] op_sel:[1,0] op_sel_hi:[0,1] neg_lo:[0,1] neg_hi:[0,1]
	v_pk_add_f32 v[62:63], v[58:59], v[54:55] op_sel_hi:[1,0] neg_lo:[0,1] neg_hi:[0,1]
	v_mov_b32_e32 v58, v59
	v_mov_b32_e32 v59, v17
	v_pk_mov_b32 v[54:55], v[52:53], v[54:55] op_sel:[1,0]
	v_mov_b32_e32 v57, v52
	v_pk_add_f32 v[54:55], v[58:59], v[54:55] neg_lo:[0,1] neg_hi:[0,1]
	v_mov_b32_e32 v62, v60
	v_pk_add_f32 v[52:53], v[56:57], v[54:55] neg_lo:[0,1] neg_hi:[0,1]
	v_mov_b32_e32 v61, v17
	v_pk_add_f32 v[54:55], v[62:63], v[52:53]
	s_mov_b32 s60, 0x33800000
	v_pk_add_f32 v[56:57], v[54:55], v[54:55] op_sel:[0,1] op_sel_hi:[1,0]
	s_nop 0
	v_pk_add_f32 v[16:17], v[16:17], v[56:57] op_sel:[1,0] op_sel_hi:[0,1]
	v_mov_b32_e32 v55, v16
	v_pk_add_f32 v[58:59], v[54:55], v[60:61] neg_lo:[0,1] neg_hi:[0,1]
	v_mov_b32_e32 v53, v56
	v_sub_f32_e32 v17, v54, v58
	v_pk_add_f32 v[52:53], v[52:53], v[58:59] neg_lo:[0,1] neg_hi:[0,1]
	v_sub_f32_e32 v17, v60, v17
	v_add_f32_e32 v17, v52, v17
	v_add_f32_e32 v17, v17, v53
	;; [unrolled: 1-line block ×3, first 2 shown]
	v_cndmask_b32_e32 v16, v51, v16, vcc
	v_cmp_lt_f32_e64 vcc, |v15|, s60
	s_nop 1
	v_cndmask_b32_e32 v15, v16, v15, vcc
	v_add_f32_e32 v16, v10, v15
.LBB153_127:
	s_or_b64 exec, exec, s[38:39]
	v_mov_b32_e32 v10, v16
	v_mov_b32_e32 v15, v16
.LBB153_128:
	s_or_b64 exec, exec, s[58:59]
	v_cmp_gt_u32_e32 vcc, 48, v7
	v_add_u32_e32 v52, 16, v7
	s_waitcnt lgkmcnt(0)
	v_cndmask_b32_e64 v16, 0, 16, vcc
	v_add_lshl_u32 v51, v16, v9, 2
	ds_bpermute_b32 v16, v51, v10
	v_cmp_le_u32_e32 vcc, v52, v14
	s_and_saveexec_b64 s[58:59], vcc
	s_cbranch_execz .LBB153_132
; %bb.129:
	v_max_f32_e32 v10, v15, v15
	s_waitcnt lgkmcnt(0)
	v_max_f32_e32 v53, v16, v16
	v_min_f32_e32 v17, v53, v10
	v_cmp_u_f32_e32 vcc, v16, v16
	v_max_f32_e32 v10, v53, v10
	v_cmp_u_f32_e64 s[38:39], v15, v15
	v_cndmask_b32_e32 v17, v17, v16, vcc
	v_cndmask_b32_e32 v10, v10, v16, vcc
	v_cndmask_b32_e64 v17, v17, v15, s[38:39]
	v_cndmask_b32_e64 v10, v10, v15, s[38:39]
	s_movk_i32 s38, 0x1f8
	v_cmp_neq_f32_e32 vcc, v17, v10
	v_cmp_class_f32_e64 s[38:39], v17, s38
	s_or_b64 s[60:61], vcc, s[38:39]
	s_and_saveexec_b64 s[38:39], s[60:61]
	s_cbranch_execz .LBB153_131
; %bb.130:
	v_sub_f32_e32 v15, v17, v10
	s_mov_b32 s60, 0x3fb8aa3b
	v_mul_f32_e32 v16, 0x3fb8aa3b, v15
	v_fma_f32 v17, v15, s60, -v16
	v_rndne_f32_e32 v53, v16
	v_fmamk_f32 v17, v15, 0x32a5705f, v17
	v_sub_f32_e32 v16, v16, v53
	v_add_f32_e32 v16, v16, v17
	v_exp_f32_e32 v16, v16
	v_cvt_i32_f32_e32 v17, v53
	s_mov_b32 s60, 0xc2ce8ed0
	v_cmp_ngt_f32_e32 vcc, s60, v15
	s_mov_b32 s60, 0x42b17218
	v_ldexp_f32 v16, v16, v17
	v_cndmask_b32_e32 v16, 0, v16, vcc
	v_mov_b32_e32 v53, 0x7f800000
	v_cmp_nlt_f32_e32 vcc, s60, v15
	s_mov_b32 s60, 0x3f2aaaab
	s_mov_b32 s61, 0x7f800000
	v_cndmask_b32_e32 v15, v53, v16, vcc
	v_add_f32_e32 v54, 1.0, v15
	v_add_f32_e32 v16, -1.0, v54
	v_sub_f32_e32 v17, v16, v54
	v_add_f32_e32 v17, 1.0, v17
	v_sub_f32_e32 v16, v15, v16
	v_add_f32_e32 v55, v16, v17
	v_frexp_mant_f32_e32 v56, v54
	v_cvt_f64_f32_e32 v[16:17], v54
	v_frexp_exp_i32_f64_e32 v16, v[16:17]
	v_cmp_gt_f32_e32 vcc, s60, v56
	s_mov_b32 s60, 0x3f317218
	s_nop 0
	v_subbrev_co_u32_e32 v60, vcc, 0, v16, vcc
	v_sub_u32_e32 v16, 0, v60
	v_ldexp_f32 v17, v54, v16
	v_add_f32_e32 v54, -1.0, v17
	v_add_f32_e32 v56, 1.0, v17
	v_ldexp_f32 v16, v55, v16
	v_add_f32_e32 v55, 1.0, v54
	v_add_f32_e32 v57, -1.0, v56
	v_sub_f32_e32 v55, v17, v55
	v_sub_f32_e32 v17, v17, v57
	v_add_f32_e32 v55, v16, v55
	v_add_f32_e32 v16, v16, v17
	;; [unrolled: 1-line block ×3, first 2 shown]
	v_rcp_f32_e32 v63, v61
	v_sub_f32_e32 v17, v56, v61
	v_add_f32_e32 v62, v16, v17
	v_add_f32_e32 v17, v54, v55
	v_mul_f32_e32 v65, v17, v63
	v_sub_f32_e32 v16, v54, v17
	v_mul_f32_e32 v54, v61, v65
	v_fma_f32 v56, v65, v61, -v54
	v_fmac_f32_e32 v56, v65, v62
	v_add_f32_e32 v64, v55, v16
	v_add_f32_e32 v16, v54, v56
	v_sub_f32_e32 v55, v17, v16
	v_pk_add_f32 v[58:59], v[16:17], v[54:55] neg_lo:[0,1] neg_hi:[0,1]
	v_mov_b32_e32 v57, v16
	v_pk_add_f32 v[16:17], v[58:59], v[56:57] neg_lo:[0,1] neg_hi:[0,1]
	v_cmp_neq_f32_e32 vcc, s61, v15
	v_add_f32_e32 v17, v64, v17
	v_add_f32_e32 v16, v16, v17
	;; [unrolled: 1-line block ×3, first 2 shown]
	v_mul_f32_e32 v64, v63, v17
	v_mul_f32_e32 v54, v61, v64
	v_fma_f32 v56, v64, v61, -v54
	v_fmac_f32_e32 v56, v64, v62
	v_sub_f32_e32 v55, v55, v17
	v_add_f32_e32 v61, v16, v55
	v_add_f32_e32 v16, v54, v56
	v_sub_f32_e32 v55, v17, v16
	v_pk_add_f32 v[58:59], v[16:17], v[54:55] neg_lo:[0,1] neg_hi:[0,1]
	v_mov_b32_e32 v57, v16
	v_pk_add_f32 v[16:17], v[58:59], v[56:57] neg_lo:[0,1] neg_hi:[0,1]
	v_cvt_f32_i32_e32 v54, v60
	v_add_f32_e32 v17, v61, v17
	v_add_f32_e32 v16, v16, v17
	;; [unrolled: 1-line block ×4, first 2 shown]
	v_sub_f32_e32 v17, v55, v65
	v_mul_f32_e32 v16, v63, v16
	v_sub_f32_e32 v17, v64, v17
	v_add_f32_e32 v16, v17, v16
	v_add_f32_e32 v56, v55, v16
	v_mul_f32_e32 v58, v56, v56
	v_mov_b32_e32 v17, 0x3ecc95a3
	v_sub_f32_e32 v55, v56, v55
	v_fmac_f32_e32 v17, 0x3e9b6dac, v58
	v_sub_f32_e32 v16, v16, v55
	v_fmaak_f32 v17, v58, v17, 0x3f2aaada
	v_ldexp_f32 v59, v16, 1
	v_mul_f32_e32 v55, v56, v58
	v_mov_b32_e32 v16, 0x3f317218
	v_pk_mul_f32 v[16:17], v[54:55], v[16:17]
	v_ldexp_f32 v57, v56, 1
	v_fma_f32 v55, v54, s60, -v16
	v_fmamk_f32 v56, v54, 0xb102e308, v55
	v_pk_add_f32 v[54:55], v[16:17], v[56:57]
	v_mov_b32_e32 v58, v16
	v_sub_f32_e32 v57, v55, v57
	v_sub_f32_e32 v57, v17, v57
	v_add_f32_e32 v59, v59, v57
	v_pk_add_f32 v[16:17], v[54:55], v[16:17] neg_lo:[0,1] neg_hi:[0,1]
	v_pk_add_f32 v[60:61], v[54:55], v[58:59]
	v_mov_b32_e32 v57, v54
	v_mov_b32_e32 v17, v61
	v_pk_add_f32 v[62:63], v[56:57], v[16:17] neg_lo:[0,1] neg_hi:[0,1]
	v_pk_add_f32 v[16:17], v[56:57], v[16:17]
	v_mov_b32_e32 v58, v59
	v_pk_add_f32 v[56:57], v[16:17], v[54:55] op_sel:[1,0] op_sel_hi:[0,1] neg_lo:[0,1] neg_hi:[0,1]
	v_pk_add_f32 v[64:65], v[60:61], v[56:57] op_sel_hi:[1,0] neg_lo:[0,1] neg_hi:[0,1]
	v_mov_b32_e32 v60, v61
	v_mov_b32_e32 v61, v17
	v_pk_mov_b32 v[56:57], v[54:55], v[56:57] op_sel:[1,0]
	v_mov_b32_e32 v59, v54
	v_pk_add_f32 v[56:57], v[60:61], v[56:57] neg_lo:[0,1] neg_hi:[0,1]
	v_mov_b32_e32 v64, v62
	v_pk_add_f32 v[54:55], v[58:59], v[56:57] neg_lo:[0,1] neg_hi:[0,1]
	v_mov_b32_e32 v63, v17
	v_pk_add_f32 v[56:57], v[64:65], v[54:55]
	s_mov_b32 s60, 0x33800000
	v_pk_add_f32 v[58:59], v[56:57], v[56:57] op_sel:[0,1] op_sel_hi:[1,0]
	s_nop 0
	v_pk_add_f32 v[16:17], v[16:17], v[58:59] op_sel:[1,0] op_sel_hi:[0,1]
	v_mov_b32_e32 v57, v16
	v_pk_add_f32 v[60:61], v[56:57], v[62:63] neg_lo:[0,1] neg_hi:[0,1]
	v_mov_b32_e32 v55, v58
	v_sub_f32_e32 v17, v56, v60
	v_pk_add_f32 v[54:55], v[54:55], v[60:61] neg_lo:[0,1] neg_hi:[0,1]
	v_sub_f32_e32 v17, v62, v17
	v_add_f32_e32 v17, v54, v17
	v_add_f32_e32 v17, v17, v55
	;; [unrolled: 1-line block ×3, first 2 shown]
	v_cndmask_b32_e32 v16, v53, v16, vcc
	v_cmp_lt_f32_e64 vcc, |v15|, s60
	s_nop 1
	v_cndmask_b32_e32 v15, v16, v15, vcc
	v_add_f32_e32 v16, v10, v15
.LBB153_131:
	s_or_b64 exec, exec, s[38:39]
	v_mov_b32_e32 v10, v16
	v_mov_b32_e32 v15, v16
.LBB153_132:
	s_or_b64 exec, exec, s[58:59]
	s_waitcnt lgkmcnt(0)
	v_mov_b32_e32 v16, 0x80
	v_lshl_or_b32 v53, v9, 2, v16
	ds_bpermute_b32 v10, v53, v10
	v_add_u32_e32 v55, 32, v7
	v_cmp_le_u32_e32 vcc, v55, v14
	s_and_saveexec_b64 s[58:59], vcc
	s_cbranch_execz .LBB153_136
; %bb.133:
	v_max_f32_e32 v9, v15, v15
	s_waitcnt lgkmcnt(0)
	v_max_f32_e32 v16, v10, v10
	v_min_f32_e32 v14, v16, v9
	v_cmp_u_f32_e32 vcc, v10, v10
	v_max_f32_e32 v9, v16, v9
	v_cmp_u_f32_e64 s[38:39], v15, v15
	v_cndmask_b32_e32 v14, v14, v10, vcc
	v_cndmask_b32_e32 v9, v9, v10, vcc
	v_cndmask_b32_e64 v14, v14, v15, s[38:39]
	v_cndmask_b32_e64 v9, v9, v15, s[38:39]
	s_movk_i32 s38, 0x1f8
	v_cmp_neq_f32_e32 vcc, v14, v9
	v_cmp_class_f32_e64 s[38:39], v14, s38
	s_or_b64 s[60:61], vcc, s[38:39]
	s_and_saveexec_b64 s[38:39], s[60:61]
	s_cbranch_execz .LBB153_135
; %bb.134:
	v_sub_f32_e32 v10, v14, v9
	s_mov_b32 s60, 0x3fb8aa3b
	v_mul_f32_e32 v14, 0x3fb8aa3b, v10
	v_fma_f32 v15, v10, s60, -v14
	v_rndne_f32_e32 v16, v14
	v_fmamk_f32 v15, v10, 0x32a5705f, v15
	v_sub_f32_e32 v14, v14, v16
	v_add_f32_e32 v14, v14, v15
	v_exp_f32_e32 v14, v14
	v_cvt_i32_f32_e32 v15, v16
	s_mov_b32 s60, 0xc2ce8ed0
	v_cmp_ngt_f32_e32 vcc, s60, v10
	s_mov_b32 s60, 0x42b17218
	v_ldexp_f32 v14, v14, v15
	v_cndmask_b32_e32 v14, 0, v14, vcc
	v_mov_b32_e32 v54, 0x7f800000
	v_cmp_nlt_f32_e32 vcc, s60, v10
	s_mov_b32 s60, 0x3f2aaaab
	s_mov_b32 s61, 0x7f800000
	v_cndmask_b32_e32 v10, v54, v14, vcc
	v_add_f32_e32 v16, 1.0, v10
	v_add_f32_e32 v14, -1.0, v16
	v_sub_f32_e32 v15, v14, v16
	v_add_f32_e32 v15, 1.0, v15
	v_sub_f32_e32 v14, v10, v14
	v_add_f32_e32 v17, v14, v15
	v_frexp_mant_f32_e32 v56, v16
	v_cvt_f64_f32_e32 v[14:15], v16
	v_frexp_exp_i32_f64_e32 v14, v[14:15]
	v_cmp_gt_f32_e32 vcc, s60, v56
	s_mov_b32 s60, 0x3f317218
	s_nop 0
	v_subbrev_co_u32_e32 v60, vcc, 0, v14, vcc
	v_sub_u32_e32 v14, 0, v60
	v_ldexp_f32 v15, v16, v14
	v_add_f32_e32 v16, -1.0, v15
	v_add_f32_e32 v56, 1.0, v15
	v_ldexp_f32 v14, v17, v14
	v_add_f32_e32 v17, 1.0, v16
	v_add_f32_e32 v57, -1.0, v56
	v_sub_f32_e32 v17, v15, v17
	v_sub_f32_e32 v15, v15, v57
	v_add_f32_e32 v17, v14, v17
	v_add_f32_e32 v14, v14, v15
	;; [unrolled: 1-line block ×3, first 2 shown]
	v_rcp_f32_e32 v63, v61
	v_sub_f32_e32 v15, v56, v61
	v_add_f32_e32 v62, v14, v15
	v_add_f32_e32 v15, v16, v17
	v_mul_f32_e32 v65, v15, v63
	v_sub_f32_e32 v14, v16, v15
	v_mul_f32_e32 v16, v61, v65
	v_fma_f32 v56, v65, v61, -v16
	v_fmac_f32_e32 v56, v65, v62
	v_add_f32_e32 v64, v17, v14
	v_add_f32_e32 v14, v16, v56
	v_sub_f32_e32 v17, v15, v14
	v_pk_add_f32 v[58:59], v[14:15], v[16:17] neg_lo:[0,1] neg_hi:[0,1]
	v_mov_b32_e32 v57, v14
	v_pk_add_f32 v[14:15], v[58:59], v[56:57] neg_lo:[0,1] neg_hi:[0,1]
	v_cmp_neq_f32_e32 vcc, s61, v10
	v_add_f32_e32 v15, v64, v15
	v_add_f32_e32 v14, v14, v15
	;; [unrolled: 1-line block ×3, first 2 shown]
	v_mul_f32_e32 v64, v63, v15
	v_mul_f32_e32 v16, v61, v64
	v_fma_f32 v56, v64, v61, -v16
	v_fmac_f32_e32 v56, v64, v62
	v_sub_f32_e32 v17, v17, v15
	v_add_f32_e32 v61, v14, v17
	v_add_f32_e32 v14, v16, v56
	v_sub_f32_e32 v17, v15, v14
	v_pk_add_f32 v[58:59], v[14:15], v[16:17] neg_lo:[0,1] neg_hi:[0,1]
	v_mov_b32_e32 v57, v14
	v_pk_add_f32 v[14:15], v[58:59], v[56:57] neg_lo:[0,1] neg_hi:[0,1]
	v_cvt_f32_i32_e32 v16, v60
	v_add_f32_e32 v15, v61, v15
	v_add_f32_e32 v14, v14, v15
	;; [unrolled: 1-line block ×4, first 2 shown]
	v_sub_f32_e32 v15, v17, v65
	v_mul_f32_e32 v14, v63, v14
	v_sub_f32_e32 v15, v64, v15
	v_add_f32_e32 v14, v15, v14
	v_add_f32_e32 v56, v17, v14
	v_mul_f32_e32 v58, v56, v56
	v_mov_b32_e32 v15, 0x3ecc95a3
	v_sub_f32_e32 v17, v56, v17
	v_fmac_f32_e32 v15, 0x3e9b6dac, v58
	v_sub_f32_e32 v14, v14, v17
	v_fmaak_f32 v15, v58, v15, 0x3f2aaada
	v_ldexp_f32 v59, v14, 1
	v_mul_f32_e32 v17, v56, v58
	v_mov_b32_e32 v14, 0x3f317218
	v_pk_mul_f32 v[14:15], v[16:17], v[14:15]
	v_ldexp_f32 v57, v56, 1
	v_fma_f32 v17, v16, s60, -v14
	v_fmamk_f32 v56, v16, 0xb102e308, v17
	v_pk_add_f32 v[16:17], v[14:15], v[56:57]
	v_mov_b32_e32 v58, v14
	v_sub_f32_e32 v57, v17, v57
	v_sub_f32_e32 v57, v15, v57
	v_add_f32_e32 v59, v59, v57
	v_pk_add_f32 v[14:15], v[16:17], v[14:15] neg_lo:[0,1] neg_hi:[0,1]
	v_pk_add_f32 v[60:61], v[16:17], v[58:59]
	v_mov_b32_e32 v57, v16
	v_mov_b32_e32 v15, v61
	v_pk_add_f32 v[62:63], v[56:57], v[14:15] neg_lo:[0,1] neg_hi:[0,1]
	v_pk_add_f32 v[14:15], v[56:57], v[14:15]
	v_mov_b32_e32 v58, v59
	v_pk_add_f32 v[56:57], v[14:15], v[16:17] op_sel:[1,0] op_sel_hi:[0,1] neg_lo:[0,1] neg_hi:[0,1]
	v_pk_add_f32 v[64:65], v[60:61], v[56:57] op_sel_hi:[1,0] neg_lo:[0,1] neg_hi:[0,1]
	v_mov_b32_e32 v60, v61
	v_mov_b32_e32 v61, v15
	v_pk_mov_b32 v[56:57], v[16:17], v[56:57] op_sel:[1,0]
	v_mov_b32_e32 v59, v16
	v_pk_add_f32 v[56:57], v[60:61], v[56:57] neg_lo:[0,1] neg_hi:[0,1]
	v_mov_b32_e32 v64, v62
	v_pk_add_f32 v[16:17], v[58:59], v[56:57] neg_lo:[0,1] neg_hi:[0,1]
	v_mov_b32_e32 v63, v15
	v_pk_add_f32 v[56:57], v[64:65], v[16:17]
	s_mov_b32 s60, 0x33800000
	v_pk_add_f32 v[58:59], v[56:57], v[56:57] op_sel:[0,1] op_sel_hi:[1,0]
	s_nop 0
	v_pk_add_f32 v[14:15], v[14:15], v[58:59] op_sel:[1,0] op_sel_hi:[0,1]
	v_mov_b32_e32 v57, v14
	v_pk_add_f32 v[60:61], v[56:57], v[62:63] neg_lo:[0,1] neg_hi:[0,1]
	v_mov_b32_e32 v17, v58
	v_sub_f32_e32 v15, v56, v60
	v_pk_add_f32 v[16:17], v[16:17], v[60:61] neg_lo:[0,1] neg_hi:[0,1]
	v_sub_f32_e32 v15, v62, v15
	v_add_f32_e32 v15, v16, v15
	v_add_f32_e32 v15, v15, v17
	;; [unrolled: 1-line block ×3, first 2 shown]
	v_cndmask_b32_e32 v14, v54, v14, vcc
	v_cmp_lt_f32_e64 vcc, |v10|, s60
	s_nop 1
	v_cndmask_b32_e32 v10, v14, v10, vcc
	v_add_f32_e32 v10, v9, v10
.LBB153_135:
	s_or_b64 exec, exec, s[38:39]
	v_mov_b32_e32 v15, v10
.LBB153_136:
	s_or_b64 exec, exec, s[58:59]
	v_mov_b32_e32 v9, 0
	s_movk_i32 s60, 0x1f8
	s_mov_b32 s61, 0x3fb8aa3b
	s_mov_b32 s64, 0xc2ce8ed0
	;; [unrolled: 1-line block ×5, first 2 shown]
	v_mov_b32_e32 v56, 0x3ecc95a3
	s_mov_b32 s68, 0x3f317218
	s_mov_b32 s69, 0x33800000
	v_mov_b32_e32 v57, 2
	v_mov_b32_e32 v58, 0x7f800000
	v_mov_b32_e32 v14, 0x3f317218
                                        ; implicit-def: $vgpr10
	s_branch .LBB153_139
.LBB153_137:                            ;   in Loop: Header=BB153_139 Depth=1
	s_or_b64 exec, exec, s[38:39]
	v_subrev_u32_e32 v8, 64, v8
	s_mov_b64 s[38:39], 0
.LBB153_138:                            ;   in Loop: Header=BB153_139 Depth=1
	s_and_b64 vcc, exec, s[38:39]
	s_cbranch_vccnz .LBB153_171
.LBB153_139:                            ; =>This Loop Header: Depth=1
                                        ;     Child Loop BB153_142 Depth 2
	v_cmp_ne_u16_sdwa s[38:39], v11, v57 src0_sel:BYTE_0 src1_sel:DWORD
	v_mov_b32_e32 v54, v15
	s_cmp_lg_u64 s[38:39], exec
	s_mov_b64 s[38:39], -1
                                        ; implicit-def: $vgpr15
                                        ; implicit-def: $vgpr11
	s_cbranch_scc1 .LBB153_138
; %bb.140:                              ;   in Loop: Header=BB153_139 Depth=1
	v_lshl_add_u64 v[16:17], v[8:9], 3, s[42:43]
	s_waitcnt lgkmcnt(0)
	global_load_dwordx2 v[10:11], v[16:17], off sc1
	s_waitcnt vmcnt(0)
	v_cmp_eq_u16_sdwa s[58:59], v11, v9 src0_sel:BYTE_0 src1_sel:DWORD
	s_and_saveexec_b64 s[38:39], s[58:59]
	s_cbranch_execz .LBB153_144
; %bb.141:                              ;   in Loop: Header=BB153_139 Depth=1
	s_mov_b64 s[58:59], 0
.LBB153_142:                            ;   Parent Loop BB153_139 Depth=1
                                        ; =>  This Inner Loop Header: Depth=2
	global_load_dwordx2 v[10:11], v[16:17], off sc1
	s_waitcnt vmcnt(0)
	v_cmp_ne_u16_sdwa s[70:71], v11, v9 src0_sel:BYTE_0 src1_sel:DWORD
	s_or_b64 s[58:59], s[70:71], s[58:59]
	s_andn2_b64 exec, exec, s[58:59]
	s_cbranch_execnz .LBB153_142
; %bb.143:                              ;   in Loop: Header=BB153_139 Depth=1
	s_or_b64 exec, exec, s[58:59]
.LBB153_144:                            ;   in Loop: Header=BB153_139 Depth=1
	s_or_b64 exec, exec, s[38:39]
	v_cmp_eq_u16_sdwa s[38:39], v11, v57 src0_sel:BYTE_0 src1_sel:DWORD
	ds_bpermute_b32 v17, v44, v10
	s_nop 0
	v_and_b32_e32 v15, s39, v13
	v_or_b32_e32 v15, 0x80000000, v15
	v_and_b32_e32 v16, s38, v12
	v_ffbl_b32_e32 v15, v15
	v_add_u32_e32 v15, 32, v15
	v_ffbl_b32_e32 v16, v16
	v_min_u32_e32 v16, v16, v15
	v_cmp_lt_u32_e32 vcc, v7, v16
	v_mov_b32_e32 v15, v10
	s_and_saveexec_b64 s[58:59], vcc
	s_cbranch_execz .LBB153_148
; %bb.145:                              ;   in Loop: Header=BB153_139 Depth=1
	v_max_f32_e32 v59, v10, v10
	s_waitcnt lgkmcnt(0)
	v_max_f32_e32 v60, v17, v17
	v_min_f32_e32 v15, v60, v59
	v_cmp_u_f32_e32 vcc, v17, v17
	v_max_f32_e32 v59, v60, v59
	v_cmp_u_f32_e64 s[38:39], v10, v10
	v_cndmask_b32_e32 v15, v15, v17, vcc
	v_cndmask_b32_e32 v59, v59, v17, vcc
	v_cndmask_b32_e64 v15, v15, v10, s[38:39]
	v_cndmask_b32_e64 v10, v59, v10, s[38:39]
	v_cmp_neq_f32_e32 vcc, v15, v10
	v_cmp_class_f32_e64 s[38:39], v15, s60
	s_or_b64 s[70:71], vcc, s[38:39]
	s_and_saveexec_b64 s[38:39], s[70:71]
	s_cbranch_execz .LBB153_147
; %bb.146:                              ;   in Loop: Header=BB153_139 Depth=1
	v_sub_f32_e32 v15, v15, v10
	v_mul_f32_e32 v17, 0x3fb8aa3b, v15
	v_fma_f32 v59, v15, s61, -v17
	v_rndne_f32_e32 v60, v17
	v_fmac_f32_e32 v59, 0x32a5705f, v15
	v_sub_f32_e32 v17, v17, v60
	v_add_f32_e32 v17, v17, v59
	v_cvt_i32_f32_e32 v59, v60
	v_exp_f32_e32 v17, v17
	v_cmp_ngt_f32_e32 vcc, s64, v15
	v_ldexp_f32 v17, v17, v59
	s_nop 0
	v_cndmask_b32_e32 v17, 0, v17, vcc
	v_cmp_nlt_f32_e32 vcc, s65, v15
	s_nop 1
	v_cndmask_b32_e32 v17, v58, v17, vcc
	v_add_f32_e32 v15, 1.0, v17
	v_add_f32_e32 v59, -1.0, v15
	v_sub_f32_e32 v60, v59, v15
	v_add_f32_e32 v60, 1.0, v60
	v_sub_f32_e32 v59, v17, v59
	v_add_f32_e32 v59, v59, v60
	v_frexp_mant_f32_e32 v62, v15
	v_cvt_f64_f32_e32 v[60:61], v15
	v_frexp_exp_i32_f64_e32 v60, v[60:61]
	v_cmp_gt_f32_e32 vcc, s67, v62
	s_nop 1
	v_subbrev_co_u32_e32 v68, vcc, 0, v60, vcc
	v_sub_u32_e32 v60, 0, v68
	v_ldexp_f32 v15, v15, v60
	v_ldexp_f32 v59, v59, v60
	v_add_f32_e32 v60, -1.0, v15
	v_add_f32_e32 v61, 1.0, v60
	v_sub_f32_e32 v61, v15, v61
	v_add_f32_e32 v62, v59, v61
	v_add_f32_e32 v61, 1.0, v15
	v_add_f32_e32 v63, -1.0, v61
	v_sub_f32_e32 v15, v15, v63
	v_add_f32_e32 v15, v59, v15
	v_add_f32_e32 v59, v61, v15
	v_rcp_f32_e32 v69, v59
	v_sub_f32_e32 v61, v61, v59
	v_add_f32_e32 v15, v15, v61
	v_add_f32_e32 v61, v60, v62
	v_sub_f32_e32 v60, v60, v61
	v_mul_f32_e32 v71, v61, v69
	v_add_f32_e32 v70, v62, v60
	v_mul_f32_e32 v62, v59, v71
	v_fma_f32 v64, v71, v59, -v62
	v_fmac_f32_e32 v64, v71, v15
	v_add_f32_e32 v60, v62, v64
	v_sub_f32_e32 v63, v61, v60
	v_pk_add_f32 v[66:67], v[60:61], v[62:63] neg_lo:[0,1] neg_hi:[0,1]
	v_mov_b32_e32 v65, v60
	v_pk_add_f32 v[60:61], v[66:67], v[64:65] neg_lo:[0,1] neg_hi:[0,1]
	v_cmp_neq_f32_e32 vcc, s66, v17
	v_add_f32_e32 v61, v70, v61
	v_add_f32_e32 v60, v60, v61
	;; [unrolled: 1-line block ×3, first 2 shown]
	v_mul_f32_e32 v70, v69, v61
	v_mul_f32_e32 v62, v59, v70
	v_fma_f32 v64, v70, v59, -v62
	v_fmac_f32_e32 v64, v70, v15
	v_sub_f32_e32 v15, v63, v61
	v_add_f32_e32 v15, v60, v15
	v_add_f32_e32 v60, v62, v64
	v_sub_f32_e32 v63, v61, v60
	v_pk_add_f32 v[66:67], v[60:61], v[62:63] neg_lo:[0,1] neg_hi:[0,1]
	v_mov_b32_e32 v65, v60
	v_pk_add_f32 v[60:61], v[66:67], v[64:65] neg_lo:[0,1] neg_hi:[0,1]
	v_add_f32_e32 v59, v71, v70
	v_add_f32_e32 v15, v15, v61
	;; [unrolled: 1-line block ×4, first 2 shown]
	v_sub_f32_e32 v60, v59, v71
	v_mul_f32_e32 v15, v69, v15
	v_sub_f32_e32 v60, v70, v60
	v_add_f32_e32 v61, v60, v15
	v_add_f32_e32 v62, v59, v61
	v_cvt_f32_i32_e32 v60, v68
	v_mul_f32_e32 v64, v62, v62
	v_fmamk_f32 v15, v64, 0x3e9b6dac, v56
	v_sub_f32_e32 v59, v62, v59
	v_fmaak_f32 v15, v64, v15, 0x3f2aaada
	v_sub_f32_e32 v59, v61, v59
	v_mul_f32_e32 v61, v62, v64
	v_pk_mul_f32 v[64:65], v[60:61], v[14:15]
	v_ldexp_f32 v63, v62, 1
	v_fma_f32 v62, v60, s68, -v64
	v_fmac_f32_e32 v62, 0xb102e308, v60
	v_pk_add_f32 v[60:61], v[64:65], v[62:63]
	v_ldexp_f32 v59, v59, 1
	v_sub_f32_e32 v15, v61, v63
	v_sub_f32_e32 v15, v65, v15
	v_add_f32_e32 v67, v59, v15
	v_mov_b32_e32 v66, v64
	v_pk_add_f32 v[64:65], v[60:61], v[64:65] neg_lo:[0,1] neg_hi:[0,1]
	v_pk_add_f32 v[68:69], v[60:61], v[66:67]
	v_mov_b32_e32 v63, v60
	v_mov_b32_e32 v65, v69
	v_pk_add_f32 v[70:71], v[62:63], v[64:65] neg_lo:[0,1] neg_hi:[0,1]
	v_pk_add_f32 v[62:63], v[62:63], v[64:65]
	v_mov_b32_e32 v66, v67
	v_pk_add_f32 v[64:65], v[62:63], v[60:61] op_sel:[1,0] op_sel_hi:[0,1] neg_lo:[0,1] neg_hi:[0,1]
	v_pk_add_f32 v[72:73], v[68:69], v[64:65] op_sel_hi:[1,0] neg_lo:[0,1] neg_hi:[0,1]
	v_mov_b32_e32 v68, v69
	v_mov_b32_e32 v69, v63
	v_pk_mov_b32 v[64:65], v[60:61], v[64:65] op_sel:[1,0]
	v_mov_b32_e32 v67, v60
	v_pk_add_f32 v[64:65], v[68:69], v[64:65] neg_lo:[0,1] neg_hi:[0,1]
	v_mov_b32_e32 v72, v70
	v_pk_add_f32 v[60:61], v[66:67], v[64:65] neg_lo:[0,1] neg_hi:[0,1]
	v_mov_b32_e32 v71, v63
	v_pk_add_f32 v[64:65], v[72:73], v[60:61]
	s_nop 0
	v_pk_add_f32 v[66:67], v[64:65], v[64:65] op_sel:[0,1] op_sel_hi:[1,0]
	s_nop 0
	v_pk_add_f32 v[62:63], v[62:63], v[66:67] op_sel:[1,0] op_sel_hi:[0,1]
	v_mov_b32_e32 v65, v62
	v_pk_add_f32 v[68:69], v[64:65], v[70:71] neg_lo:[0,1] neg_hi:[0,1]
	v_mov_b32_e32 v61, v66
	v_sub_f32_e32 v15, v64, v68
	v_pk_add_f32 v[60:61], v[60:61], v[68:69] neg_lo:[0,1] neg_hi:[0,1]
	v_sub_f32_e32 v15, v70, v15
	v_add_f32_e32 v15, v60, v15
	v_add_f32_e32 v15, v15, v61
	v_add_f32_e32 v15, v62, v15
	v_cndmask_b32_e32 v15, v58, v15, vcc
	v_cmp_lt_f32_e64 vcc, |v17|, s69
	s_nop 1
	v_cndmask_b32_e32 v15, v15, v17, vcc
	v_add_f32_e32 v17, v10, v15
.LBB153_147:                            ;   in Loop: Header=BB153_139 Depth=1
	s_or_b64 exec, exec, s[38:39]
	v_mov_b32_e32 v10, v17
	v_mov_b32_e32 v15, v17
.LBB153_148:                            ;   in Loop: Header=BB153_139 Depth=1
	s_or_b64 exec, exec, s[58:59]
	s_waitcnt lgkmcnt(0)
	ds_bpermute_b32 v17, v45, v10
	v_cmp_le_u32_e32 vcc, v46, v16
	s_and_saveexec_b64 s[58:59], vcc
	s_cbranch_execz .LBB153_152
; %bb.149:                              ;   in Loop: Header=BB153_139 Depth=1
	v_max_f32_e32 v10, v15, v15
	s_waitcnt lgkmcnt(0)
	v_max_f32_e32 v60, v17, v17
	v_min_f32_e32 v59, v60, v10
	v_cmp_u_f32_e32 vcc, v17, v17
	v_max_f32_e32 v10, v60, v10
	v_cmp_u_f32_e64 s[38:39], v15, v15
	v_cndmask_b32_e32 v59, v59, v17, vcc
	v_cndmask_b32_e32 v10, v10, v17, vcc
	v_cndmask_b32_e64 v59, v59, v15, s[38:39]
	v_cndmask_b32_e64 v10, v10, v15, s[38:39]
	v_cmp_neq_f32_e32 vcc, v59, v10
	v_cmp_class_f32_e64 s[38:39], v59, s60
	s_or_b64 s[70:71], vcc, s[38:39]
	s_and_saveexec_b64 s[38:39], s[70:71]
	s_cbranch_execz .LBB153_151
; %bb.150:                              ;   in Loop: Header=BB153_139 Depth=1
	v_sub_f32_e32 v15, v59, v10
	v_mul_f32_e32 v17, 0x3fb8aa3b, v15
	v_fma_f32 v59, v15, s61, -v17
	v_rndne_f32_e32 v60, v17
	v_fmac_f32_e32 v59, 0x32a5705f, v15
	v_sub_f32_e32 v17, v17, v60
	v_add_f32_e32 v17, v17, v59
	v_cvt_i32_f32_e32 v59, v60
	v_exp_f32_e32 v17, v17
	v_cmp_ngt_f32_e32 vcc, s64, v15
	v_ldexp_f32 v17, v17, v59
	s_nop 0
	v_cndmask_b32_e32 v17, 0, v17, vcc
	v_cmp_nlt_f32_e32 vcc, s65, v15
	s_nop 1
	v_cndmask_b32_e32 v17, v58, v17, vcc
	v_add_f32_e32 v15, 1.0, v17
	v_add_f32_e32 v59, -1.0, v15
	v_sub_f32_e32 v60, v59, v15
	v_add_f32_e32 v60, 1.0, v60
	v_sub_f32_e32 v59, v17, v59
	v_add_f32_e32 v59, v59, v60
	v_frexp_mant_f32_e32 v62, v15
	v_cvt_f64_f32_e32 v[60:61], v15
	v_frexp_exp_i32_f64_e32 v60, v[60:61]
	v_cmp_gt_f32_e32 vcc, s67, v62
	s_nop 1
	v_subbrev_co_u32_e32 v68, vcc, 0, v60, vcc
	v_sub_u32_e32 v60, 0, v68
	v_ldexp_f32 v15, v15, v60
	v_ldexp_f32 v59, v59, v60
	v_add_f32_e32 v60, -1.0, v15
	v_add_f32_e32 v61, 1.0, v60
	v_sub_f32_e32 v61, v15, v61
	v_add_f32_e32 v62, v59, v61
	v_add_f32_e32 v61, 1.0, v15
	v_add_f32_e32 v63, -1.0, v61
	v_sub_f32_e32 v15, v15, v63
	v_add_f32_e32 v15, v59, v15
	v_add_f32_e32 v59, v61, v15
	v_rcp_f32_e32 v69, v59
	v_sub_f32_e32 v61, v61, v59
	v_add_f32_e32 v15, v15, v61
	v_add_f32_e32 v61, v60, v62
	v_sub_f32_e32 v60, v60, v61
	v_mul_f32_e32 v71, v61, v69
	v_add_f32_e32 v70, v62, v60
	v_mul_f32_e32 v62, v59, v71
	v_fma_f32 v64, v71, v59, -v62
	v_fmac_f32_e32 v64, v71, v15
	v_add_f32_e32 v60, v62, v64
	v_sub_f32_e32 v63, v61, v60
	v_pk_add_f32 v[66:67], v[60:61], v[62:63] neg_lo:[0,1] neg_hi:[0,1]
	v_mov_b32_e32 v65, v60
	v_pk_add_f32 v[60:61], v[66:67], v[64:65] neg_lo:[0,1] neg_hi:[0,1]
	v_cmp_neq_f32_e32 vcc, s66, v17
	v_add_f32_e32 v61, v70, v61
	v_add_f32_e32 v60, v60, v61
	;; [unrolled: 1-line block ×3, first 2 shown]
	v_mul_f32_e32 v70, v69, v61
	v_mul_f32_e32 v62, v59, v70
	v_fma_f32 v64, v70, v59, -v62
	v_fmac_f32_e32 v64, v70, v15
	v_sub_f32_e32 v15, v63, v61
	v_add_f32_e32 v15, v60, v15
	v_add_f32_e32 v60, v62, v64
	v_sub_f32_e32 v63, v61, v60
	v_pk_add_f32 v[66:67], v[60:61], v[62:63] neg_lo:[0,1] neg_hi:[0,1]
	v_mov_b32_e32 v65, v60
	v_pk_add_f32 v[60:61], v[66:67], v[64:65] neg_lo:[0,1] neg_hi:[0,1]
	v_add_f32_e32 v59, v71, v70
	v_add_f32_e32 v15, v15, v61
	;; [unrolled: 1-line block ×4, first 2 shown]
	v_sub_f32_e32 v60, v59, v71
	v_mul_f32_e32 v15, v69, v15
	v_sub_f32_e32 v60, v70, v60
	v_add_f32_e32 v61, v60, v15
	v_add_f32_e32 v62, v59, v61
	v_cvt_f32_i32_e32 v60, v68
	v_mul_f32_e32 v64, v62, v62
	v_fmamk_f32 v15, v64, 0x3e9b6dac, v56
	v_sub_f32_e32 v59, v62, v59
	v_fmaak_f32 v15, v64, v15, 0x3f2aaada
	v_sub_f32_e32 v59, v61, v59
	v_mul_f32_e32 v61, v62, v64
	v_pk_mul_f32 v[64:65], v[60:61], v[14:15]
	v_ldexp_f32 v63, v62, 1
	v_fma_f32 v62, v60, s68, -v64
	v_fmac_f32_e32 v62, 0xb102e308, v60
	v_pk_add_f32 v[60:61], v[64:65], v[62:63]
	v_ldexp_f32 v59, v59, 1
	v_sub_f32_e32 v15, v61, v63
	v_sub_f32_e32 v15, v65, v15
	v_add_f32_e32 v67, v59, v15
	v_mov_b32_e32 v66, v64
	v_pk_add_f32 v[64:65], v[60:61], v[64:65] neg_lo:[0,1] neg_hi:[0,1]
	v_pk_add_f32 v[68:69], v[60:61], v[66:67]
	v_mov_b32_e32 v63, v60
	v_mov_b32_e32 v65, v69
	v_pk_add_f32 v[70:71], v[62:63], v[64:65] neg_lo:[0,1] neg_hi:[0,1]
	v_pk_add_f32 v[62:63], v[62:63], v[64:65]
	v_mov_b32_e32 v66, v67
	v_pk_add_f32 v[64:65], v[62:63], v[60:61] op_sel:[1,0] op_sel_hi:[0,1] neg_lo:[0,1] neg_hi:[0,1]
	v_pk_add_f32 v[72:73], v[68:69], v[64:65] op_sel_hi:[1,0] neg_lo:[0,1] neg_hi:[0,1]
	v_mov_b32_e32 v68, v69
	v_mov_b32_e32 v69, v63
	v_pk_mov_b32 v[64:65], v[60:61], v[64:65] op_sel:[1,0]
	v_mov_b32_e32 v67, v60
	v_pk_add_f32 v[64:65], v[68:69], v[64:65] neg_lo:[0,1] neg_hi:[0,1]
	v_mov_b32_e32 v72, v70
	v_pk_add_f32 v[60:61], v[66:67], v[64:65] neg_lo:[0,1] neg_hi:[0,1]
	v_mov_b32_e32 v71, v63
	v_pk_add_f32 v[64:65], v[72:73], v[60:61]
	s_nop 0
	v_pk_add_f32 v[66:67], v[64:65], v[64:65] op_sel:[0,1] op_sel_hi:[1,0]
	s_nop 0
	v_pk_add_f32 v[62:63], v[62:63], v[66:67] op_sel:[1,0] op_sel_hi:[0,1]
	v_mov_b32_e32 v65, v62
	v_pk_add_f32 v[68:69], v[64:65], v[70:71] neg_lo:[0,1] neg_hi:[0,1]
	v_mov_b32_e32 v61, v66
	v_sub_f32_e32 v15, v64, v68
	v_pk_add_f32 v[60:61], v[60:61], v[68:69] neg_lo:[0,1] neg_hi:[0,1]
	v_sub_f32_e32 v15, v70, v15
	v_add_f32_e32 v15, v60, v15
	v_add_f32_e32 v15, v15, v61
	;; [unrolled: 1-line block ×3, first 2 shown]
	v_cndmask_b32_e32 v15, v58, v15, vcc
	v_cmp_lt_f32_e64 vcc, |v17|, s69
	s_nop 1
	v_cndmask_b32_e32 v15, v15, v17, vcc
	v_add_f32_e32 v17, v10, v15
.LBB153_151:                            ;   in Loop: Header=BB153_139 Depth=1
	s_or_b64 exec, exec, s[38:39]
	v_mov_b32_e32 v10, v17
	v_mov_b32_e32 v15, v17
.LBB153_152:                            ;   in Loop: Header=BB153_139 Depth=1
	s_or_b64 exec, exec, s[58:59]
	s_waitcnt lgkmcnt(0)
	ds_bpermute_b32 v17, v47, v10
	v_cmp_le_u32_e32 vcc, v48, v16
	s_and_saveexec_b64 s[58:59], vcc
	s_cbranch_execz .LBB153_156
; %bb.153:                              ;   in Loop: Header=BB153_139 Depth=1
	v_max_f32_e32 v10, v15, v15
	s_waitcnt lgkmcnt(0)
	v_max_f32_e32 v60, v17, v17
	v_min_f32_e32 v59, v60, v10
	v_cmp_u_f32_e32 vcc, v17, v17
	v_max_f32_e32 v10, v60, v10
	v_cmp_u_f32_e64 s[38:39], v15, v15
	v_cndmask_b32_e32 v59, v59, v17, vcc
	v_cndmask_b32_e32 v10, v10, v17, vcc
	v_cndmask_b32_e64 v59, v59, v15, s[38:39]
	v_cndmask_b32_e64 v10, v10, v15, s[38:39]
	v_cmp_neq_f32_e32 vcc, v59, v10
	v_cmp_class_f32_e64 s[38:39], v59, s60
	s_or_b64 s[70:71], vcc, s[38:39]
	s_and_saveexec_b64 s[38:39], s[70:71]
	s_cbranch_execz .LBB153_155
; %bb.154:                              ;   in Loop: Header=BB153_139 Depth=1
	v_sub_f32_e32 v15, v59, v10
	v_mul_f32_e32 v17, 0x3fb8aa3b, v15
	v_fma_f32 v59, v15, s61, -v17
	v_rndne_f32_e32 v60, v17
	v_fmac_f32_e32 v59, 0x32a5705f, v15
	v_sub_f32_e32 v17, v17, v60
	v_add_f32_e32 v17, v17, v59
	v_cvt_i32_f32_e32 v59, v60
	v_exp_f32_e32 v17, v17
	v_cmp_ngt_f32_e32 vcc, s64, v15
	v_ldexp_f32 v17, v17, v59
	s_nop 0
	v_cndmask_b32_e32 v17, 0, v17, vcc
	v_cmp_nlt_f32_e32 vcc, s65, v15
	s_nop 1
	v_cndmask_b32_e32 v17, v58, v17, vcc
	v_add_f32_e32 v15, 1.0, v17
	v_add_f32_e32 v59, -1.0, v15
	v_sub_f32_e32 v60, v59, v15
	v_add_f32_e32 v60, 1.0, v60
	v_sub_f32_e32 v59, v17, v59
	v_add_f32_e32 v59, v59, v60
	v_frexp_mant_f32_e32 v62, v15
	v_cvt_f64_f32_e32 v[60:61], v15
	v_frexp_exp_i32_f64_e32 v60, v[60:61]
	v_cmp_gt_f32_e32 vcc, s67, v62
	s_nop 1
	v_subbrev_co_u32_e32 v68, vcc, 0, v60, vcc
	v_sub_u32_e32 v60, 0, v68
	v_ldexp_f32 v15, v15, v60
	v_ldexp_f32 v59, v59, v60
	v_add_f32_e32 v60, -1.0, v15
	v_add_f32_e32 v61, 1.0, v60
	v_sub_f32_e32 v61, v15, v61
	v_add_f32_e32 v62, v59, v61
	v_add_f32_e32 v61, 1.0, v15
	v_add_f32_e32 v63, -1.0, v61
	v_sub_f32_e32 v15, v15, v63
	v_add_f32_e32 v15, v59, v15
	v_add_f32_e32 v59, v61, v15
	v_rcp_f32_e32 v69, v59
	v_sub_f32_e32 v61, v61, v59
	v_add_f32_e32 v15, v15, v61
	v_add_f32_e32 v61, v60, v62
	v_sub_f32_e32 v60, v60, v61
	v_mul_f32_e32 v71, v61, v69
	v_add_f32_e32 v70, v62, v60
	v_mul_f32_e32 v62, v59, v71
	v_fma_f32 v64, v71, v59, -v62
	v_fmac_f32_e32 v64, v71, v15
	v_add_f32_e32 v60, v62, v64
	v_sub_f32_e32 v63, v61, v60
	v_pk_add_f32 v[66:67], v[60:61], v[62:63] neg_lo:[0,1] neg_hi:[0,1]
	v_mov_b32_e32 v65, v60
	v_pk_add_f32 v[60:61], v[66:67], v[64:65] neg_lo:[0,1] neg_hi:[0,1]
	v_cmp_neq_f32_e32 vcc, s66, v17
	v_add_f32_e32 v61, v70, v61
	v_add_f32_e32 v60, v60, v61
	;; [unrolled: 1-line block ×3, first 2 shown]
	v_mul_f32_e32 v70, v69, v61
	v_mul_f32_e32 v62, v59, v70
	v_fma_f32 v64, v70, v59, -v62
	v_fmac_f32_e32 v64, v70, v15
	v_sub_f32_e32 v15, v63, v61
	v_add_f32_e32 v15, v60, v15
	v_add_f32_e32 v60, v62, v64
	v_sub_f32_e32 v63, v61, v60
	v_pk_add_f32 v[66:67], v[60:61], v[62:63] neg_lo:[0,1] neg_hi:[0,1]
	v_mov_b32_e32 v65, v60
	v_pk_add_f32 v[60:61], v[66:67], v[64:65] neg_lo:[0,1] neg_hi:[0,1]
	v_add_f32_e32 v59, v71, v70
	v_add_f32_e32 v15, v15, v61
	;; [unrolled: 1-line block ×4, first 2 shown]
	v_sub_f32_e32 v60, v59, v71
	v_mul_f32_e32 v15, v69, v15
	v_sub_f32_e32 v60, v70, v60
	v_add_f32_e32 v61, v60, v15
	v_add_f32_e32 v62, v59, v61
	v_cvt_f32_i32_e32 v60, v68
	v_mul_f32_e32 v64, v62, v62
	v_fmamk_f32 v15, v64, 0x3e9b6dac, v56
	v_sub_f32_e32 v59, v62, v59
	v_fmaak_f32 v15, v64, v15, 0x3f2aaada
	v_sub_f32_e32 v59, v61, v59
	v_mul_f32_e32 v61, v62, v64
	v_pk_mul_f32 v[64:65], v[60:61], v[14:15]
	v_ldexp_f32 v63, v62, 1
	v_fma_f32 v62, v60, s68, -v64
	v_fmac_f32_e32 v62, 0xb102e308, v60
	v_pk_add_f32 v[60:61], v[64:65], v[62:63]
	v_ldexp_f32 v59, v59, 1
	v_sub_f32_e32 v15, v61, v63
	v_sub_f32_e32 v15, v65, v15
	v_add_f32_e32 v67, v59, v15
	v_mov_b32_e32 v66, v64
	v_pk_add_f32 v[64:65], v[60:61], v[64:65] neg_lo:[0,1] neg_hi:[0,1]
	v_pk_add_f32 v[68:69], v[60:61], v[66:67]
	v_mov_b32_e32 v63, v60
	v_mov_b32_e32 v65, v69
	v_pk_add_f32 v[70:71], v[62:63], v[64:65] neg_lo:[0,1] neg_hi:[0,1]
	v_pk_add_f32 v[62:63], v[62:63], v[64:65]
	v_mov_b32_e32 v66, v67
	v_pk_add_f32 v[64:65], v[62:63], v[60:61] op_sel:[1,0] op_sel_hi:[0,1] neg_lo:[0,1] neg_hi:[0,1]
	v_pk_add_f32 v[72:73], v[68:69], v[64:65] op_sel_hi:[1,0] neg_lo:[0,1] neg_hi:[0,1]
	v_mov_b32_e32 v68, v69
	v_mov_b32_e32 v69, v63
	v_pk_mov_b32 v[64:65], v[60:61], v[64:65] op_sel:[1,0]
	v_mov_b32_e32 v67, v60
	v_pk_add_f32 v[64:65], v[68:69], v[64:65] neg_lo:[0,1] neg_hi:[0,1]
	v_mov_b32_e32 v72, v70
	v_pk_add_f32 v[60:61], v[66:67], v[64:65] neg_lo:[0,1] neg_hi:[0,1]
	v_mov_b32_e32 v71, v63
	v_pk_add_f32 v[64:65], v[72:73], v[60:61]
	s_nop 0
	v_pk_add_f32 v[66:67], v[64:65], v[64:65] op_sel:[0,1] op_sel_hi:[1,0]
	s_nop 0
	v_pk_add_f32 v[62:63], v[62:63], v[66:67] op_sel:[1,0] op_sel_hi:[0,1]
	v_mov_b32_e32 v65, v62
	v_pk_add_f32 v[68:69], v[64:65], v[70:71] neg_lo:[0,1] neg_hi:[0,1]
	v_mov_b32_e32 v61, v66
	v_sub_f32_e32 v15, v64, v68
	v_pk_add_f32 v[60:61], v[60:61], v[68:69] neg_lo:[0,1] neg_hi:[0,1]
	v_sub_f32_e32 v15, v70, v15
	v_add_f32_e32 v15, v60, v15
	v_add_f32_e32 v15, v15, v61
	;; [unrolled: 1-line block ×3, first 2 shown]
	v_cndmask_b32_e32 v15, v58, v15, vcc
	v_cmp_lt_f32_e64 vcc, |v17|, s69
	s_nop 1
	v_cndmask_b32_e32 v15, v15, v17, vcc
	v_add_f32_e32 v17, v10, v15
.LBB153_155:                            ;   in Loop: Header=BB153_139 Depth=1
	s_or_b64 exec, exec, s[38:39]
	v_mov_b32_e32 v10, v17
	v_mov_b32_e32 v15, v17
.LBB153_156:                            ;   in Loop: Header=BB153_139 Depth=1
	s_or_b64 exec, exec, s[58:59]
	s_waitcnt lgkmcnt(0)
	ds_bpermute_b32 v17, v49, v10
	v_cmp_le_u32_e32 vcc, v50, v16
	s_and_saveexec_b64 s[58:59], vcc
	s_cbranch_execz .LBB153_160
; %bb.157:                              ;   in Loop: Header=BB153_139 Depth=1
	v_max_f32_e32 v10, v15, v15
	s_waitcnt lgkmcnt(0)
	v_max_f32_e32 v60, v17, v17
	v_min_f32_e32 v59, v60, v10
	v_cmp_u_f32_e32 vcc, v17, v17
	v_max_f32_e32 v10, v60, v10
	v_cmp_u_f32_e64 s[38:39], v15, v15
	v_cndmask_b32_e32 v59, v59, v17, vcc
	v_cndmask_b32_e32 v10, v10, v17, vcc
	v_cndmask_b32_e64 v59, v59, v15, s[38:39]
	v_cndmask_b32_e64 v10, v10, v15, s[38:39]
	v_cmp_neq_f32_e32 vcc, v59, v10
	v_cmp_class_f32_e64 s[38:39], v59, s60
	s_or_b64 s[70:71], vcc, s[38:39]
	s_and_saveexec_b64 s[38:39], s[70:71]
	s_cbranch_execz .LBB153_159
; %bb.158:                              ;   in Loop: Header=BB153_139 Depth=1
	v_sub_f32_e32 v15, v59, v10
	v_mul_f32_e32 v17, 0x3fb8aa3b, v15
	v_fma_f32 v59, v15, s61, -v17
	v_rndne_f32_e32 v60, v17
	v_fmac_f32_e32 v59, 0x32a5705f, v15
	v_sub_f32_e32 v17, v17, v60
	v_add_f32_e32 v17, v17, v59
	v_cvt_i32_f32_e32 v59, v60
	v_exp_f32_e32 v17, v17
	v_cmp_ngt_f32_e32 vcc, s64, v15
	v_ldexp_f32 v17, v17, v59
	s_nop 0
	v_cndmask_b32_e32 v17, 0, v17, vcc
	v_cmp_nlt_f32_e32 vcc, s65, v15
	s_nop 1
	v_cndmask_b32_e32 v17, v58, v17, vcc
	v_add_f32_e32 v15, 1.0, v17
	v_add_f32_e32 v59, -1.0, v15
	v_sub_f32_e32 v60, v59, v15
	v_add_f32_e32 v60, 1.0, v60
	v_sub_f32_e32 v59, v17, v59
	v_add_f32_e32 v59, v59, v60
	v_frexp_mant_f32_e32 v62, v15
	v_cvt_f64_f32_e32 v[60:61], v15
	v_frexp_exp_i32_f64_e32 v60, v[60:61]
	v_cmp_gt_f32_e32 vcc, s67, v62
	s_nop 1
	v_subbrev_co_u32_e32 v68, vcc, 0, v60, vcc
	v_sub_u32_e32 v60, 0, v68
	v_ldexp_f32 v15, v15, v60
	v_ldexp_f32 v59, v59, v60
	v_add_f32_e32 v60, -1.0, v15
	v_add_f32_e32 v61, 1.0, v60
	v_sub_f32_e32 v61, v15, v61
	v_add_f32_e32 v62, v59, v61
	v_add_f32_e32 v61, 1.0, v15
	v_add_f32_e32 v63, -1.0, v61
	v_sub_f32_e32 v15, v15, v63
	v_add_f32_e32 v15, v59, v15
	v_add_f32_e32 v59, v61, v15
	v_rcp_f32_e32 v69, v59
	v_sub_f32_e32 v61, v61, v59
	v_add_f32_e32 v15, v15, v61
	v_add_f32_e32 v61, v60, v62
	v_sub_f32_e32 v60, v60, v61
	v_mul_f32_e32 v71, v61, v69
	v_add_f32_e32 v70, v62, v60
	v_mul_f32_e32 v62, v59, v71
	v_fma_f32 v64, v71, v59, -v62
	v_fmac_f32_e32 v64, v71, v15
	v_add_f32_e32 v60, v62, v64
	v_sub_f32_e32 v63, v61, v60
	v_pk_add_f32 v[66:67], v[60:61], v[62:63] neg_lo:[0,1] neg_hi:[0,1]
	v_mov_b32_e32 v65, v60
	v_pk_add_f32 v[60:61], v[66:67], v[64:65] neg_lo:[0,1] neg_hi:[0,1]
	v_cmp_neq_f32_e32 vcc, s66, v17
	v_add_f32_e32 v61, v70, v61
	v_add_f32_e32 v60, v60, v61
	v_add_f32_e32 v61, v63, v60
	v_mul_f32_e32 v70, v69, v61
	v_mul_f32_e32 v62, v59, v70
	v_fma_f32 v64, v70, v59, -v62
	v_fmac_f32_e32 v64, v70, v15
	v_sub_f32_e32 v15, v63, v61
	v_add_f32_e32 v15, v60, v15
	v_add_f32_e32 v60, v62, v64
	v_sub_f32_e32 v63, v61, v60
	v_pk_add_f32 v[66:67], v[60:61], v[62:63] neg_lo:[0,1] neg_hi:[0,1]
	v_mov_b32_e32 v65, v60
	v_pk_add_f32 v[60:61], v[66:67], v[64:65] neg_lo:[0,1] neg_hi:[0,1]
	v_add_f32_e32 v59, v71, v70
	v_add_f32_e32 v15, v15, v61
	;; [unrolled: 1-line block ×4, first 2 shown]
	v_sub_f32_e32 v60, v59, v71
	v_mul_f32_e32 v15, v69, v15
	v_sub_f32_e32 v60, v70, v60
	v_add_f32_e32 v61, v60, v15
	v_add_f32_e32 v62, v59, v61
	v_cvt_f32_i32_e32 v60, v68
	v_mul_f32_e32 v64, v62, v62
	v_fmamk_f32 v15, v64, 0x3e9b6dac, v56
	v_sub_f32_e32 v59, v62, v59
	v_fmaak_f32 v15, v64, v15, 0x3f2aaada
	v_sub_f32_e32 v59, v61, v59
	v_mul_f32_e32 v61, v62, v64
	v_pk_mul_f32 v[64:65], v[60:61], v[14:15]
	v_ldexp_f32 v63, v62, 1
	v_fma_f32 v62, v60, s68, -v64
	v_fmac_f32_e32 v62, 0xb102e308, v60
	v_pk_add_f32 v[60:61], v[64:65], v[62:63]
	v_ldexp_f32 v59, v59, 1
	v_sub_f32_e32 v15, v61, v63
	v_sub_f32_e32 v15, v65, v15
	v_add_f32_e32 v67, v59, v15
	v_mov_b32_e32 v66, v64
	v_pk_add_f32 v[64:65], v[60:61], v[64:65] neg_lo:[0,1] neg_hi:[0,1]
	v_pk_add_f32 v[68:69], v[60:61], v[66:67]
	v_mov_b32_e32 v63, v60
	v_mov_b32_e32 v65, v69
	v_pk_add_f32 v[70:71], v[62:63], v[64:65] neg_lo:[0,1] neg_hi:[0,1]
	v_pk_add_f32 v[62:63], v[62:63], v[64:65]
	v_mov_b32_e32 v66, v67
	v_pk_add_f32 v[64:65], v[62:63], v[60:61] op_sel:[1,0] op_sel_hi:[0,1] neg_lo:[0,1] neg_hi:[0,1]
	v_pk_add_f32 v[72:73], v[68:69], v[64:65] op_sel_hi:[1,0] neg_lo:[0,1] neg_hi:[0,1]
	v_mov_b32_e32 v68, v69
	v_mov_b32_e32 v69, v63
	v_pk_mov_b32 v[64:65], v[60:61], v[64:65] op_sel:[1,0]
	v_mov_b32_e32 v67, v60
	v_pk_add_f32 v[64:65], v[68:69], v[64:65] neg_lo:[0,1] neg_hi:[0,1]
	v_mov_b32_e32 v72, v70
	v_pk_add_f32 v[60:61], v[66:67], v[64:65] neg_lo:[0,1] neg_hi:[0,1]
	v_mov_b32_e32 v71, v63
	v_pk_add_f32 v[64:65], v[72:73], v[60:61]
	s_nop 0
	v_pk_add_f32 v[66:67], v[64:65], v[64:65] op_sel:[0,1] op_sel_hi:[1,0]
	s_nop 0
	v_pk_add_f32 v[62:63], v[62:63], v[66:67] op_sel:[1,0] op_sel_hi:[0,1]
	v_mov_b32_e32 v65, v62
	v_pk_add_f32 v[68:69], v[64:65], v[70:71] neg_lo:[0,1] neg_hi:[0,1]
	v_mov_b32_e32 v61, v66
	v_sub_f32_e32 v15, v64, v68
	v_pk_add_f32 v[60:61], v[60:61], v[68:69] neg_lo:[0,1] neg_hi:[0,1]
	v_sub_f32_e32 v15, v70, v15
	v_add_f32_e32 v15, v60, v15
	v_add_f32_e32 v15, v15, v61
	;; [unrolled: 1-line block ×3, first 2 shown]
	v_cndmask_b32_e32 v15, v58, v15, vcc
	v_cmp_lt_f32_e64 vcc, |v17|, s69
	s_nop 1
	v_cndmask_b32_e32 v15, v15, v17, vcc
	v_add_f32_e32 v17, v10, v15
.LBB153_159:                            ;   in Loop: Header=BB153_139 Depth=1
	s_or_b64 exec, exec, s[38:39]
	v_mov_b32_e32 v10, v17
	v_mov_b32_e32 v15, v17
.LBB153_160:                            ;   in Loop: Header=BB153_139 Depth=1
	s_or_b64 exec, exec, s[58:59]
	s_waitcnt lgkmcnt(0)
	ds_bpermute_b32 v17, v51, v10
	v_cmp_le_u32_e32 vcc, v52, v16
	s_and_saveexec_b64 s[58:59], vcc
	s_cbranch_execz .LBB153_164
; %bb.161:                              ;   in Loop: Header=BB153_139 Depth=1
	v_max_f32_e32 v10, v15, v15
	s_waitcnt lgkmcnt(0)
	v_max_f32_e32 v60, v17, v17
	v_min_f32_e32 v59, v60, v10
	v_cmp_u_f32_e32 vcc, v17, v17
	v_max_f32_e32 v10, v60, v10
	v_cmp_u_f32_e64 s[38:39], v15, v15
	v_cndmask_b32_e32 v59, v59, v17, vcc
	v_cndmask_b32_e32 v10, v10, v17, vcc
	v_cndmask_b32_e64 v59, v59, v15, s[38:39]
	v_cndmask_b32_e64 v10, v10, v15, s[38:39]
	v_cmp_neq_f32_e32 vcc, v59, v10
	v_cmp_class_f32_e64 s[38:39], v59, s60
	s_or_b64 s[70:71], vcc, s[38:39]
	s_and_saveexec_b64 s[38:39], s[70:71]
	s_cbranch_execz .LBB153_163
; %bb.162:                              ;   in Loop: Header=BB153_139 Depth=1
	v_sub_f32_e32 v15, v59, v10
	v_mul_f32_e32 v17, 0x3fb8aa3b, v15
	v_fma_f32 v59, v15, s61, -v17
	v_rndne_f32_e32 v60, v17
	v_fmac_f32_e32 v59, 0x32a5705f, v15
	v_sub_f32_e32 v17, v17, v60
	v_add_f32_e32 v17, v17, v59
	v_cvt_i32_f32_e32 v59, v60
	v_exp_f32_e32 v17, v17
	v_cmp_ngt_f32_e32 vcc, s64, v15
	v_ldexp_f32 v17, v17, v59
	s_nop 0
	v_cndmask_b32_e32 v17, 0, v17, vcc
	v_cmp_nlt_f32_e32 vcc, s65, v15
	s_nop 1
	v_cndmask_b32_e32 v17, v58, v17, vcc
	v_add_f32_e32 v15, 1.0, v17
	v_add_f32_e32 v59, -1.0, v15
	v_sub_f32_e32 v60, v59, v15
	v_add_f32_e32 v60, 1.0, v60
	v_sub_f32_e32 v59, v17, v59
	v_add_f32_e32 v59, v59, v60
	v_frexp_mant_f32_e32 v62, v15
	v_cvt_f64_f32_e32 v[60:61], v15
	v_frexp_exp_i32_f64_e32 v60, v[60:61]
	v_cmp_gt_f32_e32 vcc, s67, v62
	s_nop 1
	v_subbrev_co_u32_e32 v68, vcc, 0, v60, vcc
	v_sub_u32_e32 v60, 0, v68
	v_ldexp_f32 v15, v15, v60
	v_ldexp_f32 v59, v59, v60
	v_add_f32_e32 v60, -1.0, v15
	v_add_f32_e32 v61, 1.0, v60
	v_sub_f32_e32 v61, v15, v61
	v_add_f32_e32 v62, v59, v61
	v_add_f32_e32 v61, 1.0, v15
	v_add_f32_e32 v63, -1.0, v61
	v_sub_f32_e32 v15, v15, v63
	v_add_f32_e32 v15, v59, v15
	v_add_f32_e32 v59, v61, v15
	v_rcp_f32_e32 v69, v59
	v_sub_f32_e32 v61, v61, v59
	v_add_f32_e32 v15, v15, v61
	v_add_f32_e32 v61, v60, v62
	v_sub_f32_e32 v60, v60, v61
	v_mul_f32_e32 v71, v61, v69
	v_add_f32_e32 v70, v62, v60
	v_mul_f32_e32 v62, v59, v71
	v_fma_f32 v64, v71, v59, -v62
	v_fmac_f32_e32 v64, v71, v15
	v_add_f32_e32 v60, v62, v64
	v_sub_f32_e32 v63, v61, v60
	v_pk_add_f32 v[66:67], v[60:61], v[62:63] neg_lo:[0,1] neg_hi:[0,1]
	v_mov_b32_e32 v65, v60
	v_pk_add_f32 v[60:61], v[66:67], v[64:65] neg_lo:[0,1] neg_hi:[0,1]
	v_cmp_neq_f32_e32 vcc, s66, v17
	v_add_f32_e32 v61, v70, v61
	v_add_f32_e32 v60, v60, v61
	;; [unrolled: 1-line block ×3, first 2 shown]
	v_mul_f32_e32 v70, v69, v61
	v_mul_f32_e32 v62, v59, v70
	v_fma_f32 v64, v70, v59, -v62
	v_fmac_f32_e32 v64, v70, v15
	v_sub_f32_e32 v15, v63, v61
	v_add_f32_e32 v15, v60, v15
	v_add_f32_e32 v60, v62, v64
	v_sub_f32_e32 v63, v61, v60
	v_pk_add_f32 v[66:67], v[60:61], v[62:63] neg_lo:[0,1] neg_hi:[0,1]
	v_mov_b32_e32 v65, v60
	v_pk_add_f32 v[60:61], v[66:67], v[64:65] neg_lo:[0,1] neg_hi:[0,1]
	v_add_f32_e32 v59, v71, v70
	v_add_f32_e32 v15, v15, v61
	;; [unrolled: 1-line block ×4, first 2 shown]
	v_sub_f32_e32 v60, v59, v71
	v_mul_f32_e32 v15, v69, v15
	v_sub_f32_e32 v60, v70, v60
	v_add_f32_e32 v61, v60, v15
	v_add_f32_e32 v62, v59, v61
	v_cvt_f32_i32_e32 v60, v68
	v_mul_f32_e32 v64, v62, v62
	v_fmamk_f32 v15, v64, 0x3e9b6dac, v56
	v_sub_f32_e32 v59, v62, v59
	v_fmaak_f32 v15, v64, v15, 0x3f2aaada
	v_sub_f32_e32 v59, v61, v59
	v_mul_f32_e32 v61, v62, v64
	v_pk_mul_f32 v[64:65], v[60:61], v[14:15]
	v_ldexp_f32 v63, v62, 1
	v_fma_f32 v62, v60, s68, -v64
	v_fmac_f32_e32 v62, 0xb102e308, v60
	v_pk_add_f32 v[60:61], v[64:65], v[62:63]
	v_ldexp_f32 v59, v59, 1
	v_sub_f32_e32 v15, v61, v63
	v_sub_f32_e32 v15, v65, v15
	v_add_f32_e32 v67, v59, v15
	v_mov_b32_e32 v66, v64
	v_pk_add_f32 v[64:65], v[60:61], v[64:65] neg_lo:[0,1] neg_hi:[0,1]
	v_pk_add_f32 v[68:69], v[60:61], v[66:67]
	v_mov_b32_e32 v63, v60
	v_mov_b32_e32 v65, v69
	v_pk_add_f32 v[70:71], v[62:63], v[64:65] neg_lo:[0,1] neg_hi:[0,1]
	v_pk_add_f32 v[62:63], v[62:63], v[64:65]
	v_mov_b32_e32 v66, v67
	v_pk_add_f32 v[64:65], v[62:63], v[60:61] op_sel:[1,0] op_sel_hi:[0,1] neg_lo:[0,1] neg_hi:[0,1]
	v_pk_add_f32 v[72:73], v[68:69], v[64:65] op_sel_hi:[1,0] neg_lo:[0,1] neg_hi:[0,1]
	v_mov_b32_e32 v68, v69
	v_mov_b32_e32 v69, v63
	v_pk_mov_b32 v[64:65], v[60:61], v[64:65] op_sel:[1,0]
	v_mov_b32_e32 v67, v60
	v_pk_add_f32 v[64:65], v[68:69], v[64:65] neg_lo:[0,1] neg_hi:[0,1]
	v_mov_b32_e32 v72, v70
	v_pk_add_f32 v[60:61], v[66:67], v[64:65] neg_lo:[0,1] neg_hi:[0,1]
	v_mov_b32_e32 v71, v63
	v_pk_add_f32 v[64:65], v[72:73], v[60:61]
	s_nop 0
	v_pk_add_f32 v[66:67], v[64:65], v[64:65] op_sel:[0,1] op_sel_hi:[1,0]
	s_nop 0
	v_pk_add_f32 v[62:63], v[62:63], v[66:67] op_sel:[1,0] op_sel_hi:[0,1]
	v_mov_b32_e32 v65, v62
	v_pk_add_f32 v[68:69], v[64:65], v[70:71] neg_lo:[0,1] neg_hi:[0,1]
	v_mov_b32_e32 v61, v66
	v_sub_f32_e32 v15, v64, v68
	v_pk_add_f32 v[60:61], v[60:61], v[68:69] neg_lo:[0,1] neg_hi:[0,1]
	v_sub_f32_e32 v15, v70, v15
	v_add_f32_e32 v15, v60, v15
	v_add_f32_e32 v15, v15, v61
	;; [unrolled: 1-line block ×3, first 2 shown]
	v_cndmask_b32_e32 v15, v58, v15, vcc
	v_cmp_lt_f32_e64 vcc, |v17|, s69
	s_nop 1
	v_cndmask_b32_e32 v15, v15, v17, vcc
	v_add_f32_e32 v17, v10, v15
.LBB153_163:                            ;   in Loop: Header=BB153_139 Depth=1
	s_or_b64 exec, exec, s[38:39]
	v_mov_b32_e32 v10, v17
	v_mov_b32_e32 v15, v17
.LBB153_164:                            ;   in Loop: Header=BB153_139 Depth=1
	s_or_b64 exec, exec, s[58:59]
	s_waitcnt lgkmcnt(0)
	ds_bpermute_b32 v17, v53, v10
	v_cmp_le_u32_e32 vcc, v55, v16
	s_and_saveexec_b64 s[58:59], vcc
	s_cbranch_execz .LBB153_168
; %bb.165:                              ;   in Loop: Header=BB153_139 Depth=1
	v_max_f32_e32 v10, v15, v15
	s_waitcnt lgkmcnt(0)
	v_max_f32_e32 v59, v17, v17
	v_min_f32_e32 v16, v59, v10
	v_cmp_u_f32_e32 vcc, v17, v17
	v_max_f32_e32 v10, v59, v10
	v_cmp_u_f32_e64 s[38:39], v15, v15
	v_cndmask_b32_e32 v16, v16, v17, vcc
	v_cndmask_b32_e32 v10, v10, v17, vcc
	v_cndmask_b32_e64 v16, v16, v15, s[38:39]
	v_cndmask_b32_e64 v10, v10, v15, s[38:39]
	v_cmp_neq_f32_e32 vcc, v16, v10
	v_cmp_class_f32_e64 s[38:39], v16, s60
	s_or_b64 s[70:71], vcc, s[38:39]
	s_and_saveexec_b64 s[38:39], s[70:71]
	s_cbranch_execz .LBB153_167
; %bb.166:                              ;   in Loop: Header=BB153_139 Depth=1
	v_sub_f32_e32 v15, v16, v10
	v_mul_f32_e32 v16, 0x3fb8aa3b, v15
	v_fma_f32 v17, v15, s61, -v16
	v_rndne_f32_e32 v59, v16
	v_fmac_f32_e32 v17, 0x32a5705f, v15
	v_sub_f32_e32 v16, v16, v59
	v_add_f32_e32 v16, v16, v17
	v_cvt_i32_f32_e32 v17, v59
	v_exp_f32_e32 v16, v16
	v_cmp_ngt_f32_e32 vcc, s64, v15
	v_ldexp_f32 v16, v16, v17
	s_nop 0
	v_cndmask_b32_e32 v16, 0, v16, vcc
	v_cmp_nlt_f32_e32 vcc, s65, v15
	s_nop 1
	v_cndmask_b32_e32 v59, v58, v16, vcc
	v_add_f32_e32 v15, 1.0, v59
	v_add_f32_e32 v16, -1.0, v15
	v_sub_f32_e32 v17, v16, v15
	v_add_f32_e32 v17, 1.0, v17
	v_sub_f32_e32 v16, v59, v16
	v_add_f32_e32 v60, v16, v17
	v_frexp_mant_f32_e32 v61, v15
	v_cvt_f64_f32_e32 v[16:17], v15
	v_frexp_exp_i32_f64_e32 v16, v[16:17]
	v_cmp_gt_f32_e32 vcc, s67, v61
	s_nop 1
	v_subbrev_co_u32_e32 v66, vcc, 0, v16, vcc
	v_sub_u32_e32 v16, 0, v66
	v_ldexp_f32 v15, v15, v16
	v_ldexp_f32 v16, v60, v16
	v_add_f32_e32 v60, -1.0, v15
	v_add_f32_e32 v17, 1.0, v60
	v_sub_f32_e32 v17, v15, v17
	v_add_f32_e32 v61, v16, v17
	v_add_f32_e32 v17, 1.0, v15
	v_add_f32_e32 v62, -1.0, v17
	v_sub_f32_e32 v15, v15, v62
	v_add_f32_e32 v15, v16, v15
	v_add_f32_e32 v67, v17, v15
	v_rcp_f32_e32 v68, v67
	v_sub_f32_e32 v16, v17, v67
	v_add_f32_e32 v17, v60, v61
	v_add_f32_e32 v15, v15, v16
	v_mul_f32_e32 v70, v17, v68
	v_sub_f32_e32 v16, v60, v17
	v_mul_f32_e32 v60, v67, v70
	v_fma_f32 v62, v70, v67, -v60
	v_fmac_f32_e32 v62, v70, v15
	v_add_f32_e32 v69, v61, v16
	v_add_f32_e32 v16, v60, v62
	v_sub_f32_e32 v61, v17, v16
	v_pk_add_f32 v[64:65], v[16:17], v[60:61] neg_lo:[0,1] neg_hi:[0,1]
	v_mov_b32_e32 v63, v16
	v_pk_add_f32 v[16:17], v[64:65], v[62:63] neg_lo:[0,1] neg_hi:[0,1]
	v_cmp_neq_f32_e32 vcc, s66, v59
	v_add_f32_e32 v17, v69, v17
	v_add_f32_e32 v16, v16, v17
	;; [unrolled: 1-line block ×3, first 2 shown]
	v_mul_f32_e32 v69, v68, v17
	v_mul_f32_e32 v60, v67, v69
	v_fma_f32 v62, v69, v67, -v60
	v_fmac_f32_e32 v62, v69, v15
	v_sub_f32_e32 v15, v61, v17
	v_add_f32_e32 v15, v16, v15
	v_add_f32_e32 v16, v60, v62
	v_sub_f32_e32 v61, v17, v16
	v_pk_add_f32 v[64:65], v[16:17], v[60:61] neg_lo:[0,1] neg_hi:[0,1]
	v_mov_b32_e32 v63, v16
	v_pk_add_f32 v[16:17], v[64:65], v[62:63] neg_lo:[0,1] neg_hi:[0,1]
	s_nop 0
	v_add_f32_e32 v15, v15, v17
	v_add_f32_e32 v15, v16, v15
	;; [unrolled: 1-line block ×4, first 2 shown]
	v_sub_f32_e32 v16, v17, v70
	v_mul_f32_e32 v15, v68, v15
	v_sub_f32_e32 v16, v69, v16
	v_add_f32_e32 v60, v16, v15
	v_add_f32_e32 v62, v17, v60
	v_cvt_f32_i32_e32 v16, v66
	v_mul_f32_e32 v63, v62, v62
	v_sub_f32_e32 v17, v62, v17
	v_fmamk_f32 v15, v63, 0x3e9b6dac, v56
	v_sub_f32_e32 v17, v60, v17
	v_fmaak_f32 v15, v63, v15, 0x3f2aaada
	v_ldexp_f32 v64, v17, 1
	v_mul_f32_e32 v17, v62, v63
	v_ldexp_f32 v61, v62, 1
	v_pk_mul_f32 v[62:63], v[16:17], v[14:15]
	s_nop 0
	v_fma_f32 v60, v16, s68, -v62
	v_fmac_f32_e32 v60, 0xb102e308, v16
	v_pk_add_f32 v[16:17], v[62:63], v[60:61]
	s_nop 0
	v_sub_f32_e32 v15, v17, v61
	v_sub_f32_e32 v15, v63, v15
	v_add_f32_e32 v65, v64, v15
	v_mov_b32_e32 v64, v62
	v_pk_add_f32 v[62:63], v[16:17], v[62:63] neg_lo:[0,1] neg_hi:[0,1]
	v_pk_add_f32 v[66:67], v[16:17], v[64:65]
	v_mov_b32_e32 v61, v16
	v_mov_b32_e32 v63, v67
	v_pk_add_f32 v[68:69], v[60:61], v[62:63] neg_lo:[0,1] neg_hi:[0,1]
	v_pk_add_f32 v[60:61], v[60:61], v[62:63]
	v_mov_b32_e32 v64, v65
	v_pk_add_f32 v[62:63], v[60:61], v[16:17] op_sel:[1,0] op_sel_hi:[0,1] neg_lo:[0,1] neg_hi:[0,1]
	v_pk_add_f32 v[70:71], v[66:67], v[62:63] op_sel_hi:[1,0] neg_lo:[0,1] neg_hi:[0,1]
	v_mov_b32_e32 v66, v67
	v_mov_b32_e32 v67, v61
	v_pk_mov_b32 v[62:63], v[16:17], v[62:63] op_sel:[1,0]
	v_mov_b32_e32 v65, v16
	v_pk_add_f32 v[62:63], v[66:67], v[62:63] neg_lo:[0,1] neg_hi:[0,1]
	v_mov_b32_e32 v70, v68
	v_pk_add_f32 v[16:17], v[64:65], v[62:63] neg_lo:[0,1] neg_hi:[0,1]
	v_mov_b32_e32 v69, v61
	v_pk_add_f32 v[62:63], v[70:71], v[16:17]
	s_nop 0
	v_pk_add_f32 v[64:65], v[62:63], v[62:63] op_sel:[0,1] op_sel_hi:[1,0]
	s_nop 0
	v_pk_add_f32 v[60:61], v[60:61], v[64:65] op_sel:[1,0] op_sel_hi:[0,1]
	v_mov_b32_e32 v63, v60
	v_pk_add_f32 v[66:67], v[62:63], v[68:69] neg_lo:[0,1] neg_hi:[0,1]
	v_mov_b32_e32 v17, v64
	v_sub_f32_e32 v15, v62, v66
	v_pk_add_f32 v[16:17], v[16:17], v[66:67] neg_lo:[0,1] neg_hi:[0,1]
	v_sub_f32_e32 v15, v68, v15
	v_add_f32_e32 v15, v16, v15
	v_add_f32_e32 v15, v15, v17
	v_add_f32_e32 v15, v60, v15
	v_cndmask_b32_e32 v15, v58, v15, vcc
	v_cmp_lt_f32_e64 vcc, |v59|, s69
	s_nop 1
	v_cndmask_b32_e32 v15, v15, v59, vcc
	v_add_f32_e32 v17, v10, v15
.LBB153_167:                            ;   in Loop: Header=BB153_139 Depth=1
	s_or_b64 exec, exec, s[38:39]
	v_mov_b32_e32 v15, v17
.LBB153_168:                            ;   in Loop: Header=BB153_139 Depth=1
	s_or_b64 exec, exec, s[58:59]
	v_max_f32_e32 v10, v54, v54
	s_waitcnt lgkmcnt(0)
	v_max_f32_e32 v17, v15, v15
	v_min_f32_e32 v16, v17, v10
	v_cmp_u_f32_e32 vcc, v15, v15
	v_max_f32_e32 v10, v17, v10
	v_cmp_u_f32_e64 s[38:39], v54, v54
	v_cndmask_b32_e32 v16, v16, v15, vcc
	v_cndmask_b32_e32 v10, v10, v15, vcc
	v_cndmask_b32_e64 v16, v16, v54, s[38:39]
	v_cndmask_b32_e64 v10, v10, v54, s[38:39]
	v_cmp_neq_f32_e32 vcc, v16, v10
	v_cmp_class_f32_e64 s[38:39], v16, s60
	s_or_b64 s[38:39], vcc, s[38:39]
	s_and_saveexec_b64 s[58:59], s[38:39]
	s_xor_b64 s[38:39], exec, s[58:59]
	s_cbranch_execz .LBB153_137
; %bb.169:                              ;   in Loop: Header=BB153_139 Depth=1
	v_sub_f32_e32 v15, v16, v10
	v_mul_f32_e32 v16, 0x3fb8aa3b, v15
	v_fma_f32 v17, v15, s61, -v16
	v_rndne_f32_e32 v59, v16
	v_fmac_f32_e32 v17, 0x32a5705f, v15
	v_sub_f32_e32 v16, v16, v59
	v_add_f32_e32 v16, v16, v17
	v_cvt_i32_f32_e32 v17, v59
	v_exp_f32_e32 v16, v16
	v_cmp_ngt_f32_e32 vcc, s64, v15
	v_ldexp_f32 v16, v16, v17
	s_nop 0
	v_cndmask_b32_e32 v16, 0, v16, vcc
	v_cmp_nlt_f32_e32 vcc, s65, v15
	s_nop 1
	v_cndmask_b32_e32 v59, v58, v16, vcc
	v_add_f32_e32 v15, 1.0, v59
	v_add_f32_e32 v16, -1.0, v15
	v_sub_f32_e32 v17, v16, v15
	v_add_f32_e32 v17, 1.0, v17
	v_sub_f32_e32 v16, v59, v16
	v_add_f32_e32 v60, v16, v17
	v_frexp_mant_f32_e32 v61, v15
	v_cvt_f64_f32_e32 v[16:17], v15
	v_frexp_exp_i32_f64_e32 v16, v[16:17]
	v_cmp_gt_f32_e32 vcc, s67, v61
	s_nop 1
	v_subbrev_co_u32_e32 v16, vcc, 0, v16, vcc
	v_sub_u32_e32 v17, 0, v16
	v_ldexp_f32 v15, v15, v17
	v_ldexp_f32 v17, v60, v17
	v_add_f32_e32 v60, -1.0, v15
	v_add_f32_e32 v63, 1.0, v15
	v_add_f32_e32 v61, 1.0, v60
	v_add_f32_e32 v64, -1.0, v63
	v_sub_f32_e32 v61, v15, v61
	v_sub_f32_e32 v15, v15, v64
	v_add_f32_e32 v15, v17, v15
	v_add_f32_e32 v61, v17, v61
	;; [unrolled: 1-line block ×3, first 2 shown]
	v_rcp_f32_e32 v64, v17
	v_add_f32_e32 v62, v60, v61
	v_sub_f32_e32 v60, v60, v62
	v_add_f32_e32 v60, v61, v60
	v_sub_f32_e32 v61, v63, v17
	v_add_f32_e32 v15, v15, v61
	v_mul_f32_e32 v61, v62, v64
	v_mul_f32_e32 v63, v17, v61
	v_fma_f32 v65, v61, v17, -v63
	v_fmac_f32_e32 v65, v61, v15
	v_add_f32_e32 v66, v63, v65
	v_sub_f32_e32 v67, v62, v66
	v_sub_f32_e32 v62, v62, v67
	;; [unrolled: 1-line block ×4, first 2 shown]
	v_add_f32_e32 v60, v60, v62
	v_sub_f32_e32 v62, v63, v65
	v_add_f32_e32 v60, v62, v60
	v_add_f32_e32 v62, v67, v60
	v_mul_f32_e32 v63, v64, v62
	v_mul_f32_e32 v65, v17, v63
	v_fma_f32 v17, v63, v17, -v65
	v_fmac_f32_e32 v17, v63, v15
	v_sub_f32_e32 v15, v67, v62
	v_add_f32_e32 v15, v60, v15
	v_add_f32_e32 v60, v65, v17
	v_sub_f32_e32 v66, v62, v60
	v_sub_f32_e32 v62, v62, v66
	;; [unrolled: 1-line block ×4, first 2 shown]
	v_add_f32_e32 v15, v15, v60
	v_sub_f32_e32 v17, v65, v17
	v_add_f32_e32 v15, v17, v15
	v_add_f32_e32 v17, v61, v63
	;; [unrolled: 1-line block ×3, first 2 shown]
	v_sub_f32_e32 v60, v17, v61
	v_mul_f32_e32 v15, v64, v15
	v_sub_f32_e32 v60, v63, v60
	v_add_f32_e32 v60, v60, v15
	v_add_f32_e32 v62, v17, v60
	v_cvt_f32_i32_e32 v16, v16
	v_mul_f32_e32 v63, v62, v62
	v_sub_f32_e32 v17, v62, v17
	v_fmamk_f32 v15, v63, 0x3e9b6dac, v56
	v_sub_f32_e32 v17, v60, v17
	v_fmaak_f32 v15, v63, v15, 0x3f2aaada
	v_ldexp_f32 v64, v17, 1
	v_mul_f32_e32 v17, v62, v63
	v_ldexp_f32 v61, v62, 1
	v_pk_mul_f32 v[62:63], v[16:17], v[14:15]
	v_cmp_neq_f32_e32 vcc, s66, v59
	v_fma_f32 v60, v16, s68, -v62
	v_fmac_f32_e32 v60, 0xb102e308, v16
	v_pk_add_f32 v[16:17], v[62:63], v[60:61]
	s_nop 0
	v_sub_f32_e32 v15, v17, v61
	v_sub_f32_e32 v15, v63, v15
	v_add_f32_e32 v65, v64, v15
	v_mov_b32_e32 v64, v62
	v_pk_add_f32 v[62:63], v[16:17], v[62:63] neg_lo:[0,1] neg_hi:[0,1]
	v_pk_add_f32 v[66:67], v[16:17], v[64:65]
	v_mov_b32_e32 v61, v16
	v_mov_b32_e32 v63, v67
	v_pk_add_f32 v[68:69], v[60:61], v[62:63] neg_lo:[0,1] neg_hi:[0,1]
	v_pk_add_f32 v[60:61], v[60:61], v[62:63]
	v_mov_b32_e32 v64, v65
	v_pk_add_f32 v[62:63], v[60:61], v[16:17] op_sel:[1,0] op_sel_hi:[0,1] neg_lo:[0,1] neg_hi:[0,1]
	v_pk_add_f32 v[70:71], v[66:67], v[62:63] op_sel_hi:[1,0] neg_lo:[0,1] neg_hi:[0,1]
	v_mov_b32_e32 v66, v67
	v_mov_b32_e32 v67, v61
	v_pk_mov_b32 v[62:63], v[16:17], v[62:63] op_sel:[1,0]
	v_mov_b32_e32 v65, v16
	v_pk_add_f32 v[62:63], v[66:67], v[62:63] neg_lo:[0,1] neg_hi:[0,1]
	v_mov_b32_e32 v70, v68
	v_pk_add_f32 v[16:17], v[64:65], v[62:63] neg_lo:[0,1] neg_hi:[0,1]
	v_mov_b32_e32 v69, v61
	v_pk_add_f32 v[62:63], v[70:71], v[16:17]
	s_nop 0
	v_pk_add_f32 v[64:65], v[62:63], v[62:63] op_sel:[0,1] op_sel_hi:[1,0]
	s_nop 0
	v_pk_add_f32 v[60:61], v[60:61], v[64:65] op_sel:[1,0] op_sel_hi:[0,1]
	v_mov_b32_e32 v63, v60
	v_pk_add_f32 v[66:67], v[62:63], v[68:69] neg_lo:[0,1] neg_hi:[0,1]
	v_mov_b32_e32 v17, v64
	v_sub_f32_e32 v15, v62, v66
	v_pk_add_f32 v[16:17], v[16:17], v[66:67] neg_lo:[0,1] neg_hi:[0,1]
	v_sub_f32_e32 v15, v68, v15
	v_add_f32_e32 v15, v16, v15
	v_add_f32_e32 v15, v15, v17
	;; [unrolled: 1-line block ×3, first 2 shown]
	v_cndmask_b32_e32 v15, v58, v15, vcc
	v_cmp_lt_f32_e64 vcc, |v59|, s69
	s_nop 1
	v_cndmask_b32_e32 v15, v15, v59, vcc
	v_add_f32_e32 v15, v10, v15
	s_branch .LBB153_137
.LBB153_170:
                                        ; implicit-def: $vgpr6_vgpr7_vgpr8_vgpr9_vgpr10_vgpr11_vgpr12_vgpr13_vgpr14_vgpr15_vgpr16_vgpr17_vgpr18_vgpr19_vgpr20_vgpr21
	s_cbranch_execnz .LBB153_210
	s_branch .LBB153_313
.LBB153_171:
	s_and_saveexec_b64 s[38:39], s[36:37]
	s_cbranch_execz .LBB153_175
; %bb.172:
	v_max_f32_e32 v7, v6, v6
	v_max_f32_e32 v9, v54, v54
	v_min_f32_e32 v8, v9, v7
	v_cmp_u_f32_e32 vcc, v54, v54
	v_max_f32_e32 v7, v9, v7
	v_cmp_u_f32_e64 s[36:37], v6, v6
	v_cndmask_b32_e32 v8, v8, v54, vcc
	v_cndmask_b32_e32 v7, v7, v54, vcc
	v_cndmask_b32_e64 v8, v8, v6, s[36:37]
	v_cndmask_b32_e64 v7, v7, v6, s[36:37]
	s_movk_i32 s36, 0x1f8
	v_cmp_neq_f32_e32 vcc, v8, v7
	v_cmp_class_f32_e64 s[36:37], v8, s36
	s_or_b64 s[58:59], vcc, s[36:37]
	v_mov_b32_e32 v6, v54
	s_and_saveexec_b64 s[36:37], s[58:59]
	s_cbranch_execz .LBB153_174
; %bb.173:
	v_sub_f32_e32 v6, v8, v7
	s_mov_b32 s58, 0x3fb8aa3b
	v_mul_f32_e32 v8, 0x3fb8aa3b, v6
	v_fma_f32 v9, v6, s58, -v8
	s_waitcnt lgkmcnt(0)
	v_rndne_f32_e32 v10, v8
	v_fmamk_f32 v9, v6, 0x32a5705f, v9
	v_sub_f32_e32 v8, v8, v10
	v_add_f32_e32 v8, v8, v9
	v_exp_f32_e32 v8, v8
	v_cvt_i32_f32_e32 v9, v10
	s_mov_b32 s58, 0xc2ce8ed0
	v_cmp_ngt_f32_e32 vcc, s58, v6
	s_mov_b32 s58, 0x42b17218
	v_ldexp_f32 v8, v8, v9
	v_cndmask_b32_e32 v8, 0, v8, vcc
	v_mov_b32_e32 v48, 0x7f800000
	v_cmp_nlt_f32_e32 vcc, s58, v6
	s_mov_b32 s58, 0x3f2aaaab
	s_mov_b32 s59, 0x7f800000
	v_cndmask_b32_e32 v6, v48, v8, vcc
	v_add_f32_e32 v10, 1.0, v6
	v_add_f32_e32 v8, -1.0, v10
	v_sub_f32_e32 v9, v8, v10
	v_add_f32_e32 v9, 1.0, v9
	v_sub_f32_e32 v8, v6, v8
	v_add_f32_e32 v11, v8, v9
	v_frexp_mant_f32_e32 v12, v10
	v_cvt_f64_f32_e32 v[8:9], v10
	v_frexp_exp_i32_f64_e32 v8, v[8:9]
	v_cmp_gt_f32_e32 vcc, s58, v12
	s_mov_b32 s58, 0x3f317218
	s_nop 0
	v_subbrev_co_u32_e32 v16, vcc, 0, v8, vcc
	v_sub_u32_e32 v8, 0, v16
	v_ldexp_f32 v9, v10, v8
	v_add_f32_e32 v10, -1.0, v9
	v_add_f32_e32 v12, 1.0, v9
	v_ldexp_f32 v8, v11, v8
	v_add_f32_e32 v11, 1.0, v10
	v_add_f32_e32 v13, -1.0, v12
	v_sub_f32_e32 v11, v9, v11
	v_sub_f32_e32 v9, v9, v13
	v_add_f32_e32 v11, v8, v11
	v_add_f32_e32 v8, v8, v9
	;; [unrolled: 1-line block ×3, first 2 shown]
	v_rcp_f32_e32 v45, v17
	v_sub_f32_e32 v9, v12, v17
	v_add_f32_e32 v44, v8, v9
	v_add_f32_e32 v9, v10, v11
	v_mul_f32_e32 v47, v9, v45
	v_sub_f32_e32 v8, v10, v9
	v_mul_f32_e32 v10, v17, v47
	v_fma_f32 v12, v47, v17, -v10
	v_fmac_f32_e32 v12, v47, v44
	v_add_f32_e32 v46, v11, v8
	v_add_f32_e32 v8, v10, v12
	v_sub_f32_e32 v11, v9, v8
	v_pk_add_f32 v[14:15], v[8:9], v[10:11] neg_lo:[0,1] neg_hi:[0,1]
	v_mov_b32_e32 v13, v8
	v_pk_add_f32 v[8:9], v[14:15], v[12:13] neg_lo:[0,1] neg_hi:[0,1]
	v_cmp_neq_f32_e32 vcc, s59, v6
	v_add_f32_e32 v9, v46, v9
	v_add_f32_e32 v8, v8, v9
	;; [unrolled: 1-line block ×3, first 2 shown]
	v_mul_f32_e32 v46, v45, v9
	v_mul_f32_e32 v10, v17, v46
	v_fma_f32 v12, v46, v17, -v10
	v_fmac_f32_e32 v12, v46, v44
	v_sub_f32_e32 v11, v11, v9
	v_add_f32_e32 v17, v8, v11
	v_add_f32_e32 v8, v10, v12
	v_sub_f32_e32 v11, v9, v8
	v_pk_add_f32 v[14:15], v[8:9], v[10:11] neg_lo:[0,1] neg_hi:[0,1]
	v_mov_b32_e32 v13, v8
	v_pk_add_f32 v[8:9], v[14:15], v[12:13] neg_lo:[0,1] neg_hi:[0,1]
	v_cvt_f32_i32_e32 v10, v16
	v_add_f32_e32 v9, v17, v9
	v_add_f32_e32 v8, v8, v9
	;; [unrolled: 1-line block ×4, first 2 shown]
	v_sub_f32_e32 v9, v11, v47
	v_mul_f32_e32 v8, v45, v8
	v_sub_f32_e32 v9, v46, v9
	v_add_f32_e32 v8, v9, v8
	v_add_f32_e32 v12, v11, v8
	v_mul_f32_e32 v14, v12, v12
	v_mov_b32_e32 v9, 0x3ecc95a3
	v_sub_f32_e32 v11, v12, v11
	v_fmac_f32_e32 v9, 0x3e9b6dac, v14
	v_sub_f32_e32 v8, v8, v11
	v_fmaak_f32 v9, v14, v9, 0x3f2aaada
	v_ldexp_f32 v15, v8, 1
	v_mul_f32_e32 v11, v12, v14
	v_mov_b32_e32 v8, 0x3f317218
	v_pk_mul_f32 v[8:9], v[10:11], v[8:9]
	v_ldexp_f32 v13, v12, 1
	v_fma_f32 v11, v10, s58, -v8
	v_fmamk_f32 v12, v10, 0xb102e308, v11
	v_pk_add_f32 v[10:11], v[8:9], v[12:13]
	v_mov_b32_e32 v14, v8
	v_sub_f32_e32 v13, v11, v13
	v_sub_f32_e32 v13, v9, v13
	v_add_f32_e32 v15, v15, v13
	v_pk_add_f32 v[8:9], v[10:11], v[8:9] neg_lo:[0,1] neg_hi:[0,1]
	v_pk_add_f32 v[16:17], v[10:11], v[14:15]
	v_mov_b32_e32 v13, v10
	v_mov_b32_e32 v9, v17
	v_pk_add_f32 v[44:45], v[12:13], v[8:9] neg_lo:[0,1] neg_hi:[0,1]
	v_pk_add_f32 v[8:9], v[12:13], v[8:9]
	v_mov_b32_e32 v14, v15
	v_pk_add_f32 v[12:13], v[8:9], v[10:11] op_sel:[1,0] op_sel_hi:[0,1] neg_lo:[0,1] neg_hi:[0,1]
	v_pk_add_f32 v[46:47], v[16:17], v[12:13] op_sel_hi:[1,0] neg_lo:[0,1] neg_hi:[0,1]
	v_mov_b32_e32 v16, v17
	v_mov_b32_e32 v17, v9
	v_pk_mov_b32 v[12:13], v[10:11], v[12:13] op_sel:[1,0]
	v_mov_b32_e32 v15, v10
	v_pk_add_f32 v[12:13], v[16:17], v[12:13] neg_lo:[0,1] neg_hi:[0,1]
	v_mov_b32_e32 v46, v44
	v_pk_add_f32 v[10:11], v[14:15], v[12:13] neg_lo:[0,1] neg_hi:[0,1]
	v_mov_b32_e32 v45, v9
	v_pk_add_f32 v[12:13], v[46:47], v[10:11]
	s_mov_b32 s58, 0x33800000
	v_pk_add_f32 v[14:15], v[12:13], v[12:13] op_sel:[0,1] op_sel_hi:[1,0]
	s_nop 0
	v_pk_add_f32 v[8:9], v[8:9], v[14:15] op_sel:[1,0] op_sel_hi:[0,1]
	v_mov_b32_e32 v13, v8
	v_pk_add_f32 v[16:17], v[12:13], v[44:45] neg_lo:[0,1] neg_hi:[0,1]
	v_mov_b32_e32 v11, v14
	v_sub_f32_e32 v9, v12, v16
	v_pk_add_f32 v[10:11], v[10:11], v[16:17] neg_lo:[0,1] neg_hi:[0,1]
	v_sub_f32_e32 v9, v44, v9
	v_add_f32_e32 v9, v10, v9
	v_add_f32_e32 v9, v9, v11
	;; [unrolled: 1-line block ×3, first 2 shown]
	v_cndmask_b32_e32 v8, v48, v8, vcc
	v_cmp_lt_f32_e64 vcc, |v6|, s58
	s_nop 1
	v_cndmask_b32_e32 v6, v8, v6, vcc
	v_add_f32_e32 v6, v7, v6
.LBB153_174:
	s_or_b64 exec, exec, s[36:37]
	s_add_i32 s36, s63, 64
	s_mov_b32 s37, 0
	s_lshl_b64 s[36:37], s[36:37], 3
	s_add_u32 s36, s42, s36
	s_addc_u32 s37, s43, s37
	v_mov_b32_e32 v8, 0
	v_mov_b32_e32 v7, 2
	global_store_dwordx2 v8, v[6:7], s[36:37] sc1
.LBB153_175:
	s_or_b64 exec, exec, s[38:39]
	s_and_b64 exec, exec, s[4:5]
; %bb.176:
	v_mov_b32_e32 v6, 0
	ds_write_b32 v6, v54
.LBB153_177:
	s_or_b64 exec, exec, s[40:41]
	v_mov_b32_e32 v6, 0
	s_waitcnt lgkmcnt(0)
	s_barrier
	ds_read_b32 v6, v6
	v_mov_b32_e32 v7, v2
	s_and_saveexec_b64 s[36:37], s[2:3]
	s_cbranch_execz .LBB153_181
; %bb.178:
	v_max_f32_e32 v7, v43, v43
	v_min_f32_e32 v8, v7, v42
	v_cmp_u_f32_e32 vcc, v43, v43
	v_max_f32_e32 v7, v7, v42
	s_nop 0
	v_cndmask_b32_e32 v8, v8, v43, vcc
	v_cndmask_b32_e32 v7, v7, v43, vcc
	v_cndmask_b32_e64 v8, v8, v2, s[34:35]
	v_cndmask_b32_e64 v7, v7, v2, s[34:35]
	s_movk_i32 s34, 0x1f8
	v_cmp_neq_f32_e32 vcc, v8, v7
	v_cmp_class_f32_e64 s[34:35], v8, s34
	s_or_b64 s[38:39], vcc, s[34:35]
	s_and_saveexec_b64 s[34:35], s[38:39]
	s_cbranch_execz .LBB153_180
; %bb.179:
	v_sub_f32_e32 v8, v8, v7
	s_mov_b32 s38, 0x3fb8aa3b
	v_mul_f32_e32 v9, 0x3fb8aa3b, v8
	v_fma_f32 v10, v8, s38, -v9
	v_rndne_f32_e32 v11, v9
	v_fmamk_f32 v10, v8, 0x32a5705f, v10
	v_sub_f32_e32 v9, v9, v11
	v_add_f32_e32 v9, v9, v10
	v_exp_f32_e32 v9, v9
	v_cvt_i32_f32_e32 v10, v11
	s_mov_b32 s38, 0xc2ce8ed0
	v_cmp_ngt_f32_e32 vcc, s38, v8
	s_mov_b32 s38, 0x42b17218
	v_ldexp_f32 v9, v9, v10
	v_cndmask_b32_e32 v9, 0, v9, vcc
	v_mov_b32_e32 v46, 0x7f800000
	v_cmp_nlt_f32_e32 vcc, s38, v8
	s_mov_b32 s38, 0x3f2aaaab
	s_mov_b32 s39, 0x7f800000
	v_cndmask_b32_e32 v47, v46, v9, vcc
	v_add_f32_e32 v10, 1.0, v47
	v_add_f32_e32 v8, -1.0, v10
	v_sub_f32_e32 v9, v8, v10
	v_add_f32_e32 v9, 1.0, v9
	v_sub_f32_e32 v8, v47, v8
	v_add_f32_e32 v11, v8, v9
	v_frexp_mant_f32_e32 v12, v10
	v_cvt_f64_f32_e32 v[8:9], v10
	v_frexp_exp_i32_f64_e32 v8, v[8:9]
	v_cmp_gt_f32_e32 vcc, s38, v12
	s_mov_b32 s38, 0x3f317218
	s_nop 0
	v_subbrev_co_u32_e32 v16, vcc, 0, v8, vcc
	v_sub_u32_e32 v8, 0, v16
	v_ldexp_f32 v9, v10, v8
	v_add_f32_e32 v10, -1.0, v9
	v_add_f32_e32 v12, 1.0, v9
	v_ldexp_f32 v8, v11, v8
	v_add_f32_e32 v11, 1.0, v10
	v_add_f32_e32 v13, -1.0, v12
	v_sub_f32_e32 v11, v9, v11
	v_sub_f32_e32 v9, v9, v13
	v_add_f32_e32 v11, v8, v11
	v_add_f32_e32 v8, v8, v9
	;; [unrolled: 1-line block ×3, first 2 shown]
	v_rcp_f32_e32 v43, v17
	v_sub_f32_e32 v9, v12, v17
	v_add_f32_e32 v42, v8, v9
	v_add_f32_e32 v9, v10, v11
	v_mul_f32_e32 v45, v9, v43
	v_sub_f32_e32 v8, v10, v9
	v_mul_f32_e32 v10, v17, v45
	v_fma_f32 v12, v45, v17, -v10
	v_fmac_f32_e32 v12, v45, v42
	v_add_f32_e32 v44, v11, v8
	v_add_f32_e32 v8, v10, v12
	v_sub_f32_e32 v11, v9, v8
	v_pk_add_f32 v[14:15], v[8:9], v[10:11] neg_lo:[0,1] neg_hi:[0,1]
	v_mov_b32_e32 v13, v8
	v_pk_add_f32 v[8:9], v[14:15], v[12:13] neg_lo:[0,1] neg_hi:[0,1]
	v_cmp_neq_f32_e32 vcc, s39, v47
	v_add_f32_e32 v9, v44, v9
	v_add_f32_e32 v8, v8, v9
	;; [unrolled: 1-line block ×3, first 2 shown]
	v_mul_f32_e32 v44, v43, v9
	v_mul_f32_e32 v10, v17, v44
	v_fma_f32 v12, v44, v17, -v10
	v_fmac_f32_e32 v12, v44, v42
	v_sub_f32_e32 v11, v11, v9
	v_add_f32_e32 v17, v8, v11
	v_add_f32_e32 v8, v10, v12
	v_sub_f32_e32 v11, v9, v8
	v_pk_add_f32 v[14:15], v[8:9], v[10:11] neg_lo:[0,1] neg_hi:[0,1]
	v_mov_b32_e32 v13, v8
	v_pk_add_f32 v[8:9], v[14:15], v[12:13] neg_lo:[0,1] neg_hi:[0,1]
	v_cvt_f32_i32_e32 v10, v16
	v_add_f32_e32 v9, v17, v9
	v_add_f32_e32 v8, v8, v9
	;; [unrolled: 1-line block ×4, first 2 shown]
	v_sub_f32_e32 v9, v11, v45
	v_mul_f32_e32 v8, v43, v8
	v_sub_f32_e32 v9, v44, v9
	v_add_f32_e32 v8, v9, v8
	v_add_f32_e32 v12, v11, v8
	v_mul_f32_e32 v14, v12, v12
	v_mov_b32_e32 v9, 0x3ecc95a3
	v_sub_f32_e32 v11, v12, v11
	v_fmac_f32_e32 v9, 0x3e9b6dac, v14
	v_sub_f32_e32 v8, v8, v11
	v_fmaak_f32 v9, v14, v9, 0x3f2aaada
	v_ldexp_f32 v15, v8, 1
	v_mul_f32_e32 v11, v12, v14
	v_mov_b32_e32 v8, 0x3f317218
	v_pk_mul_f32 v[8:9], v[10:11], v[8:9]
	v_ldexp_f32 v13, v12, 1
	v_fma_f32 v11, v10, s38, -v8
	v_fmamk_f32 v12, v10, 0xb102e308, v11
	v_pk_add_f32 v[10:11], v[8:9], v[12:13]
	v_mov_b32_e32 v14, v8
	v_sub_f32_e32 v13, v11, v13
	v_sub_f32_e32 v13, v9, v13
	v_add_f32_e32 v15, v15, v13
	v_pk_add_f32 v[8:9], v[10:11], v[8:9] neg_lo:[0,1] neg_hi:[0,1]
	v_pk_add_f32 v[16:17], v[10:11], v[14:15]
	v_mov_b32_e32 v13, v10
	v_mov_b32_e32 v9, v17
	v_pk_add_f32 v[42:43], v[12:13], v[8:9] neg_lo:[0,1] neg_hi:[0,1]
	v_pk_add_f32 v[8:9], v[12:13], v[8:9]
	v_mov_b32_e32 v14, v15
	v_pk_add_f32 v[12:13], v[8:9], v[10:11] op_sel:[1,0] op_sel_hi:[0,1] neg_lo:[0,1] neg_hi:[0,1]
	v_pk_add_f32 v[44:45], v[16:17], v[12:13] op_sel_hi:[1,0] neg_lo:[0,1] neg_hi:[0,1]
	v_mov_b32_e32 v16, v17
	v_mov_b32_e32 v17, v9
	v_pk_mov_b32 v[12:13], v[10:11], v[12:13] op_sel:[1,0]
	v_mov_b32_e32 v15, v10
	v_pk_add_f32 v[12:13], v[16:17], v[12:13] neg_lo:[0,1] neg_hi:[0,1]
	v_mov_b32_e32 v44, v42
	v_pk_add_f32 v[10:11], v[14:15], v[12:13] neg_lo:[0,1] neg_hi:[0,1]
	v_mov_b32_e32 v43, v9
	v_pk_add_f32 v[12:13], v[44:45], v[10:11]
	s_mov_b32 s38, 0x33800000
	v_pk_add_f32 v[14:15], v[12:13], v[12:13] op_sel:[0,1] op_sel_hi:[1,0]
	s_nop 0
	v_pk_add_f32 v[8:9], v[8:9], v[14:15] op_sel:[1,0] op_sel_hi:[0,1]
	v_mov_b32_e32 v13, v8
	v_pk_add_f32 v[16:17], v[12:13], v[42:43] neg_lo:[0,1] neg_hi:[0,1]
	v_mov_b32_e32 v11, v14
	v_sub_f32_e32 v9, v12, v16
	v_pk_add_f32 v[10:11], v[10:11], v[16:17] neg_lo:[0,1] neg_hi:[0,1]
	v_sub_f32_e32 v9, v42, v9
	v_add_f32_e32 v9, v10, v9
	v_add_f32_e32 v9, v9, v11
	;; [unrolled: 1-line block ×3, first 2 shown]
	v_cndmask_b32_e32 v8, v46, v8, vcc
	v_cmp_lt_f32_e64 vcc, |v47|, s38
	s_nop 1
	v_cndmask_b32_e32 v8, v8, v47, vcc
	v_add_f32_e32 v43, v7, v8
.LBB153_180:
	s_or_b64 exec, exec, s[34:35]
	v_mov_b32_e32 v7, v43
.LBB153_181:
	s_or_b64 exec, exec, s[36:37]
	v_max_f32_e32 v9, v7, v7
	s_waitcnt lgkmcnt(0)
	v_max_f32_e32 v10, v6, v6
	v_min_f32_e32 v8, v10, v9
	v_cmp_u_f32_e32 vcc, v6, v6
	v_max_f32_e32 v9, v10, v9
	v_cmp_u_f32_e64 s[34:35], v7, v7
	v_cndmask_b32_e32 v8, v8, v6, vcc
	v_cndmask_b32_e32 v9, v9, v6, vcc
	v_cndmask_b32_e64 v8, v8, v7, s[34:35]
	v_cndmask_b32_e64 v7, v9, v7, s[34:35]
	s_movk_i32 s36, 0x1f8
	v_cmp_neq_f32_e32 vcc, v8, v7
	v_cmp_class_f32_e64 s[34:35], v8, s36
	s_or_b64 s[38:39], vcc, s[34:35]
	s_and_saveexec_b64 s[34:35], s[38:39]
	s_cbranch_execz .LBB153_183
; %bb.182:
	v_sub_f32_e32 v6, v8, v7
	s_mov_b32 s37, 0x3fb8aa3b
	v_mul_f32_e32 v8, 0x3fb8aa3b, v6
	v_fma_f32 v9, v6, s37, -v8
	v_rndne_f32_e32 v10, v8
	v_fmamk_f32 v9, v6, 0x32a5705f, v9
	v_sub_f32_e32 v8, v8, v10
	v_add_f32_e32 v8, v8, v9
	v_exp_f32_e32 v8, v8
	v_cvt_i32_f32_e32 v9, v10
	s_mov_b32 s37, 0xc2ce8ed0
	v_cmp_ngt_f32_e32 vcc, s37, v6
	s_mov_b32 s37, 0x42b17218
	v_ldexp_f32 v8, v8, v9
	v_cndmask_b32_e32 v8, 0, v8, vcc
	v_mov_b32_e32 v46, 0x7f800000
	v_cmp_nlt_f32_e32 vcc, s37, v6
	s_mov_b32 s37, 0x3f2aaaab
	s_mov_b32 s38, 0x7f800000
	v_cndmask_b32_e32 v6, v46, v8, vcc
	v_add_f32_e32 v10, 1.0, v6
	v_add_f32_e32 v8, -1.0, v10
	v_sub_f32_e32 v9, v8, v10
	v_add_f32_e32 v9, 1.0, v9
	v_sub_f32_e32 v8, v6, v8
	v_add_f32_e32 v11, v8, v9
	v_frexp_mant_f32_e32 v12, v10
	v_cvt_f64_f32_e32 v[8:9], v10
	v_frexp_exp_i32_f64_e32 v8, v[8:9]
	v_cmp_gt_f32_e32 vcc, s37, v12
	s_mov_b32 s37, 0x3f317218
	s_nop 0
	v_subbrev_co_u32_e32 v16, vcc, 0, v8, vcc
	v_sub_u32_e32 v8, 0, v16
	v_ldexp_f32 v9, v10, v8
	v_add_f32_e32 v10, -1.0, v9
	v_add_f32_e32 v12, 1.0, v9
	v_ldexp_f32 v8, v11, v8
	v_add_f32_e32 v11, 1.0, v10
	v_add_f32_e32 v13, -1.0, v12
	v_sub_f32_e32 v11, v9, v11
	v_sub_f32_e32 v9, v9, v13
	v_add_f32_e32 v11, v8, v11
	v_add_f32_e32 v8, v8, v9
	;; [unrolled: 1-line block ×3, first 2 shown]
	v_rcp_f32_e32 v43, v17
	v_sub_f32_e32 v9, v12, v17
	v_add_f32_e32 v42, v8, v9
	v_add_f32_e32 v9, v10, v11
	v_mul_f32_e32 v45, v9, v43
	v_sub_f32_e32 v8, v10, v9
	v_mul_f32_e32 v10, v17, v45
	v_fma_f32 v12, v45, v17, -v10
	v_fmac_f32_e32 v12, v45, v42
	v_add_f32_e32 v44, v11, v8
	v_add_f32_e32 v8, v10, v12
	v_sub_f32_e32 v11, v9, v8
	v_pk_add_f32 v[14:15], v[8:9], v[10:11] neg_lo:[0,1] neg_hi:[0,1]
	v_mov_b32_e32 v13, v8
	v_pk_add_f32 v[8:9], v[14:15], v[12:13] neg_lo:[0,1] neg_hi:[0,1]
	v_cmp_neq_f32_e32 vcc, s38, v6
	v_add_f32_e32 v9, v44, v9
	v_add_f32_e32 v8, v8, v9
	;; [unrolled: 1-line block ×3, first 2 shown]
	v_mul_f32_e32 v44, v43, v9
	v_mul_f32_e32 v10, v17, v44
	v_fma_f32 v12, v44, v17, -v10
	v_fmac_f32_e32 v12, v44, v42
	v_sub_f32_e32 v11, v11, v9
	v_add_f32_e32 v17, v8, v11
	v_add_f32_e32 v8, v10, v12
	v_sub_f32_e32 v11, v9, v8
	v_pk_add_f32 v[14:15], v[8:9], v[10:11] neg_lo:[0,1] neg_hi:[0,1]
	v_mov_b32_e32 v13, v8
	v_pk_add_f32 v[8:9], v[14:15], v[12:13] neg_lo:[0,1] neg_hi:[0,1]
	v_cvt_f32_i32_e32 v10, v16
	v_add_f32_e32 v9, v17, v9
	v_add_f32_e32 v8, v8, v9
	;; [unrolled: 1-line block ×4, first 2 shown]
	v_sub_f32_e32 v9, v11, v45
	v_mul_f32_e32 v8, v43, v8
	v_sub_f32_e32 v9, v44, v9
	v_add_f32_e32 v8, v9, v8
	v_add_f32_e32 v12, v11, v8
	v_mul_f32_e32 v14, v12, v12
	v_mov_b32_e32 v9, 0x3ecc95a3
	v_sub_f32_e32 v11, v12, v11
	v_fmac_f32_e32 v9, 0x3e9b6dac, v14
	v_sub_f32_e32 v8, v8, v11
	v_fmaak_f32 v9, v14, v9, 0x3f2aaada
	v_ldexp_f32 v15, v8, 1
	v_mul_f32_e32 v11, v12, v14
	v_mov_b32_e32 v8, 0x3f317218
	v_pk_mul_f32 v[8:9], v[10:11], v[8:9]
	v_ldexp_f32 v13, v12, 1
	v_fma_f32 v11, v10, s37, -v8
	v_fmamk_f32 v12, v10, 0xb102e308, v11
	v_pk_add_f32 v[10:11], v[8:9], v[12:13]
	v_mov_b32_e32 v14, v8
	v_sub_f32_e32 v13, v11, v13
	v_sub_f32_e32 v13, v9, v13
	v_add_f32_e32 v15, v15, v13
	v_pk_add_f32 v[8:9], v[10:11], v[8:9] neg_lo:[0,1] neg_hi:[0,1]
	v_pk_add_f32 v[16:17], v[10:11], v[14:15]
	v_mov_b32_e32 v13, v10
	v_mov_b32_e32 v9, v17
	v_pk_add_f32 v[42:43], v[12:13], v[8:9] neg_lo:[0,1] neg_hi:[0,1]
	v_pk_add_f32 v[8:9], v[12:13], v[8:9]
	v_mov_b32_e32 v14, v15
	v_pk_add_f32 v[12:13], v[8:9], v[10:11] op_sel:[1,0] op_sel_hi:[0,1] neg_lo:[0,1] neg_hi:[0,1]
	v_pk_add_f32 v[44:45], v[16:17], v[12:13] op_sel_hi:[1,0] neg_lo:[0,1] neg_hi:[0,1]
	v_mov_b32_e32 v16, v17
	v_mov_b32_e32 v17, v9
	v_pk_mov_b32 v[12:13], v[10:11], v[12:13] op_sel:[1,0]
	v_mov_b32_e32 v15, v10
	v_pk_add_f32 v[12:13], v[16:17], v[12:13] neg_lo:[0,1] neg_hi:[0,1]
	v_mov_b32_e32 v44, v42
	v_pk_add_f32 v[10:11], v[14:15], v[12:13] neg_lo:[0,1] neg_hi:[0,1]
	v_mov_b32_e32 v43, v9
	v_pk_add_f32 v[12:13], v[44:45], v[10:11]
	s_mov_b32 s37, 0x33800000
	v_pk_add_f32 v[14:15], v[12:13], v[12:13] op_sel:[0,1] op_sel_hi:[1,0]
	s_nop 0
	v_pk_add_f32 v[8:9], v[8:9], v[14:15] op_sel:[1,0] op_sel_hi:[0,1]
	v_mov_b32_e32 v13, v8
	v_pk_add_f32 v[16:17], v[12:13], v[42:43] neg_lo:[0,1] neg_hi:[0,1]
	v_mov_b32_e32 v11, v14
	v_sub_f32_e32 v9, v12, v16
	v_pk_add_f32 v[10:11], v[10:11], v[16:17] neg_lo:[0,1] neg_hi:[0,1]
	v_sub_f32_e32 v9, v42, v9
	v_add_f32_e32 v9, v10, v9
	v_add_f32_e32 v9, v9, v11
	;; [unrolled: 1-line block ×3, first 2 shown]
	v_cndmask_b32_e32 v8, v46, v8, vcc
	v_cmp_lt_f32_e64 vcc, |v6|, s37
	s_nop 1
	v_cndmask_b32_e32 v6, v8, v6, vcc
	v_add_f32_e32 v6, v7, v6
.LBB153_183:
	s_or_b64 exec, exec, s[34:35]
	v_max_f32_e32 v7, v6, v6
	v_min_f32_e32 v8, v7, v18
	v_cmp_u_f32_e32 vcc, v6, v6
	v_max_f32_e32 v7, v7, v18
	s_nop 0
	v_cndmask_b32_e32 v8, v8, v6, vcc
	v_cndmask_b32_e32 v7, v7, v6, vcc
	v_cndmask_b32_e64 v9, v8, v3, s[6:7]
	v_cndmask_b32_e64 v8, v7, v3, s[6:7]
	v_cmp_neq_f32_e32 vcc, v9, v8
	v_cmp_class_f32_e64 s[6:7], v9, s36
	s_or_b64 s[34:35], vcc, s[6:7]
	v_mov_b32_e32 v7, v6
	s_and_saveexec_b64 s[6:7], s[34:35]
	s_cbranch_execz .LBB153_185
; %bb.184:
	v_sub_f32_e32 v7, v9, v8
	s_mov_b32 s34, 0x3fb8aa3b
	v_mul_f32_e32 v9, 0x3fb8aa3b, v7
	v_fma_f32 v10, v7, s34, -v9
	v_rndne_f32_e32 v11, v9
	v_fmamk_f32 v10, v7, 0x32a5705f, v10
	v_sub_f32_e32 v9, v9, v11
	v_add_f32_e32 v9, v9, v10
	v_exp_f32_e32 v9, v9
	v_cvt_i32_f32_e32 v10, v11
	s_mov_b32 s34, 0xc2ce8ed0
	v_cmp_ngt_f32_e32 vcc, s34, v7
	s_mov_b32 s34, 0x42b17218
	v_ldexp_f32 v9, v9, v10
	v_cndmask_b32_e32 v9, 0, v9, vcc
	v_mov_b32_e32 v18, 0x7f800000
	v_cmp_nlt_f32_e32 vcc, s34, v7
	s_mov_b32 s34, 0x3f2aaaab
	s_mov_b32 s35, 0x7f800000
	v_cndmask_b32_e32 v7, v18, v9, vcc
	v_add_f32_e32 v9, 1.0, v7
	v_add_f32_e32 v10, -1.0, v9
	v_sub_f32_e32 v11, v10, v9
	v_add_f32_e32 v11, 1.0, v11
	v_sub_f32_e32 v10, v7, v10
	v_add_f32_e32 v12, v10, v11
	v_frexp_mant_f32_e32 v13, v9
	v_cvt_f64_f32_e32 v[10:11], v9
	v_frexp_exp_i32_f64_e32 v10, v[10:11]
	v_cmp_gt_f32_e32 vcc, s34, v13
	s_mov_b32 s34, 0x3f317218
	s_nop 0
	v_subbrev_co_u32_e32 v42, vcc, 0, v10, vcc
	v_sub_u32_e32 v10, 0, v42
	v_ldexp_f32 v9, v9, v10
	v_ldexp_f32 v10, v12, v10
	v_add_f32_e32 v12, -1.0, v9
	v_add_f32_e32 v11, 1.0, v12
	v_sub_f32_e32 v11, v9, v11
	v_add_f32_e32 v13, v10, v11
	v_add_f32_e32 v11, 1.0, v9
	v_add_f32_e32 v14, -1.0, v11
	v_sub_f32_e32 v9, v9, v14
	v_add_f32_e32 v9, v10, v9
	v_add_f32_e32 v43, v11, v9
	v_rcp_f32_e32 v44, v43
	v_sub_f32_e32 v10, v11, v43
	v_add_f32_e32 v11, v12, v13
	v_add_f32_e32 v9, v9, v10
	v_mul_f32_e32 v46, v11, v44
	v_sub_f32_e32 v10, v12, v11
	v_mul_f32_e32 v12, v43, v46
	v_fma_f32 v14, v46, v43, -v12
	v_fmac_f32_e32 v14, v46, v9
	v_add_f32_e32 v45, v13, v10
	v_add_f32_e32 v10, v12, v14
	v_sub_f32_e32 v13, v11, v10
	v_pk_add_f32 v[16:17], v[10:11], v[12:13] neg_lo:[0,1] neg_hi:[0,1]
	v_mov_b32_e32 v15, v10
	v_pk_add_f32 v[10:11], v[16:17], v[14:15] neg_lo:[0,1] neg_hi:[0,1]
	v_cmp_neq_f32_e32 vcc, s35, v7
	v_add_f32_e32 v11, v45, v11
	v_add_f32_e32 v10, v10, v11
	;; [unrolled: 1-line block ×3, first 2 shown]
	v_mul_f32_e32 v45, v44, v11
	v_mul_f32_e32 v12, v43, v45
	v_fma_f32 v14, v45, v43, -v12
	v_fmac_f32_e32 v14, v45, v9
	v_sub_f32_e32 v9, v13, v11
	v_add_f32_e32 v9, v10, v9
	v_add_f32_e32 v10, v12, v14
	v_sub_f32_e32 v13, v11, v10
	v_pk_add_f32 v[16:17], v[10:11], v[12:13] neg_lo:[0,1] neg_hi:[0,1]
	v_mov_b32_e32 v15, v10
	v_pk_add_f32 v[10:11], v[16:17], v[14:15] neg_lo:[0,1] neg_hi:[0,1]
	v_cvt_f32_i32_e32 v12, v42
	v_add_f32_e32 v9, v9, v11
	v_add_f32_e32 v9, v10, v9
	;; [unrolled: 1-line block ×4, first 2 shown]
	v_sub_f32_e32 v11, v10, v46
	v_mul_f32_e32 v9, v44, v9
	v_sub_f32_e32 v11, v45, v11
	v_add_f32_e32 v9, v11, v9
	v_add_f32_e32 v13, v10, v9
	v_mul_f32_e32 v14, v13, v13
	v_mov_b32_e32 v11, 0x3ecc95a3
	v_fmac_f32_e32 v11, 0x3e9b6dac, v14
	v_sub_f32_e32 v10, v13, v10
	v_fmaak_f32 v11, v14, v11, 0x3f2aaada
	v_sub_f32_e32 v9, v9, v10
	v_ldexp_f32 v15, v13, 1
	v_mul_f32_e32 v13, v13, v14
	v_mov_b32_e32 v10, 0x3f317218
	v_pk_mul_f32 v[10:11], v[12:13], v[10:11]
	v_ldexp_f32 v9, v9, 1
	v_fma_f32 v13, v12, s34, -v10
	v_fmamk_f32 v14, v12, 0xb102e308, v13
	v_pk_add_f32 v[12:13], v[10:11], v[14:15]
	v_mov_b32_e32 v16, v10
	v_sub_f32_e32 v15, v13, v15
	v_sub_f32_e32 v15, v11, v15
	v_add_f32_e32 v17, v9, v15
	v_pk_add_f32 v[10:11], v[12:13], v[10:11] neg_lo:[0,1] neg_hi:[0,1]
	v_pk_add_f32 v[42:43], v[12:13], v[16:17]
	v_mov_b32_e32 v15, v12
	v_mov_b32_e32 v11, v43
	v_pk_add_f32 v[44:45], v[14:15], v[10:11] neg_lo:[0,1] neg_hi:[0,1]
	v_pk_add_f32 v[10:11], v[14:15], v[10:11]
	v_mov_b32_e32 v16, v17
	v_pk_add_f32 v[14:15], v[10:11], v[12:13] op_sel:[1,0] op_sel_hi:[0,1] neg_lo:[0,1] neg_hi:[0,1]
	v_pk_add_f32 v[46:47], v[42:43], v[14:15] op_sel_hi:[1,0] neg_lo:[0,1] neg_hi:[0,1]
	v_mov_b32_e32 v42, v43
	v_mov_b32_e32 v43, v11
	v_pk_mov_b32 v[14:15], v[12:13], v[14:15] op_sel:[1,0]
	v_mov_b32_e32 v17, v12
	v_pk_add_f32 v[14:15], v[42:43], v[14:15] neg_lo:[0,1] neg_hi:[0,1]
	v_mov_b32_e32 v46, v44
	v_pk_add_f32 v[12:13], v[16:17], v[14:15] neg_lo:[0,1] neg_hi:[0,1]
	v_mov_b32_e32 v45, v11
	v_pk_add_f32 v[14:15], v[46:47], v[12:13]
	s_mov_b32 s34, 0x33800000
	v_pk_add_f32 v[16:17], v[14:15], v[14:15] op_sel:[0,1] op_sel_hi:[1,0]
	s_nop 0
	v_pk_add_f32 v[10:11], v[10:11], v[16:17] op_sel:[1,0] op_sel_hi:[0,1]
	v_mov_b32_e32 v15, v10
	v_pk_add_f32 v[42:43], v[14:15], v[44:45] neg_lo:[0,1] neg_hi:[0,1]
	v_mov_b32_e32 v13, v16
	v_sub_f32_e32 v9, v14, v42
	v_pk_add_f32 v[12:13], v[12:13], v[42:43] neg_lo:[0,1] neg_hi:[0,1]
	v_sub_f32_e32 v9, v44, v9
	v_add_f32_e32 v9, v12, v9
	v_add_f32_e32 v9, v9, v13
	v_add_f32_e32 v9, v10, v9
	v_cndmask_b32_e32 v9, v18, v9, vcc
	v_cmp_lt_f32_e64 vcc, |v7|, s34
	s_nop 1
	v_cndmask_b32_e32 v7, v9, v7, vcc
	v_add_f32_e32 v7, v8, v7
.LBB153_185:
	s_or_b64 exec, exec, s[6:7]
	v_max_f32_e32 v8, v7, v7
	v_min_f32_e32 v9, v8, v19
	v_cmp_u_f32_e32 vcc, v7, v7
	v_max_f32_e32 v8, v8, v19
	s_nop 0
	v_cndmask_b32_e32 v9, v9, v7, vcc
	v_cndmask_b32_e32 v8, v8, v7, vcc
	v_cndmask_b32_e64 v10, v9, v4, s[8:9]
	v_cndmask_b32_e64 v9, v8, v4, s[8:9]
	s_movk_i32 s8, 0x1f8
	v_cmp_neq_f32_e32 vcc, v10, v9
	v_cmp_class_f32_e64 s[6:7], v10, s8
	s_or_b64 s[34:35], vcc, s[6:7]
	v_mov_b32_e32 v8, v7
	s_and_saveexec_b64 s[6:7], s[34:35]
	s_cbranch_execz .LBB153_187
; %bb.186:
	v_sub_f32_e32 v8, v10, v9
	s_mov_b32 s9, 0x3fb8aa3b
	v_mul_f32_e32 v10, 0x3fb8aa3b, v8
	v_fma_f32 v11, v8, s9, -v10
	v_rndne_f32_e32 v12, v10
	v_fmamk_f32 v11, v8, 0x32a5705f, v11
	v_sub_f32_e32 v10, v10, v12
	v_add_f32_e32 v10, v10, v11
	v_exp_f32_e32 v10, v10
	v_cvt_i32_f32_e32 v11, v12
	s_mov_b32 s9, 0xc2ce8ed0
	v_cmp_ngt_f32_e32 vcc, s9, v8
	s_mov_b32 s9, 0x42b17218
	v_ldexp_f32 v10, v10, v11
	v_cndmask_b32_e32 v10, 0, v10, vcc
	v_mov_b32_e32 v46, 0x7f800000
	v_cmp_nlt_f32_e32 vcc, s9, v8
	s_mov_b32 s9, 0x3f2aaaab
	s_mov_b32 s34, 0x7f800000
	v_cndmask_b32_e32 v8, v46, v10, vcc
	v_add_f32_e32 v12, 1.0, v8
	v_add_f32_e32 v10, -1.0, v12
	v_sub_f32_e32 v11, v10, v12
	v_add_f32_e32 v11, 1.0, v11
	v_sub_f32_e32 v10, v8, v10
	v_add_f32_e32 v13, v10, v11
	v_frexp_mant_f32_e32 v14, v12
	v_cvt_f64_f32_e32 v[10:11], v12
	v_frexp_exp_i32_f64_e32 v10, v[10:11]
	v_cmp_gt_f32_e32 vcc, s9, v14
	s_mov_b32 s9, 0x3f317218
	s_nop 0
	v_subbrev_co_u32_e32 v18, vcc, 0, v10, vcc
	v_sub_u32_e32 v10, 0, v18
	v_ldexp_f32 v11, v12, v10
	v_add_f32_e32 v12, -1.0, v11
	v_add_f32_e32 v14, 1.0, v11
	v_ldexp_f32 v10, v13, v10
	v_add_f32_e32 v13, 1.0, v12
	v_add_f32_e32 v15, -1.0, v14
	v_sub_f32_e32 v13, v11, v13
	v_sub_f32_e32 v11, v11, v15
	v_add_f32_e32 v13, v10, v13
	v_add_f32_e32 v10, v10, v11
	;; [unrolled: 1-line block ×3, first 2 shown]
	v_rcp_f32_e32 v43, v19
	v_sub_f32_e32 v11, v14, v19
	v_add_f32_e32 v42, v10, v11
	v_add_f32_e32 v11, v12, v13
	v_mul_f32_e32 v45, v11, v43
	v_sub_f32_e32 v10, v12, v11
	v_mul_f32_e32 v12, v19, v45
	v_fma_f32 v14, v45, v19, -v12
	v_fmac_f32_e32 v14, v45, v42
	v_add_f32_e32 v44, v13, v10
	v_add_f32_e32 v10, v12, v14
	v_sub_f32_e32 v13, v11, v10
	v_pk_add_f32 v[16:17], v[10:11], v[12:13] neg_lo:[0,1] neg_hi:[0,1]
	v_mov_b32_e32 v15, v10
	v_pk_add_f32 v[10:11], v[16:17], v[14:15] neg_lo:[0,1] neg_hi:[0,1]
	v_cmp_neq_f32_e32 vcc, s34, v8
	v_add_f32_e32 v11, v44, v11
	v_add_f32_e32 v10, v10, v11
	;; [unrolled: 1-line block ×3, first 2 shown]
	v_mul_f32_e32 v44, v43, v11
	v_mul_f32_e32 v12, v19, v44
	v_fma_f32 v14, v44, v19, -v12
	v_fmac_f32_e32 v14, v44, v42
	v_sub_f32_e32 v13, v13, v11
	v_add_f32_e32 v19, v10, v13
	v_add_f32_e32 v10, v12, v14
	v_sub_f32_e32 v13, v11, v10
	v_pk_add_f32 v[16:17], v[10:11], v[12:13] neg_lo:[0,1] neg_hi:[0,1]
	v_mov_b32_e32 v15, v10
	v_pk_add_f32 v[10:11], v[16:17], v[14:15] neg_lo:[0,1] neg_hi:[0,1]
	v_cvt_f32_i32_e32 v12, v18
	v_add_f32_e32 v11, v19, v11
	v_add_f32_e32 v10, v10, v11
	;; [unrolled: 1-line block ×4, first 2 shown]
	v_sub_f32_e32 v11, v13, v45
	v_mul_f32_e32 v10, v43, v10
	v_sub_f32_e32 v11, v44, v11
	v_add_f32_e32 v10, v11, v10
	v_add_f32_e32 v14, v13, v10
	v_mul_f32_e32 v16, v14, v14
	v_mov_b32_e32 v11, 0x3ecc95a3
	v_sub_f32_e32 v13, v14, v13
	v_fmac_f32_e32 v11, 0x3e9b6dac, v16
	v_sub_f32_e32 v10, v10, v13
	v_fmaak_f32 v11, v16, v11, 0x3f2aaada
	v_ldexp_f32 v17, v10, 1
	v_mul_f32_e32 v13, v14, v16
	v_mov_b32_e32 v10, 0x3f317218
	v_pk_mul_f32 v[10:11], v[12:13], v[10:11]
	v_ldexp_f32 v15, v14, 1
	v_fma_f32 v13, v12, s9, -v10
	v_fmamk_f32 v14, v12, 0xb102e308, v13
	v_pk_add_f32 v[12:13], v[10:11], v[14:15]
	v_mov_b32_e32 v16, v10
	v_sub_f32_e32 v15, v13, v15
	v_sub_f32_e32 v15, v11, v15
	v_add_f32_e32 v17, v17, v15
	v_pk_add_f32 v[10:11], v[12:13], v[10:11] neg_lo:[0,1] neg_hi:[0,1]
	v_pk_add_f32 v[18:19], v[12:13], v[16:17]
	v_mov_b32_e32 v15, v12
	v_mov_b32_e32 v11, v19
	v_pk_add_f32 v[42:43], v[14:15], v[10:11] neg_lo:[0,1] neg_hi:[0,1]
	v_pk_add_f32 v[10:11], v[14:15], v[10:11]
	v_mov_b32_e32 v16, v17
	v_pk_add_f32 v[14:15], v[10:11], v[12:13] op_sel:[1,0] op_sel_hi:[0,1] neg_lo:[0,1] neg_hi:[0,1]
	v_pk_add_f32 v[44:45], v[18:19], v[14:15] op_sel_hi:[1,0] neg_lo:[0,1] neg_hi:[0,1]
	v_mov_b32_e32 v18, v19
	v_mov_b32_e32 v19, v11
	v_pk_mov_b32 v[14:15], v[12:13], v[14:15] op_sel:[1,0]
	v_mov_b32_e32 v17, v12
	v_pk_add_f32 v[14:15], v[18:19], v[14:15] neg_lo:[0,1] neg_hi:[0,1]
	v_mov_b32_e32 v44, v42
	v_pk_add_f32 v[12:13], v[16:17], v[14:15] neg_lo:[0,1] neg_hi:[0,1]
	v_mov_b32_e32 v43, v11
	v_pk_add_f32 v[14:15], v[44:45], v[12:13]
	s_mov_b32 s9, 0x33800000
	v_pk_add_f32 v[16:17], v[14:15], v[14:15] op_sel:[0,1] op_sel_hi:[1,0]
	s_nop 0
	v_pk_add_f32 v[10:11], v[10:11], v[16:17] op_sel:[1,0] op_sel_hi:[0,1]
	v_mov_b32_e32 v15, v10
	v_pk_add_f32 v[18:19], v[14:15], v[42:43] neg_lo:[0,1] neg_hi:[0,1]
	v_mov_b32_e32 v13, v16
	v_sub_f32_e32 v11, v14, v18
	v_pk_add_f32 v[12:13], v[12:13], v[18:19] neg_lo:[0,1] neg_hi:[0,1]
	v_sub_f32_e32 v11, v42, v11
	v_add_f32_e32 v11, v12, v11
	v_add_f32_e32 v11, v11, v13
	;; [unrolled: 1-line block ×3, first 2 shown]
	v_cndmask_b32_e32 v10, v46, v10, vcc
	v_cmp_lt_f32_e64 vcc, |v8|, s9
	s_nop 1
	v_cndmask_b32_e32 v8, v10, v8, vcc
	v_add_f32_e32 v8, v9, v8
.LBB153_187:
	s_or_b64 exec, exec, s[6:7]
	v_max_f32_e32 v9, v8, v8
	v_min_f32_e32 v10, v9, v20
	v_cmp_u_f32_e32 vcc, v8, v8
	v_max_f32_e32 v9, v9, v20
	s_nop 0
	v_cndmask_b32_e32 v10, v10, v8, vcc
	v_cndmask_b32_e32 v9, v9, v8, vcc
	v_cndmask_b32_e64 v11, v10, v5, s[10:11]
	v_cndmask_b32_e64 v10, v9, v5, s[10:11]
	v_cmp_neq_f32_e32 vcc, v11, v10
	v_cmp_class_f32_e64 s[6:7], v11, s8
	s_or_b64 s[8:9], vcc, s[6:7]
	v_mov_b32_e32 v9, v8
	s_and_saveexec_b64 s[6:7], s[8:9]
	s_cbranch_execz .LBB153_189
; %bb.188:
	v_sub_f32_e32 v9, v11, v10
	s_mov_b32 s8, 0x3fb8aa3b
	v_mul_f32_e32 v11, 0x3fb8aa3b, v9
	v_fma_f32 v12, v9, s8, -v11
	v_rndne_f32_e32 v13, v11
	v_fmamk_f32 v12, v9, 0x32a5705f, v12
	v_sub_f32_e32 v11, v11, v13
	v_add_f32_e32 v11, v11, v12
	v_exp_f32_e32 v11, v11
	v_cvt_i32_f32_e32 v12, v13
	s_mov_b32 s8, 0xc2ce8ed0
	v_cmp_ngt_f32_e32 vcc, s8, v9
	s_mov_b32 s8, 0x42b17218
	v_ldexp_f32 v11, v11, v12
	v_cndmask_b32_e32 v11, 0, v11, vcc
	v_mov_b32_e32 v20, 0x7f800000
	v_cmp_nlt_f32_e32 vcc, s8, v9
	s_mov_b32 s8, 0x3f2aaaab
	s_mov_b32 s9, 0x7f800000
	v_cndmask_b32_e32 v9, v20, v11, vcc
	v_add_f32_e32 v11, 1.0, v9
	v_add_f32_e32 v12, -1.0, v11
	v_sub_f32_e32 v13, v12, v11
	v_add_f32_e32 v13, 1.0, v13
	v_sub_f32_e32 v12, v9, v12
	v_add_f32_e32 v14, v12, v13
	v_frexp_mant_f32_e32 v15, v11
	v_cvt_f64_f32_e32 v[12:13], v11
	v_frexp_exp_i32_f64_e32 v12, v[12:13]
	v_cmp_gt_f32_e32 vcc, s8, v15
	s_mov_b32 s8, 0x3f317218
	s_nop 0
	v_subbrev_co_u32_e32 v42, vcc, 0, v12, vcc
	v_sub_u32_e32 v12, 0, v42
	v_ldexp_f32 v11, v11, v12
	v_ldexp_f32 v12, v14, v12
	v_add_f32_e32 v14, -1.0, v11
	v_add_f32_e32 v13, 1.0, v14
	v_sub_f32_e32 v13, v11, v13
	v_add_f32_e32 v15, v12, v13
	v_add_f32_e32 v13, 1.0, v11
	v_add_f32_e32 v16, -1.0, v13
	v_sub_f32_e32 v11, v11, v16
	v_add_f32_e32 v11, v12, v11
	v_add_f32_e32 v43, v13, v11
	v_rcp_f32_e32 v44, v43
	v_sub_f32_e32 v12, v13, v43
	v_add_f32_e32 v13, v14, v15
	v_add_f32_e32 v11, v11, v12
	v_mul_f32_e32 v46, v13, v44
	v_sub_f32_e32 v12, v14, v13
	v_mul_f32_e32 v14, v43, v46
	v_fma_f32 v16, v46, v43, -v14
	v_fmac_f32_e32 v16, v46, v11
	v_add_f32_e32 v45, v15, v12
	v_add_f32_e32 v12, v14, v16
	v_sub_f32_e32 v15, v13, v12
	v_pk_add_f32 v[18:19], v[12:13], v[14:15] neg_lo:[0,1] neg_hi:[0,1]
	v_mov_b32_e32 v17, v12
	v_pk_add_f32 v[12:13], v[18:19], v[16:17] neg_lo:[0,1] neg_hi:[0,1]
	v_cmp_neq_f32_e32 vcc, s9, v9
	v_add_f32_e32 v13, v45, v13
	v_add_f32_e32 v12, v12, v13
	;; [unrolled: 1-line block ×3, first 2 shown]
	v_mul_f32_e32 v45, v44, v13
	v_mul_f32_e32 v14, v43, v45
	v_fma_f32 v16, v45, v43, -v14
	v_fmac_f32_e32 v16, v45, v11
	v_sub_f32_e32 v11, v15, v13
	v_add_f32_e32 v11, v12, v11
	v_add_f32_e32 v12, v14, v16
	v_sub_f32_e32 v15, v13, v12
	v_pk_add_f32 v[18:19], v[12:13], v[14:15] neg_lo:[0,1] neg_hi:[0,1]
	v_mov_b32_e32 v17, v12
	v_pk_add_f32 v[12:13], v[18:19], v[16:17] neg_lo:[0,1] neg_hi:[0,1]
	v_cvt_f32_i32_e32 v14, v42
	v_add_f32_e32 v11, v11, v13
	v_add_f32_e32 v11, v12, v11
	;; [unrolled: 1-line block ×4, first 2 shown]
	v_sub_f32_e32 v13, v12, v46
	v_mul_f32_e32 v11, v44, v11
	v_sub_f32_e32 v13, v45, v13
	v_add_f32_e32 v11, v13, v11
	v_add_f32_e32 v15, v12, v11
	v_mul_f32_e32 v16, v15, v15
	v_mov_b32_e32 v13, 0x3ecc95a3
	v_fmac_f32_e32 v13, 0x3e9b6dac, v16
	v_sub_f32_e32 v12, v15, v12
	v_fmaak_f32 v13, v16, v13, 0x3f2aaada
	v_sub_f32_e32 v11, v11, v12
	v_ldexp_f32 v17, v15, 1
	v_mul_f32_e32 v15, v15, v16
	v_mov_b32_e32 v12, 0x3f317218
	v_pk_mul_f32 v[12:13], v[14:15], v[12:13]
	v_ldexp_f32 v11, v11, 1
	v_fma_f32 v15, v14, s8, -v12
	v_fmamk_f32 v16, v14, 0xb102e308, v15
	v_pk_add_f32 v[14:15], v[12:13], v[16:17]
	v_mov_b32_e32 v18, v12
	v_sub_f32_e32 v17, v15, v17
	v_sub_f32_e32 v17, v13, v17
	v_add_f32_e32 v19, v11, v17
	v_pk_add_f32 v[12:13], v[14:15], v[12:13] neg_lo:[0,1] neg_hi:[0,1]
	v_pk_add_f32 v[42:43], v[14:15], v[18:19]
	v_mov_b32_e32 v17, v14
	v_mov_b32_e32 v13, v43
	v_pk_add_f32 v[44:45], v[16:17], v[12:13] neg_lo:[0,1] neg_hi:[0,1]
	v_pk_add_f32 v[12:13], v[16:17], v[12:13]
	v_mov_b32_e32 v18, v19
	v_pk_add_f32 v[16:17], v[12:13], v[14:15] op_sel:[1,0] op_sel_hi:[0,1] neg_lo:[0,1] neg_hi:[0,1]
	v_pk_add_f32 v[46:47], v[42:43], v[16:17] op_sel_hi:[1,0] neg_lo:[0,1] neg_hi:[0,1]
	v_mov_b32_e32 v42, v43
	v_mov_b32_e32 v43, v13
	v_pk_mov_b32 v[16:17], v[14:15], v[16:17] op_sel:[1,0]
	v_mov_b32_e32 v19, v14
	v_pk_add_f32 v[16:17], v[42:43], v[16:17] neg_lo:[0,1] neg_hi:[0,1]
	v_mov_b32_e32 v46, v44
	v_pk_add_f32 v[14:15], v[18:19], v[16:17] neg_lo:[0,1] neg_hi:[0,1]
	v_mov_b32_e32 v45, v13
	v_pk_add_f32 v[16:17], v[46:47], v[14:15]
	s_mov_b32 s8, 0x33800000
	v_pk_add_f32 v[18:19], v[16:17], v[16:17] op_sel:[0,1] op_sel_hi:[1,0]
	s_nop 0
	v_pk_add_f32 v[12:13], v[12:13], v[18:19] op_sel:[1,0] op_sel_hi:[0,1]
	v_mov_b32_e32 v17, v12
	v_pk_add_f32 v[42:43], v[16:17], v[44:45] neg_lo:[0,1] neg_hi:[0,1]
	v_mov_b32_e32 v15, v18
	v_sub_f32_e32 v11, v16, v42
	v_pk_add_f32 v[14:15], v[14:15], v[42:43] neg_lo:[0,1] neg_hi:[0,1]
	v_sub_f32_e32 v11, v44, v11
	v_add_f32_e32 v11, v14, v11
	v_add_f32_e32 v11, v11, v15
	v_add_f32_e32 v11, v12, v11
	v_cndmask_b32_e32 v11, v20, v11, vcc
	v_cmp_lt_f32_e64 vcc, |v9|, s8
	s_nop 1
	v_cndmask_b32_e32 v9, v11, v9, vcc
	v_add_f32_e32 v9, v10, v9
.LBB153_189:
	s_or_b64 exec, exec, s[6:7]
	v_max_f32_e32 v10, v9, v9
	v_min_f32_e32 v11, v10, v21
	v_cmp_u_f32_e32 vcc, v9, v9
	v_max_f32_e32 v10, v10, v21
	s_movk_i32 s8, 0x1f8
	v_cndmask_b32_e32 v11, v11, v9, vcc
	v_cndmask_b32_e32 v10, v10, v9, vcc
	v_cndmask_b32_e64 v12, v11, v26, s[12:13]
	v_cndmask_b32_e64 v11, v10, v26, s[12:13]
	v_cmp_neq_f32_e32 vcc, v12, v11
	v_cmp_class_f32_e64 s[6:7], v12, s8
	s_or_b64 s[10:11], vcc, s[6:7]
	v_mov_b32_e32 v10, v9
	s_and_saveexec_b64 s[6:7], s[10:11]
	s_cbranch_execz .LBB153_191
; %bb.190:
	v_sub_f32_e32 v10, v12, v11
	s_mov_b32 s9, 0x3fb8aa3b
	v_mul_f32_e32 v12, 0x3fb8aa3b, v10
	v_fma_f32 v13, v10, s9, -v12
	v_rndne_f32_e32 v14, v12
	v_fmamk_f32 v13, v10, 0x32a5705f, v13
	v_sub_f32_e32 v12, v12, v14
	v_add_f32_e32 v12, v12, v13
	v_exp_f32_e32 v12, v12
	v_cvt_i32_f32_e32 v13, v14
	s_mov_b32 s9, 0xc2ce8ed0
	v_cmp_ngt_f32_e32 vcc, s9, v10
	s_mov_b32 s9, 0x42b17218
	v_ldexp_f32 v12, v12, v13
	v_cndmask_b32_e32 v12, 0, v12, vcc
	v_mov_b32_e32 v46, 0x7f800000
	v_cmp_nlt_f32_e32 vcc, s9, v10
	s_mov_b32 s9, 0x3f2aaaab
	s_mov_b32 s10, 0x7f800000
	v_cndmask_b32_e32 v10, v46, v12, vcc
	v_add_f32_e32 v14, 1.0, v10
	v_add_f32_e32 v12, -1.0, v14
	v_sub_f32_e32 v13, v12, v14
	v_add_f32_e32 v13, 1.0, v13
	v_sub_f32_e32 v12, v10, v12
	v_add_f32_e32 v15, v12, v13
	v_frexp_mant_f32_e32 v16, v14
	v_cvt_f64_f32_e32 v[12:13], v14
	v_frexp_exp_i32_f64_e32 v12, v[12:13]
	v_cmp_gt_f32_e32 vcc, s9, v16
	s_mov_b32 s9, 0x3f317218
	s_nop 0
	v_subbrev_co_u32_e32 v20, vcc, 0, v12, vcc
	v_sub_u32_e32 v12, 0, v20
	v_ldexp_f32 v13, v14, v12
	v_add_f32_e32 v14, -1.0, v13
	v_add_f32_e32 v16, 1.0, v13
	v_ldexp_f32 v12, v15, v12
	v_add_f32_e32 v15, 1.0, v14
	v_add_f32_e32 v17, -1.0, v16
	v_sub_f32_e32 v15, v13, v15
	v_sub_f32_e32 v13, v13, v17
	v_add_f32_e32 v15, v12, v15
	v_add_f32_e32 v12, v12, v13
	;; [unrolled: 1-line block ×3, first 2 shown]
	v_rcp_f32_e32 v43, v21
	v_sub_f32_e32 v13, v16, v21
	v_add_f32_e32 v42, v12, v13
	v_add_f32_e32 v13, v14, v15
	v_mul_f32_e32 v45, v13, v43
	v_sub_f32_e32 v12, v14, v13
	v_mul_f32_e32 v14, v21, v45
	v_fma_f32 v16, v45, v21, -v14
	v_fmac_f32_e32 v16, v45, v42
	v_add_f32_e32 v44, v15, v12
	v_add_f32_e32 v12, v14, v16
	v_sub_f32_e32 v15, v13, v12
	v_pk_add_f32 v[18:19], v[12:13], v[14:15] neg_lo:[0,1] neg_hi:[0,1]
	v_mov_b32_e32 v17, v12
	v_pk_add_f32 v[12:13], v[18:19], v[16:17] neg_lo:[0,1] neg_hi:[0,1]
	v_cmp_neq_f32_e32 vcc, s10, v10
	v_add_f32_e32 v13, v44, v13
	v_add_f32_e32 v12, v12, v13
	;; [unrolled: 1-line block ×3, first 2 shown]
	v_mul_f32_e32 v44, v43, v13
	v_mul_f32_e32 v14, v21, v44
	v_fma_f32 v16, v44, v21, -v14
	v_fmac_f32_e32 v16, v44, v42
	v_sub_f32_e32 v15, v15, v13
	v_add_f32_e32 v21, v12, v15
	v_add_f32_e32 v12, v14, v16
	v_sub_f32_e32 v15, v13, v12
	v_pk_add_f32 v[18:19], v[12:13], v[14:15] neg_lo:[0,1] neg_hi:[0,1]
	v_mov_b32_e32 v17, v12
	v_pk_add_f32 v[12:13], v[18:19], v[16:17] neg_lo:[0,1] neg_hi:[0,1]
	v_cvt_f32_i32_e32 v14, v20
	v_add_f32_e32 v13, v21, v13
	v_add_f32_e32 v12, v12, v13
	;; [unrolled: 1-line block ×4, first 2 shown]
	v_sub_f32_e32 v13, v15, v45
	v_mul_f32_e32 v12, v43, v12
	v_sub_f32_e32 v13, v44, v13
	v_add_f32_e32 v12, v13, v12
	v_add_f32_e32 v16, v15, v12
	v_mul_f32_e32 v18, v16, v16
	v_mov_b32_e32 v13, 0x3ecc95a3
	v_sub_f32_e32 v15, v16, v15
	v_fmac_f32_e32 v13, 0x3e9b6dac, v18
	v_sub_f32_e32 v12, v12, v15
	v_fmaak_f32 v13, v18, v13, 0x3f2aaada
	v_ldexp_f32 v19, v12, 1
	v_mul_f32_e32 v15, v16, v18
	v_mov_b32_e32 v12, 0x3f317218
	v_pk_mul_f32 v[12:13], v[14:15], v[12:13]
	v_ldexp_f32 v17, v16, 1
	v_fma_f32 v15, v14, s9, -v12
	v_fmamk_f32 v16, v14, 0xb102e308, v15
	v_pk_add_f32 v[14:15], v[12:13], v[16:17]
	v_mov_b32_e32 v18, v12
	v_sub_f32_e32 v17, v15, v17
	v_sub_f32_e32 v17, v13, v17
	v_add_f32_e32 v19, v19, v17
	v_pk_add_f32 v[12:13], v[14:15], v[12:13] neg_lo:[0,1] neg_hi:[0,1]
	v_pk_add_f32 v[20:21], v[14:15], v[18:19]
	v_mov_b32_e32 v17, v14
	v_mov_b32_e32 v13, v21
	v_pk_add_f32 v[42:43], v[16:17], v[12:13] neg_lo:[0,1] neg_hi:[0,1]
	v_pk_add_f32 v[12:13], v[16:17], v[12:13]
	v_mov_b32_e32 v18, v19
	v_pk_add_f32 v[16:17], v[12:13], v[14:15] op_sel:[1,0] op_sel_hi:[0,1] neg_lo:[0,1] neg_hi:[0,1]
	v_pk_add_f32 v[44:45], v[20:21], v[16:17] op_sel_hi:[1,0] neg_lo:[0,1] neg_hi:[0,1]
	v_mov_b32_e32 v20, v21
	v_mov_b32_e32 v21, v13
	v_pk_mov_b32 v[16:17], v[14:15], v[16:17] op_sel:[1,0]
	v_mov_b32_e32 v19, v14
	v_pk_add_f32 v[16:17], v[20:21], v[16:17] neg_lo:[0,1] neg_hi:[0,1]
	v_mov_b32_e32 v44, v42
	v_pk_add_f32 v[14:15], v[18:19], v[16:17] neg_lo:[0,1] neg_hi:[0,1]
	v_mov_b32_e32 v43, v13
	v_pk_add_f32 v[16:17], v[44:45], v[14:15]
	s_mov_b32 s9, 0x33800000
	v_pk_add_f32 v[18:19], v[16:17], v[16:17] op_sel:[0,1] op_sel_hi:[1,0]
	s_nop 0
	v_pk_add_f32 v[12:13], v[12:13], v[18:19] op_sel:[1,0] op_sel_hi:[0,1]
	v_mov_b32_e32 v17, v12
	v_pk_add_f32 v[20:21], v[16:17], v[42:43] neg_lo:[0,1] neg_hi:[0,1]
	v_mov_b32_e32 v15, v18
	v_sub_f32_e32 v13, v16, v20
	v_pk_add_f32 v[14:15], v[14:15], v[20:21] neg_lo:[0,1] neg_hi:[0,1]
	v_sub_f32_e32 v13, v42, v13
	v_add_f32_e32 v13, v14, v13
	v_add_f32_e32 v13, v13, v15
	;; [unrolled: 1-line block ×3, first 2 shown]
	v_cndmask_b32_e32 v12, v46, v12, vcc
	v_cmp_lt_f32_e64 vcc, |v10|, s9
	s_nop 1
	v_cndmask_b32_e32 v10, v12, v10, vcc
	v_add_f32_e32 v10, v11, v10
.LBB153_191:
	s_or_b64 exec, exec, s[6:7]
	v_max_f32_e32 v11, v10, v10
	v_min_f32_e32 v12, v11, v31
	v_cmp_u_f32_e32 vcc, v10, v10
	v_max_f32_e32 v11, v11, v31
	s_nop 0
	v_cndmask_b32_e32 v12, v12, v10, vcc
	v_cndmask_b32_e32 v11, v11, v10, vcc
	v_cndmask_b32_e64 v13, v12, v27, s[14:15]
	v_cndmask_b32_e64 v12, v11, v27, s[14:15]
	v_cmp_neq_f32_e32 vcc, v13, v12
	v_cmp_class_f32_e64 s[6:7], v13, s8
	s_or_b64 s[8:9], vcc, s[6:7]
	v_mov_b32_e32 v11, v10
	s_and_saveexec_b64 s[6:7], s[8:9]
	s_cbranch_execz .LBB153_193
; %bb.192:
	v_sub_f32_e32 v11, v13, v12
	s_mov_b32 s8, 0x3fb8aa3b
	v_mul_f32_e32 v13, 0x3fb8aa3b, v11
	v_fma_f32 v14, v11, s8, -v13
	v_rndne_f32_e32 v15, v13
	v_fmamk_f32 v14, v11, 0x32a5705f, v14
	v_sub_f32_e32 v13, v13, v15
	v_add_f32_e32 v13, v13, v14
	v_exp_f32_e32 v13, v13
	v_cvt_i32_f32_e32 v14, v15
	s_mov_b32 s8, 0xc2ce8ed0
	v_cmp_ngt_f32_e32 vcc, s8, v11
	s_mov_b32 s8, 0x42b17218
	v_ldexp_f32 v13, v13, v14
	v_cndmask_b32_e32 v13, 0, v13, vcc
	v_mov_b32_e32 v31, 0x7f800000
	v_cmp_nlt_f32_e32 vcc, s8, v11
	s_mov_b32 s8, 0x3f2aaaab
	s_mov_b32 s9, 0x7f800000
	v_cndmask_b32_e32 v11, v31, v13, vcc
	v_add_f32_e32 v13, 1.0, v11
	v_add_f32_e32 v14, -1.0, v13
	v_sub_f32_e32 v15, v14, v13
	v_add_f32_e32 v15, 1.0, v15
	v_sub_f32_e32 v14, v11, v14
	v_add_f32_e32 v16, v14, v15
	v_frexp_mant_f32_e32 v17, v13
	v_cvt_f64_f32_e32 v[14:15], v13
	v_frexp_exp_i32_f64_e32 v14, v[14:15]
	v_cmp_gt_f32_e32 vcc, s8, v17
	s_mov_b32 s8, 0x3f317218
	s_nop 0
	v_subbrev_co_u32_e32 v42, vcc, 0, v14, vcc
	v_sub_u32_e32 v14, 0, v42
	v_ldexp_f32 v13, v13, v14
	v_ldexp_f32 v14, v16, v14
	v_add_f32_e32 v16, -1.0, v13
	v_add_f32_e32 v15, 1.0, v16
	v_sub_f32_e32 v15, v13, v15
	v_add_f32_e32 v17, v14, v15
	v_add_f32_e32 v15, 1.0, v13
	v_add_f32_e32 v18, -1.0, v15
	v_sub_f32_e32 v13, v13, v18
	v_add_f32_e32 v13, v14, v13
	v_add_f32_e32 v43, v15, v13
	v_rcp_f32_e32 v44, v43
	v_sub_f32_e32 v14, v15, v43
	v_add_f32_e32 v15, v16, v17
	v_add_f32_e32 v13, v13, v14
	v_mul_f32_e32 v46, v15, v44
	v_sub_f32_e32 v14, v16, v15
	v_mul_f32_e32 v16, v43, v46
	v_fma_f32 v18, v46, v43, -v16
	v_fmac_f32_e32 v18, v46, v13
	v_add_f32_e32 v45, v17, v14
	v_add_f32_e32 v14, v16, v18
	v_sub_f32_e32 v17, v15, v14
	v_pk_add_f32 v[20:21], v[14:15], v[16:17] neg_lo:[0,1] neg_hi:[0,1]
	v_mov_b32_e32 v19, v14
	v_pk_add_f32 v[14:15], v[20:21], v[18:19] neg_lo:[0,1] neg_hi:[0,1]
	v_cmp_neq_f32_e32 vcc, s9, v11
	v_add_f32_e32 v15, v45, v15
	v_add_f32_e32 v14, v14, v15
	;; [unrolled: 1-line block ×3, first 2 shown]
	v_mul_f32_e32 v45, v44, v15
	v_mul_f32_e32 v16, v43, v45
	v_fma_f32 v18, v45, v43, -v16
	v_fmac_f32_e32 v18, v45, v13
	v_sub_f32_e32 v13, v17, v15
	v_add_f32_e32 v13, v14, v13
	v_add_f32_e32 v14, v16, v18
	v_sub_f32_e32 v17, v15, v14
	v_pk_add_f32 v[20:21], v[14:15], v[16:17] neg_lo:[0,1] neg_hi:[0,1]
	v_mov_b32_e32 v19, v14
	v_pk_add_f32 v[14:15], v[20:21], v[18:19] neg_lo:[0,1] neg_hi:[0,1]
	v_cvt_f32_i32_e32 v16, v42
	v_add_f32_e32 v13, v13, v15
	v_add_f32_e32 v13, v14, v13
	;; [unrolled: 1-line block ×4, first 2 shown]
	v_sub_f32_e32 v15, v14, v46
	v_mul_f32_e32 v13, v44, v13
	v_sub_f32_e32 v15, v45, v15
	v_add_f32_e32 v13, v15, v13
	v_add_f32_e32 v17, v14, v13
	v_mul_f32_e32 v18, v17, v17
	v_mov_b32_e32 v15, 0x3ecc95a3
	v_fmac_f32_e32 v15, 0x3e9b6dac, v18
	v_sub_f32_e32 v14, v17, v14
	v_fmaak_f32 v15, v18, v15, 0x3f2aaada
	v_sub_f32_e32 v13, v13, v14
	v_ldexp_f32 v19, v17, 1
	v_mul_f32_e32 v17, v17, v18
	v_mov_b32_e32 v14, 0x3f317218
	v_pk_mul_f32 v[14:15], v[16:17], v[14:15]
	v_ldexp_f32 v13, v13, 1
	v_fma_f32 v17, v16, s8, -v14
	v_fmamk_f32 v18, v16, 0xb102e308, v17
	v_pk_add_f32 v[16:17], v[14:15], v[18:19]
	v_mov_b32_e32 v20, v14
	v_sub_f32_e32 v19, v17, v19
	v_sub_f32_e32 v19, v15, v19
	v_add_f32_e32 v21, v13, v19
	v_pk_add_f32 v[14:15], v[16:17], v[14:15] neg_lo:[0,1] neg_hi:[0,1]
	v_pk_add_f32 v[42:43], v[16:17], v[20:21]
	v_mov_b32_e32 v19, v16
	v_mov_b32_e32 v15, v43
	v_pk_add_f32 v[44:45], v[18:19], v[14:15] neg_lo:[0,1] neg_hi:[0,1]
	v_pk_add_f32 v[14:15], v[18:19], v[14:15]
	v_mov_b32_e32 v20, v21
	v_pk_add_f32 v[18:19], v[14:15], v[16:17] op_sel:[1,0] op_sel_hi:[0,1] neg_lo:[0,1] neg_hi:[0,1]
	v_pk_add_f32 v[46:47], v[42:43], v[18:19] op_sel_hi:[1,0] neg_lo:[0,1] neg_hi:[0,1]
	v_mov_b32_e32 v42, v43
	v_mov_b32_e32 v43, v15
	v_pk_mov_b32 v[18:19], v[16:17], v[18:19] op_sel:[1,0]
	v_mov_b32_e32 v21, v16
	v_pk_add_f32 v[18:19], v[42:43], v[18:19] neg_lo:[0,1] neg_hi:[0,1]
	v_mov_b32_e32 v46, v44
	v_pk_add_f32 v[16:17], v[20:21], v[18:19] neg_lo:[0,1] neg_hi:[0,1]
	v_mov_b32_e32 v45, v15
	v_pk_add_f32 v[18:19], v[46:47], v[16:17]
	s_mov_b32 s8, 0x33800000
	v_pk_add_f32 v[20:21], v[18:19], v[18:19] op_sel:[0,1] op_sel_hi:[1,0]
	s_nop 0
	v_pk_add_f32 v[14:15], v[14:15], v[20:21] op_sel:[1,0] op_sel_hi:[0,1]
	v_mov_b32_e32 v19, v14
	v_pk_add_f32 v[42:43], v[18:19], v[44:45] neg_lo:[0,1] neg_hi:[0,1]
	v_mov_b32_e32 v17, v20
	v_sub_f32_e32 v13, v18, v42
	v_pk_add_f32 v[16:17], v[16:17], v[42:43] neg_lo:[0,1] neg_hi:[0,1]
	v_sub_f32_e32 v13, v44, v13
	v_add_f32_e32 v13, v16, v13
	v_add_f32_e32 v13, v13, v17
	;; [unrolled: 1-line block ×3, first 2 shown]
	v_cndmask_b32_e32 v13, v31, v13, vcc
	v_cmp_lt_f32_e64 vcc, |v11|, s8
	s_nop 1
	v_cndmask_b32_e32 v11, v13, v11, vcc
	v_add_f32_e32 v11, v12, v11
.LBB153_193:
	s_or_b64 exec, exec, s[6:7]
	v_max_f32_e32 v12, v11, v11
	v_min_f32_e32 v13, v12, v34
	v_cmp_u_f32_e32 vcc, v11, v11
	v_max_f32_e32 v12, v12, v34
	s_movk_i32 s8, 0x1f8
	v_cndmask_b32_e32 v13, v13, v11, vcc
	v_cndmask_b32_e32 v12, v12, v11, vcc
	v_cndmask_b32_e64 v14, v13, v28, s[16:17]
	v_cndmask_b32_e64 v13, v12, v28, s[16:17]
	v_cmp_neq_f32_e32 vcc, v14, v13
	v_cmp_class_f32_e64 s[6:7], v14, s8
	s_or_b64 s[10:11], vcc, s[6:7]
	v_mov_b32_e32 v12, v11
	s_and_saveexec_b64 s[6:7], s[10:11]
	s_cbranch_execz .LBB153_195
; %bb.194:
	v_sub_f32_e32 v12, v14, v13
	s_mov_b32 s9, 0x3fb8aa3b
	v_mul_f32_e32 v14, 0x3fb8aa3b, v12
	v_fma_f32 v15, v12, s9, -v14
	v_rndne_f32_e32 v16, v14
	v_fmamk_f32 v15, v12, 0x32a5705f, v15
	v_sub_f32_e32 v14, v14, v16
	v_add_f32_e32 v14, v14, v15
	v_exp_f32_e32 v14, v14
	v_cvt_i32_f32_e32 v15, v16
	s_mov_b32 s9, 0xc2ce8ed0
	v_cmp_ngt_f32_e32 vcc, s9, v12
	s_mov_b32 s9, 0x42b17218
	v_ldexp_f32 v14, v14, v15
	v_cndmask_b32_e32 v14, 0, v14, vcc
	v_mov_b32_e32 v31, 0x7f800000
	v_cmp_nlt_f32_e32 vcc, s9, v12
	s_mov_b32 s9, 0x3f2aaaab
	s_mov_b32 s10, 0x7f800000
	v_cndmask_b32_e32 v12, v31, v14, vcc
	v_add_f32_e32 v16, 1.0, v12
	v_add_f32_e32 v14, -1.0, v16
	v_sub_f32_e32 v15, v14, v16
	v_add_f32_e32 v15, 1.0, v15
	v_sub_f32_e32 v14, v12, v14
	v_add_f32_e32 v17, v14, v15
	v_frexp_mant_f32_e32 v18, v16
	v_cvt_f64_f32_e32 v[14:15], v16
	v_frexp_exp_i32_f64_e32 v14, v[14:15]
	v_cmp_gt_f32_e32 vcc, s9, v18
	s_mov_b32 s9, 0x3f317218
	s_nop 0
	v_subbrev_co_u32_e32 v34, vcc, 0, v14, vcc
	v_sub_u32_e32 v14, 0, v34
	v_ldexp_f32 v15, v16, v14
	v_add_f32_e32 v16, -1.0, v15
	v_add_f32_e32 v18, 1.0, v15
	v_ldexp_f32 v14, v17, v14
	v_add_f32_e32 v17, 1.0, v16
	v_add_f32_e32 v19, -1.0, v18
	v_sub_f32_e32 v17, v15, v17
	v_sub_f32_e32 v15, v15, v19
	v_add_f32_e32 v17, v14, v17
	v_add_f32_e32 v14, v14, v15
	;; [unrolled: 1-line block ×3, first 2 shown]
	v_rcp_f32_e32 v44, v42
	v_sub_f32_e32 v15, v18, v42
	v_add_f32_e32 v43, v14, v15
	v_add_f32_e32 v15, v16, v17
	v_mul_f32_e32 v46, v15, v44
	v_sub_f32_e32 v14, v16, v15
	v_mul_f32_e32 v16, v42, v46
	v_fma_f32 v18, v46, v42, -v16
	v_fmac_f32_e32 v18, v46, v43
	v_add_f32_e32 v45, v17, v14
	v_add_f32_e32 v14, v16, v18
	v_sub_f32_e32 v17, v15, v14
	v_pk_add_f32 v[20:21], v[14:15], v[16:17] neg_lo:[0,1] neg_hi:[0,1]
	v_mov_b32_e32 v19, v14
	v_pk_add_f32 v[14:15], v[20:21], v[18:19] neg_lo:[0,1] neg_hi:[0,1]
	v_cmp_neq_f32_e32 vcc, s10, v12
	v_add_f32_e32 v15, v45, v15
	v_add_f32_e32 v14, v14, v15
	;; [unrolled: 1-line block ×3, first 2 shown]
	v_mul_f32_e32 v45, v44, v15
	v_mul_f32_e32 v16, v42, v45
	v_fma_f32 v18, v45, v42, -v16
	v_fmac_f32_e32 v18, v45, v43
	v_sub_f32_e32 v17, v17, v15
	v_add_f32_e32 v42, v14, v17
	v_add_f32_e32 v14, v16, v18
	v_sub_f32_e32 v17, v15, v14
	v_pk_add_f32 v[20:21], v[14:15], v[16:17] neg_lo:[0,1] neg_hi:[0,1]
	v_mov_b32_e32 v19, v14
	v_pk_add_f32 v[14:15], v[20:21], v[18:19] neg_lo:[0,1] neg_hi:[0,1]
	v_cvt_f32_i32_e32 v16, v34
	v_add_f32_e32 v15, v42, v15
	v_add_f32_e32 v14, v14, v15
	;; [unrolled: 1-line block ×4, first 2 shown]
	v_sub_f32_e32 v15, v17, v46
	v_mul_f32_e32 v14, v44, v14
	v_sub_f32_e32 v15, v45, v15
	v_add_f32_e32 v14, v15, v14
	v_add_f32_e32 v18, v17, v14
	v_mul_f32_e32 v20, v18, v18
	v_mov_b32_e32 v15, 0x3ecc95a3
	v_sub_f32_e32 v17, v18, v17
	v_fmac_f32_e32 v15, 0x3e9b6dac, v20
	v_sub_f32_e32 v14, v14, v17
	v_fmaak_f32 v15, v20, v15, 0x3f2aaada
	v_ldexp_f32 v21, v14, 1
	v_mul_f32_e32 v17, v18, v20
	v_mov_b32_e32 v14, 0x3f317218
	v_pk_mul_f32 v[14:15], v[16:17], v[14:15]
	v_ldexp_f32 v19, v18, 1
	v_fma_f32 v17, v16, s9, -v14
	v_fmamk_f32 v18, v16, 0xb102e308, v17
	v_pk_add_f32 v[16:17], v[14:15], v[18:19]
	v_mov_b32_e32 v20, v14
	v_sub_f32_e32 v19, v17, v19
	v_sub_f32_e32 v19, v15, v19
	v_add_f32_e32 v21, v21, v19
	v_pk_add_f32 v[14:15], v[16:17], v[14:15] neg_lo:[0,1] neg_hi:[0,1]
	v_pk_add_f32 v[42:43], v[16:17], v[20:21]
	v_mov_b32_e32 v19, v16
	v_mov_b32_e32 v15, v43
	v_pk_add_f32 v[44:45], v[18:19], v[14:15] neg_lo:[0,1] neg_hi:[0,1]
	v_pk_add_f32 v[14:15], v[18:19], v[14:15]
	v_mov_b32_e32 v20, v21
	v_pk_add_f32 v[18:19], v[14:15], v[16:17] op_sel:[1,0] op_sel_hi:[0,1] neg_lo:[0,1] neg_hi:[0,1]
	v_pk_add_f32 v[46:47], v[42:43], v[18:19] op_sel_hi:[1,0] neg_lo:[0,1] neg_hi:[0,1]
	v_mov_b32_e32 v42, v43
	v_mov_b32_e32 v43, v15
	v_pk_mov_b32 v[18:19], v[16:17], v[18:19] op_sel:[1,0]
	v_mov_b32_e32 v21, v16
	v_pk_add_f32 v[18:19], v[42:43], v[18:19] neg_lo:[0,1] neg_hi:[0,1]
	v_mov_b32_e32 v46, v44
	v_pk_add_f32 v[16:17], v[20:21], v[18:19] neg_lo:[0,1] neg_hi:[0,1]
	v_mov_b32_e32 v45, v15
	v_pk_add_f32 v[18:19], v[46:47], v[16:17]
	s_mov_b32 s9, 0x33800000
	v_pk_add_f32 v[20:21], v[18:19], v[18:19] op_sel:[0,1] op_sel_hi:[1,0]
	s_nop 0
	v_pk_add_f32 v[14:15], v[14:15], v[20:21] op_sel:[1,0] op_sel_hi:[0,1]
	v_mov_b32_e32 v19, v14
	v_pk_add_f32 v[42:43], v[18:19], v[44:45] neg_lo:[0,1] neg_hi:[0,1]
	v_mov_b32_e32 v17, v20
	v_sub_f32_e32 v15, v18, v42
	v_pk_add_f32 v[16:17], v[16:17], v[42:43] neg_lo:[0,1] neg_hi:[0,1]
	v_sub_f32_e32 v15, v44, v15
	v_add_f32_e32 v15, v16, v15
	v_add_f32_e32 v15, v15, v17
	;; [unrolled: 1-line block ×3, first 2 shown]
	v_cndmask_b32_e32 v14, v31, v14, vcc
	v_cmp_lt_f32_e64 vcc, |v12|, s9
	s_nop 1
	v_cndmask_b32_e32 v12, v14, v12, vcc
	v_add_f32_e32 v12, v13, v12
.LBB153_195:
	s_or_b64 exec, exec, s[6:7]
	v_max_f32_e32 v13, v12, v12
	v_min_f32_e32 v14, v13, v35
	v_cmp_u_f32_e32 vcc, v12, v12
	v_max_f32_e32 v13, v13, v35
	s_nop 0
	v_cndmask_b32_e32 v14, v14, v12, vcc
	v_cndmask_b32_e32 v13, v13, v12, vcc
	v_cndmask_b32_e64 v15, v14, v29, s[18:19]
	v_cndmask_b32_e64 v14, v13, v29, s[18:19]
	v_cmp_neq_f32_e32 vcc, v15, v14
	v_cmp_class_f32_e64 s[6:7], v15, s8
	s_or_b64 s[8:9], vcc, s[6:7]
	v_mov_b32_e32 v13, v12
	s_and_saveexec_b64 s[6:7], s[8:9]
	s_cbranch_execz .LBB153_197
; %bb.196:
	v_sub_f32_e32 v13, v15, v14
	s_mov_b32 s8, 0x3fb8aa3b
	v_mul_f32_e32 v15, 0x3fb8aa3b, v13
	v_fma_f32 v16, v13, s8, -v15
	v_rndne_f32_e32 v17, v15
	v_fmamk_f32 v16, v13, 0x32a5705f, v16
	v_sub_f32_e32 v15, v15, v17
	v_add_f32_e32 v15, v15, v16
	v_exp_f32_e32 v15, v15
	v_cvt_i32_f32_e32 v16, v17
	s_mov_b32 s8, 0xc2ce8ed0
	v_cmp_ngt_f32_e32 vcc, s8, v13
	s_mov_b32 s8, 0x42b17218
	v_ldexp_f32 v15, v15, v16
	v_cndmask_b32_e32 v15, 0, v15, vcc
	v_mov_b32_e32 v31, 0x7f800000
	v_cmp_nlt_f32_e32 vcc, s8, v13
	s_mov_b32 s8, 0x3f2aaaab
	s_mov_b32 s9, 0x7f800000
	v_cndmask_b32_e32 v13, v31, v15, vcc
	v_add_f32_e32 v15, 1.0, v13
	v_add_f32_e32 v16, -1.0, v15
	v_sub_f32_e32 v17, v16, v15
	v_add_f32_e32 v17, 1.0, v17
	v_sub_f32_e32 v16, v13, v16
	v_add_f32_e32 v18, v16, v17
	v_frexp_mant_f32_e32 v19, v15
	v_cvt_f64_f32_e32 v[16:17], v15
	v_frexp_exp_i32_f64_e32 v16, v[16:17]
	v_cmp_gt_f32_e32 vcc, s8, v19
	s_mov_b32 s8, 0x3f317218
	s_nop 0
	v_subbrev_co_u32_e32 v42, vcc, 0, v16, vcc
	v_sub_u32_e32 v16, 0, v42
	v_ldexp_f32 v15, v15, v16
	v_ldexp_f32 v16, v18, v16
	v_add_f32_e32 v18, -1.0, v15
	v_add_f32_e32 v17, 1.0, v18
	v_sub_f32_e32 v17, v15, v17
	v_add_f32_e32 v19, v16, v17
	v_add_f32_e32 v17, 1.0, v15
	v_add_f32_e32 v20, -1.0, v17
	v_sub_f32_e32 v15, v15, v20
	v_add_f32_e32 v15, v16, v15
	v_add_f32_e32 v43, v17, v15
	v_rcp_f32_e32 v44, v43
	v_sub_f32_e32 v16, v17, v43
	v_add_f32_e32 v17, v18, v19
	v_add_f32_e32 v15, v15, v16
	v_mul_f32_e32 v46, v17, v44
	v_sub_f32_e32 v16, v18, v17
	v_mul_f32_e32 v18, v43, v46
	v_fma_f32 v20, v46, v43, -v18
	v_fmac_f32_e32 v20, v46, v15
	v_add_f32_e32 v45, v19, v16
	v_add_f32_e32 v16, v18, v20
	v_sub_f32_e32 v19, v17, v16
	v_pk_add_f32 v[34:35], v[16:17], v[18:19] neg_lo:[0,1] neg_hi:[0,1]
	v_mov_b32_e32 v21, v16
	v_pk_add_f32 v[16:17], v[34:35], v[20:21] neg_lo:[0,1] neg_hi:[0,1]
	v_cmp_neq_f32_e32 vcc, s9, v13
	v_add_f32_e32 v17, v45, v17
	v_add_f32_e32 v16, v16, v17
	;; [unrolled: 1-line block ×3, first 2 shown]
	v_mul_f32_e32 v45, v44, v17
	v_mul_f32_e32 v18, v43, v45
	v_fma_f32 v20, v45, v43, -v18
	v_fmac_f32_e32 v20, v45, v15
	v_sub_f32_e32 v15, v19, v17
	v_add_f32_e32 v15, v16, v15
	v_add_f32_e32 v16, v18, v20
	v_sub_f32_e32 v19, v17, v16
	v_pk_add_f32 v[34:35], v[16:17], v[18:19] neg_lo:[0,1] neg_hi:[0,1]
	v_mov_b32_e32 v21, v16
	v_pk_add_f32 v[16:17], v[34:35], v[20:21] neg_lo:[0,1] neg_hi:[0,1]
	v_cvt_f32_i32_e32 v18, v42
	v_add_f32_e32 v15, v15, v17
	v_add_f32_e32 v15, v16, v15
	;; [unrolled: 1-line block ×4, first 2 shown]
	v_sub_f32_e32 v17, v16, v46
	v_mul_f32_e32 v15, v44, v15
	v_sub_f32_e32 v17, v45, v17
	v_add_f32_e32 v15, v17, v15
	v_add_f32_e32 v19, v16, v15
	v_mul_f32_e32 v20, v19, v19
	v_mov_b32_e32 v17, 0x3ecc95a3
	v_fmac_f32_e32 v17, 0x3e9b6dac, v20
	v_sub_f32_e32 v16, v19, v16
	v_fmaak_f32 v17, v20, v17, 0x3f2aaada
	v_sub_f32_e32 v15, v15, v16
	v_ldexp_f32 v21, v19, 1
	v_mul_f32_e32 v19, v19, v20
	v_mov_b32_e32 v16, 0x3f317218
	v_pk_mul_f32 v[16:17], v[18:19], v[16:17]
	v_ldexp_f32 v15, v15, 1
	v_fma_f32 v19, v18, s8, -v16
	v_fmamk_f32 v20, v18, 0xb102e308, v19
	v_pk_add_f32 v[18:19], v[16:17], v[20:21]
	v_mov_b32_e32 v34, v16
	v_sub_f32_e32 v21, v19, v21
	v_sub_f32_e32 v21, v17, v21
	v_add_f32_e32 v35, v15, v21
	v_pk_add_f32 v[16:17], v[18:19], v[16:17] neg_lo:[0,1] neg_hi:[0,1]
	v_pk_add_f32 v[42:43], v[18:19], v[34:35]
	v_mov_b32_e32 v21, v18
	v_mov_b32_e32 v17, v43
	v_pk_add_f32 v[44:45], v[20:21], v[16:17] neg_lo:[0,1] neg_hi:[0,1]
	v_pk_add_f32 v[16:17], v[20:21], v[16:17]
	v_mov_b32_e32 v34, v35
	v_pk_add_f32 v[20:21], v[16:17], v[18:19] op_sel:[1,0] op_sel_hi:[0,1] neg_lo:[0,1] neg_hi:[0,1]
	v_pk_add_f32 v[46:47], v[42:43], v[20:21] op_sel_hi:[1,0] neg_lo:[0,1] neg_hi:[0,1]
	v_mov_b32_e32 v42, v43
	v_mov_b32_e32 v43, v17
	v_pk_mov_b32 v[20:21], v[18:19], v[20:21] op_sel:[1,0]
	v_mov_b32_e32 v35, v18
	v_pk_add_f32 v[20:21], v[42:43], v[20:21] neg_lo:[0,1] neg_hi:[0,1]
	v_mov_b32_e32 v46, v44
	v_pk_add_f32 v[18:19], v[34:35], v[20:21] neg_lo:[0,1] neg_hi:[0,1]
	v_mov_b32_e32 v45, v17
	v_pk_add_f32 v[20:21], v[46:47], v[18:19]
	s_mov_b32 s8, 0x33800000
	v_pk_add_f32 v[34:35], v[20:21], v[20:21] op_sel:[0,1] op_sel_hi:[1,0]
	s_nop 0
	v_pk_add_f32 v[16:17], v[16:17], v[34:35] op_sel:[1,0] op_sel_hi:[0,1]
	v_mov_b32_e32 v21, v16
	v_pk_add_f32 v[42:43], v[20:21], v[44:45] neg_lo:[0,1] neg_hi:[0,1]
	v_mov_b32_e32 v19, v34
	v_sub_f32_e32 v15, v20, v42
	v_pk_add_f32 v[18:19], v[18:19], v[42:43] neg_lo:[0,1] neg_hi:[0,1]
	v_sub_f32_e32 v15, v44, v15
	v_add_f32_e32 v15, v18, v15
	v_add_f32_e32 v15, v15, v19
	;; [unrolled: 1-line block ×3, first 2 shown]
	v_cndmask_b32_e32 v15, v31, v15, vcc
	v_cmp_lt_f32_e64 vcc, |v13|, s8
	s_nop 1
	v_cndmask_b32_e32 v13, v15, v13, vcc
	v_add_f32_e32 v13, v14, v13
.LBB153_197:
	s_or_b64 exec, exec, s[6:7]
	v_max_f32_e32 v14, v13, v13
	v_min_f32_e32 v15, v14, v36
	v_cmp_u_f32_e32 vcc, v13, v13
	v_max_f32_e32 v14, v14, v36
	s_movk_i32 s8, 0x1f8
	v_cndmask_b32_e32 v15, v15, v13, vcc
	v_cndmask_b32_e32 v14, v14, v13, vcc
	v_cndmask_b32_e64 v16, v15, v22, s[20:21]
	v_cndmask_b32_e64 v15, v14, v22, s[20:21]
	v_cmp_neq_f32_e32 vcc, v16, v15
	v_cmp_class_f32_e64 s[6:7], v16, s8
	s_or_b64 s[10:11], vcc, s[6:7]
	v_mov_b32_e32 v14, v13
	s_and_saveexec_b64 s[6:7], s[10:11]
	s_cbranch_execz .LBB153_199
; %bb.198:
	v_sub_f32_e32 v14, v16, v15
	s_mov_b32 s9, 0x3fb8aa3b
	v_mul_f32_e32 v16, 0x3fb8aa3b, v14
	v_fma_f32 v17, v14, s9, -v16
	v_rndne_f32_e32 v18, v16
	v_fmamk_f32 v17, v14, 0x32a5705f, v17
	v_sub_f32_e32 v16, v16, v18
	v_add_f32_e32 v16, v16, v17
	v_exp_f32_e32 v16, v16
	v_cvt_i32_f32_e32 v17, v18
	s_mov_b32 s9, 0xc2ce8ed0
	v_cmp_ngt_f32_e32 vcc, s9, v14
	s_mov_b32 s9, 0x42b17218
	v_ldexp_f32 v16, v16, v17
	v_cndmask_b32_e32 v16, 0, v16, vcc
	v_mov_b32_e32 v31, 0x7f800000
	v_cmp_nlt_f32_e32 vcc, s9, v14
	s_mov_b32 s9, 0x3f2aaaab
	s_mov_b32 s10, 0x7f800000
	v_cndmask_b32_e32 v14, v31, v16, vcc
	v_add_f32_e32 v18, 1.0, v14
	v_add_f32_e32 v16, -1.0, v18
	v_sub_f32_e32 v17, v16, v18
	v_add_f32_e32 v17, 1.0, v17
	v_sub_f32_e32 v16, v14, v16
	v_add_f32_e32 v19, v16, v17
	v_frexp_mant_f32_e32 v20, v18
	v_cvt_f64_f32_e32 v[16:17], v18
	v_frexp_exp_i32_f64_e32 v16, v[16:17]
	v_cmp_gt_f32_e32 vcc, s9, v20
	s_mov_b32 s9, 0x3f317218
	s_nop 0
	v_subbrev_co_u32_e32 v36, vcc, 0, v16, vcc
	v_sub_u32_e32 v16, 0, v36
	v_ldexp_f32 v17, v18, v16
	v_add_f32_e32 v18, -1.0, v17
	v_add_f32_e32 v20, 1.0, v17
	v_ldexp_f32 v16, v19, v16
	v_add_f32_e32 v19, 1.0, v18
	v_add_f32_e32 v21, -1.0, v20
	v_sub_f32_e32 v19, v17, v19
	v_sub_f32_e32 v17, v17, v21
	v_add_f32_e32 v19, v16, v19
	v_add_f32_e32 v16, v16, v17
	;; [unrolled: 1-line block ×3, first 2 shown]
	v_rcp_f32_e32 v44, v42
	v_sub_f32_e32 v17, v20, v42
	v_add_f32_e32 v43, v16, v17
	v_add_f32_e32 v17, v18, v19
	v_mul_f32_e32 v46, v17, v44
	v_sub_f32_e32 v16, v18, v17
	v_mul_f32_e32 v18, v42, v46
	v_fma_f32 v20, v46, v42, -v18
	v_fmac_f32_e32 v20, v46, v43
	v_add_f32_e32 v45, v19, v16
	v_add_f32_e32 v16, v18, v20
	v_sub_f32_e32 v19, v17, v16
	v_pk_add_f32 v[34:35], v[16:17], v[18:19] neg_lo:[0,1] neg_hi:[0,1]
	v_mov_b32_e32 v21, v16
	v_pk_add_f32 v[16:17], v[34:35], v[20:21] neg_lo:[0,1] neg_hi:[0,1]
	v_cmp_neq_f32_e32 vcc, s10, v14
	v_add_f32_e32 v17, v45, v17
	v_add_f32_e32 v16, v16, v17
	;; [unrolled: 1-line block ×3, first 2 shown]
	v_mul_f32_e32 v45, v44, v17
	v_mul_f32_e32 v18, v42, v45
	v_fma_f32 v20, v45, v42, -v18
	v_fmac_f32_e32 v20, v45, v43
	v_sub_f32_e32 v19, v19, v17
	v_add_f32_e32 v42, v16, v19
	v_add_f32_e32 v16, v18, v20
	v_sub_f32_e32 v19, v17, v16
	v_pk_add_f32 v[34:35], v[16:17], v[18:19] neg_lo:[0,1] neg_hi:[0,1]
	v_mov_b32_e32 v21, v16
	v_pk_add_f32 v[16:17], v[34:35], v[20:21] neg_lo:[0,1] neg_hi:[0,1]
	v_cvt_f32_i32_e32 v18, v36
	v_add_f32_e32 v17, v42, v17
	v_add_f32_e32 v16, v16, v17
	;; [unrolled: 1-line block ×4, first 2 shown]
	v_sub_f32_e32 v17, v19, v46
	v_mul_f32_e32 v16, v44, v16
	v_sub_f32_e32 v17, v45, v17
	v_add_f32_e32 v16, v17, v16
	v_add_f32_e32 v20, v19, v16
	v_mul_f32_e32 v34, v20, v20
	v_mov_b32_e32 v17, 0x3ecc95a3
	v_sub_f32_e32 v19, v20, v19
	v_fmac_f32_e32 v17, 0x3e9b6dac, v34
	v_sub_f32_e32 v16, v16, v19
	v_fmaak_f32 v17, v34, v17, 0x3f2aaada
	v_ldexp_f32 v35, v16, 1
	v_mul_f32_e32 v19, v20, v34
	v_mov_b32_e32 v16, 0x3f317218
	v_pk_mul_f32 v[16:17], v[18:19], v[16:17]
	v_ldexp_f32 v21, v20, 1
	v_fma_f32 v19, v18, s9, -v16
	v_fmamk_f32 v20, v18, 0xb102e308, v19
	v_pk_add_f32 v[18:19], v[16:17], v[20:21]
	v_mov_b32_e32 v34, v16
	v_sub_f32_e32 v21, v19, v21
	v_sub_f32_e32 v21, v17, v21
	v_add_f32_e32 v35, v35, v21
	v_pk_add_f32 v[16:17], v[18:19], v[16:17] neg_lo:[0,1] neg_hi:[0,1]
	v_pk_add_f32 v[42:43], v[18:19], v[34:35]
	v_mov_b32_e32 v21, v18
	v_mov_b32_e32 v17, v43
	v_pk_add_f32 v[44:45], v[20:21], v[16:17] neg_lo:[0,1] neg_hi:[0,1]
	v_pk_add_f32 v[16:17], v[20:21], v[16:17]
	v_mov_b32_e32 v34, v35
	v_pk_add_f32 v[20:21], v[16:17], v[18:19] op_sel:[1,0] op_sel_hi:[0,1] neg_lo:[0,1] neg_hi:[0,1]
	v_pk_add_f32 v[46:47], v[42:43], v[20:21] op_sel_hi:[1,0] neg_lo:[0,1] neg_hi:[0,1]
	v_mov_b32_e32 v42, v43
	v_mov_b32_e32 v43, v17
	v_pk_mov_b32 v[20:21], v[18:19], v[20:21] op_sel:[1,0]
	v_mov_b32_e32 v35, v18
	v_pk_add_f32 v[20:21], v[42:43], v[20:21] neg_lo:[0,1] neg_hi:[0,1]
	v_mov_b32_e32 v46, v44
	v_pk_add_f32 v[18:19], v[34:35], v[20:21] neg_lo:[0,1] neg_hi:[0,1]
	v_mov_b32_e32 v45, v17
	v_pk_add_f32 v[20:21], v[46:47], v[18:19]
	s_mov_b32 s9, 0x33800000
	v_pk_add_f32 v[34:35], v[20:21], v[20:21] op_sel:[0,1] op_sel_hi:[1,0]
	s_nop 0
	v_pk_add_f32 v[16:17], v[16:17], v[34:35] op_sel:[1,0] op_sel_hi:[0,1]
	v_mov_b32_e32 v21, v16
	v_pk_add_f32 v[42:43], v[20:21], v[44:45] neg_lo:[0,1] neg_hi:[0,1]
	v_mov_b32_e32 v19, v34
	v_sub_f32_e32 v17, v20, v42
	v_pk_add_f32 v[18:19], v[18:19], v[42:43] neg_lo:[0,1] neg_hi:[0,1]
	v_sub_f32_e32 v17, v44, v17
	v_add_f32_e32 v17, v18, v17
	v_add_f32_e32 v17, v17, v19
	;; [unrolled: 1-line block ×3, first 2 shown]
	v_cndmask_b32_e32 v16, v31, v16, vcc
	v_cmp_lt_f32_e64 vcc, |v14|, s9
	s_nop 1
	v_cndmask_b32_e32 v14, v16, v14, vcc
	v_add_f32_e32 v14, v15, v14
.LBB153_199:
	s_or_b64 exec, exec, s[6:7]
	v_max_f32_e32 v15, v14, v14
	v_min_f32_e32 v16, v15, v37
	v_cmp_u_f32_e32 vcc, v14, v14
	v_max_f32_e32 v15, v15, v37
	s_nop 0
	v_cndmask_b32_e32 v16, v16, v14, vcc
	v_cndmask_b32_e32 v15, v15, v14, vcc
	v_cndmask_b32_e64 v17, v16, v23, s[22:23]
	v_cndmask_b32_e64 v16, v15, v23, s[22:23]
	v_cmp_neq_f32_e32 vcc, v17, v16
	v_cmp_class_f32_e64 s[6:7], v17, s8
	s_or_b64 s[8:9], vcc, s[6:7]
	v_mov_b32_e32 v15, v14
	s_and_saveexec_b64 s[6:7], s[8:9]
	s_cbranch_execz .LBB153_201
; %bb.200:
	v_sub_f32_e32 v15, v17, v16
	s_mov_b32 s8, 0x3fb8aa3b
	v_mul_f32_e32 v17, 0x3fb8aa3b, v15
	v_fma_f32 v18, v15, s8, -v17
	v_rndne_f32_e32 v19, v17
	v_fmamk_f32 v18, v15, 0x32a5705f, v18
	v_sub_f32_e32 v17, v17, v19
	v_add_f32_e32 v17, v17, v18
	v_exp_f32_e32 v17, v17
	v_cvt_i32_f32_e32 v18, v19
	s_mov_b32 s8, 0xc2ce8ed0
	v_cmp_ngt_f32_e32 vcc, s8, v15
	s_mov_b32 s8, 0x42b17218
	v_ldexp_f32 v17, v17, v18
	v_cndmask_b32_e32 v17, 0, v17, vcc
	v_mov_b32_e32 v31, 0x7f800000
	v_cmp_nlt_f32_e32 vcc, s8, v15
	s_mov_b32 s8, 0x3f2aaaab
	s_mov_b32 s9, 0x7f800000
	v_cndmask_b32_e32 v15, v31, v17, vcc
	v_add_f32_e32 v17, 1.0, v15
	v_add_f32_e32 v18, -1.0, v17
	v_sub_f32_e32 v19, v18, v17
	v_add_f32_e32 v19, 1.0, v19
	v_sub_f32_e32 v18, v15, v18
	v_add_f32_e32 v20, v18, v19
	v_frexp_mant_f32_e32 v21, v17
	v_cvt_f64_f32_e32 v[18:19], v17
	v_frexp_exp_i32_f64_e32 v18, v[18:19]
	v_cmp_gt_f32_e32 vcc, s8, v21
	s_mov_b32 s8, 0x3f317218
	s_nop 0
	v_subbrev_co_u32_e32 v42, vcc, 0, v18, vcc
	v_sub_u32_e32 v18, 0, v42
	v_ldexp_f32 v17, v17, v18
	v_ldexp_f32 v18, v20, v18
	v_add_f32_e32 v20, -1.0, v17
	v_add_f32_e32 v19, 1.0, v20
	v_sub_f32_e32 v19, v17, v19
	v_add_f32_e32 v21, v18, v19
	v_add_f32_e32 v19, 1.0, v17
	v_add_f32_e32 v34, -1.0, v19
	v_sub_f32_e32 v17, v17, v34
	v_add_f32_e32 v17, v18, v17
	v_add_f32_e32 v43, v19, v17
	v_rcp_f32_e32 v44, v43
	v_sub_f32_e32 v18, v19, v43
	v_add_f32_e32 v19, v20, v21
	v_add_f32_e32 v17, v17, v18
	v_mul_f32_e32 v46, v19, v44
	v_sub_f32_e32 v18, v20, v19
	v_mul_f32_e32 v20, v43, v46
	v_fma_f32 v34, v46, v43, -v20
	v_fmac_f32_e32 v34, v46, v17
	v_add_f32_e32 v45, v21, v18
	v_add_f32_e32 v18, v20, v34
	v_sub_f32_e32 v21, v19, v18
	v_pk_add_f32 v[36:37], v[18:19], v[20:21] neg_lo:[0,1] neg_hi:[0,1]
	v_mov_b32_e32 v35, v18
	v_pk_add_f32 v[18:19], v[36:37], v[34:35] neg_lo:[0,1] neg_hi:[0,1]
	v_cmp_neq_f32_e32 vcc, s9, v15
	v_add_f32_e32 v19, v45, v19
	v_add_f32_e32 v18, v18, v19
	;; [unrolled: 1-line block ×3, first 2 shown]
	v_mul_f32_e32 v45, v44, v19
	v_mul_f32_e32 v20, v43, v45
	v_fma_f32 v34, v45, v43, -v20
	v_fmac_f32_e32 v34, v45, v17
	v_sub_f32_e32 v17, v21, v19
	v_add_f32_e32 v17, v18, v17
	v_add_f32_e32 v18, v20, v34
	v_sub_f32_e32 v21, v19, v18
	v_pk_add_f32 v[36:37], v[18:19], v[20:21] neg_lo:[0,1] neg_hi:[0,1]
	v_mov_b32_e32 v35, v18
	v_pk_add_f32 v[18:19], v[36:37], v[34:35] neg_lo:[0,1] neg_hi:[0,1]
	v_cvt_f32_i32_e32 v20, v42
	v_add_f32_e32 v17, v17, v19
	v_add_f32_e32 v17, v18, v17
	;; [unrolled: 1-line block ×4, first 2 shown]
	v_sub_f32_e32 v19, v18, v46
	v_mul_f32_e32 v17, v44, v17
	v_sub_f32_e32 v19, v45, v19
	v_add_f32_e32 v17, v19, v17
	v_add_f32_e32 v21, v18, v17
	v_mul_f32_e32 v34, v21, v21
	v_mov_b32_e32 v19, 0x3ecc95a3
	v_fmac_f32_e32 v19, 0x3e9b6dac, v34
	v_sub_f32_e32 v18, v21, v18
	v_fmaak_f32 v19, v34, v19, 0x3f2aaada
	v_sub_f32_e32 v17, v17, v18
	v_ldexp_f32 v35, v21, 1
	v_mul_f32_e32 v21, v21, v34
	v_mov_b32_e32 v18, 0x3f317218
	v_pk_mul_f32 v[18:19], v[20:21], v[18:19]
	v_ldexp_f32 v17, v17, 1
	v_fma_f32 v21, v20, s8, -v18
	v_fmamk_f32 v34, v20, 0xb102e308, v21
	v_pk_add_f32 v[20:21], v[18:19], v[34:35]
	v_mov_b32_e32 v36, v18
	v_sub_f32_e32 v35, v21, v35
	v_sub_f32_e32 v35, v19, v35
	v_add_f32_e32 v37, v17, v35
	v_pk_add_f32 v[18:19], v[20:21], v[18:19] neg_lo:[0,1] neg_hi:[0,1]
	v_pk_add_f32 v[42:43], v[20:21], v[36:37]
	v_mov_b32_e32 v35, v20
	v_mov_b32_e32 v19, v43
	v_pk_add_f32 v[44:45], v[34:35], v[18:19] neg_lo:[0,1] neg_hi:[0,1]
	v_pk_add_f32 v[18:19], v[34:35], v[18:19]
	v_mov_b32_e32 v36, v37
	v_pk_add_f32 v[34:35], v[18:19], v[20:21] op_sel:[1,0] op_sel_hi:[0,1] neg_lo:[0,1] neg_hi:[0,1]
	v_pk_add_f32 v[46:47], v[42:43], v[34:35] op_sel_hi:[1,0] neg_lo:[0,1] neg_hi:[0,1]
	v_mov_b32_e32 v42, v43
	v_mov_b32_e32 v43, v19
	v_pk_mov_b32 v[34:35], v[20:21], v[34:35] op_sel:[1,0]
	v_mov_b32_e32 v37, v20
	v_pk_add_f32 v[34:35], v[42:43], v[34:35] neg_lo:[0,1] neg_hi:[0,1]
	v_mov_b32_e32 v46, v44
	v_pk_add_f32 v[20:21], v[36:37], v[34:35] neg_lo:[0,1] neg_hi:[0,1]
	v_mov_b32_e32 v45, v19
	v_pk_add_f32 v[34:35], v[46:47], v[20:21]
	s_mov_b32 s8, 0x33800000
	v_pk_add_f32 v[36:37], v[34:35], v[34:35] op_sel:[0,1] op_sel_hi:[1,0]
	s_nop 0
	v_pk_add_f32 v[18:19], v[18:19], v[36:37] op_sel:[1,0] op_sel_hi:[0,1]
	v_mov_b32_e32 v35, v18
	v_pk_add_f32 v[42:43], v[34:35], v[44:45] neg_lo:[0,1] neg_hi:[0,1]
	v_mov_b32_e32 v21, v36
	v_sub_f32_e32 v17, v34, v42
	v_pk_add_f32 v[20:21], v[20:21], v[42:43] neg_lo:[0,1] neg_hi:[0,1]
	v_sub_f32_e32 v17, v44, v17
	v_add_f32_e32 v17, v20, v17
	v_add_f32_e32 v17, v17, v21
	;; [unrolled: 1-line block ×3, first 2 shown]
	v_cndmask_b32_e32 v17, v31, v17, vcc
	v_cmp_lt_f32_e64 vcc, |v15|, s8
	s_nop 1
	v_cndmask_b32_e32 v15, v17, v15, vcc
	v_add_f32_e32 v15, v16, v15
.LBB153_201:
	s_or_b64 exec, exec, s[6:7]
	v_max_f32_e32 v16, v15, v15
	v_min_f32_e32 v17, v16, v38
	v_cmp_u_f32_e32 vcc, v15, v15
	v_max_f32_e32 v16, v16, v38
	s_movk_i32 s8, 0x1f8
	v_cndmask_b32_e32 v17, v17, v15, vcc
	v_cndmask_b32_e32 v16, v16, v15, vcc
	v_cndmask_b32_e64 v18, v17, v24, s[24:25]
	v_cndmask_b32_e64 v17, v16, v24, s[24:25]
	v_cmp_neq_f32_e32 vcc, v18, v17
	v_cmp_class_f32_e64 s[6:7], v18, s8
	s_or_b64 s[10:11], vcc, s[6:7]
	v_mov_b32_e32 v16, v15
	s_and_saveexec_b64 s[6:7], s[10:11]
	s_cbranch_execz .LBB153_203
; %bb.202:
	v_sub_f32_e32 v16, v18, v17
	s_mov_b32 s9, 0x3fb8aa3b
	v_mul_f32_e32 v18, 0x3fb8aa3b, v16
	v_fma_f32 v19, v16, s9, -v18
	v_rndne_f32_e32 v20, v18
	v_fmamk_f32 v19, v16, 0x32a5705f, v19
	v_sub_f32_e32 v18, v18, v20
	v_add_f32_e32 v18, v18, v19
	v_exp_f32_e32 v18, v18
	v_cvt_i32_f32_e32 v19, v20
	s_mov_b32 s9, 0xc2ce8ed0
	v_cmp_ngt_f32_e32 vcc, s9, v16
	s_mov_b32 s9, 0x42b17218
	v_ldexp_f32 v18, v18, v19
	v_cndmask_b32_e32 v18, 0, v18, vcc
	v_mov_b32_e32 v31, 0x7f800000
	v_cmp_nlt_f32_e32 vcc, s9, v16
	s_mov_b32 s9, 0x3f2aaaab
	s_mov_b32 s10, 0x7f800000
	v_cndmask_b32_e32 v16, v31, v18, vcc
	v_add_f32_e32 v20, 1.0, v16
	v_add_f32_e32 v18, -1.0, v20
	v_sub_f32_e32 v19, v18, v20
	v_add_f32_e32 v19, 1.0, v19
	v_sub_f32_e32 v18, v16, v18
	v_add_f32_e32 v21, v18, v19
	v_frexp_mant_f32_e32 v34, v20
	v_cvt_f64_f32_e32 v[18:19], v20
	v_frexp_exp_i32_f64_e32 v18, v[18:19]
	v_cmp_gt_f32_e32 vcc, s9, v34
	s_mov_b32 s9, 0x3f317218
	s_nop 0
	v_subbrev_co_u32_e32 v38, vcc, 0, v18, vcc
	v_sub_u32_e32 v18, 0, v38
	v_ldexp_f32 v19, v20, v18
	v_add_f32_e32 v20, -1.0, v19
	v_add_f32_e32 v34, 1.0, v19
	v_ldexp_f32 v18, v21, v18
	v_add_f32_e32 v21, 1.0, v20
	v_add_f32_e32 v35, -1.0, v34
	v_sub_f32_e32 v21, v19, v21
	v_sub_f32_e32 v19, v19, v35
	v_add_f32_e32 v21, v18, v21
	v_add_f32_e32 v18, v18, v19
	;; [unrolled: 1-line block ×3, first 2 shown]
	v_rcp_f32_e32 v44, v42
	v_sub_f32_e32 v19, v34, v42
	v_add_f32_e32 v43, v18, v19
	v_add_f32_e32 v19, v20, v21
	v_mul_f32_e32 v46, v19, v44
	v_sub_f32_e32 v18, v20, v19
	v_mul_f32_e32 v20, v42, v46
	v_fma_f32 v34, v46, v42, -v20
	v_fmac_f32_e32 v34, v46, v43
	v_add_f32_e32 v45, v21, v18
	v_add_f32_e32 v18, v20, v34
	v_sub_f32_e32 v21, v19, v18
	v_pk_add_f32 v[36:37], v[18:19], v[20:21] neg_lo:[0,1] neg_hi:[0,1]
	v_mov_b32_e32 v35, v18
	v_pk_add_f32 v[18:19], v[36:37], v[34:35] neg_lo:[0,1] neg_hi:[0,1]
	v_cmp_neq_f32_e32 vcc, s10, v16
	v_add_f32_e32 v19, v45, v19
	v_add_f32_e32 v18, v18, v19
	;; [unrolled: 1-line block ×3, first 2 shown]
	v_mul_f32_e32 v45, v44, v19
	v_mul_f32_e32 v20, v42, v45
	v_fma_f32 v34, v45, v42, -v20
	v_fmac_f32_e32 v34, v45, v43
	v_sub_f32_e32 v21, v21, v19
	v_add_f32_e32 v42, v18, v21
	v_add_f32_e32 v18, v20, v34
	v_sub_f32_e32 v21, v19, v18
	v_pk_add_f32 v[36:37], v[18:19], v[20:21] neg_lo:[0,1] neg_hi:[0,1]
	v_mov_b32_e32 v35, v18
	v_pk_add_f32 v[18:19], v[36:37], v[34:35] neg_lo:[0,1] neg_hi:[0,1]
	v_cvt_f32_i32_e32 v20, v38
	v_add_f32_e32 v19, v42, v19
	v_add_f32_e32 v18, v18, v19
	;; [unrolled: 1-line block ×4, first 2 shown]
	v_sub_f32_e32 v19, v21, v46
	v_mul_f32_e32 v18, v44, v18
	v_sub_f32_e32 v19, v45, v19
	v_add_f32_e32 v18, v19, v18
	v_add_f32_e32 v34, v21, v18
	v_mul_f32_e32 v36, v34, v34
	v_mov_b32_e32 v19, 0x3ecc95a3
	v_sub_f32_e32 v21, v34, v21
	v_fmac_f32_e32 v19, 0x3e9b6dac, v36
	v_sub_f32_e32 v18, v18, v21
	v_fmaak_f32 v19, v36, v19, 0x3f2aaada
	v_ldexp_f32 v37, v18, 1
	v_mul_f32_e32 v21, v34, v36
	v_mov_b32_e32 v18, 0x3f317218
	v_pk_mul_f32 v[18:19], v[20:21], v[18:19]
	v_ldexp_f32 v35, v34, 1
	v_fma_f32 v21, v20, s9, -v18
	v_fmamk_f32 v34, v20, 0xb102e308, v21
	v_pk_add_f32 v[20:21], v[18:19], v[34:35]
	v_mov_b32_e32 v36, v18
	v_sub_f32_e32 v35, v21, v35
	v_sub_f32_e32 v35, v19, v35
	v_add_f32_e32 v37, v37, v35
	v_pk_add_f32 v[18:19], v[20:21], v[18:19] neg_lo:[0,1] neg_hi:[0,1]
	v_pk_add_f32 v[42:43], v[20:21], v[36:37]
	v_mov_b32_e32 v35, v20
	v_mov_b32_e32 v19, v43
	v_pk_add_f32 v[44:45], v[34:35], v[18:19] neg_lo:[0,1] neg_hi:[0,1]
	v_pk_add_f32 v[18:19], v[34:35], v[18:19]
	v_mov_b32_e32 v36, v37
	v_pk_add_f32 v[34:35], v[18:19], v[20:21] op_sel:[1,0] op_sel_hi:[0,1] neg_lo:[0,1] neg_hi:[0,1]
	v_pk_add_f32 v[46:47], v[42:43], v[34:35] op_sel_hi:[1,0] neg_lo:[0,1] neg_hi:[0,1]
	v_mov_b32_e32 v42, v43
	v_mov_b32_e32 v43, v19
	v_pk_mov_b32 v[34:35], v[20:21], v[34:35] op_sel:[1,0]
	v_mov_b32_e32 v37, v20
	v_pk_add_f32 v[34:35], v[42:43], v[34:35] neg_lo:[0,1] neg_hi:[0,1]
	v_mov_b32_e32 v46, v44
	v_pk_add_f32 v[20:21], v[36:37], v[34:35] neg_lo:[0,1] neg_hi:[0,1]
	v_mov_b32_e32 v45, v19
	v_pk_add_f32 v[34:35], v[46:47], v[20:21]
	s_mov_b32 s9, 0x33800000
	v_pk_add_f32 v[36:37], v[34:35], v[34:35] op_sel:[0,1] op_sel_hi:[1,0]
	s_nop 0
	v_pk_add_f32 v[18:19], v[18:19], v[36:37] op_sel:[1,0] op_sel_hi:[0,1]
	v_mov_b32_e32 v35, v18
	v_pk_add_f32 v[42:43], v[34:35], v[44:45] neg_lo:[0,1] neg_hi:[0,1]
	v_mov_b32_e32 v21, v36
	v_sub_f32_e32 v19, v34, v42
	v_pk_add_f32 v[20:21], v[20:21], v[42:43] neg_lo:[0,1] neg_hi:[0,1]
	v_sub_f32_e32 v19, v44, v19
	v_add_f32_e32 v19, v20, v19
	v_add_f32_e32 v19, v19, v21
	;; [unrolled: 1-line block ×3, first 2 shown]
	v_cndmask_b32_e32 v18, v31, v18, vcc
	v_cmp_lt_f32_e64 vcc, |v16|, s9
	s_nop 1
	v_cndmask_b32_e32 v16, v18, v16, vcc
	v_add_f32_e32 v16, v17, v16
.LBB153_203:
	s_or_b64 exec, exec, s[6:7]
	v_max_f32_e32 v17, v16, v16
	v_min_f32_e32 v18, v17, v39
	v_cmp_u_f32_e32 vcc, v16, v16
	v_max_f32_e32 v17, v17, v39
	s_nop 0
	v_cndmask_b32_e32 v18, v18, v16, vcc
	v_cndmask_b32_e32 v17, v17, v16, vcc
	v_cndmask_b32_e64 v19, v18, v25, s[26:27]
	v_cndmask_b32_e64 v18, v17, v25, s[26:27]
	v_cmp_neq_f32_e32 vcc, v19, v18
	v_cmp_class_f32_e64 s[6:7], v19, s8
	s_or_b64 s[8:9], vcc, s[6:7]
	v_mov_b32_e32 v17, v16
	s_and_saveexec_b64 s[6:7], s[8:9]
	s_cbranch_execz .LBB153_205
; %bb.204:
	v_sub_f32_e32 v17, v19, v18
	s_mov_b32 s8, 0x3fb8aa3b
	v_mul_f32_e32 v19, 0x3fb8aa3b, v17
	v_fma_f32 v20, v17, s8, -v19
	v_rndne_f32_e32 v21, v19
	v_fmamk_f32 v20, v17, 0x32a5705f, v20
	v_sub_f32_e32 v19, v19, v21
	v_add_f32_e32 v19, v19, v20
	v_exp_f32_e32 v19, v19
	v_cvt_i32_f32_e32 v20, v21
	s_mov_b32 s8, 0xc2ce8ed0
	v_cmp_ngt_f32_e32 vcc, s8, v17
	s_mov_b32 s8, 0x42b17218
	v_ldexp_f32 v19, v19, v20
	v_cndmask_b32_e32 v19, 0, v19, vcc
	v_mov_b32_e32 v31, 0x7f800000
	v_cmp_nlt_f32_e32 vcc, s8, v17
	s_mov_b32 s8, 0x3f2aaaab
	s_mov_b32 s9, 0x7f800000
	v_cndmask_b32_e32 v17, v31, v19, vcc
	v_add_f32_e32 v19, 1.0, v17
	v_add_f32_e32 v20, -1.0, v19
	v_sub_f32_e32 v21, v20, v19
	v_add_f32_e32 v21, 1.0, v21
	v_sub_f32_e32 v20, v17, v20
	v_add_f32_e32 v34, v20, v21
	v_frexp_mant_f32_e32 v35, v19
	v_cvt_f64_f32_e32 v[20:21], v19
	v_frexp_exp_i32_f64_e32 v20, v[20:21]
	v_cmp_gt_f32_e32 vcc, s8, v35
	s_mov_b32 s8, 0x3f317218
	s_nop 0
	v_subbrev_co_u32_e32 v42, vcc, 0, v20, vcc
	v_sub_u32_e32 v20, 0, v42
	v_ldexp_f32 v19, v19, v20
	v_ldexp_f32 v20, v34, v20
	v_add_f32_e32 v34, -1.0, v19
	v_add_f32_e32 v21, 1.0, v34
	v_sub_f32_e32 v21, v19, v21
	v_add_f32_e32 v35, v20, v21
	v_add_f32_e32 v21, 1.0, v19
	v_add_f32_e32 v36, -1.0, v21
	v_sub_f32_e32 v19, v19, v36
	v_add_f32_e32 v19, v20, v19
	v_add_f32_e32 v43, v21, v19
	v_rcp_f32_e32 v44, v43
	v_sub_f32_e32 v20, v21, v43
	v_add_f32_e32 v21, v34, v35
	v_add_f32_e32 v19, v19, v20
	v_mul_f32_e32 v46, v21, v44
	v_sub_f32_e32 v20, v34, v21
	v_mul_f32_e32 v34, v43, v46
	v_fma_f32 v36, v46, v43, -v34
	v_fmac_f32_e32 v36, v46, v19
	v_add_f32_e32 v45, v35, v20
	v_add_f32_e32 v20, v34, v36
	v_sub_f32_e32 v35, v21, v20
	v_pk_add_f32 v[38:39], v[20:21], v[34:35] neg_lo:[0,1] neg_hi:[0,1]
	v_mov_b32_e32 v37, v20
	v_pk_add_f32 v[20:21], v[38:39], v[36:37] neg_lo:[0,1] neg_hi:[0,1]
	v_cmp_neq_f32_e32 vcc, s9, v17
	v_add_f32_e32 v21, v45, v21
	v_add_f32_e32 v20, v20, v21
	;; [unrolled: 1-line block ×3, first 2 shown]
	v_mul_f32_e32 v45, v44, v21
	v_mul_f32_e32 v34, v43, v45
	v_fma_f32 v36, v45, v43, -v34
	v_fmac_f32_e32 v36, v45, v19
	v_sub_f32_e32 v19, v35, v21
	v_add_f32_e32 v19, v20, v19
	v_add_f32_e32 v20, v34, v36
	v_sub_f32_e32 v35, v21, v20
	v_pk_add_f32 v[38:39], v[20:21], v[34:35] neg_lo:[0,1] neg_hi:[0,1]
	v_mov_b32_e32 v37, v20
	v_pk_add_f32 v[20:21], v[38:39], v[36:37] neg_lo:[0,1] neg_hi:[0,1]
	v_cvt_f32_i32_e32 v34, v42
	v_add_f32_e32 v19, v19, v21
	v_add_f32_e32 v19, v20, v19
	;; [unrolled: 1-line block ×4, first 2 shown]
	v_sub_f32_e32 v21, v20, v46
	v_mul_f32_e32 v19, v44, v19
	v_sub_f32_e32 v21, v45, v21
	v_add_f32_e32 v19, v21, v19
	v_add_f32_e32 v35, v20, v19
	v_mul_f32_e32 v36, v35, v35
	v_mov_b32_e32 v21, 0x3ecc95a3
	v_fmac_f32_e32 v21, 0x3e9b6dac, v36
	v_sub_f32_e32 v20, v35, v20
	v_fmaak_f32 v21, v36, v21, 0x3f2aaada
	v_sub_f32_e32 v19, v19, v20
	v_ldexp_f32 v37, v35, 1
	v_mul_f32_e32 v35, v35, v36
	v_mov_b32_e32 v20, 0x3f317218
	v_pk_mul_f32 v[20:21], v[34:35], v[20:21]
	v_ldexp_f32 v19, v19, 1
	v_fma_f32 v35, v34, s8, -v20
	v_fmamk_f32 v36, v34, 0xb102e308, v35
	v_pk_add_f32 v[34:35], v[20:21], v[36:37]
	v_mov_b32_e32 v38, v20
	v_sub_f32_e32 v37, v35, v37
	v_sub_f32_e32 v37, v21, v37
	v_add_f32_e32 v39, v19, v37
	v_pk_add_f32 v[20:21], v[34:35], v[20:21] neg_lo:[0,1] neg_hi:[0,1]
	v_pk_add_f32 v[42:43], v[34:35], v[38:39]
	v_mov_b32_e32 v37, v34
	v_mov_b32_e32 v21, v43
	v_pk_add_f32 v[44:45], v[36:37], v[20:21] neg_lo:[0,1] neg_hi:[0,1]
	v_pk_add_f32 v[20:21], v[36:37], v[20:21]
	v_mov_b32_e32 v38, v39
	v_pk_add_f32 v[36:37], v[20:21], v[34:35] op_sel:[1,0] op_sel_hi:[0,1] neg_lo:[0,1] neg_hi:[0,1]
	v_pk_add_f32 v[46:47], v[42:43], v[36:37] op_sel_hi:[1,0] neg_lo:[0,1] neg_hi:[0,1]
	v_mov_b32_e32 v42, v43
	v_mov_b32_e32 v43, v21
	v_pk_mov_b32 v[36:37], v[34:35], v[36:37] op_sel:[1,0]
	v_mov_b32_e32 v39, v34
	v_pk_add_f32 v[36:37], v[42:43], v[36:37] neg_lo:[0,1] neg_hi:[0,1]
	v_mov_b32_e32 v46, v44
	v_pk_add_f32 v[34:35], v[38:39], v[36:37] neg_lo:[0,1] neg_hi:[0,1]
	v_mov_b32_e32 v45, v21
	v_pk_add_f32 v[36:37], v[46:47], v[34:35]
	s_mov_b32 s8, 0x33800000
	v_pk_add_f32 v[38:39], v[36:37], v[36:37] op_sel:[0,1] op_sel_hi:[1,0]
	s_nop 0
	v_pk_add_f32 v[20:21], v[20:21], v[38:39] op_sel:[1,0] op_sel_hi:[0,1]
	v_mov_b32_e32 v37, v20
	v_pk_add_f32 v[42:43], v[36:37], v[44:45] neg_lo:[0,1] neg_hi:[0,1]
	v_mov_b32_e32 v35, v38
	v_sub_f32_e32 v19, v36, v42
	v_pk_add_f32 v[34:35], v[34:35], v[42:43] neg_lo:[0,1] neg_hi:[0,1]
	v_sub_f32_e32 v19, v44, v19
	v_add_f32_e32 v19, v34, v19
	v_add_f32_e32 v19, v19, v35
	;; [unrolled: 1-line block ×3, first 2 shown]
	v_cndmask_b32_e32 v19, v31, v19, vcc
	v_cmp_lt_f32_e64 vcc, |v17|, s8
	s_nop 1
	v_cndmask_b32_e32 v17, v19, v17, vcc
	v_add_f32_e32 v17, v18, v17
.LBB153_205:
	s_or_b64 exec, exec, s[6:7]
	v_max_f32_e32 v18, v17, v17
	v_min_f32_e32 v19, v18, v40
	v_cmp_u_f32_e32 vcc, v17, v17
	v_max_f32_e32 v18, v18, v40
	s_movk_i32 s8, 0x1f8
	v_cndmask_b32_e32 v19, v19, v17, vcc
	v_cndmask_b32_e32 v18, v18, v17, vcc
	v_cndmask_b32_e64 v20, v19, v32, s[28:29]
	v_cndmask_b32_e64 v19, v18, v32, s[28:29]
	v_cmp_neq_f32_e32 vcc, v20, v19
	v_cmp_class_f32_e64 s[6:7], v20, s8
	s_or_b64 s[10:11], vcc, s[6:7]
	v_mov_b32_e32 v18, v17
	s_and_saveexec_b64 s[6:7], s[10:11]
	s_cbranch_execz .LBB153_207
; %bb.206:
	v_sub_f32_e32 v18, v20, v19
	s_mov_b32 s9, 0x3fb8aa3b
	v_mul_f32_e32 v20, 0x3fb8aa3b, v18
	v_fma_f32 v21, v18, s9, -v20
	v_rndne_f32_e32 v31, v20
	v_fmamk_f32 v21, v18, 0x32a5705f, v21
	v_sub_f32_e32 v20, v20, v31
	v_add_f32_e32 v20, v20, v21
	v_exp_f32_e32 v20, v20
	v_cvt_i32_f32_e32 v21, v31
	s_mov_b32 s9, 0xc2ce8ed0
	v_cmp_ngt_f32_e32 vcc, s9, v18
	s_mov_b32 s9, 0x42b17218
	v_ldexp_f32 v20, v20, v21
	v_cndmask_b32_e32 v20, 0, v20, vcc
	v_mov_b32_e32 v31, 0x7f800000
	v_cmp_nlt_f32_e32 vcc, s9, v18
	s_mov_b32 s9, 0x3f2aaaab
	s_mov_b32 s10, 0x7f800000
	v_cndmask_b32_e32 v18, v31, v20, vcc
	v_add_f32_e32 v34, 1.0, v18
	v_add_f32_e32 v20, -1.0, v34
	v_sub_f32_e32 v21, v20, v34
	v_add_f32_e32 v21, 1.0, v21
	v_sub_f32_e32 v20, v18, v20
	v_add_f32_e32 v35, v20, v21
	v_frexp_mant_f32_e32 v36, v34
	v_cvt_f64_f32_e32 v[20:21], v34
	v_frexp_exp_i32_f64_e32 v20, v[20:21]
	v_cmp_gt_f32_e32 vcc, s9, v36
	s_mov_b32 s9, 0x3f317218
	s_nop 0
	v_subbrev_co_u32_e32 v40, vcc, 0, v20, vcc
	v_sub_u32_e32 v20, 0, v40
	v_ldexp_f32 v21, v34, v20
	v_add_f32_e32 v34, -1.0, v21
	v_add_f32_e32 v36, 1.0, v21
	v_ldexp_f32 v20, v35, v20
	v_add_f32_e32 v35, 1.0, v34
	v_add_f32_e32 v37, -1.0, v36
	v_sub_f32_e32 v35, v21, v35
	v_sub_f32_e32 v21, v21, v37
	v_add_f32_e32 v35, v20, v35
	v_add_f32_e32 v20, v20, v21
	;; [unrolled: 1-line block ×3, first 2 shown]
	v_rcp_f32_e32 v44, v42
	v_sub_f32_e32 v21, v36, v42
	v_add_f32_e32 v43, v20, v21
	v_add_f32_e32 v21, v34, v35
	v_mul_f32_e32 v46, v21, v44
	v_sub_f32_e32 v20, v34, v21
	v_mul_f32_e32 v34, v42, v46
	v_fma_f32 v36, v46, v42, -v34
	v_fmac_f32_e32 v36, v46, v43
	v_add_f32_e32 v45, v35, v20
	v_add_f32_e32 v20, v34, v36
	v_sub_f32_e32 v35, v21, v20
	v_pk_add_f32 v[38:39], v[20:21], v[34:35] neg_lo:[0,1] neg_hi:[0,1]
	v_mov_b32_e32 v37, v20
	v_pk_add_f32 v[20:21], v[38:39], v[36:37] neg_lo:[0,1] neg_hi:[0,1]
	v_cmp_neq_f32_e32 vcc, s10, v18
	v_add_f32_e32 v21, v45, v21
	v_add_f32_e32 v20, v20, v21
	;; [unrolled: 1-line block ×3, first 2 shown]
	v_mul_f32_e32 v45, v44, v21
	v_mul_f32_e32 v34, v42, v45
	v_fma_f32 v36, v45, v42, -v34
	v_fmac_f32_e32 v36, v45, v43
	v_sub_f32_e32 v35, v35, v21
	v_add_f32_e32 v42, v20, v35
	v_add_f32_e32 v20, v34, v36
	v_sub_f32_e32 v35, v21, v20
	v_pk_add_f32 v[38:39], v[20:21], v[34:35] neg_lo:[0,1] neg_hi:[0,1]
	v_mov_b32_e32 v37, v20
	v_pk_add_f32 v[20:21], v[38:39], v[36:37] neg_lo:[0,1] neg_hi:[0,1]
	v_cvt_f32_i32_e32 v34, v40
	v_add_f32_e32 v21, v42, v21
	v_add_f32_e32 v20, v20, v21
	;; [unrolled: 1-line block ×4, first 2 shown]
	v_sub_f32_e32 v21, v35, v46
	v_mul_f32_e32 v20, v44, v20
	v_sub_f32_e32 v21, v45, v21
	v_add_f32_e32 v20, v21, v20
	v_add_f32_e32 v36, v35, v20
	v_mul_f32_e32 v38, v36, v36
	v_mov_b32_e32 v21, 0x3ecc95a3
	v_sub_f32_e32 v35, v36, v35
	v_fmac_f32_e32 v21, 0x3e9b6dac, v38
	v_sub_f32_e32 v20, v20, v35
	v_fmaak_f32 v21, v38, v21, 0x3f2aaada
	v_ldexp_f32 v39, v20, 1
	v_mul_f32_e32 v35, v36, v38
	v_mov_b32_e32 v20, 0x3f317218
	v_pk_mul_f32 v[20:21], v[34:35], v[20:21]
	v_ldexp_f32 v37, v36, 1
	v_fma_f32 v35, v34, s9, -v20
	v_fmamk_f32 v36, v34, 0xb102e308, v35
	v_pk_add_f32 v[34:35], v[20:21], v[36:37]
	v_mov_b32_e32 v38, v20
	v_sub_f32_e32 v37, v35, v37
	v_sub_f32_e32 v37, v21, v37
	v_add_f32_e32 v39, v39, v37
	v_pk_add_f32 v[20:21], v[34:35], v[20:21] neg_lo:[0,1] neg_hi:[0,1]
	v_pk_add_f32 v[42:43], v[34:35], v[38:39]
	v_mov_b32_e32 v37, v34
	v_mov_b32_e32 v21, v43
	v_pk_add_f32 v[44:45], v[36:37], v[20:21] neg_lo:[0,1] neg_hi:[0,1]
	v_pk_add_f32 v[20:21], v[36:37], v[20:21]
	v_mov_b32_e32 v38, v39
	v_pk_add_f32 v[36:37], v[20:21], v[34:35] op_sel:[1,0] op_sel_hi:[0,1] neg_lo:[0,1] neg_hi:[0,1]
	v_pk_add_f32 v[46:47], v[42:43], v[36:37] op_sel_hi:[1,0] neg_lo:[0,1] neg_hi:[0,1]
	v_mov_b32_e32 v42, v43
	v_mov_b32_e32 v43, v21
	v_pk_mov_b32 v[36:37], v[34:35], v[36:37] op_sel:[1,0]
	v_mov_b32_e32 v39, v34
	v_pk_add_f32 v[36:37], v[42:43], v[36:37] neg_lo:[0,1] neg_hi:[0,1]
	v_mov_b32_e32 v46, v44
	v_pk_add_f32 v[34:35], v[38:39], v[36:37] neg_lo:[0,1] neg_hi:[0,1]
	v_mov_b32_e32 v45, v21
	v_pk_add_f32 v[36:37], v[46:47], v[34:35]
	s_mov_b32 s9, 0x33800000
	v_pk_add_f32 v[38:39], v[36:37], v[36:37] op_sel:[0,1] op_sel_hi:[1,0]
	s_nop 0
	v_pk_add_f32 v[20:21], v[20:21], v[38:39] op_sel:[1,0] op_sel_hi:[0,1]
	v_mov_b32_e32 v37, v20
	v_pk_add_f32 v[42:43], v[36:37], v[44:45] neg_lo:[0,1] neg_hi:[0,1]
	v_mov_b32_e32 v35, v38
	v_sub_f32_e32 v21, v36, v42
	v_pk_add_f32 v[34:35], v[34:35], v[42:43] neg_lo:[0,1] neg_hi:[0,1]
	v_sub_f32_e32 v21, v44, v21
	v_add_f32_e32 v21, v34, v21
	v_add_f32_e32 v21, v21, v35
	v_add_f32_e32 v20, v20, v21
	v_cndmask_b32_e32 v20, v31, v20, vcc
	v_cmp_lt_f32_e64 vcc, |v18|, s9
	s_nop 1
	v_cndmask_b32_e32 v18, v20, v18, vcc
	v_add_f32_e32 v18, v19, v18
.LBB153_207:
	s_or_b64 exec, exec, s[6:7]
	v_max_f32_e32 v19, v18, v18
	v_min_f32_e32 v20, v19, v41
	v_cmp_u_f32_e32 vcc, v18, v18
	v_max_f32_e32 v19, v19, v41
	s_nop 0
	v_cndmask_b32_e32 v20, v20, v18, vcc
	v_cndmask_b32_e32 v19, v19, v18, vcc
	v_cndmask_b32_e64 v21, v20, v33, s[30:31]
	v_cndmask_b32_e64 v20, v19, v33, s[30:31]
	v_cmp_neq_f32_e32 vcc, v21, v20
	v_cmp_class_f32_e64 s[6:7], v21, s8
	s_or_b64 s[8:9], vcc, s[6:7]
	v_mov_b32_e32 v19, v18
	s_and_saveexec_b64 s[6:7], s[8:9]
	s_cbranch_execz .LBB153_209
; %bb.208:
	v_sub_f32_e32 v19, v21, v20
	s_mov_b32 s8, 0x3fb8aa3b
	v_mul_f32_e32 v21, 0x3fb8aa3b, v19
	v_fma_f32 v31, v19, s8, -v21
	v_rndne_f32_e32 v34, v21
	v_fmamk_f32 v31, v19, 0x32a5705f, v31
	v_sub_f32_e32 v21, v21, v34
	v_add_f32_e32 v21, v21, v31
	v_exp_f32_e32 v21, v21
	v_cvt_i32_f32_e32 v31, v34
	s_mov_b32 s8, 0xc2ce8ed0
	v_cmp_ngt_f32_e32 vcc, s8, v19
	s_mov_b32 s8, 0x42b17218
	v_ldexp_f32 v21, v21, v31
	v_cndmask_b32_e32 v21, 0, v21, vcc
	v_mov_b32_e32 v31, 0x7f800000
	v_cmp_nlt_f32_e32 vcc, s8, v19
	s_mov_b32 s8, 0x3f2aaaab
	s_mov_b32 s9, 0x7f800000
	v_cndmask_b32_e32 v19, v31, v21, vcc
	v_add_f32_e32 v21, 1.0, v19
	v_add_f32_e32 v34, -1.0, v21
	v_sub_f32_e32 v35, v34, v21
	v_add_f32_e32 v35, 1.0, v35
	v_sub_f32_e32 v34, v19, v34
	v_add_f32_e32 v36, v34, v35
	v_frexp_mant_f32_e32 v37, v21
	v_cvt_f64_f32_e32 v[34:35], v21
	v_frexp_exp_i32_f64_e32 v34, v[34:35]
	v_cmp_gt_f32_e32 vcc, s8, v37
	s_mov_b32 s8, 0x3f317218
	s_nop 0
	v_subbrev_co_u32_e32 v42, vcc, 0, v34, vcc
	v_sub_u32_e32 v34, 0, v42
	v_ldexp_f32 v21, v21, v34
	v_ldexp_f32 v34, v36, v34
	v_add_f32_e32 v36, -1.0, v21
	v_add_f32_e32 v35, 1.0, v36
	v_sub_f32_e32 v35, v21, v35
	v_add_f32_e32 v37, v34, v35
	v_add_f32_e32 v35, 1.0, v21
	v_add_f32_e32 v38, -1.0, v35
	v_sub_f32_e32 v21, v21, v38
	v_add_f32_e32 v21, v34, v21
	v_add_f32_e32 v43, v35, v21
	v_rcp_f32_e32 v44, v43
	v_sub_f32_e32 v34, v35, v43
	v_add_f32_e32 v35, v36, v37
	v_add_f32_e32 v21, v21, v34
	v_mul_f32_e32 v46, v35, v44
	v_sub_f32_e32 v34, v36, v35
	v_mul_f32_e32 v36, v43, v46
	v_fma_f32 v38, v46, v43, -v36
	v_fmac_f32_e32 v38, v46, v21
	v_add_f32_e32 v45, v37, v34
	v_add_f32_e32 v34, v36, v38
	v_sub_f32_e32 v37, v35, v34
	v_pk_add_f32 v[40:41], v[34:35], v[36:37] neg_lo:[0,1] neg_hi:[0,1]
	v_mov_b32_e32 v39, v34
	v_pk_add_f32 v[34:35], v[40:41], v[38:39] neg_lo:[0,1] neg_hi:[0,1]
	v_cmp_neq_f32_e32 vcc, s9, v19
	v_add_f32_e32 v35, v45, v35
	v_add_f32_e32 v34, v34, v35
	;; [unrolled: 1-line block ×3, first 2 shown]
	v_mul_f32_e32 v45, v44, v35
	v_mul_f32_e32 v36, v43, v45
	v_fma_f32 v38, v45, v43, -v36
	v_fmac_f32_e32 v38, v45, v21
	v_sub_f32_e32 v21, v37, v35
	v_add_f32_e32 v21, v34, v21
	v_add_f32_e32 v34, v36, v38
	v_sub_f32_e32 v37, v35, v34
	v_pk_add_f32 v[40:41], v[34:35], v[36:37] neg_lo:[0,1] neg_hi:[0,1]
	v_mov_b32_e32 v39, v34
	v_pk_add_f32 v[34:35], v[40:41], v[38:39] neg_lo:[0,1] neg_hi:[0,1]
	v_cvt_f32_i32_e32 v36, v42
	v_add_f32_e32 v21, v21, v35
	v_add_f32_e32 v21, v34, v21
	;; [unrolled: 1-line block ×4, first 2 shown]
	v_sub_f32_e32 v35, v34, v46
	v_mul_f32_e32 v21, v44, v21
	v_sub_f32_e32 v35, v45, v35
	v_add_f32_e32 v21, v35, v21
	v_add_f32_e32 v37, v34, v21
	v_mul_f32_e32 v38, v37, v37
	v_mov_b32_e32 v35, 0x3ecc95a3
	v_fmac_f32_e32 v35, 0x3e9b6dac, v38
	v_sub_f32_e32 v34, v37, v34
	v_fmaak_f32 v35, v38, v35, 0x3f2aaada
	v_sub_f32_e32 v21, v21, v34
	v_ldexp_f32 v39, v37, 1
	v_mul_f32_e32 v37, v37, v38
	v_mov_b32_e32 v34, 0x3f317218
	v_pk_mul_f32 v[34:35], v[36:37], v[34:35]
	v_ldexp_f32 v21, v21, 1
	v_fma_f32 v37, v36, s8, -v34
	v_fmamk_f32 v38, v36, 0xb102e308, v37
	v_pk_add_f32 v[36:37], v[34:35], v[38:39]
	v_mov_b32_e32 v40, v34
	v_sub_f32_e32 v39, v37, v39
	v_sub_f32_e32 v39, v35, v39
	v_add_f32_e32 v41, v21, v39
	v_pk_add_f32 v[34:35], v[36:37], v[34:35] neg_lo:[0,1] neg_hi:[0,1]
	v_pk_add_f32 v[42:43], v[36:37], v[40:41]
	v_mov_b32_e32 v39, v36
	v_mov_b32_e32 v35, v43
	v_pk_add_f32 v[44:45], v[38:39], v[34:35] neg_lo:[0,1] neg_hi:[0,1]
	v_pk_add_f32 v[34:35], v[38:39], v[34:35]
	v_mov_b32_e32 v40, v41
	v_pk_add_f32 v[38:39], v[34:35], v[36:37] op_sel:[1,0] op_sel_hi:[0,1] neg_lo:[0,1] neg_hi:[0,1]
	v_pk_add_f32 v[46:47], v[42:43], v[38:39] op_sel_hi:[1,0] neg_lo:[0,1] neg_hi:[0,1]
	v_mov_b32_e32 v42, v43
	v_mov_b32_e32 v43, v35
	v_pk_mov_b32 v[38:39], v[36:37], v[38:39] op_sel:[1,0]
	v_mov_b32_e32 v41, v36
	v_pk_add_f32 v[38:39], v[42:43], v[38:39] neg_lo:[0,1] neg_hi:[0,1]
	v_mov_b32_e32 v46, v44
	v_pk_add_f32 v[36:37], v[40:41], v[38:39] neg_lo:[0,1] neg_hi:[0,1]
	v_mov_b32_e32 v45, v35
	v_pk_add_f32 v[38:39], v[46:47], v[36:37]
	s_mov_b32 s8, 0x33800000
	v_pk_add_f32 v[40:41], v[38:39], v[38:39] op_sel:[0,1] op_sel_hi:[1,0]
	s_nop 0
	v_pk_add_f32 v[34:35], v[34:35], v[40:41] op_sel:[1,0] op_sel_hi:[0,1]
	v_mov_b32_e32 v39, v34
	v_pk_add_f32 v[42:43], v[38:39], v[44:45] neg_lo:[0,1] neg_hi:[0,1]
	v_mov_b32_e32 v37, v40
	v_sub_f32_e32 v21, v38, v42
	v_pk_add_f32 v[36:37], v[36:37], v[42:43] neg_lo:[0,1] neg_hi:[0,1]
	v_sub_f32_e32 v21, v44, v21
	v_add_f32_e32 v21, v36, v21
	v_add_f32_e32 v21, v21, v37
	v_add_f32_e32 v21, v34, v21
	v_cndmask_b32_e32 v21, v31, v21, vcc
	v_cmp_lt_f32_e64 vcc, |v19|, s8
	s_nop 1
	v_cndmask_b32_e32 v19, v21, v19, vcc
	v_add_f32_e32 v19, v20, v19
.LBB153_209:
	s_or_b64 exec, exec, s[6:7]
	s_branch .LBB153_313
.LBB153_210:
	s_cmp_lg_u64 s[48:49], 0
	s_cselect_b64 s[6:7], -1, 0
	s_and_b64 s[8:9], s[4:5], s[6:7]
	s_and_saveexec_b64 s[6:7], s[8:9]
	s_cbranch_execz .LBB153_214
; %bb.211:
	v_mov_b32_e32 v6, 0
	global_load_dword v6, v6, s[44:45]
	v_max_f32_e32 v7, v2, v2
	s_movk_i32 s8, 0x1f8
	s_waitcnt vmcnt(0)
	v_max_f32_e32 v8, v6, v6
	v_min_f32_e32 v9, v8, v7
	v_max_f32_e32 v7, v8, v7
	v_cmp_u_f32_e32 vcc, v6, v6
	s_nop 1
	v_cndmask_b32_e32 v8, v9, v6, vcc
	v_cndmask_b32_e32 v9, v7, v6, vcc
	v_cmp_u_f32_e32 vcc, v2, v2
	s_nop 1
	v_cndmask_b32_e32 v7, v8, v2, vcc
	v_cndmask_b32_e32 v2, v9, v2, vcc
	v_cmp_neq_f32_e32 vcc, v7, v2
	v_cmp_class_f32_e64 s[8:9], v7, s8
	s_or_b64 s[10:11], vcc, s[8:9]
	s_and_saveexec_b64 s[8:9], s[10:11]
	s_cbranch_execz .LBB153_213
; %bb.212:
	v_sub_f32_e32 v6, v7, v2
	s_mov_b32 s10, 0x3fb8aa3b
	v_mul_f32_e32 v7, 0x3fb8aa3b, v6
	v_fma_f32 v8, v6, s10, -v7
	v_rndne_f32_e32 v9, v7
	v_fmamk_f32 v8, v6, 0x32a5705f, v8
	v_sub_f32_e32 v7, v7, v9
	v_add_f32_e32 v7, v7, v8
	v_exp_f32_e32 v7, v7
	v_cvt_i32_f32_e32 v8, v9
	s_mov_b32 s10, 0xc2ce8ed0
	v_cmp_ngt_f32_e32 vcc, s10, v6
	s_mov_b32 s10, 0x42b17218
	v_ldexp_f32 v7, v7, v8
	v_cndmask_b32_e32 v7, 0, v7, vcc
	v_mov_b32_e32 v20, 0x7f800000
	v_cmp_nlt_f32_e32 vcc, s10, v6
	s_mov_b32 s10, 0x3f2aaaab
	s_mov_b32 s11, 0x7f800000
	v_cndmask_b32_e32 v21, v20, v7, vcc
	v_add_f32_e32 v8, 1.0, v21
	v_add_f32_e32 v6, -1.0, v8
	v_sub_f32_e32 v7, v6, v8
	v_add_f32_e32 v7, 1.0, v7
	v_sub_f32_e32 v6, v21, v6
	v_add_f32_e32 v9, v6, v7
	v_frexp_mant_f32_e32 v10, v8
	v_cvt_f64_f32_e32 v[6:7], v8
	v_frexp_exp_i32_f64_e32 v6, v[6:7]
	v_cmp_gt_f32_e32 vcc, s10, v10
	s_mov_b32 s10, 0x3f317218
	s_nop 0
	v_subbrev_co_u32_e32 v14, vcc, 0, v6, vcc
	v_sub_u32_e32 v6, 0, v14
	v_ldexp_f32 v7, v8, v6
	v_add_f32_e32 v8, -1.0, v7
	v_add_f32_e32 v10, 1.0, v7
	v_ldexp_f32 v6, v9, v6
	v_add_f32_e32 v9, 1.0, v8
	v_add_f32_e32 v11, -1.0, v10
	v_sub_f32_e32 v9, v7, v9
	v_sub_f32_e32 v7, v7, v11
	v_add_f32_e32 v9, v6, v9
	v_add_f32_e32 v6, v6, v7
	;; [unrolled: 1-line block ×3, first 2 shown]
	v_rcp_f32_e32 v17, v15
	v_sub_f32_e32 v7, v10, v15
	v_add_f32_e32 v16, v6, v7
	v_add_f32_e32 v7, v8, v9
	v_mul_f32_e32 v19, v7, v17
	v_sub_f32_e32 v6, v8, v7
	v_mul_f32_e32 v8, v15, v19
	v_fma_f32 v10, v19, v15, -v8
	v_fmac_f32_e32 v10, v19, v16
	v_add_f32_e32 v18, v9, v6
	v_add_f32_e32 v6, v8, v10
	v_sub_f32_e32 v9, v7, v6
	v_pk_add_f32 v[12:13], v[6:7], v[8:9] neg_lo:[0,1] neg_hi:[0,1]
	v_mov_b32_e32 v11, v6
	v_pk_add_f32 v[6:7], v[12:13], v[10:11] neg_lo:[0,1] neg_hi:[0,1]
	v_cmp_neq_f32_e32 vcc, s11, v21
	v_add_f32_e32 v7, v18, v7
	v_add_f32_e32 v6, v6, v7
	;; [unrolled: 1-line block ×3, first 2 shown]
	v_mul_f32_e32 v18, v17, v7
	v_mul_f32_e32 v8, v15, v18
	v_fma_f32 v10, v18, v15, -v8
	v_fmac_f32_e32 v10, v18, v16
	v_sub_f32_e32 v9, v9, v7
	v_add_f32_e32 v15, v6, v9
	v_add_f32_e32 v6, v8, v10
	v_sub_f32_e32 v9, v7, v6
	v_pk_add_f32 v[12:13], v[6:7], v[8:9] neg_lo:[0,1] neg_hi:[0,1]
	v_mov_b32_e32 v11, v6
	v_pk_add_f32 v[6:7], v[12:13], v[10:11] neg_lo:[0,1] neg_hi:[0,1]
	v_cvt_f32_i32_e32 v8, v14
	v_add_f32_e32 v7, v15, v7
	v_add_f32_e32 v6, v6, v7
	;; [unrolled: 1-line block ×4, first 2 shown]
	v_sub_f32_e32 v7, v9, v19
	v_mul_f32_e32 v6, v17, v6
	v_sub_f32_e32 v7, v18, v7
	v_add_f32_e32 v6, v7, v6
	v_add_f32_e32 v10, v9, v6
	v_mul_f32_e32 v12, v10, v10
	v_mov_b32_e32 v7, 0x3ecc95a3
	v_sub_f32_e32 v9, v10, v9
	v_fmac_f32_e32 v7, 0x3e9b6dac, v12
	v_sub_f32_e32 v6, v6, v9
	v_fmaak_f32 v7, v12, v7, 0x3f2aaada
	v_ldexp_f32 v13, v6, 1
	v_mul_f32_e32 v9, v10, v12
	v_mov_b32_e32 v6, 0x3f317218
	v_pk_mul_f32 v[6:7], v[8:9], v[6:7]
	v_ldexp_f32 v11, v10, 1
	v_fma_f32 v9, v8, s10, -v6
	v_fmamk_f32 v10, v8, 0xb102e308, v9
	v_pk_add_f32 v[8:9], v[6:7], v[10:11]
	v_mov_b32_e32 v12, v6
	v_sub_f32_e32 v11, v9, v11
	v_sub_f32_e32 v11, v7, v11
	v_add_f32_e32 v13, v13, v11
	v_pk_add_f32 v[6:7], v[8:9], v[6:7] neg_lo:[0,1] neg_hi:[0,1]
	v_pk_add_f32 v[14:15], v[8:9], v[12:13]
	v_mov_b32_e32 v11, v8
	v_mov_b32_e32 v7, v15
	v_pk_add_f32 v[16:17], v[10:11], v[6:7] neg_lo:[0,1] neg_hi:[0,1]
	v_pk_add_f32 v[6:7], v[10:11], v[6:7]
	v_mov_b32_e32 v12, v13
	v_pk_add_f32 v[10:11], v[6:7], v[8:9] op_sel:[1,0] op_sel_hi:[0,1] neg_lo:[0,1] neg_hi:[0,1]
	v_pk_add_f32 v[18:19], v[14:15], v[10:11] op_sel_hi:[1,0] neg_lo:[0,1] neg_hi:[0,1]
	v_mov_b32_e32 v14, v15
	v_mov_b32_e32 v15, v7
	v_pk_mov_b32 v[10:11], v[8:9], v[10:11] op_sel:[1,0]
	v_mov_b32_e32 v13, v8
	v_pk_add_f32 v[10:11], v[14:15], v[10:11] neg_lo:[0,1] neg_hi:[0,1]
	v_mov_b32_e32 v18, v16
	v_pk_add_f32 v[8:9], v[12:13], v[10:11] neg_lo:[0,1] neg_hi:[0,1]
	v_mov_b32_e32 v17, v7
	v_pk_add_f32 v[10:11], v[18:19], v[8:9]
	s_mov_b32 s10, 0x33800000
	v_pk_add_f32 v[12:13], v[10:11], v[10:11] op_sel:[0,1] op_sel_hi:[1,0]
	s_nop 0
	v_pk_add_f32 v[6:7], v[6:7], v[12:13] op_sel:[1,0] op_sel_hi:[0,1]
	v_mov_b32_e32 v11, v6
	v_pk_add_f32 v[14:15], v[10:11], v[16:17] neg_lo:[0,1] neg_hi:[0,1]
	v_mov_b32_e32 v9, v12
	v_sub_f32_e32 v7, v10, v14
	v_pk_add_f32 v[8:9], v[8:9], v[14:15] neg_lo:[0,1] neg_hi:[0,1]
	v_sub_f32_e32 v7, v16, v7
	v_add_f32_e32 v7, v8, v7
	v_add_f32_e32 v7, v7, v9
	;; [unrolled: 1-line block ×3, first 2 shown]
	v_cndmask_b32_e32 v6, v20, v6, vcc
	v_cmp_lt_f32_e64 vcc, |v21|, s10
	s_nop 1
	v_cndmask_b32_e32 v6, v6, v21, vcc
	v_add_f32_e32 v6, v2, v6
.LBB153_213:
	s_or_b64 exec, exec, s[8:9]
	v_mov_b32_e32 v2, v6
.LBB153_214:
	s_or_b64 exec, exec, s[6:7]
	v_max_f32_e32 v14, v3, v3
	v_max_f32_e32 v31, v2, v2
	v_min_f32_e32 v21, v31, v14
	v_cmp_u_f32_e64 s[30:31], v2, v2
	v_cmp_u_f32_e32 vcc, v3, v3
	v_max_f32_e32 v34, v31, v14
	v_cndmask_b32_e64 v6, v21, v2, s[30:31]
	v_cndmask_b32_e32 v7, v6, v3, vcc
	v_cndmask_b32_e64 v6, v34, v2, s[30:31]
	v_cndmask_b32_e32 v6, v6, v3, vcc
	s_movk_i32 s10, 0x1f8
	v_cmp_neq_f32_e64 s[6:7], v7, v6
	v_cmp_class_f32_e64 s[8:9], v7, s10
	s_or_b64 s[6:7], s[6:7], s[8:9]
	v_mov_b32_e32 v36, v2
	s_and_saveexec_b64 s[8:9], s[6:7]
	s_cbranch_execz .LBB153_216
; %bb.215:
	v_sub_f32_e32 v7, v7, v6
	s_mov_b32 s6, 0x3fb8aa3b
	v_mul_f32_e32 v8, 0x3fb8aa3b, v7
	v_fma_f32 v9, v7, s6, -v8
	v_rndne_f32_e32 v10, v8
	v_fmamk_f32 v9, v7, 0x32a5705f, v9
	v_sub_f32_e32 v8, v8, v10
	v_add_f32_e32 v8, v8, v9
	v_exp_f32_e32 v8, v8
	v_cvt_i32_f32_e32 v9, v10
	s_mov_b32 s6, 0xc2ce8ed0
	v_cmp_ngt_f32_e64 s[6:7], s6, v7
	v_mov_b32_e32 v15, 0x7f800000
	v_ldexp_f32 v8, v8, v9
	v_cndmask_b32_e64 v8, 0, v8, s[6:7]
	s_mov_b32 s6, 0x42b17218
	v_cmp_nlt_f32_e64 s[6:7], s6, v7
	s_mov_b32 s11, 0x7f800000
	s_nop 0
	v_cndmask_b32_e64 v7, v15, v8, s[6:7]
	v_add_f32_e32 v10, 1.0, v7
	v_add_f32_e32 v8, -1.0, v10
	v_sub_f32_e32 v9, v8, v10
	v_add_f32_e32 v9, 1.0, v9
	v_sub_f32_e32 v8, v7, v8
	v_add_f32_e32 v11, v8, v9
	v_frexp_mant_f32_e32 v12, v10
	s_mov_b32 s6, 0x3f2aaaab
	v_cvt_f64_f32_e32 v[8:9], v10
	v_frexp_exp_i32_f64_e32 v8, v[8:9]
	v_cmp_gt_f32_e64 s[6:7], s6, v12
	s_nop 1
	v_subbrev_co_u32_e64 v18, s[6:7], 0, v8, s[6:7]
	v_sub_u32_e32 v8, 0, v18
	v_ldexp_f32 v9, v10, v8
	v_add_f32_e32 v10, -1.0, v9
	v_add_f32_e32 v12, 1.0, v9
	v_ldexp_f32 v8, v11, v8
	v_add_f32_e32 v11, 1.0, v10
	v_add_f32_e32 v13, -1.0, v12
	v_sub_f32_e32 v11, v9, v11
	v_sub_f32_e32 v9, v9, v13
	v_add_f32_e32 v11, v8, v11
	v_add_f32_e32 v8, v8, v9
	;; [unrolled: 1-line block ×3, first 2 shown]
	v_rcp_f32_e32 v35, v19
	v_sub_f32_e32 v9, v12, v19
	v_add_f32_e32 v20, v8, v9
	v_add_f32_e32 v9, v10, v11
	v_mul_f32_e32 v37, v9, v35
	v_sub_f32_e32 v8, v10, v9
	v_mul_f32_e32 v10, v19, v37
	v_fma_f32 v12, v37, v19, -v10
	v_fmac_f32_e32 v12, v37, v20
	v_add_f32_e32 v36, v11, v8
	v_add_f32_e32 v8, v10, v12
	v_sub_f32_e32 v11, v9, v8
	v_pk_add_f32 v[16:17], v[8:9], v[10:11] neg_lo:[0,1] neg_hi:[0,1]
	v_mov_b32_e32 v13, v8
	v_pk_add_f32 v[8:9], v[16:17], v[12:13] neg_lo:[0,1] neg_hi:[0,1]
	s_mov_b32 s6, 0x3f317218
	v_add_f32_e32 v9, v36, v9
	v_add_f32_e32 v8, v8, v9
	;; [unrolled: 1-line block ×3, first 2 shown]
	v_mul_f32_e32 v36, v35, v9
	v_mul_f32_e32 v10, v19, v36
	v_fma_f32 v12, v36, v19, -v10
	v_fmac_f32_e32 v12, v36, v20
	v_sub_f32_e32 v11, v11, v9
	v_add_f32_e32 v19, v8, v11
	v_add_f32_e32 v8, v10, v12
	v_sub_f32_e32 v11, v9, v8
	v_pk_add_f32 v[16:17], v[8:9], v[10:11] neg_lo:[0,1] neg_hi:[0,1]
	v_mov_b32_e32 v13, v8
	v_pk_add_f32 v[8:9], v[16:17], v[12:13] neg_lo:[0,1] neg_hi:[0,1]
	v_cvt_f32_i32_e32 v10, v18
	v_add_f32_e32 v9, v19, v9
	v_add_f32_e32 v8, v8, v9
	;; [unrolled: 1-line block ×4, first 2 shown]
	v_sub_f32_e32 v9, v11, v37
	v_mul_f32_e32 v8, v35, v8
	v_sub_f32_e32 v9, v36, v9
	v_add_f32_e32 v8, v9, v8
	v_add_f32_e32 v12, v11, v8
	v_mul_f32_e32 v16, v12, v12
	v_mov_b32_e32 v9, 0x3ecc95a3
	v_sub_f32_e32 v11, v12, v11
	v_fmac_f32_e32 v9, 0x3e9b6dac, v16
	v_sub_f32_e32 v8, v8, v11
	v_fmaak_f32 v9, v16, v9, 0x3f2aaada
	v_ldexp_f32 v17, v8, 1
	v_mul_f32_e32 v11, v12, v16
	v_mov_b32_e32 v8, 0x3f317218
	v_pk_mul_f32 v[8:9], v[10:11], v[8:9]
	v_ldexp_f32 v13, v12, 1
	v_fma_f32 v11, v10, s6, -v8
	v_fmamk_f32 v12, v10, 0xb102e308, v11
	v_pk_add_f32 v[10:11], v[8:9], v[12:13]
	v_mov_b32_e32 v16, v8
	v_sub_f32_e32 v13, v11, v13
	v_sub_f32_e32 v13, v9, v13
	v_add_f32_e32 v17, v17, v13
	v_pk_add_f32 v[8:9], v[10:11], v[8:9] neg_lo:[0,1] neg_hi:[0,1]
	v_pk_add_f32 v[18:19], v[10:11], v[16:17]
	v_mov_b32_e32 v13, v10
	v_mov_b32_e32 v9, v19
	v_pk_add_f32 v[36:37], v[12:13], v[8:9] neg_lo:[0,1] neg_hi:[0,1]
	v_pk_add_f32 v[8:9], v[12:13], v[8:9]
	v_mov_b32_e32 v16, v17
	v_pk_add_f32 v[12:13], v[8:9], v[10:11] op_sel:[1,0] op_sel_hi:[0,1] neg_lo:[0,1] neg_hi:[0,1]
	v_pk_add_f32 v[38:39], v[18:19], v[12:13] op_sel_hi:[1,0] neg_lo:[0,1] neg_hi:[0,1]
	v_mov_b32_e32 v18, v19
	v_mov_b32_e32 v19, v9
	v_pk_mov_b32 v[12:13], v[10:11], v[12:13] op_sel:[1,0]
	v_mov_b32_e32 v17, v10
	v_pk_add_f32 v[12:13], v[18:19], v[12:13] neg_lo:[0,1] neg_hi:[0,1]
	v_mov_b32_e32 v38, v36
	v_pk_add_f32 v[10:11], v[16:17], v[12:13] neg_lo:[0,1] neg_hi:[0,1]
	v_mov_b32_e32 v37, v9
	v_pk_add_f32 v[12:13], v[38:39], v[10:11]
	v_cmp_neq_f32_e64 s[6:7], s11, v7
	v_pk_add_f32 v[16:17], v[12:13], v[12:13] op_sel:[0,1] op_sel_hi:[1,0]
	s_nop 0
	v_pk_add_f32 v[8:9], v[8:9], v[16:17] op_sel:[1,0] op_sel_hi:[0,1]
	v_mov_b32_e32 v13, v8
	v_pk_add_f32 v[18:19], v[12:13], v[36:37] neg_lo:[0,1] neg_hi:[0,1]
	v_mov_b32_e32 v11, v16
	v_sub_f32_e32 v9, v12, v18
	v_pk_add_f32 v[10:11], v[10:11], v[18:19] neg_lo:[0,1] neg_hi:[0,1]
	v_sub_f32_e32 v9, v36, v9
	v_add_f32_e32 v9, v10, v9
	v_add_f32_e32 v9, v9, v11
	;; [unrolled: 1-line block ×3, first 2 shown]
	v_cndmask_b32_e64 v8, v15, v8, s[6:7]
	s_mov_b32 s6, 0x33800000
	v_cmp_lt_f32_e64 s[6:7], |v7|, s6
	s_nop 1
	v_cndmask_b32_e64 v7, v8, v7, s[6:7]
	v_add_f32_e32 v36, v6, v7
.LBB153_216:
	s_or_b64 exec, exec, s[8:9]
	v_max_f32_e32 v8, v4, v4
	v_max_f32_e32 v6, v36, v36
	v_min_f32_e32 v7, v6, v8
	v_cmp_u_f32_e64 s[8:9], v36, v36
	v_max_f32_e32 v6, v6, v8
	v_cmp_u_f32_e64 s[6:7], v4, v4
	v_cndmask_b32_e64 v7, v7, v36, s[8:9]
	v_cndmask_b32_e64 v6, v6, v36, s[8:9]
	v_cndmask_b32_e64 v7, v7, v4, s[6:7]
	v_cndmask_b32_e64 v6, v6, v4, s[6:7]
	v_cmp_neq_f32_e64 s[8:9], v7, v6
	v_cmp_class_f32_e64 s[10:11], v7, s10
	s_or_b64 s[8:9], s[8:9], s[10:11]
	s_and_saveexec_b64 s[10:11], s[8:9]
	s_cbranch_execz .LBB153_218
; %bb.217:
	v_sub_f32_e32 v7, v7, v6
	s_mov_b32 s8, 0x3fb8aa3b
	v_mul_f32_e32 v9, 0x3fb8aa3b, v7
	v_fma_f32 v10, v7, s8, -v9
	v_rndne_f32_e32 v11, v9
	v_fmamk_f32 v10, v7, 0x32a5705f, v10
	v_sub_f32_e32 v9, v9, v11
	v_add_f32_e32 v9, v9, v10
	v_exp_f32_e32 v9, v9
	v_cvt_i32_f32_e32 v10, v11
	s_mov_b32 s8, 0xc2ce8ed0
	v_cmp_ngt_f32_e64 s[8:9], s8, v7
	v_mov_b32_e32 v15, 0x7f800000
	v_ldexp_f32 v9, v9, v10
	v_cndmask_b32_e64 v9, 0, v9, s[8:9]
	s_mov_b32 s8, 0x42b17218
	v_cmp_nlt_f32_e64 s[8:9], s8, v7
	s_mov_b32 s12, 0x7f800000
	s_nop 0
	v_cndmask_b32_e64 v7, v15, v9, s[8:9]
	v_add_f32_e32 v9, 1.0, v7
	v_add_f32_e32 v10, -1.0, v9
	v_sub_f32_e32 v11, v10, v9
	v_add_f32_e32 v11, 1.0, v11
	v_sub_f32_e32 v10, v7, v10
	v_add_f32_e32 v12, v10, v11
	v_frexp_mant_f32_e32 v13, v9
	s_mov_b32 s8, 0x3f2aaaab
	v_cvt_f64_f32_e32 v[10:11], v9
	v_frexp_exp_i32_f64_e32 v10, v[10:11]
	v_cmp_gt_f32_e64 s[8:9], s8, v13
	s_nop 1
	v_subbrev_co_u32_e64 v20, s[8:9], 0, v10, s[8:9]
	v_sub_u32_e32 v10, 0, v20
	v_ldexp_f32 v9, v9, v10
	v_ldexp_f32 v10, v12, v10
	v_add_f32_e32 v12, -1.0, v9
	v_add_f32_e32 v11, 1.0, v12
	v_sub_f32_e32 v11, v9, v11
	v_add_f32_e32 v13, v10, v11
	v_add_f32_e32 v11, 1.0, v9
	v_add_f32_e32 v16, -1.0, v11
	v_sub_f32_e32 v9, v9, v16
	v_add_f32_e32 v9, v10, v9
	v_add_f32_e32 v35, v11, v9
	v_rcp_f32_e32 v36, v35
	v_sub_f32_e32 v10, v11, v35
	v_add_f32_e32 v11, v12, v13
	v_add_f32_e32 v9, v9, v10
	v_mul_f32_e32 v38, v11, v36
	v_sub_f32_e32 v10, v12, v11
	v_mul_f32_e32 v12, v35, v38
	v_fma_f32 v16, v38, v35, -v12
	v_fmac_f32_e32 v16, v38, v9
	v_add_f32_e32 v37, v13, v10
	v_add_f32_e32 v10, v12, v16
	v_sub_f32_e32 v13, v11, v10
	v_pk_add_f32 v[18:19], v[10:11], v[12:13] neg_lo:[0,1] neg_hi:[0,1]
	v_mov_b32_e32 v17, v10
	v_pk_add_f32 v[10:11], v[18:19], v[16:17] neg_lo:[0,1] neg_hi:[0,1]
	s_mov_b32 s8, 0x3f317218
	v_add_f32_e32 v11, v37, v11
	v_add_f32_e32 v10, v10, v11
	;; [unrolled: 1-line block ×3, first 2 shown]
	v_mul_f32_e32 v37, v36, v11
	v_mul_f32_e32 v12, v35, v37
	v_fma_f32 v16, v37, v35, -v12
	v_fmac_f32_e32 v16, v37, v9
	v_sub_f32_e32 v9, v13, v11
	v_add_f32_e32 v9, v10, v9
	v_add_f32_e32 v10, v12, v16
	v_sub_f32_e32 v13, v11, v10
	v_pk_add_f32 v[18:19], v[10:11], v[12:13] neg_lo:[0,1] neg_hi:[0,1]
	v_mov_b32_e32 v17, v10
	v_pk_add_f32 v[10:11], v[18:19], v[16:17] neg_lo:[0,1] neg_hi:[0,1]
	v_cvt_f32_i32_e32 v12, v20
	v_add_f32_e32 v9, v9, v11
	v_add_f32_e32 v9, v10, v9
	;; [unrolled: 1-line block ×4, first 2 shown]
	v_sub_f32_e32 v11, v10, v38
	v_mul_f32_e32 v9, v36, v9
	v_sub_f32_e32 v11, v37, v11
	v_add_f32_e32 v9, v11, v9
	v_add_f32_e32 v13, v10, v9
	v_mul_f32_e32 v16, v13, v13
	v_mov_b32_e32 v11, 0x3ecc95a3
	v_fmac_f32_e32 v11, 0x3e9b6dac, v16
	v_sub_f32_e32 v10, v13, v10
	v_fmaak_f32 v11, v16, v11, 0x3f2aaada
	v_sub_f32_e32 v9, v9, v10
	v_ldexp_f32 v17, v13, 1
	v_mul_f32_e32 v13, v13, v16
	v_mov_b32_e32 v10, 0x3f317218
	v_pk_mul_f32 v[10:11], v[12:13], v[10:11]
	v_ldexp_f32 v9, v9, 1
	v_fma_f32 v13, v12, s8, -v10
	v_fmamk_f32 v16, v12, 0xb102e308, v13
	v_pk_add_f32 v[12:13], v[10:11], v[16:17]
	v_mov_b32_e32 v18, v10
	v_sub_f32_e32 v17, v13, v17
	v_sub_f32_e32 v17, v11, v17
	v_add_f32_e32 v19, v9, v17
	v_pk_add_f32 v[10:11], v[12:13], v[10:11] neg_lo:[0,1] neg_hi:[0,1]
	v_pk_add_f32 v[36:37], v[12:13], v[18:19]
	v_mov_b32_e32 v17, v12
	v_mov_b32_e32 v11, v37
	v_pk_add_f32 v[38:39], v[16:17], v[10:11] neg_lo:[0,1] neg_hi:[0,1]
	v_pk_add_f32 v[10:11], v[16:17], v[10:11]
	v_mov_b32_e32 v18, v19
	v_pk_add_f32 v[16:17], v[10:11], v[12:13] op_sel:[1,0] op_sel_hi:[0,1] neg_lo:[0,1] neg_hi:[0,1]
	v_pk_add_f32 v[40:41], v[36:37], v[16:17] op_sel_hi:[1,0] neg_lo:[0,1] neg_hi:[0,1]
	v_mov_b32_e32 v36, v37
	v_mov_b32_e32 v37, v11
	v_pk_mov_b32 v[16:17], v[12:13], v[16:17] op_sel:[1,0]
	v_mov_b32_e32 v19, v12
	v_pk_add_f32 v[16:17], v[36:37], v[16:17] neg_lo:[0,1] neg_hi:[0,1]
	v_mov_b32_e32 v40, v38
	v_pk_add_f32 v[12:13], v[18:19], v[16:17] neg_lo:[0,1] neg_hi:[0,1]
	v_mov_b32_e32 v39, v11
	v_pk_add_f32 v[16:17], v[40:41], v[12:13]
	v_cmp_neq_f32_e64 s[8:9], s12, v7
	v_pk_add_f32 v[18:19], v[16:17], v[16:17] op_sel:[0,1] op_sel_hi:[1,0]
	s_nop 0
	v_pk_add_f32 v[10:11], v[10:11], v[18:19] op_sel:[1,0] op_sel_hi:[0,1]
	v_mov_b32_e32 v17, v10
	v_pk_add_f32 v[36:37], v[16:17], v[38:39] neg_lo:[0,1] neg_hi:[0,1]
	v_mov_b32_e32 v13, v18
	v_sub_f32_e32 v9, v16, v36
	v_pk_add_f32 v[12:13], v[12:13], v[36:37] neg_lo:[0,1] neg_hi:[0,1]
	v_sub_f32_e32 v9, v38, v9
	v_add_f32_e32 v9, v12, v9
	v_add_f32_e32 v9, v9, v13
	;; [unrolled: 1-line block ×3, first 2 shown]
	v_cndmask_b32_e64 v9, v15, v9, s[8:9]
	s_mov_b32 s8, 0x33800000
	v_cmp_lt_f32_e64 s[8:9], |v7|, s8
	s_nop 1
	v_cndmask_b32_e64 v7, v9, v7, s[8:9]
	v_add_f32_e32 v36, v6, v7
.LBB153_218:
	s_or_b64 exec, exec, s[10:11]
	v_max_f32_e32 v9, v5, v5
	v_max_f32_e32 v6, v36, v36
	v_min_f32_e32 v7, v6, v9
	v_cmp_u_f32_e64 s[10:11], v36, v36
	v_max_f32_e32 v6, v6, v9
	v_cmp_u_f32_e64 s[8:9], v5, v5
	v_cndmask_b32_e64 v7, v7, v36, s[10:11]
	v_cndmask_b32_e64 v6, v6, v36, s[10:11]
	;; [unrolled: 1-line block ×4, first 2 shown]
	s_movk_i32 s14, 0x1f8
	v_cmp_neq_f32_e64 s[10:11], v7, v6
	v_cmp_class_f32_e64 s[12:13], v7, s14
	s_or_b64 s[10:11], s[10:11], s[12:13]
	s_and_saveexec_b64 s[12:13], s[10:11]
	s_cbranch_execz .LBB153_220
; %bb.219:
	v_sub_f32_e32 v7, v7, v6
	s_mov_b32 s10, 0x3fb8aa3b
	v_mul_f32_e32 v10, 0x3fb8aa3b, v7
	v_fma_f32 v11, v7, s10, -v10
	v_rndne_f32_e32 v12, v10
	v_fmamk_f32 v11, v7, 0x32a5705f, v11
	v_sub_f32_e32 v10, v10, v12
	v_add_f32_e32 v10, v10, v11
	v_exp_f32_e32 v10, v10
	v_cvt_i32_f32_e32 v11, v12
	s_mov_b32 s10, 0xc2ce8ed0
	v_cmp_ngt_f32_e64 s[10:11], s10, v7
	v_mov_b32_e32 v15, 0x7f800000
	v_ldexp_f32 v10, v10, v11
	v_cndmask_b32_e64 v10, 0, v10, s[10:11]
	s_mov_b32 s10, 0x42b17218
	v_cmp_nlt_f32_e64 s[10:11], s10, v7
	s_mov_b32 s15, 0x7f800000
	s_nop 0
	v_cndmask_b32_e64 v7, v15, v10, s[10:11]
	v_add_f32_e32 v12, 1.0, v7
	v_add_f32_e32 v10, -1.0, v12
	v_sub_f32_e32 v11, v10, v12
	v_add_f32_e32 v11, 1.0, v11
	v_sub_f32_e32 v10, v7, v10
	v_add_f32_e32 v13, v10, v11
	v_frexp_mant_f32_e32 v16, v12
	s_mov_b32 s10, 0x3f2aaaab
	v_cvt_f64_f32_e32 v[10:11], v12
	v_frexp_exp_i32_f64_e32 v10, v[10:11]
	v_cmp_gt_f32_e64 s[10:11], s10, v16
	s_nop 1
	v_subbrev_co_u32_e64 v20, s[10:11], 0, v10, s[10:11]
	v_sub_u32_e32 v10, 0, v20
	v_ldexp_f32 v11, v12, v10
	v_add_f32_e32 v12, -1.0, v11
	v_add_f32_e32 v16, 1.0, v11
	v_ldexp_f32 v10, v13, v10
	v_add_f32_e32 v13, 1.0, v12
	v_add_f32_e32 v17, -1.0, v16
	v_sub_f32_e32 v13, v11, v13
	v_sub_f32_e32 v11, v11, v17
	v_add_f32_e32 v13, v10, v13
	v_add_f32_e32 v10, v10, v11
	;; [unrolled: 1-line block ×3, first 2 shown]
	v_rcp_f32_e32 v37, v35
	v_sub_f32_e32 v11, v16, v35
	v_add_f32_e32 v36, v10, v11
	v_add_f32_e32 v11, v12, v13
	v_mul_f32_e32 v39, v11, v37
	v_sub_f32_e32 v10, v12, v11
	v_mul_f32_e32 v12, v35, v39
	v_fma_f32 v16, v39, v35, -v12
	v_fmac_f32_e32 v16, v39, v36
	v_add_f32_e32 v38, v13, v10
	v_add_f32_e32 v10, v12, v16
	v_sub_f32_e32 v13, v11, v10
	v_pk_add_f32 v[18:19], v[10:11], v[12:13] neg_lo:[0,1] neg_hi:[0,1]
	v_mov_b32_e32 v17, v10
	v_pk_add_f32 v[10:11], v[18:19], v[16:17] neg_lo:[0,1] neg_hi:[0,1]
	s_mov_b32 s10, 0x3f317218
	v_add_f32_e32 v11, v38, v11
	v_add_f32_e32 v10, v10, v11
	;; [unrolled: 1-line block ×3, first 2 shown]
	v_mul_f32_e32 v38, v37, v11
	v_mul_f32_e32 v12, v35, v38
	v_fma_f32 v16, v38, v35, -v12
	v_fmac_f32_e32 v16, v38, v36
	v_sub_f32_e32 v13, v13, v11
	v_add_f32_e32 v35, v10, v13
	v_add_f32_e32 v10, v12, v16
	v_sub_f32_e32 v13, v11, v10
	v_pk_add_f32 v[18:19], v[10:11], v[12:13] neg_lo:[0,1] neg_hi:[0,1]
	v_mov_b32_e32 v17, v10
	v_pk_add_f32 v[10:11], v[18:19], v[16:17] neg_lo:[0,1] neg_hi:[0,1]
	v_cvt_f32_i32_e32 v12, v20
	v_add_f32_e32 v11, v35, v11
	v_add_f32_e32 v10, v10, v11
	;; [unrolled: 1-line block ×4, first 2 shown]
	v_sub_f32_e32 v11, v13, v39
	v_mul_f32_e32 v10, v37, v10
	v_sub_f32_e32 v11, v38, v11
	v_add_f32_e32 v10, v11, v10
	v_add_f32_e32 v16, v13, v10
	v_mul_f32_e32 v18, v16, v16
	v_mov_b32_e32 v11, 0x3ecc95a3
	v_sub_f32_e32 v13, v16, v13
	v_fmac_f32_e32 v11, 0x3e9b6dac, v18
	v_sub_f32_e32 v10, v10, v13
	v_fmaak_f32 v11, v18, v11, 0x3f2aaada
	v_ldexp_f32 v19, v10, 1
	v_mul_f32_e32 v13, v16, v18
	v_mov_b32_e32 v10, 0x3f317218
	v_pk_mul_f32 v[10:11], v[12:13], v[10:11]
	v_ldexp_f32 v17, v16, 1
	v_fma_f32 v13, v12, s10, -v10
	v_fmamk_f32 v16, v12, 0xb102e308, v13
	v_pk_add_f32 v[12:13], v[10:11], v[16:17]
	v_mov_b32_e32 v18, v10
	v_sub_f32_e32 v17, v13, v17
	v_sub_f32_e32 v17, v11, v17
	v_add_f32_e32 v19, v19, v17
	v_pk_add_f32 v[10:11], v[12:13], v[10:11] neg_lo:[0,1] neg_hi:[0,1]
	v_pk_add_f32 v[36:37], v[12:13], v[18:19]
	v_mov_b32_e32 v17, v12
	v_mov_b32_e32 v11, v37
	v_pk_add_f32 v[38:39], v[16:17], v[10:11] neg_lo:[0,1] neg_hi:[0,1]
	v_pk_add_f32 v[10:11], v[16:17], v[10:11]
	v_mov_b32_e32 v18, v19
	v_pk_add_f32 v[16:17], v[10:11], v[12:13] op_sel:[1,0] op_sel_hi:[0,1] neg_lo:[0,1] neg_hi:[0,1]
	v_pk_add_f32 v[40:41], v[36:37], v[16:17] op_sel_hi:[1,0] neg_lo:[0,1] neg_hi:[0,1]
	v_mov_b32_e32 v36, v37
	v_mov_b32_e32 v37, v11
	v_pk_mov_b32 v[16:17], v[12:13], v[16:17] op_sel:[1,0]
	v_mov_b32_e32 v19, v12
	v_pk_add_f32 v[16:17], v[36:37], v[16:17] neg_lo:[0,1] neg_hi:[0,1]
	v_mov_b32_e32 v40, v38
	v_pk_add_f32 v[12:13], v[18:19], v[16:17] neg_lo:[0,1] neg_hi:[0,1]
	v_mov_b32_e32 v39, v11
	v_pk_add_f32 v[16:17], v[40:41], v[12:13]
	v_cmp_neq_f32_e64 s[10:11], s15, v7
	v_pk_add_f32 v[18:19], v[16:17], v[16:17] op_sel:[0,1] op_sel_hi:[1,0]
	s_nop 0
	v_pk_add_f32 v[10:11], v[10:11], v[18:19] op_sel:[1,0] op_sel_hi:[0,1]
	v_mov_b32_e32 v17, v10
	v_pk_add_f32 v[36:37], v[16:17], v[38:39] neg_lo:[0,1] neg_hi:[0,1]
	v_mov_b32_e32 v13, v18
	v_sub_f32_e32 v11, v16, v36
	v_pk_add_f32 v[12:13], v[12:13], v[36:37] neg_lo:[0,1] neg_hi:[0,1]
	v_sub_f32_e32 v11, v38, v11
	v_add_f32_e32 v11, v12, v11
	v_add_f32_e32 v11, v11, v13
	;; [unrolled: 1-line block ×3, first 2 shown]
	v_cndmask_b32_e64 v10, v15, v10, s[10:11]
	s_mov_b32 s10, 0x33800000
	v_cmp_lt_f32_e64 s[10:11], |v7|, s10
	s_nop 1
	v_cndmask_b32_e64 v7, v10, v7, s[10:11]
	v_add_f32_e32 v36, v6, v7
.LBB153_220:
	s_or_b64 exec, exec, s[12:13]
	v_max_f32_e32 v10, v26, v26
	v_max_f32_e32 v6, v36, v36
	v_min_f32_e32 v7, v6, v10
	v_cmp_u_f32_e64 s[12:13], v36, v36
	v_max_f32_e32 v6, v6, v10
	v_cmp_u_f32_e64 s[10:11], v26, v26
	v_cndmask_b32_e64 v7, v7, v36, s[12:13]
	v_cndmask_b32_e64 v6, v6, v36, s[12:13]
	v_cndmask_b32_e64 v7, v7, v26, s[10:11]
	v_cndmask_b32_e64 v6, v6, v26, s[10:11]
	v_cmp_neq_f32_e64 s[12:13], v7, v6
	v_cmp_class_f32_e64 s[14:15], v7, s14
	s_or_b64 s[12:13], s[12:13], s[14:15]
	s_and_saveexec_b64 s[14:15], s[12:13]
	s_cbranch_execz .LBB153_222
; %bb.221:
	v_sub_f32_e32 v7, v7, v6
	s_mov_b32 s12, 0x3fb8aa3b
	v_mul_f32_e32 v11, 0x3fb8aa3b, v7
	v_fma_f32 v12, v7, s12, -v11
	v_rndne_f32_e32 v13, v11
	v_fmamk_f32 v12, v7, 0x32a5705f, v12
	v_sub_f32_e32 v11, v11, v13
	v_add_f32_e32 v11, v11, v12
	v_exp_f32_e32 v11, v11
	v_cvt_i32_f32_e32 v12, v13
	s_mov_b32 s12, 0xc2ce8ed0
	v_cmp_ngt_f32_e64 s[12:13], s12, v7
	v_mov_b32_e32 v15, 0x7f800000
	v_ldexp_f32 v11, v11, v12
	v_cndmask_b32_e64 v11, 0, v11, s[12:13]
	s_mov_b32 s12, 0x42b17218
	v_cmp_nlt_f32_e64 s[12:13], s12, v7
	s_mov_b32 s16, 0x7f800000
	s_nop 0
	v_cndmask_b32_e64 v7, v15, v11, s[12:13]
	v_add_f32_e32 v11, 1.0, v7
	v_add_f32_e32 v12, -1.0, v11
	v_sub_f32_e32 v13, v12, v11
	v_add_f32_e32 v13, 1.0, v13
	v_sub_f32_e32 v12, v7, v12
	v_add_f32_e32 v16, v12, v13
	v_frexp_mant_f32_e32 v17, v11
	s_mov_b32 s12, 0x3f2aaaab
	v_cvt_f64_f32_e32 v[12:13], v11
	v_frexp_exp_i32_f64_e32 v12, v[12:13]
	v_cmp_gt_f32_e64 s[12:13], s12, v17
	s_nop 1
	v_subbrev_co_u32_e64 v20, s[12:13], 0, v12, s[12:13]
	v_sub_u32_e32 v12, 0, v20
	v_ldexp_f32 v11, v11, v12
	v_ldexp_f32 v12, v16, v12
	v_add_f32_e32 v16, -1.0, v11
	v_add_f32_e32 v13, 1.0, v16
	v_sub_f32_e32 v13, v11, v13
	v_add_f32_e32 v17, v12, v13
	v_add_f32_e32 v13, 1.0, v11
	v_add_f32_e32 v18, -1.0, v13
	v_sub_f32_e32 v11, v11, v18
	v_add_f32_e32 v11, v12, v11
	v_add_f32_e32 v35, v13, v11
	v_rcp_f32_e32 v38, v35
	v_sub_f32_e32 v12, v13, v35
	v_add_f32_e32 v13, v16, v17
	v_add_f32_e32 v11, v11, v12
	v_mul_f32_e32 v40, v13, v38
	v_sub_f32_e32 v12, v16, v13
	v_mul_f32_e32 v16, v35, v40
	v_fma_f32 v18, v40, v35, -v16
	v_fmac_f32_e32 v18, v40, v11
	v_add_f32_e32 v39, v17, v12
	v_add_f32_e32 v12, v16, v18
	v_sub_f32_e32 v17, v13, v12
	v_pk_add_f32 v[36:37], v[12:13], v[16:17] neg_lo:[0,1] neg_hi:[0,1]
	v_mov_b32_e32 v19, v12
	v_pk_add_f32 v[12:13], v[36:37], v[18:19] neg_lo:[0,1] neg_hi:[0,1]
	s_mov_b32 s12, 0x3f317218
	v_add_f32_e32 v13, v39, v13
	v_add_f32_e32 v12, v12, v13
	;; [unrolled: 1-line block ×3, first 2 shown]
	v_mul_f32_e32 v39, v38, v13
	v_mul_f32_e32 v16, v35, v39
	v_fma_f32 v18, v39, v35, -v16
	v_fmac_f32_e32 v18, v39, v11
	v_sub_f32_e32 v11, v17, v13
	v_add_f32_e32 v11, v12, v11
	v_add_f32_e32 v12, v16, v18
	v_sub_f32_e32 v17, v13, v12
	v_pk_add_f32 v[36:37], v[12:13], v[16:17] neg_lo:[0,1] neg_hi:[0,1]
	v_mov_b32_e32 v19, v12
	v_pk_add_f32 v[12:13], v[36:37], v[18:19] neg_lo:[0,1] neg_hi:[0,1]
	v_cvt_f32_i32_e32 v16, v20
	v_add_f32_e32 v11, v11, v13
	v_add_f32_e32 v11, v12, v11
	;; [unrolled: 1-line block ×4, first 2 shown]
	v_sub_f32_e32 v13, v12, v40
	v_mul_f32_e32 v11, v38, v11
	v_sub_f32_e32 v13, v39, v13
	v_add_f32_e32 v11, v13, v11
	v_add_f32_e32 v17, v12, v11
	v_mul_f32_e32 v18, v17, v17
	v_mov_b32_e32 v13, 0x3ecc95a3
	v_fmac_f32_e32 v13, 0x3e9b6dac, v18
	v_sub_f32_e32 v12, v17, v12
	v_fmaak_f32 v13, v18, v13, 0x3f2aaada
	v_sub_f32_e32 v11, v11, v12
	v_ldexp_f32 v19, v17, 1
	v_mul_f32_e32 v17, v17, v18
	v_mov_b32_e32 v12, 0x3f317218
	v_pk_mul_f32 v[12:13], v[16:17], v[12:13]
	v_ldexp_f32 v11, v11, 1
	v_fma_f32 v17, v16, s12, -v12
	v_fmamk_f32 v18, v16, 0xb102e308, v17
	v_pk_add_f32 v[16:17], v[12:13], v[18:19]
	v_mov_b32_e32 v36, v12
	v_sub_f32_e32 v19, v17, v19
	v_sub_f32_e32 v19, v13, v19
	v_add_f32_e32 v37, v11, v19
	v_pk_add_f32 v[12:13], v[16:17], v[12:13] neg_lo:[0,1] neg_hi:[0,1]
	v_pk_add_f32 v[38:39], v[16:17], v[36:37]
	v_mov_b32_e32 v19, v16
	v_mov_b32_e32 v13, v39
	v_pk_add_f32 v[40:41], v[18:19], v[12:13] neg_lo:[0,1] neg_hi:[0,1]
	v_pk_add_f32 v[12:13], v[18:19], v[12:13]
	v_mov_b32_e32 v36, v37
	v_pk_add_f32 v[18:19], v[12:13], v[16:17] op_sel:[1,0] op_sel_hi:[0,1] neg_lo:[0,1] neg_hi:[0,1]
	v_pk_add_f32 v[42:43], v[38:39], v[18:19] op_sel_hi:[1,0] neg_lo:[0,1] neg_hi:[0,1]
	v_mov_b32_e32 v38, v39
	v_mov_b32_e32 v39, v13
	v_pk_mov_b32 v[18:19], v[16:17], v[18:19] op_sel:[1,0]
	v_mov_b32_e32 v37, v16
	v_pk_add_f32 v[18:19], v[38:39], v[18:19] neg_lo:[0,1] neg_hi:[0,1]
	v_mov_b32_e32 v42, v40
	v_pk_add_f32 v[16:17], v[36:37], v[18:19] neg_lo:[0,1] neg_hi:[0,1]
	v_mov_b32_e32 v41, v13
	v_pk_add_f32 v[18:19], v[42:43], v[16:17]
	v_cmp_neq_f32_e64 s[12:13], s16, v7
	v_pk_add_f32 v[36:37], v[18:19], v[18:19] op_sel:[0,1] op_sel_hi:[1,0]
	s_nop 0
	v_pk_add_f32 v[12:13], v[12:13], v[36:37] op_sel:[1,0] op_sel_hi:[0,1]
	v_mov_b32_e32 v19, v12
	v_pk_add_f32 v[38:39], v[18:19], v[40:41] neg_lo:[0,1] neg_hi:[0,1]
	v_mov_b32_e32 v17, v36
	v_sub_f32_e32 v11, v18, v38
	v_pk_add_f32 v[16:17], v[16:17], v[38:39] neg_lo:[0,1] neg_hi:[0,1]
	v_sub_f32_e32 v11, v40, v11
	v_add_f32_e32 v11, v16, v11
	v_add_f32_e32 v11, v11, v17
	;; [unrolled: 1-line block ×3, first 2 shown]
	v_cndmask_b32_e64 v11, v15, v11, s[12:13]
	s_mov_b32 s12, 0x33800000
	v_cmp_lt_f32_e64 s[12:13], |v7|, s12
	s_nop 1
	v_cndmask_b32_e64 v7, v11, v7, s[12:13]
	v_add_f32_e32 v36, v6, v7
.LBB153_222:
	s_or_b64 exec, exec, s[14:15]
	v_max_f32_e32 v11, v27, v27
	v_max_f32_e32 v6, v36, v36
	v_min_f32_e32 v7, v6, v11
	v_cmp_u_f32_e64 s[14:15], v36, v36
	v_max_f32_e32 v6, v6, v11
	v_cmp_u_f32_e64 s[12:13], v27, v27
	v_cndmask_b32_e64 v7, v7, v36, s[14:15]
	v_cndmask_b32_e64 v6, v6, v36, s[14:15]
	;; [unrolled: 1-line block ×4, first 2 shown]
	s_movk_i32 s18, 0x1f8
	v_cmp_neq_f32_e64 s[14:15], v7, v6
	v_cmp_class_f32_e64 s[16:17], v7, s18
	s_or_b64 s[14:15], s[14:15], s[16:17]
	s_and_saveexec_b64 s[16:17], s[14:15]
	s_cbranch_execz .LBB153_224
; %bb.223:
	v_sub_f32_e32 v7, v7, v6
	s_mov_b32 s14, 0x3fb8aa3b
	v_mul_f32_e32 v12, 0x3fb8aa3b, v7
	v_fma_f32 v13, v7, s14, -v12
	v_rndne_f32_e32 v15, v12
	v_fmamk_f32 v13, v7, 0x32a5705f, v13
	v_sub_f32_e32 v12, v12, v15
	v_add_f32_e32 v12, v12, v13
	v_exp_f32_e32 v12, v12
	v_cvt_i32_f32_e32 v13, v15
	s_mov_b32 s14, 0xc2ce8ed0
	v_cmp_ngt_f32_e64 s[14:15], s14, v7
	v_mov_b32_e32 v15, 0x7f800000
	v_ldexp_f32 v12, v12, v13
	v_cndmask_b32_e64 v12, 0, v12, s[14:15]
	s_mov_b32 s14, 0x42b17218
	v_cmp_nlt_f32_e64 s[14:15], s14, v7
	s_mov_b32 s19, 0x7f800000
	s_nop 0
	v_cndmask_b32_e64 v7, v15, v12, s[14:15]
	v_add_f32_e32 v16, 1.0, v7
	v_add_f32_e32 v12, -1.0, v16
	v_sub_f32_e32 v13, v12, v16
	v_add_f32_e32 v13, 1.0, v13
	v_sub_f32_e32 v12, v7, v12
	v_add_f32_e32 v17, v12, v13
	v_frexp_mant_f32_e32 v18, v16
	s_mov_b32 s14, 0x3f2aaaab
	v_cvt_f64_f32_e32 v[12:13], v16
	v_frexp_exp_i32_f64_e32 v12, v[12:13]
	v_cmp_gt_f32_e64 s[14:15], s14, v18
	s_nop 1
	v_subbrev_co_u32_e64 v20, s[14:15], 0, v12, s[14:15]
	v_sub_u32_e32 v12, 0, v20
	v_ldexp_f32 v13, v16, v12
	v_add_f32_e32 v16, -1.0, v13
	v_add_f32_e32 v18, 1.0, v13
	v_ldexp_f32 v12, v17, v12
	v_add_f32_e32 v17, 1.0, v16
	v_add_f32_e32 v19, -1.0, v18
	v_sub_f32_e32 v17, v13, v17
	v_sub_f32_e32 v13, v13, v19
	v_add_f32_e32 v17, v12, v17
	v_add_f32_e32 v12, v12, v13
	v_add_f32_e32 v35, v18, v12
	v_rcp_f32_e32 v39, v35
	v_sub_f32_e32 v13, v18, v35
	v_add_f32_e32 v38, v12, v13
	v_add_f32_e32 v13, v16, v17
	v_mul_f32_e32 v41, v13, v39
	v_sub_f32_e32 v12, v16, v13
	v_mul_f32_e32 v16, v35, v41
	v_fma_f32 v18, v41, v35, -v16
	v_fmac_f32_e32 v18, v41, v38
	v_add_f32_e32 v40, v17, v12
	v_add_f32_e32 v12, v16, v18
	v_sub_f32_e32 v17, v13, v12
	v_pk_add_f32 v[36:37], v[12:13], v[16:17] neg_lo:[0,1] neg_hi:[0,1]
	v_mov_b32_e32 v19, v12
	v_pk_add_f32 v[12:13], v[36:37], v[18:19] neg_lo:[0,1] neg_hi:[0,1]
	s_mov_b32 s14, 0x3f317218
	v_add_f32_e32 v13, v40, v13
	v_add_f32_e32 v12, v12, v13
	;; [unrolled: 1-line block ×3, first 2 shown]
	v_mul_f32_e32 v40, v39, v13
	v_mul_f32_e32 v16, v35, v40
	v_fma_f32 v18, v40, v35, -v16
	v_fmac_f32_e32 v18, v40, v38
	v_sub_f32_e32 v17, v17, v13
	v_add_f32_e32 v35, v12, v17
	v_add_f32_e32 v12, v16, v18
	v_sub_f32_e32 v17, v13, v12
	v_pk_add_f32 v[36:37], v[12:13], v[16:17] neg_lo:[0,1] neg_hi:[0,1]
	v_mov_b32_e32 v19, v12
	v_pk_add_f32 v[12:13], v[36:37], v[18:19] neg_lo:[0,1] neg_hi:[0,1]
	v_cvt_f32_i32_e32 v16, v20
	v_add_f32_e32 v13, v35, v13
	v_add_f32_e32 v12, v12, v13
	;; [unrolled: 1-line block ×4, first 2 shown]
	v_sub_f32_e32 v13, v17, v41
	v_mul_f32_e32 v12, v39, v12
	v_sub_f32_e32 v13, v40, v13
	v_add_f32_e32 v12, v13, v12
	v_add_f32_e32 v18, v17, v12
	v_mul_f32_e32 v35, v18, v18
	v_mov_b32_e32 v13, 0x3ecc95a3
	v_sub_f32_e32 v17, v18, v17
	v_fmac_f32_e32 v13, 0x3e9b6dac, v35
	v_sub_f32_e32 v12, v12, v17
	v_fmaak_f32 v13, v35, v13, 0x3f2aaada
	v_ldexp_f32 v20, v12, 1
	v_mul_f32_e32 v17, v18, v35
	v_mov_b32_e32 v12, 0x3f317218
	v_pk_mul_f32 v[12:13], v[16:17], v[12:13]
	v_ldexp_f32 v19, v18, 1
	v_fma_f32 v17, v16, s14, -v12
	v_fmamk_f32 v18, v16, 0xb102e308, v17
	v_pk_add_f32 v[16:17], v[12:13], v[18:19]
	v_mov_b32_e32 v36, v12
	v_sub_f32_e32 v19, v17, v19
	v_sub_f32_e32 v19, v13, v19
	v_add_f32_e32 v37, v20, v19
	v_pk_add_f32 v[12:13], v[16:17], v[12:13] neg_lo:[0,1] neg_hi:[0,1]
	v_pk_add_f32 v[38:39], v[16:17], v[36:37]
	v_mov_b32_e32 v19, v16
	v_mov_b32_e32 v13, v39
	v_pk_add_f32 v[40:41], v[18:19], v[12:13] neg_lo:[0,1] neg_hi:[0,1]
	v_pk_add_f32 v[12:13], v[18:19], v[12:13]
	v_mov_b32_e32 v36, v37
	v_pk_add_f32 v[18:19], v[12:13], v[16:17] op_sel:[1,0] op_sel_hi:[0,1] neg_lo:[0,1] neg_hi:[0,1]
	v_pk_add_f32 v[42:43], v[38:39], v[18:19] op_sel_hi:[1,0] neg_lo:[0,1] neg_hi:[0,1]
	v_mov_b32_e32 v38, v39
	v_mov_b32_e32 v39, v13
	v_pk_mov_b32 v[18:19], v[16:17], v[18:19] op_sel:[1,0]
	v_mov_b32_e32 v37, v16
	v_pk_add_f32 v[18:19], v[38:39], v[18:19] neg_lo:[0,1] neg_hi:[0,1]
	v_mov_b32_e32 v42, v40
	v_pk_add_f32 v[16:17], v[36:37], v[18:19] neg_lo:[0,1] neg_hi:[0,1]
	v_mov_b32_e32 v41, v13
	v_pk_add_f32 v[18:19], v[42:43], v[16:17]
	v_cmp_neq_f32_e64 s[14:15], s19, v7
	v_pk_add_f32 v[36:37], v[18:19], v[18:19] op_sel:[0,1] op_sel_hi:[1,0]
	s_nop 0
	v_pk_add_f32 v[12:13], v[12:13], v[36:37] op_sel:[1,0] op_sel_hi:[0,1]
	v_mov_b32_e32 v19, v12
	v_pk_add_f32 v[38:39], v[18:19], v[40:41] neg_lo:[0,1] neg_hi:[0,1]
	v_mov_b32_e32 v17, v36
	v_sub_f32_e32 v13, v18, v38
	v_pk_add_f32 v[16:17], v[16:17], v[38:39] neg_lo:[0,1] neg_hi:[0,1]
	v_sub_f32_e32 v13, v40, v13
	v_add_f32_e32 v13, v16, v13
	v_add_f32_e32 v13, v13, v17
	;; [unrolled: 1-line block ×3, first 2 shown]
	v_cndmask_b32_e64 v12, v15, v12, s[14:15]
	s_mov_b32 s14, 0x33800000
	v_cmp_lt_f32_e64 s[14:15], |v7|, s14
	s_nop 1
	v_cndmask_b32_e64 v7, v12, v7, s[14:15]
	v_add_f32_e32 v36, v6, v7
.LBB153_224:
	s_or_b64 exec, exec, s[16:17]
	v_max_f32_e32 v12, v28, v28
	v_max_f32_e32 v6, v36, v36
	v_min_f32_e32 v7, v6, v12
	v_cmp_u_f32_e64 s[16:17], v36, v36
	v_max_f32_e32 v6, v6, v12
	v_cmp_u_f32_e64 s[14:15], v28, v28
	v_cndmask_b32_e64 v7, v7, v36, s[16:17]
	v_cndmask_b32_e64 v6, v6, v36, s[16:17]
	;; [unrolled: 1-line block ×4, first 2 shown]
	v_cmp_neq_f32_e64 s[16:17], v7, v6
	v_cmp_class_f32_e64 s[18:19], v7, s18
	s_or_b64 s[16:17], s[16:17], s[18:19]
	s_and_saveexec_b64 s[18:19], s[16:17]
	s_cbranch_execz .LBB153_226
; %bb.225:
	v_sub_f32_e32 v7, v7, v6
	s_mov_b32 s16, 0x3fb8aa3b
	v_mul_f32_e32 v13, 0x3fb8aa3b, v7
	v_fma_f32 v15, v7, s16, -v13
	v_rndne_f32_e32 v16, v13
	v_fmamk_f32 v15, v7, 0x32a5705f, v15
	v_sub_f32_e32 v13, v13, v16
	v_add_f32_e32 v13, v13, v15
	v_exp_f32_e32 v13, v13
	v_cvt_i32_f32_e32 v15, v16
	s_mov_b32 s16, 0xc2ce8ed0
	v_cmp_ngt_f32_e64 s[16:17], s16, v7
	s_mov_b32 s20, 0x7f800000
	v_ldexp_f32 v13, v13, v15
	v_cndmask_b32_e64 v13, 0, v13, s[16:17]
	s_mov_b32 s16, 0x42b17218
	v_mov_b32_e32 v15, 0x7f800000
	v_cmp_nlt_f32_e64 s[16:17], s16, v7
	s_nop 1
	v_cndmask_b32_e64 v7, v15, v13, s[16:17]
	v_add_f32_e32 v13, 1.0, v7
	v_add_f32_e32 v16, -1.0, v13
	v_sub_f32_e32 v17, v16, v13
	v_add_f32_e32 v17, 1.0, v17
	v_sub_f32_e32 v16, v7, v16
	v_add_f32_e32 v18, v16, v17
	v_frexp_mant_f32_e32 v19, v13
	s_mov_b32 s16, 0x3f2aaaab
	v_cvt_f64_f32_e32 v[16:17], v13
	v_frexp_exp_i32_f64_e32 v16, v[16:17]
	v_cmp_gt_f32_e64 s[16:17], s16, v19
	s_nop 1
	v_subbrev_co_u32_e64 v20, s[16:17], 0, v16, s[16:17]
	v_sub_u32_e32 v16, 0, v20
	v_ldexp_f32 v13, v13, v16
	v_ldexp_f32 v16, v18, v16
	v_add_f32_e32 v18, -1.0, v13
	v_add_f32_e32 v17, 1.0, v18
	v_sub_f32_e32 v17, v13, v17
	v_add_f32_e32 v19, v16, v17
	v_add_f32_e32 v17, 1.0, v13
	v_add_f32_e32 v35, -1.0, v17
	v_sub_f32_e32 v13, v13, v35
	v_add_f32_e32 v13, v16, v13
	v_add_f32_e32 v35, v17, v13
	v_rcp_f32_e32 v40, v35
	v_sub_f32_e32 v16, v17, v35
	v_add_f32_e32 v17, v18, v19
	v_add_f32_e32 v13, v13, v16
	v_mul_f32_e32 v42, v17, v40
	v_sub_f32_e32 v16, v18, v17
	v_mul_f32_e32 v18, v35, v42
	v_fma_f32 v36, v42, v35, -v18
	v_fmac_f32_e32 v36, v42, v13
	v_add_f32_e32 v41, v19, v16
	v_add_f32_e32 v16, v18, v36
	v_sub_f32_e32 v19, v17, v16
	v_pk_add_f32 v[38:39], v[16:17], v[18:19] neg_lo:[0,1] neg_hi:[0,1]
	v_mov_b32_e32 v37, v16
	v_pk_add_f32 v[16:17], v[38:39], v[36:37] neg_lo:[0,1] neg_hi:[0,1]
	s_mov_b32 s16, 0x3f317218
	v_add_f32_e32 v17, v41, v17
	v_add_f32_e32 v16, v16, v17
	;; [unrolled: 1-line block ×3, first 2 shown]
	v_mul_f32_e32 v41, v40, v17
	v_mul_f32_e32 v18, v35, v41
	v_fma_f32 v36, v41, v35, -v18
	v_fmac_f32_e32 v36, v41, v13
	v_sub_f32_e32 v13, v19, v17
	v_add_f32_e32 v13, v16, v13
	v_add_f32_e32 v16, v18, v36
	v_sub_f32_e32 v19, v17, v16
	v_pk_add_f32 v[38:39], v[16:17], v[18:19] neg_lo:[0,1] neg_hi:[0,1]
	v_mov_b32_e32 v37, v16
	v_pk_add_f32 v[16:17], v[38:39], v[36:37] neg_lo:[0,1] neg_hi:[0,1]
	v_cvt_f32_i32_e32 v18, v20
	v_add_f32_e32 v13, v13, v17
	v_add_f32_e32 v13, v16, v13
	;; [unrolled: 1-line block ×4, first 2 shown]
	v_sub_f32_e32 v17, v16, v42
	v_mul_f32_e32 v13, v40, v13
	v_sub_f32_e32 v17, v41, v17
	v_add_f32_e32 v13, v17, v13
	v_add_f32_e32 v19, v16, v13
	v_mul_f32_e32 v35, v19, v19
	v_mov_b32_e32 v17, 0x3ecc95a3
	v_fmac_f32_e32 v17, 0x3e9b6dac, v35
	v_sub_f32_e32 v16, v19, v16
	v_fmaak_f32 v17, v35, v17, 0x3f2aaada
	v_sub_f32_e32 v13, v13, v16
	v_ldexp_f32 v37, v19, 1
	v_mul_f32_e32 v19, v19, v35
	v_mov_b32_e32 v16, 0x3f317218
	v_pk_mul_f32 v[16:17], v[18:19], v[16:17]
	v_ldexp_f32 v13, v13, 1
	v_fma_f32 v19, v18, s16, -v16
	v_fmamk_f32 v36, v18, 0xb102e308, v19
	v_pk_add_f32 v[18:19], v[16:17], v[36:37]
	v_mov_b32_e32 v38, v16
	v_sub_f32_e32 v20, v19, v37
	v_sub_f32_e32 v20, v17, v20
	v_add_f32_e32 v39, v13, v20
	v_pk_add_f32 v[16:17], v[18:19], v[16:17] neg_lo:[0,1] neg_hi:[0,1]
	v_pk_add_f32 v[40:41], v[18:19], v[38:39]
	v_mov_b32_e32 v37, v18
	v_mov_b32_e32 v17, v41
	v_pk_add_f32 v[42:43], v[36:37], v[16:17] neg_lo:[0,1] neg_hi:[0,1]
	v_pk_add_f32 v[16:17], v[36:37], v[16:17]
	v_mov_b32_e32 v38, v39
	v_pk_add_f32 v[36:37], v[16:17], v[18:19] op_sel:[1,0] op_sel_hi:[0,1] neg_lo:[0,1] neg_hi:[0,1]
	v_pk_add_f32 v[44:45], v[40:41], v[36:37] op_sel_hi:[1,0] neg_lo:[0,1] neg_hi:[0,1]
	v_mov_b32_e32 v40, v41
	v_mov_b32_e32 v41, v17
	v_pk_mov_b32 v[36:37], v[18:19], v[36:37] op_sel:[1,0]
	v_mov_b32_e32 v39, v18
	v_pk_add_f32 v[36:37], v[40:41], v[36:37] neg_lo:[0,1] neg_hi:[0,1]
	v_mov_b32_e32 v44, v42
	v_pk_add_f32 v[18:19], v[38:39], v[36:37] neg_lo:[0,1] neg_hi:[0,1]
	v_mov_b32_e32 v43, v17
	v_pk_add_f32 v[36:37], v[44:45], v[18:19]
	v_cmp_neq_f32_e64 s[16:17], s20, v7
	v_pk_add_f32 v[38:39], v[36:37], v[36:37] op_sel:[0,1] op_sel_hi:[1,0]
	s_nop 0
	v_pk_add_f32 v[16:17], v[16:17], v[38:39] op_sel:[1,0] op_sel_hi:[0,1]
	v_mov_b32_e32 v37, v16
	v_pk_add_f32 v[40:41], v[36:37], v[42:43] neg_lo:[0,1] neg_hi:[0,1]
	v_mov_b32_e32 v19, v38
	v_sub_f32_e32 v13, v36, v40
	v_pk_add_f32 v[18:19], v[18:19], v[40:41] neg_lo:[0,1] neg_hi:[0,1]
	v_sub_f32_e32 v13, v42, v13
	v_add_f32_e32 v13, v18, v13
	v_add_f32_e32 v13, v13, v19
	;; [unrolled: 1-line block ×3, first 2 shown]
	v_cndmask_b32_e64 v13, v15, v13, s[16:17]
	s_mov_b32 s16, 0x33800000
	v_cmp_lt_f32_e64 s[16:17], |v7|, s16
	s_nop 1
	v_cndmask_b32_e64 v7, v13, v7, s[16:17]
	v_add_f32_e32 v36, v6, v7
.LBB153_226:
	s_or_b64 exec, exec, s[18:19]
	v_max_f32_e32 v13, v29, v29
	v_max_f32_e32 v6, v36, v36
	v_min_f32_e32 v7, v6, v13
	v_cmp_u_f32_e64 s[18:19], v36, v36
	v_max_f32_e32 v6, v6, v13
	v_cmp_u_f32_e64 s[16:17], v29, v29
	v_cndmask_b32_e64 v7, v7, v36, s[18:19]
	v_cndmask_b32_e64 v6, v6, v36, s[18:19]
	v_cndmask_b32_e64 v7, v7, v29, s[16:17]
	v_cndmask_b32_e64 v6, v6, v29, s[16:17]
	s_movk_i32 s22, 0x1f8
	v_cmp_neq_f32_e64 s[18:19], v7, v6
	v_cmp_class_f32_e64 s[20:21], v7, s22
	s_or_b64 s[18:19], s[18:19], s[20:21]
	s_and_saveexec_b64 s[20:21], s[18:19]
	s_cbranch_execz .LBB153_228
; %bb.227:
	v_sub_f32_e32 v7, v7, v6
	s_mov_b32 s18, 0x3fb8aa3b
	v_mul_f32_e32 v15, 0x3fb8aa3b, v7
	v_fma_f32 v16, v7, s18, -v15
	v_rndne_f32_e32 v17, v15
	v_fmamk_f32 v16, v7, 0x32a5705f, v16
	v_sub_f32_e32 v15, v15, v17
	v_add_f32_e32 v15, v15, v16
	v_exp_f32_e32 v15, v15
	v_cvt_i32_f32_e32 v16, v17
	s_mov_b32 s18, 0xc2ce8ed0
	v_cmp_ngt_f32_e64 s[18:19], s18, v7
	v_mov_b32_e32 v20, 0x7f800000
	v_ldexp_f32 v15, v15, v16
	v_cndmask_b32_e64 v15, 0, v15, s[18:19]
	s_mov_b32 s18, 0x42b17218
	v_cmp_nlt_f32_e64 s[18:19], s18, v7
	s_mov_b32 s23, 0x7f800000
	s_nop 0
	v_cndmask_b32_e64 v7, v20, v15, s[18:19]
	v_add_f32_e32 v15, 1.0, v7
	v_add_f32_e32 v16, -1.0, v15
	v_sub_f32_e32 v17, v16, v15
	v_add_f32_e32 v17, 1.0, v17
	v_sub_f32_e32 v16, v7, v16
	v_add_f32_e32 v18, v16, v17
	v_frexp_mant_f32_e32 v19, v15
	s_mov_b32 s18, 0x3f2aaaab
	v_cvt_f64_f32_e32 v[16:17], v15
	v_frexp_exp_i32_f64_e32 v16, v[16:17]
	v_cmp_gt_f32_e64 s[18:19], s18, v19
	s_nop 1
	v_subbrev_co_u32_e64 v35, s[18:19], 0, v16, s[18:19]
	v_sub_u32_e32 v16, 0, v35
	v_ldexp_f32 v15, v15, v16
	v_ldexp_f32 v16, v18, v16
	v_add_f32_e32 v18, -1.0, v15
	v_add_f32_e32 v17, 1.0, v18
	v_sub_f32_e32 v17, v15, v17
	v_add_f32_e32 v19, v16, v17
	v_add_f32_e32 v17, 1.0, v15
	v_add_f32_e32 v36, -1.0, v17
	v_sub_f32_e32 v15, v15, v36
	v_add_f32_e32 v15, v16, v15
	v_add_f32_e32 v40, v17, v15
	v_rcp_f32_e32 v41, v40
	v_sub_f32_e32 v16, v17, v40
	v_add_f32_e32 v17, v18, v19
	v_add_f32_e32 v15, v15, v16
	v_mul_f32_e32 v43, v17, v41
	v_sub_f32_e32 v16, v18, v17
	v_mul_f32_e32 v18, v40, v43
	v_fma_f32 v36, v43, v40, -v18
	v_fmac_f32_e32 v36, v43, v15
	v_add_f32_e32 v42, v19, v16
	v_add_f32_e32 v16, v18, v36
	v_sub_f32_e32 v19, v17, v16
	v_pk_add_f32 v[38:39], v[16:17], v[18:19] neg_lo:[0,1] neg_hi:[0,1]
	v_mov_b32_e32 v37, v16
	v_pk_add_f32 v[16:17], v[38:39], v[36:37] neg_lo:[0,1] neg_hi:[0,1]
	s_mov_b32 s18, 0x3f317218
	v_add_f32_e32 v17, v42, v17
	v_add_f32_e32 v16, v16, v17
	;; [unrolled: 1-line block ×3, first 2 shown]
	v_mul_f32_e32 v42, v41, v17
	v_mul_f32_e32 v18, v40, v42
	v_fma_f32 v36, v42, v40, -v18
	v_fmac_f32_e32 v36, v42, v15
	v_sub_f32_e32 v15, v19, v17
	v_add_f32_e32 v15, v16, v15
	v_add_f32_e32 v16, v18, v36
	v_sub_f32_e32 v19, v17, v16
	v_pk_add_f32 v[38:39], v[16:17], v[18:19] neg_lo:[0,1] neg_hi:[0,1]
	v_mov_b32_e32 v37, v16
	v_pk_add_f32 v[16:17], v[38:39], v[36:37] neg_lo:[0,1] neg_hi:[0,1]
	v_cvt_f32_i32_e32 v18, v35
	v_add_f32_e32 v15, v15, v17
	v_add_f32_e32 v15, v16, v15
	;; [unrolled: 1-line block ×4, first 2 shown]
	v_sub_f32_e32 v17, v16, v43
	v_mul_f32_e32 v15, v41, v15
	v_sub_f32_e32 v17, v42, v17
	v_add_f32_e32 v15, v17, v15
	v_add_f32_e32 v19, v16, v15
	v_mul_f32_e32 v36, v19, v19
	v_mov_b32_e32 v17, 0x3ecc95a3
	v_fmac_f32_e32 v17, 0x3e9b6dac, v36
	v_sub_f32_e32 v16, v19, v16
	v_fmaak_f32 v17, v36, v17, 0x3f2aaada
	v_sub_f32_e32 v15, v15, v16
	v_ldexp_f32 v37, v19, 1
	v_mul_f32_e32 v19, v19, v36
	v_mov_b32_e32 v16, 0x3f317218
	v_pk_mul_f32 v[16:17], v[18:19], v[16:17]
	v_ldexp_f32 v15, v15, 1
	v_fma_f32 v19, v18, s18, -v16
	v_fmamk_f32 v36, v18, 0xb102e308, v19
	v_pk_add_f32 v[18:19], v[16:17], v[36:37]
	v_mov_b32_e32 v38, v16
	v_sub_f32_e32 v35, v19, v37
	v_sub_f32_e32 v35, v17, v35
	v_add_f32_e32 v39, v15, v35
	v_pk_add_f32 v[16:17], v[18:19], v[16:17] neg_lo:[0,1] neg_hi:[0,1]
	v_pk_add_f32 v[40:41], v[18:19], v[38:39]
	v_mov_b32_e32 v37, v18
	v_mov_b32_e32 v17, v41
	v_pk_add_f32 v[42:43], v[36:37], v[16:17] neg_lo:[0,1] neg_hi:[0,1]
	v_pk_add_f32 v[16:17], v[36:37], v[16:17]
	v_mov_b32_e32 v38, v39
	v_pk_add_f32 v[36:37], v[16:17], v[18:19] op_sel:[1,0] op_sel_hi:[0,1] neg_lo:[0,1] neg_hi:[0,1]
	v_pk_add_f32 v[44:45], v[40:41], v[36:37] op_sel_hi:[1,0] neg_lo:[0,1] neg_hi:[0,1]
	v_mov_b32_e32 v40, v41
	v_mov_b32_e32 v41, v17
	v_pk_mov_b32 v[36:37], v[18:19], v[36:37] op_sel:[1,0]
	v_mov_b32_e32 v39, v18
	v_pk_add_f32 v[36:37], v[40:41], v[36:37] neg_lo:[0,1] neg_hi:[0,1]
	v_mov_b32_e32 v44, v42
	v_pk_add_f32 v[18:19], v[38:39], v[36:37] neg_lo:[0,1] neg_hi:[0,1]
	v_mov_b32_e32 v43, v17
	v_pk_add_f32 v[36:37], v[44:45], v[18:19]
	v_cmp_neq_f32_e64 s[18:19], s23, v7
	v_pk_add_f32 v[38:39], v[36:37], v[36:37] op_sel:[0,1] op_sel_hi:[1,0]
	s_nop 0
	v_pk_add_f32 v[16:17], v[16:17], v[38:39] op_sel:[1,0] op_sel_hi:[0,1]
	v_mov_b32_e32 v37, v16
	v_pk_add_f32 v[40:41], v[36:37], v[42:43] neg_lo:[0,1] neg_hi:[0,1]
	v_mov_b32_e32 v19, v38
	v_sub_f32_e32 v15, v36, v40
	v_pk_add_f32 v[18:19], v[18:19], v[40:41] neg_lo:[0,1] neg_hi:[0,1]
	v_sub_f32_e32 v15, v42, v15
	v_add_f32_e32 v15, v18, v15
	v_add_f32_e32 v15, v15, v19
	;; [unrolled: 1-line block ×3, first 2 shown]
	v_cndmask_b32_e64 v15, v20, v15, s[18:19]
	s_mov_b32 s18, 0x33800000
	v_cmp_lt_f32_e64 s[18:19], |v7|, s18
	s_nop 1
	v_cndmask_b32_e64 v7, v15, v7, s[18:19]
	v_add_f32_e32 v36, v6, v7
.LBB153_228:
	s_or_b64 exec, exec, s[20:21]
	v_max_f32_e32 v15, v22, v22
	v_max_f32_e32 v6, v36, v36
	v_min_f32_e32 v7, v6, v15
	v_cmp_u_f32_e64 s[20:21], v36, v36
	v_max_f32_e32 v6, v6, v15
	v_cmp_u_f32_e64 s[18:19], v22, v22
	v_cndmask_b32_e64 v7, v7, v36, s[20:21]
	v_cndmask_b32_e64 v6, v6, v36, s[20:21]
	;; [unrolled: 1-line block ×4, first 2 shown]
	v_cmp_neq_f32_e64 s[20:21], v7, v6
	v_cmp_class_f32_e64 s[22:23], v7, s22
	s_or_b64 s[20:21], s[20:21], s[22:23]
	s_and_saveexec_b64 s[22:23], s[20:21]
	s_cbranch_execz .LBB153_230
; %bb.229:
	v_sub_f32_e32 v7, v7, v6
	s_mov_b32 s20, 0x3fb8aa3b
	v_mul_f32_e32 v16, 0x3fb8aa3b, v7
	v_fma_f32 v17, v7, s20, -v16
	v_rndne_f32_e32 v18, v16
	v_fmamk_f32 v17, v7, 0x32a5705f, v17
	v_sub_f32_e32 v16, v16, v18
	v_add_f32_e32 v16, v16, v17
	v_exp_f32_e32 v16, v16
	v_cvt_i32_f32_e32 v17, v18
	s_mov_b32 s20, 0xc2ce8ed0
	v_cmp_ngt_f32_e64 s[20:21], s20, v7
	v_mov_b32_e32 v20, 0x7f800000
	v_ldexp_f32 v16, v16, v17
	v_cndmask_b32_e64 v16, 0, v16, s[20:21]
	s_mov_b32 s20, 0x42b17218
	v_cmp_nlt_f32_e64 s[20:21], s20, v7
	s_mov_b32 s24, 0x7f800000
	s_nop 0
	v_cndmask_b32_e64 v7, v20, v16, s[20:21]
	v_add_f32_e32 v18, 1.0, v7
	v_add_f32_e32 v16, -1.0, v18
	v_sub_f32_e32 v17, v16, v18
	v_add_f32_e32 v17, 1.0, v17
	v_sub_f32_e32 v16, v7, v16
	v_add_f32_e32 v19, v16, v17
	v_frexp_mant_f32_e32 v35, v18
	s_mov_b32 s20, 0x3f2aaaab
	v_cvt_f64_f32_e32 v[16:17], v18
	v_frexp_exp_i32_f64_e32 v16, v[16:17]
	v_cmp_gt_f32_e64 s[20:21], s20, v35
	s_nop 1
	v_subbrev_co_u32_e64 v35, s[20:21], 0, v16, s[20:21]
	v_sub_u32_e32 v16, 0, v35
	v_ldexp_f32 v17, v18, v16
	v_add_f32_e32 v18, -1.0, v17
	v_add_f32_e32 v36, 1.0, v17
	v_ldexp_f32 v16, v19, v16
	v_add_f32_e32 v19, 1.0, v18
	v_add_f32_e32 v37, -1.0, v36
	v_sub_f32_e32 v19, v17, v19
	v_sub_f32_e32 v17, v17, v37
	v_add_f32_e32 v19, v16, v19
	v_add_f32_e32 v16, v16, v17
	v_add_f32_e32 v40, v36, v16
	v_rcp_f32_e32 v42, v40
	v_sub_f32_e32 v17, v36, v40
	v_add_f32_e32 v41, v16, v17
	v_add_f32_e32 v17, v18, v19
	v_mul_f32_e32 v44, v17, v42
	v_sub_f32_e32 v16, v18, v17
	v_mul_f32_e32 v18, v40, v44
	v_fma_f32 v36, v44, v40, -v18
	v_fmac_f32_e32 v36, v44, v41
	v_add_f32_e32 v43, v19, v16
	v_add_f32_e32 v16, v18, v36
	v_sub_f32_e32 v19, v17, v16
	v_pk_add_f32 v[38:39], v[16:17], v[18:19] neg_lo:[0,1] neg_hi:[0,1]
	v_mov_b32_e32 v37, v16
	v_pk_add_f32 v[16:17], v[38:39], v[36:37] neg_lo:[0,1] neg_hi:[0,1]
	s_mov_b32 s20, 0x3f317218
	v_add_f32_e32 v17, v43, v17
	v_add_f32_e32 v16, v16, v17
	;; [unrolled: 1-line block ×3, first 2 shown]
	v_mul_f32_e32 v43, v42, v17
	v_mul_f32_e32 v18, v40, v43
	v_fma_f32 v36, v43, v40, -v18
	v_fmac_f32_e32 v36, v43, v41
	v_sub_f32_e32 v19, v19, v17
	v_add_f32_e32 v40, v16, v19
	v_add_f32_e32 v16, v18, v36
	v_sub_f32_e32 v19, v17, v16
	v_pk_add_f32 v[38:39], v[16:17], v[18:19] neg_lo:[0,1] neg_hi:[0,1]
	v_mov_b32_e32 v37, v16
	v_pk_add_f32 v[16:17], v[38:39], v[36:37] neg_lo:[0,1] neg_hi:[0,1]
	v_cvt_f32_i32_e32 v18, v35
	v_add_f32_e32 v17, v40, v17
	v_add_f32_e32 v16, v16, v17
	;; [unrolled: 1-line block ×4, first 2 shown]
	v_sub_f32_e32 v17, v19, v44
	v_mul_f32_e32 v16, v42, v16
	v_sub_f32_e32 v17, v43, v17
	v_add_f32_e32 v16, v17, v16
	v_add_f32_e32 v36, v19, v16
	v_mul_f32_e32 v38, v36, v36
	v_mov_b32_e32 v17, 0x3ecc95a3
	v_sub_f32_e32 v19, v36, v19
	v_fmac_f32_e32 v17, 0x3e9b6dac, v38
	v_sub_f32_e32 v16, v16, v19
	v_fmaak_f32 v17, v38, v17, 0x3f2aaada
	v_ldexp_f32 v35, v16, 1
	v_mul_f32_e32 v19, v36, v38
	v_mov_b32_e32 v16, 0x3f317218
	v_pk_mul_f32 v[16:17], v[18:19], v[16:17]
	v_ldexp_f32 v37, v36, 1
	v_fma_f32 v19, v18, s20, -v16
	v_fmamk_f32 v36, v18, 0xb102e308, v19
	v_pk_add_f32 v[18:19], v[16:17], v[36:37]
	v_mov_b32_e32 v38, v16
	v_sub_f32_e32 v37, v19, v37
	v_sub_f32_e32 v37, v17, v37
	v_add_f32_e32 v39, v35, v37
	v_pk_add_f32 v[16:17], v[18:19], v[16:17] neg_lo:[0,1] neg_hi:[0,1]
	v_pk_add_f32 v[40:41], v[18:19], v[38:39]
	v_mov_b32_e32 v37, v18
	v_mov_b32_e32 v17, v41
	v_pk_add_f32 v[42:43], v[36:37], v[16:17] neg_lo:[0,1] neg_hi:[0,1]
	v_pk_add_f32 v[16:17], v[36:37], v[16:17]
	v_mov_b32_e32 v38, v39
	v_pk_add_f32 v[36:37], v[16:17], v[18:19] op_sel:[1,0] op_sel_hi:[0,1] neg_lo:[0,1] neg_hi:[0,1]
	v_pk_add_f32 v[44:45], v[40:41], v[36:37] op_sel_hi:[1,0] neg_lo:[0,1] neg_hi:[0,1]
	v_mov_b32_e32 v40, v41
	v_mov_b32_e32 v41, v17
	v_pk_mov_b32 v[36:37], v[18:19], v[36:37] op_sel:[1,0]
	v_mov_b32_e32 v39, v18
	v_pk_add_f32 v[36:37], v[40:41], v[36:37] neg_lo:[0,1] neg_hi:[0,1]
	v_mov_b32_e32 v44, v42
	v_pk_add_f32 v[18:19], v[38:39], v[36:37] neg_lo:[0,1] neg_hi:[0,1]
	v_mov_b32_e32 v43, v17
	v_pk_add_f32 v[36:37], v[44:45], v[18:19]
	v_cmp_neq_f32_e64 s[20:21], s24, v7
	v_pk_add_f32 v[38:39], v[36:37], v[36:37] op_sel:[0,1] op_sel_hi:[1,0]
	s_nop 0
	v_pk_add_f32 v[16:17], v[16:17], v[38:39] op_sel:[1,0] op_sel_hi:[0,1]
	v_mov_b32_e32 v37, v16
	v_pk_add_f32 v[40:41], v[36:37], v[42:43] neg_lo:[0,1] neg_hi:[0,1]
	v_mov_b32_e32 v19, v38
	v_sub_f32_e32 v17, v36, v40
	v_pk_add_f32 v[18:19], v[18:19], v[40:41] neg_lo:[0,1] neg_hi:[0,1]
	v_sub_f32_e32 v17, v42, v17
	v_add_f32_e32 v17, v18, v17
	v_add_f32_e32 v17, v17, v19
	;; [unrolled: 1-line block ×3, first 2 shown]
	v_cndmask_b32_e64 v16, v20, v16, s[20:21]
	s_mov_b32 s20, 0x33800000
	v_cmp_lt_f32_e64 s[20:21], |v7|, s20
	s_nop 1
	v_cndmask_b32_e64 v7, v16, v7, s[20:21]
	v_add_f32_e32 v36, v6, v7
.LBB153_230:
	s_or_b64 exec, exec, s[22:23]
	v_max_f32_e32 v16, v23, v23
	v_max_f32_e32 v6, v36, v36
	v_min_f32_e32 v7, v6, v16
	v_cmp_u_f32_e64 s[22:23], v36, v36
	v_max_f32_e32 v6, v6, v16
	v_cmp_u_f32_e64 s[20:21], v23, v23
	v_cndmask_b32_e64 v7, v7, v36, s[22:23]
	v_cndmask_b32_e64 v6, v6, v36, s[22:23]
	;; [unrolled: 1-line block ×4, first 2 shown]
	s_movk_i32 s26, 0x1f8
	v_cmp_neq_f32_e64 s[22:23], v7, v6
	v_cmp_class_f32_e64 s[24:25], v7, s26
	s_or_b64 s[22:23], s[22:23], s[24:25]
	s_and_saveexec_b64 s[24:25], s[22:23]
	s_cbranch_execz .LBB153_232
; %bb.231:
	v_sub_f32_e32 v7, v7, v6
	s_mov_b32 s22, 0x3fb8aa3b
	v_mul_f32_e32 v17, 0x3fb8aa3b, v7
	v_fma_f32 v18, v7, s22, -v17
	v_rndne_f32_e32 v19, v17
	v_fmamk_f32 v18, v7, 0x32a5705f, v18
	v_sub_f32_e32 v17, v17, v19
	v_add_f32_e32 v17, v17, v18
	v_exp_f32_e32 v17, v17
	v_cvt_i32_f32_e32 v18, v19
	s_mov_b32 s22, 0xc2ce8ed0
	v_cmp_ngt_f32_e64 s[22:23], s22, v7
	v_mov_b32_e32 v20, 0x7f800000
	v_ldexp_f32 v17, v17, v18
	v_cndmask_b32_e64 v17, 0, v17, s[22:23]
	s_mov_b32 s22, 0x42b17218
	v_cmp_nlt_f32_e64 s[22:23], s22, v7
	s_mov_b32 s27, 0x7f800000
	s_nop 0
	v_cndmask_b32_e64 v7, v20, v17, s[22:23]
	v_add_f32_e32 v17, 1.0, v7
	v_add_f32_e32 v18, -1.0, v17
	v_sub_f32_e32 v19, v18, v17
	v_add_f32_e32 v19, 1.0, v19
	v_sub_f32_e32 v18, v7, v18
	v_add_f32_e32 v35, v18, v19
	v_frexp_mant_f32_e32 v36, v17
	s_mov_b32 s22, 0x3f2aaaab
	v_cvt_f64_f32_e32 v[18:19], v17
	v_frexp_exp_i32_f64_e32 v18, v[18:19]
	v_cmp_gt_f32_e64 s[22:23], s22, v36
	s_nop 1
	v_subbrev_co_u32_e64 v42, s[22:23], 0, v18, s[22:23]
	v_sub_u32_e32 v18, 0, v42
	v_ldexp_f32 v17, v17, v18
	v_ldexp_f32 v18, v35, v18
	v_add_f32_e32 v35, -1.0, v17
	v_add_f32_e32 v19, 1.0, v35
	v_sub_f32_e32 v19, v17, v19
	v_add_f32_e32 v36, v18, v19
	v_add_f32_e32 v19, 1.0, v17
	v_add_f32_e32 v37, -1.0, v19
	v_sub_f32_e32 v17, v17, v37
	v_add_f32_e32 v17, v18, v17
	v_add_f32_e32 v43, v19, v17
	v_rcp_f32_e32 v44, v43
	v_sub_f32_e32 v18, v19, v43
	v_add_f32_e32 v19, v35, v36
	v_add_f32_e32 v17, v17, v18
	v_sub_f32_e32 v18, v35, v19
	v_mul_f32_e32 v45, v19, v44
	v_add_f32_e32 v35, v36, v18
	v_mul_f32_e32 v36, v43, v45
	v_fma_f32 v38, v45, v43, -v36
	v_fmac_f32_e32 v38, v45, v17
	v_add_f32_e32 v18, v36, v38
	v_sub_f32_e32 v37, v19, v18
	v_pk_add_f32 v[40:41], v[18:19], v[36:37] neg_lo:[0,1] neg_hi:[0,1]
	v_mov_b32_e32 v39, v18
	v_pk_add_f32 v[18:19], v[40:41], v[38:39] neg_lo:[0,1] neg_hi:[0,1]
	s_mov_b32 s22, 0x3f317218
	v_add_f32_e32 v19, v35, v19
	v_add_f32_e32 v18, v18, v19
	;; [unrolled: 1-line block ×3, first 2 shown]
	v_mul_f32_e32 v35, v44, v19
	v_mul_f32_e32 v36, v43, v35
	v_fma_f32 v38, v35, v43, -v36
	v_fmac_f32_e32 v38, v35, v17
	v_sub_f32_e32 v17, v37, v19
	v_add_f32_e32 v17, v18, v17
	v_add_f32_e32 v18, v36, v38
	v_sub_f32_e32 v37, v19, v18
	v_pk_add_f32 v[40:41], v[18:19], v[36:37] neg_lo:[0,1] neg_hi:[0,1]
	v_mov_b32_e32 v39, v18
	v_pk_add_f32 v[18:19], v[40:41], v[38:39] neg_lo:[0,1] neg_hi:[0,1]
	v_cvt_f32_i32_e32 v36, v42
	v_add_f32_e32 v17, v17, v19
	v_add_f32_e32 v17, v18, v17
	;; [unrolled: 1-line block ×4, first 2 shown]
	v_sub_f32_e32 v19, v18, v45
	v_mul_f32_e32 v17, v44, v17
	v_sub_f32_e32 v19, v35, v19
	v_add_f32_e32 v17, v19, v17
	v_add_f32_e32 v35, v18, v17
	v_mul_f32_e32 v37, v35, v35
	v_mov_b32_e32 v19, 0x3ecc95a3
	v_fmac_f32_e32 v19, 0x3e9b6dac, v37
	v_sub_f32_e32 v18, v35, v18
	v_fmaak_f32 v19, v37, v19, 0x3f2aaada
	v_sub_f32_e32 v17, v17, v18
	v_mul_f32_e32 v37, v35, v37
	v_mov_b32_e32 v18, 0x3f317218
	v_pk_mul_f32 v[18:19], v[36:37], v[18:19]
	v_ldexp_f32 v39, v35, 1
	v_fma_f32 v35, v36, s22, -v18
	v_fmamk_f32 v38, v36, 0xb102e308, v35
	v_pk_add_f32 v[36:37], v[18:19], v[38:39]
	v_ldexp_f32 v17, v17, 1
	v_sub_f32_e32 v35, v37, v39
	v_sub_f32_e32 v35, v19, v35
	v_add_f32_e32 v41, v17, v35
	v_mov_b32_e32 v40, v18
	v_pk_add_f32 v[18:19], v[36:37], v[18:19] neg_lo:[0,1] neg_hi:[0,1]
	v_pk_add_f32 v[42:43], v[36:37], v[40:41]
	v_mov_b32_e32 v39, v36
	v_mov_b32_e32 v19, v43
	v_pk_add_f32 v[44:45], v[38:39], v[18:19] neg_lo:[0,1] neg_hi:[0,1]
	v_pk_add_f32 v[18:19], v[38:39], v[18:19]
	v_mov_b32_e32 v40, v41
	v_pk_add_f32 v[38:39], v[18:19], v[36:37] op_sel:[1,0] op_sel_hi:[0,1] neg_lo:[0,1] neg_hi:[0,1]
	v_pk_add_f32 v[46:47], v[42:43], v[38:39] op_sel_hi:[1,0] neg_lo:[0,1] neg_hi:[0,1]
	v_mov_b32_e32 v42, v43
	v_mov_b32_e32 v43, v19
	v_pk_mov_b32 v[38:39], v[36:37], v[38:39] op_sel:[1,0]
	v_mov_b32_e32 v41, v36
	v_pk_add_f32 v[38:39], v[42:43], v[38:39] neg_lo:[0,1] neg_hi:[0,1]
	v_mov_b32_e32 v46, v44
	v_pk_add_f32 v[36:37], v[40:41], v[38:39] neg_lo:[0,1] neg_hi:[0,1]
	v_mov_b32_e32 v45, v19
	v_pk_add_f32 v[38:39], v[46:47], v[36:37]
	v_cmp_neq_f32_e64 s[22:23], s27, v7
	v_pk_add_f32 v[40:41], v[38:39], v[38:39] op_sel:[0,1] op_sel_hi:[1,0]
	s_nop 0
	v_pk_add_f32 v[18:19], v[18:19], v[40:41] op_sel:[1,0] op_sel_hi:[0,1]
	v_mov_b32_e32 v39, v18
	v_pk_add_f32 v[42:43], v[38:39], v[44:45] neg_lo:[0,1] neg_hi:[0,1]
	v_mov_b32_e32 v37, v40
	v_sub_f32_e32 v17, v38, v42
	v_pk_add_f32 v[36:37], v[36:37], v[42:43] neg_lo:[0,1] neg_hi:[0,1]
	v_sub_f32_e32 v17, v44, v17
	v_add_f32_e32 v17, v36, v17
	v_add_f32_e32 v17, v17, v37
	v_add_f32_e32 v17, v18, v17
	v_cndmask_b32_e64 v17, v20, v17, s[22:23]
	s_mov_b32 s22, 0x33800000
	v_cmp_lt_f32_e64 s[22:23], |v7|, s22
	s_nop 1
	v_cndmask_b32_e64 v7, v17, v7, s[22:23]
	v_add_f32_e32 v36, v6, v7
.LBB153_232:
	s_or_b64 exec, exec, s[24:25]
	v_max_f32_e32 v17, v24, v24
	v_max_f32_e32 v6, v36, v36
	v_min_f32_e32 v7, v6, v17
	v_cmp_u_f32_e64 s[24:25], v36, v36
	v_max_f32_e32 v6, v6, v17
	v_cmp_u_f32_e64 s[22:23], v24, v24
	v_cndmask_b32_e64 v7, v7, v36, s[24:25]
	v_cndmask_b32_e64 v6, v6, v36, s[24:25]
	;; [unrolled: 1-line block ×4, first 2 shown]
	v_cmp_neq_f32_e64 s[24:25], v7, v6
	v_cmp_class_f32_e64 s[26:27], v7, s26
	s_or_b64 s[24:25], s[24:25], s[26:27]
	s_and_saveexec_b64 s[26:27], s[24:25]
	s_cbranch_execz .LBB153_234
; %bb.233:
	v_sub_f32_e32 v7, v7, v6
	s_mov_b32 s24, 0x3fb8aa3b
	v_mul_f32_e32 v18, 0x3fb8aa3b, v7
	v_fma_f32 v19, v7, s24, -v18
	v_rndne_f32_e32 v20, v18
	v_fmamk_f32 v19, v7, 0x32a5705f, v19
	v_sub_f32_e32 v18, v18, v20
	v_add_f32_e32 v18, v18, v19
	v_exp_f32_e32 v18, v18
	v_cvt_i32_f32_e32 v19, v20
	s_mov_b32 s24, 0xc2ce8ed0
	v_cmp_ngt_f32_e64 s[24:25], s24, v7
	v_mov_b32_e32 v20, 0x7f800000
	v_ldexp_f32 v18, v18, v19
	v_cndmask_b32_e64 v18, 0, v18, s[24:25]
	s_mov_b32 s24, 0x42b17218
	v_cmp_nlt_f32_e64 s[24:25], s24, v7
	s_mov_b32 s28, 0x7f800000
	s_nop 0
	v_cndmask_b32_e64 v7, v20, v18, s[24:25]
	v_add_f32_e32 v35, 1.0, v7
	v_add_f32_e32 v18, -1.0, v35
	v_sub_f32_e32 v19, v18, v35
	v_add_f32_e32 v19, 1.0, v19
	v_sub_f32_e32 v18, v7, v18
	v_add_f32_e32 v36, v18, v19
	v_frexp_mant_f32_e32 v37, v35
	s_mov_b32 s24, 0x3f2aaaab
	v_cvt_f64_f32_e32 v[18:19], v35
	v_frexp_exp_i32_f64_e32 v18, v[18:19]
	v_cmp_gt_f32_e64 s[24:25], s24, v37
	s_nop 1
	v_subbrev_co_u32_e64 v42, s[24:25], 0, v18, s[24:25]
	v_sub_u32_e32 v18, 0, v42
	v_ldexp_f32 v19, v35, v18
	v_add_f32_e32 v35, -1.0, v19
	v_add_f32_e32 v37, 1.0, v19
	v_ldexp_f32 v18, v36, v18
	v_add_f32_e32 v36, 1.0, v35
	v_add_f32_e32 v38, -1.0, v37
	v_sub_f32_e32 v36, v19, v36
	v_sub_f32_e32 v19, v19, v38
	v_add_f32_e32 v36, v18, v36
	v_add_f32_e32 v18, v18, v19
	;; [unrolled: 1-line block ×3, first 2 shown]
	v_rcp_f32_e32 v45, v43
	v_sub_f32_e32 v19, v37, v43
	v_add_f32_e32 v44, v18, v19
	v_add_f32_e32 v19, v35, v36
	v_sub_f32_e32 v18, v35, v19
	v_mul_f32_e32 v46, v19, v45
	v_add_f32_e32 v35, v36, v18
	v_mul_f32_e32 v36, v43, v46
	v_fma_f32 v38, v46, v43, -v36
	v_fmac_f32_e32 v38, v46, v44
	v_add_f32_e32 v18, v36, v38
	v_sub_f32_e32 v37, v19, v18
	v_pk_add_f32 v[40:41], v[18:19], v[36:37] neg_lo:[0,1] neg_hi:[0,1]
	v_mov_b32_e32 v39, v18
	v_pk_add_f32 v[18:19], v[40:41], v[38:39] neg_lo:[0,1] neg_hi:[0,1]
	s_mov_b32 s24, 0x3f317218
	v_add_f32_e32 v19, v35, v19
	v_add_f32_e32 v18, v18, v19
	;; [unrolled: 1-line block ×3, first 2 shown]
	v_mul_f32_e32 v35, v45, v19
	v_mul_f32_e32 v36, v43, v35
	v_fma_f32 v38, v35, v43, -v36
	v_fmac_f32_e32 v38, v35, v44
	v_sub_f32_e32 v37, v37, v19
	v_add_f32_e32 v43, v18, v37
	v_add_f32_e32 v18, v36, v38
	v_sub_f32_e32 v37, v19, v18
	v_pk_add_f32 v[40:41], v[18:19], v[36:37] neg_lo:[0,1] neg_hi:[0,1]
	v_mov_b32_e32 v39, v18
	v_pk_add_f32 v[18:19], v[40:41], v[38:39] neg_lo:[0,1] neg_hi:[0,1]
	v_cvt_f32_i32_e32 v36, v42
	v_add_f32_e32 v19, v43, v19
	v_add_f32_e32 v18, v18, v19
	v_add_f32_e32 v18, v37, v18
	v_add_f32_e32 v37, v46, v35
	v_sub_f32_e32 v19, v37, v46
	v_mul_f32_e32 v18, v45, v18
	v_sub_f32_e32 v19, v35, v19
	v_add_f32_e32 v18, v19, v18
	v_add_f32_e32 v35, v37, v18
	v_mul_f32_e32 v38, v35, v35
	v_mov_b32_e32 v19, 0x3ecc95a3
	v_sub_f32_e32 v37, v35, v37
	v_fmac_f32_e32 v19, 0x3e9b6dac, v38
	v_sub_f32_e32 v18, v18, v37
	v_fmaak_f32 v19, v38, v19, 0x3f2aaada
	v_ldexp_f32 v40, v18, 1
	v_mul_f32_e32 v37, v35, v38
	v_mov_b32_e32 v18, 0x3f317218
	v_pk_mul_f32 v[18:19], v[36:37], v[18:19]
	v_ldexp_f32 v39, v35, 1
	v_fma_f32 v35, v36, s24, -v18
	v_fmamk_f32 v38, v36, 0xb102e308, v35
	v_pk_add_f32 v[36:37], v[18:19], v[38:39]
	v_cmp_neq_f32_e64 s[24:25], s28, v7
	v_sub_f32_e32 v35, v37, v39
	v_sub_f32_e32 v35, v19, v35
	v_add_f32_e32 v41, v40, v35
	v_mov_b32_e32 v40, v18
	v_pk_add_f32 v[18:19], v[36:37], v[18:19] neg_lo:[0,1] neg_hi:[0,1]
	v_pk_add_f32 v[42:43], v[36:37], v[40:41]
	v_mov_b32_e32 v39, v36
	v_mov_b32_e32 v19, v43
	v_pk_add_f32 v[44:45], v[38:39], v[18:19] neg_lo:[0,1] neg_hi:[0,1]
	v_pk_add_f32 v[18:19], v[38:39], v[18:19]
	v_mov_b32_e32 v40, v41
	v_pk_add_f32 v[38:39], v[18:19], v[36:37] op_sel:[1,0] op_sel_hi:[0,1] neg_lo:[0,1] neg_hi:[0,1]
	v_pk_add_f32 v[46:47], v[42:43], v[38:39] op_sel_hi:[1,0] neg_lo:[0,1] neg_hi:[0,1]
	v_mov_b32_e32 v42, v43
	v_mov_b32_e32 v43, v19
	v_pk_mov_b32 v[38:39], v[36:37], v[38:39] op_sel:[1,0]
	v_mov_b32_e32 v41, v36
	v_pk_add_f32 v[38:39], v[42:43], v[38:39] neg_lo:[0,1] neg_hi:[0,1]
	v_mov_b32_e32 v46, v44
	v_pk_add_f32 v[36:37], v[40:41], v[38:39] neg_lo:[0,1] neg_hi:[0,1]
	v_mov_b32_e32 v45, v19
	v_pk_add_f32 v[38:39], v[46:47], v[36:37]
	s_nop 0
	v_pk_add_f32 v[40:41], v[38:39], v[38:39] op_sel:[0,1] op_sel_hi:[1,0]
	s_nop 0
	v_pk_add_f32 v[18:19], v[18:19], v[40:41] op_sel:[1,0] op_sel_hi:[0,1]
	v_mov_b32_e32 v39, v18
	v_pk_add_f32 v[42:43], v[38:39], v[44:45] neg_lo:[0,1] neg_hi:[0,1]
	v_mov_b32_e32 v37, v40
	v_sub_f32_e32 v19, v38, v42
	v_pk_add_f32 v[36:37], v[36:37], v[42:43] neg_lo:[0,1] neg_hi:[0,1]
	v_sub_f32_e32 v19, v44, v19
	v_add_f32_e32 v19, v36, v19
	v_add_f32_e32 v19, v19, v37
	;; [unrolled: 1-line block ×3, first 2 shown]
	v_cndmask_b32_e64 v18, v20, v18, s[24:25]
	s_mov_b32 s24, 0x33800000
	v_cmp_lt_f32_e64 s[24:25], |v7|, s24
	s_nop 1
	v_cndmask_b32_e64 v7, v18, v7, s[24:25]
	v_add_f32_e32 v36, v6, v7
.LBB153_234:
	s_or_b64 exec, exec, s[26:27]
	v_max_f32_e32 v18, v25, v25
	v_max_f32_e32 v6, v36, v36
	v_min_f32_e32 v7, v6, v18
	v_cmp_u_f32_e64 s[26:27], v36, v36
	v_max_f32_e32 v6, v6, v18
	v_cmp_u_f32_e64 s[24:25], v25, v25
	v_cndmask_b32_e64 v7, v7, v36, s[26:27]
	v_cndmask_b32_e64 v6, v6, v36, s[26:27]
	;; [unrolled: 1-line block ×4, first 2 shown]
	s_movk_i32 s34, 0x1f8
	v_cmp_neq_f32_e64 s[26:27], v7, v6
	v_cmp_class_f32_e64 s[28:29], v7, s34
	s_or_b64 s[26:27], s[26:27], s[28:29]
	s_and_saveexec_b64 s[28:29], s[26:27]
	s_cbranch_execz .LBB153_236
; %bb.235:
	v_sub_f32_e32 v7, v7, v6
	s_mov_b32 s26, 0x3fb8aa3b
	v_mul_f32_e32 v19, 0x3fb8aa3b, v7
	v_fma_f32 v20, v7, s26, -v19
	v_rndne_f32_e32 v35, v19
	v_fmamk_f32 v20, v7, 0x32a5705f, v20
	v_sub_f32_e32 v19, v19, v35
	v_add_f32_e32 v19, v19, v20
	v_exp_f32_e32 v19, v19
	v_cvt_i32_f32_e32 v20, v35
	s_mov_b32 s26, 0xc2ce8ed0
	v_cmp_ngt_f32_e64 s[26:27], s26, v7
	s_mov_b32 s35, 0x7f800000
	v_ldexp_f32 v19, v19, v20
	v_cndmask_b32_e64 v19, 0, v19, s[26:27]
	s_mov_b32 s26, 0x42b17218
	v_mov_b32_e32 v20, 0x7f800000
	v_cmp_nlt_f32_e64 s[26:27], s26, v7
	s_nop 1
	v_cndmask_b32_e64 v7, v20, v19, s[26:27]
	v_add_f32_e32 v19, 1.0, v7
	v_add_f32_e32 v35, -1.0, v19
	v_sub_f32_e32 v36, v35, v19
	v_add_f32_e32 v36, 1.0, v36
	v_sub_f32_e32 v35, v7, v35
	v_add_f32_e32 v35, v35, v36
	v_frexp_mant_f32_e32 v38, v19
	s_mov_b32 s26, 0x3f2aaaab
	v_cvt_f64_f32_e32 v[36:37], v19
	v_frexp_exp_i32_f64_e32 v36, v[36:37]
	v_cmp_gt_f32_e64 s[26:27], s26, v38
	s_nop 1
	v_subbrev_co_u32_e64 v44, s[26:27], 0, v36, s[26:27]
	v_sub_u32_e32 v36, 0, v44
	v_ldexp_f32 v19, v19, v36
	v_ldexp_f32 v35, v35, v36
	v_add_f32_e32 v36, -1.0, v19
	v_add_f32_e32 v37, 1.0, v36
	v_sub_f32_e32 v37, v19, v37
	v_add_f32_e32 v38, v35, v37
	v_add_f32_e32 v37, 1.0, v19
	v_add_f32_e32 v39, -1.0, v37
	v_sub_f32_e32 v19, v19, v39
	v_add_f32_e32 v19, v35, v19
	v_add_f32_e32 v35, v37, v19
	v_rcp_f32_e32 v45, v35
	v_sub_f32_e32 v37, v37, v35
	v_add_f32_e32 v19, v19, v37
	v_add_f32_e32 v37, v36, v38
	v_sub_f32_e32 v36, v36, v37
	v_mul_f32_e32 v47, v37, v45
	v_add_f32_e32 v46, v38, v36
	v_mul_f32_e32 v38, v35, v47
	v_fma_f32 v40, v47, v35, -v38
	v_fmac_f32_e32 v40, v47, v19
	v_add_f32_e32 v36, v38, v40
	v_sub_f32_e32 v39, v37, v36
	v_pk_add_f32 v[42:43], v[36:37], v[38:39] neg_lo:[0,1] neg_hi:[0,1]
	v_mov_b32_e32 v41, v36
	v_pk_add_f32 v[36:37], v[42:43], v[40:41] neg_lo:[0,1] neg_hi:[0,1]
	s_mov_b32 s26, 0x3f317218
	v_add_f32_e32 v37, v46, v37
	v_add_f32_e32 v36, v36, v37
	;; [unrolled: 1-line block ×3, first 2 shown]
	v_mul_f32_e32 v46, v45, v37
	v_mul_f32_e32 v38, v35, v46
	v_fma_f32 v40, v46, v35, -v38
	v_fmac_f32_e32 v40, v46, v19
	v_sub_f32_e32 v19, v39, v37
	v_add_f32_e32 v19, v36, v19
	v_add_f32_e32 v36, v38, v40
	v_sub_f32_e32 v39, v37, v36
	v_pk_add_f32 v[42:43], v[36:37], v[38:39] neg_lo:[0,1] neg_hi:[0,1]
	v_mov_b32_e32 v41, v36
	v_pk_add_f32 v[36:37], v[42:43], v[40:41] neg_lo:[0,1] neg_hi:[0,1]
	v_add_f32_e32 v35, v47, v46
	v_add_f32_e32 v19, v19, v37
	;; [unrolled: 1-line block ×4, first 2 shown]
	v_sub_f32_e32 v36, v35, v47
	v_mul_f32_e32 v19, v45, v19
	v_sub_f32_e32 v36, v46, v36
	v_add_f32_e32 v19, v36, v19
	v_add_f32_e32 v36, v35, v19
	v_cvt_f32_i32_e32 v38, v44
	v_mul_f32_e32 v39, v36, v36
	v_mov_b32_e32 v37, 0x3ecc95a3
	v_fmac_f32_e32 v37, 0x3e9b6dac, v39
	v_fmaak_f32 v37, v39, v37, 0x3f2aaada
	v_sub_f32_e32 v35, v36, v35
	v_ldexp_f32 v41, v36, 1
	v_mul_f32_e32 v39, v36, v39
	v_mov_b32_e32 v36, 0x3f317218
	v_pk_mul_f32 v[36:37], v[38:39], v[36:37]
	v_sub_f32_e32 v19, v19, v35
	v_fma_f32 v35, v38, s26, -v36
	v_fmamk_f32 v40, v38, 0xb102e308, v35
	v_pk_add_f32 v[38:39], v[36:37], v[40:41]
	v_ldexp_f32 v19, v19, 1
	v_sub_f32_e32 v35, v39, v41
	v_sub_f32_e32 v35, v37, v35
	v_add_f32_e32 v43, v19, v35
	v_mov_b32_e32 v42, v36
	v_pk_add_f32 v[36:37], v[38:39], v[36:37] neg_lo:[0,1] neg_hi:[0,1]
	v_pk_add_f32 v[44:45], v[38:39], v[42:43]
	v_mov_b32_e32 v41, v38
	v_mov_b32_e32 v37, v45
	v_pk_add_f32 v[46:47], v[40:41], v[36:37] neg_lo:[0,1] neg_hi:[0,1]
	v_pk_add_f32 v[36:37], v[40:41], v[36:37]
	v_mov_b32_e32 v42, v43
	v_pk_add_f32 v[40:41], v[36:37], v[38:39] op_sel:[1,0] op_sel_hi:[0,1] neg_lo:[0,1] neg_hi:[0,1]
	v_pk_add_f32 v[48:49], v[44:45], v[40:41] op_sel_hi:[1,0] neg_lo:[0,1] neg_hi:[0,1]
	v_mov_b32_e32 v44, v45
	v_mov_b32_e32 v45, v37
	v_pk_mov_b32 v[40:41], v[38:39], v[40:41] op_sel:[1,0]
	v_mov_b32_e32 v43, v38
	v_pk_add_f32 v[40:41], v[44:45], v[40:41] neg_lo:[0,1] neg_hi:[0,1]
	v_mov_b32_e32 v48, v46
	v_pk_add_f32 v[38:39], v[42:43], v[40:41] neg_lo:[0,1] neg_hi:[0,1]
	v_mov_b32_e32 v47, v37
	v_pk_add_f32 v[40:41], v[48:49], v[38:39]
	v_cmp_neq_f32_e64 s[26:27], s35, v7
	v_pk_add_f32 v[42:43], v[40:41], v[40:41] op_sel:[0,1] op_sel_hi:[1,0]
	s_nop 0
	v_pk_add_f32 v[36:37], v[36:37], v[42:43] op_sel:[1,0] op_sel_hi:[0,1]
	v_mov_b32_e32 v41, v36
	v_pk_add_f32 v[44:45], v[40:41], v[46:47] neg_lo:[0,1] neg_hi:[0,1]
	v_mov_b32_e32 v39, v42
	v_sub_f32_e32 v19, v40, v44
	v_pk_add_f32 v[38:39], v[38:39], v[44:45] neg_lo:[0,1] neg_hi:[0,1]
	v_sub_f32_e32 v19, v46, v19
	v_add_f32_e32 v19, v38, v19
	v_add_f32_e32 v19, v19, v39
	;; [unrolled: 1-line block ×3, first 2 shown]
	v_cndmask_b32_e64 v19, v20, v19, s[26:27]
	s_mov_b32 s26, 0x33800000
	v_cmp_lt_f32_e64 s[26:27], |v7|, s26
	s_nop 1
	v_cndmask_b32_e64 v7, v19, v7, s[26:27]
	v_add_f32_e32 v36, v6, v7
.LBB153_236:
	s_or_b64 exec, exec, s[28:29]
	v_max_f32_e32 v19, v32, v32
	v_max_f32_e32 v6, v36, v36
	v_min_f32_e32 v7, v6, v19
	v_cmp_u_f32_e64 s[28:29], v36, v36
	v_max_f32_e32 v6, v6, v19
	v_cmp_u_f32_e64 s[26:27], v32, v32
	v_cndmask_b32_e64 v7, v7, v36, s[28:29]
	v_cndmask_b32_e64 v6, v6, v36, s[28:29]
	;; [unrolled: 1-line block ×4, first 2 shown]
	v_cmp_neq_f32_e64 s[28:29], v7, v6
	v_cmp_class_f32_e64 s[34:35], v7, s34
	s_or_b64 s[28:29], s[28:29], s[34:35]
	s_and_saveexec_b64 s[34:35], s[28:29]
	s_cbranch_execz .LBB153_238
; %bb.237:
	v_sub_f32_e32 v7, v7, v6
	s_mov_b32 s28, 0x3fb8aa3b
	v_mul_f32_e32 v20, 0x3fb8aa3b, v7
	v_fma_f32 v35, v7, s28, -v20
	v_rndne_f32_e32 v36, v20
	v_fmamk_f32 v35, v7, 0x32a5705f, v35
	v_sub_f32_e32 v20, v20, v36
	v_add_f32_e32 v20, v20, v35
	v_exp_f32_e32 v20, v20
	v_cvt_i32_f32_e32 v35, v36
	s_mov_b32 s28, 0xc2ce8ed0
	v_cmp_ngt_f32_e64 s[28:29], s28, v7
	s_mov_b32 s36, 0x7f800000
	v_ldexp_f32 v20, v20, v35
	v_cndmask_b32_e64 v20, 0, v20, s[28:29]
	s_mov_b32 s28, 0x42b17218
	v_mov_b32_e32 v35, 0x7f800000
	v_cmp_nlt_f32_e64 s[28:29], s28, v7
	s_nop 1
	v_cndmask_b32_e64 v7, v35, v20, s[28:29]
	v_add_f32_e32 v20, 1.0, v7
	v_add_f32_e32 v36, -1.0, v20
	v_sub_f32_e32 v37, v36, v20
	v_add_f32_e32 v37, 1.0, v37
	v_sub_f32_e32 v36, v7, v36
	v_add_f32_e32 v38, v36, v37
	v_frexp_mant_f32_e32 v39, v20
	s_mov_b32 s28, 0x3f2aaaab
	v_cvt_f64_f32_e32 v[36:37], v20
	v_frexp_exp_i32_f64_e32 v36, v[36:37]
	v_cmp_gt_f32_e64 s[28:29], s28, v39
	s_nop 1
	v_subbrev_co_u32_e64 v44, s[28:29], 0, v36, s[28:29]
	v_sub_u32_e32 v36, 0, v44
	v_ldexp_f32 v20, v20, v36
	v_ldexp_f32 v36, v38, v36
	v_add_f32_e32 v38, -1.0, v20
	v_add_f32_e32 v37, 1.0, v38
	v_sub_f32_e32 v37, v20, v37
	v_add_f32_e32 v39, v36, v37
	v_add_f32_e32 v37, 1.0, v20
	v_add_f32_e32 v40, -1.0, v37
	v_sub_f32_e32 v20, v20, v40
	v_add_f32_e32 v20, v36, v20
	v_add_f32_e32 v45, v37, v20
	v_rcp_f32_e32 v46, v45
	v_sub_f32_e32 v36, v37, v45
	v_add_f32_e32 v37, v38, v39
	v_add_f32_e32 v20, v20, v36
	v_mul_f32_e32 v48, v37, v46
	v_sub_f32_e32 v36, v38, v37
	v_mul_f32_e32 v38, v45, v48
	v_fma_f32 v40, v48, v45, -v38
	v_fmac_f32_e32 v40, v48, v20
	v_add_f32_e32 v47, v39, v36
	v_add_f32_e32 v36, v38, v40
	v_sub_f32_e32 v39, v37, v36
	v_pk_add_f32 v[42:43], v[36:37], v[38:39] neg_lo:[0,1] neg_hi:[0,1]
	v_mov_b32_e32 v41, v36
	v_pk_add_f32 v[36:37], v[42:43], v[40:41] neg_lo:[0,1] neg_hi:[0,1]
	s_mov_b32 s28, 0x3f317218
	v_add_f32_e32 v37, v47, v37
	v_add_f32_e32 v36, v36, v37
	;; [unrolled: 1-line block ×3, first 2 shown]
	v_mul_f32_e32 v47, v46, v37
	v_mul_f32_e32 v38, v45, v47
	v_fma_f32 v40, v47, v45, -v38
	v_fmac_f32_e32 v40, v47, v20
	v_sub_f32_e32 v20, v39, v37
	v_add_f32_e32 v20, v36, v20
	v_add_f32_e32 v36, v38, v40
	v_sub_f32_e32 v39, v37, v36
	v_pk_add_f32 v[42:43], v[36:37], v[38:39] neg_lo:[0,1] neg_hi:[0,1]
	v_mov_b32_e32 v41, v36
	v_pk_add_f32 v[36:37], v[42:43], v[40:41] neg_lo:[0,1] neg_hi:[0,1]
	v_cvt_f32_i32_e32 v38, v44
	v_add_f32_e32 v20, v20, v37
	v_add_f32_e32 v20, v36, v20
	;; [unrolled: 1-line block ×4, first 2 shown]
	v_sub_f32_e32 v37, v36, v48
	v_mul_f32_e32 v20, v46, v20
	v_sub_f32_e32 v37, v47, v37
	v_add_f32_e32 v20, v37, v20
	v_add_f32_e32 v39, v36, v20
	v_mul_f32_e32 v40, v39, v39
	v_mov_b32_e32 v37, 0x3ecc95a3
	v_fmac_f32_e32 v37, 0x3e9b6dac, v40
	v_sub_f32_e32 v36, v39, v36
	v_fmaak_f32 v37, v40, v37, 0x3f2aaada
	v_sub_f32_e32 v20, v20, v36
	v_ldexp_f32 v41, v39, 1
	v_mul_f32_e32 v39, v39, v40
	v_mov_b32_e32 v36, 0x3f317218
	v_pk_mul_f32 v[36:37], v[38:39], v[36:37]
	v_ldexp_f32 v20, v20, 1
	v_fma_f32 v39, v38, s28, -v36
	v_fmamk_f32 v40, v38, 0xb102e308, v39
	v_pk_add_f32 v[38:39], v[36:37], v[40:41]
	v_mov_b32_e32 v42, v36
	v_sub_f32_e32 v41, v39, v41
	v_sub_f32_e32 v41, v37, v41
	v_add_f32_e32 v43, v20, v41
	v_pk_add_f32 v[36:37], v[38:39], v[36:37] neg_lo:[0,1] neg_hi:[0,1]
	v_pk_add_f32 v[44:45], v[38:39], v[42:43]
	v_mov_b32_e32 v41, v38
	v_mov_b32_e32 v37, v45
	v_pk_add_f32 v[46:47], v[40:41], v[36:37] neg_lo:[0,1] neg_hi:[0,1]
	v_pk_add_f32 v[36:37], v[40:41], v[36:37]
	v_mov_b32_e32 v42, v43
	v_pk_add_f32 v[40:41], v[36:37], v[38:39] op_sel:[1,0] op_sel_hi:[0,1] neg_lo:[0,1] neg_hi:[0,1]
	v_pk_add_f32 v[48:49], v[44:45], v[40:41] op_sel_hi:[1,0] neg_lo:[0,1] neg_hi:[0,1]
	v_mov_b32_e32 v44, v45
	v_mov_b32_e32 v45, v37
	v_pk_mov_b32 v[40:41], v[38:39], v[40:41] op_sel:[1,0]
	v_mov_b32_e32 v43, v38
	v_pk_add_f32 v[40:41], v[44:45], v[40:41] neg_lo:[0,1] neg_hi:[0,1]
	v_mov_b32_e32 v48, v46
	v_pk_add_f32 v[38:39], v[42:43], v[40:41] neg_lo:[0,1] neg_hi:[0,1]
	v_mov_b32_e32 v47, v37
	v_pk_add_f32 v[40:41], v[48:49], v[38:39]
	v_cmp_neq_f32_e64 s[28:29], s36, v7
	v_pk_add_f32 v[42:43], v[40:41], v[40:41] op_sel:[0,1] op_sel_hi:[1,0]
	s_nop 0
	v_pk_add_f32 v[36:37], v[36:37], v[42:43] op_sel:[1,0] op_sel_hi:[0,1]
	v_mov_b32_e32 v41, v36
	v_pk_add_f32 v[44:45], v[40:41], v[46:47] neg_lo:[0,1] neg_hi:[0,1]
	v_mov_b32_e32 v39, v42
	v_sub_f32_e32 v20, v40, v44
	v_pk_add_f32 v[38:39], v[38:39], v[44:45] neg_lo:[0,1] neg_hi:[0,1]
	v_sub_f32_e32 v20, v46, v20
	v_add_f32_e32 v20, v38, v20
	v_add_f32_e32 v20, v20, v39
	;; [unrolled: 1-line block ×3, first 2 shown]
	v_cndmask_b32_e64 v20, v35, v20, s[28:29]
	s_mov_b32 s28, 0x33800000
	v_cmp_lt_f32_e64 s[28:29], |v7|, s28
	s_nop 1
	v_cndmask_b32_e64 v7, v20, v7, s[28:29]
	v_add_f32_e32 v36, v6, v7
.LBB153_238:
	s_or_b64 exec, exec, s[34:35]
	v_max_f32_e32 v20, v33, v33
	v_max_f32_e32 v6, v36, v36
	v_min_f32_e32 v7, v6, v20
	v_cmp_u_f32_e64 s[34:35], v36, v36
	v_max_f32_e32 v6, v6, v20
	v_cmp_u_f32_e64 s[28:29], v33, v33
	v_cndmask_b32_e64 v7, v7, v36, s[34:35]
	v_cndmask_b32_e64 v6, v6, v36, s[34:35]
	;; [unrolled: 1-line block ×4, first 2 shown]
	s_movk_i32 s36, 0x1f8
	v_cmp_neq_f32_e64 s[34:35], v7, v6
	v_cmp_class_f32_e64 s[36:37], v7, s36
	s_or_b64 s[34:35], s[34:35], s[36:37]
	s_and_saveexec_b64 s[36:37], s[34:35]
	s_cbranch_execz .LBB153_240
; %bb.239:
	v_sub_f32_e32 v7, v7, v6
	s_mov_b32 s34, 0x3fb8aa3b
	v_mul_f32_e32 v35, 0x3fb8aa3b, v7
	v_fma_f32 v36, v7, s34, -v35
	v_rndne_f32_e32 v37, v35
	v_fmamk_f32 v36, v7, 0x32a5705f, v36
	v_sub_f32_e32 v35, v35, v37
	v_add_f32_e32 v35, v35, v36
	v_exp_f32_e32 v35, v35
	v_cvt_i32_f32_e32 v36, v37
	s_mov_b32 s34, 0xc2ce8ed0
	v_cmp_ngt_f32_e64 s[34:35], s34, v7
	v_mov_b32_e32 v50, 0x7f800000
	v_ldexp_f32 v35, v35, v36
	v_cndmask_b32_e64 v35, 0, v35, s[34:35]
	s_mov_b32 s34, 0x42b17218
	v_cmp_nlt_f32_e64 s[34:35], s34, v7
	s_mov_b32 s38, 0x7f800000
	s_nop 0
	v_cndmask_b32_e64 v7, v50, v35, s[34:35]
	v_add_f32_e32 v35, 1.0, v7
	v_add_f32_e32 v36, -1.0, v35
	v_sub_f32_e32 v37, v36, v35
	v_add_f32_e32 v37, 1.0, v37
	v_sub_f32_e32 v36, v7, v36
	v_add_f32_e32 v38, v36, v37
	v_frexp_mant_f32_e32 v39, v35
	s_mov_b32 s34, 0x3f2aaaab
	v_cvt_f64_f32_e32 v[36:37], v35
	v_frexp_exp_i32_f64_e32 v36, v[36:37]
	v_cmp_gt_f32_e64 s[34:35], s34, v39
	s_nop 1
	v_subbrev_co_u32_e64 v44, s[34:35], 0, v36, s[34:35]
	v_sub_u32_e32 v36, 0, v44
	v_ldexp_f32 v35, v35, v36
	v_ldexp_f32 v36, v38, v36
	v_add_f32_e32 v38, -1.0, v35
	v_add_f32_e32 v37, 1.0, v38
	v_sub_f32_e32 v37, v35, v37
	v_add_f32_e32 v39, v36, v37
	v_add_f32_e32 v37, 1.0, v35
	v_add_f32_e32 v40, -1.0, v37
	v_sub_f32_e32 v35, v35, v40
	v_add_f32_e32 v35, v36, v35
	v_add_f32_e32 v45, v37, v35
	v_rcp_f32_e32 v46, v45
	v_sub_f32_e32 v36, v37, v45
	v_add_f32_e32 v37, v38, v39
	v_add_f32_e32 v35, v35, v36
	v_mul_f32_e32 v48, v37, v46
	v_sub_f32_e32 v36, v38, v37
	v_mul_f32_e32 v38, v45, v48
	v_fma_f32 v40, v48, v45, -v38
	v_fmac_f32_e32 v40, v48, v35
	v_add_f32_e32 v47, v39, v36
	v_add_f32_e32 v36, v38, v40
	v_sub_f32_e32 v39, v37, v36
	v_pk_add_f32 v[42:43], v[36:37], v[38:39] neg_lo:[0,1] neg_hi:[0,1]
	v_mov_b32_e32 v41, v36
	v_pk_add_f32 v[36:37], v[42:43], v[40:41] neg_lo:[0,1] neg_hi:[0,1]
	s_mov_b32 s34, 0x3f317218
	v_add_f32_e32 v37, v47, v37
	v_add_f32_e32 v36, v36, v37
	;; [unrolled: 1-line block ×3, first 2 shown]
	v_mul_f32_e32 v47, v46, v37
	v_mul_f32_e32 v38, v45, v47
	v_fma_f32 v40, v47, v45, -v38
	v_fmac_f32_e32 v40, v47, v35
	v_sub_f32_e32 v35, v39, v37
	v_add_f32_e32 v35, v36, v35
	v_add_f32_e32 v36, v38, v40
	v_sub_f32_e32 v39, v37, v36
	v_pk_add_f32 v[42:43], v[36:37], v[38:39] neg_lo:[0,1] neg_hi:[0,1]
	v_mov_b32_e32 v41, v36
	v_pk_add_f32 v[36:37], v[42:43], v[40:41] neg_lo:[0,1] neg_hi:[0,1]
	v_cvt_f32_i32_e32 v38, v44
	v_add_f32_e32 v35, v35, v37
	v_add_f32_e32 v35, v36, v35
	;; [unrolled: 1-line block ×4, first 2 shown]
	v_sub_f32_e32 v37, v36, v48
	v_mul_f32_e32 v35, v46, v35
	v_sub_f32_e32 v37, v47, v37
	v_add_f32_e32 v35, v37, v35
	v_add_f32_e32 v39, v36, v35
	v_mul_f32_e32 v40, v39, v39
	v_mov_b32_e32 v37, 0x3ecc95a3
	v_fmac_f32_e32 v37, 0x3e9b6dac, v40
	v_sub_f32_e32 v36, v39, v36
	v_fmaak_f32 v37, v40, v37, 0x3f2aaada
	v_sub_f32_e32 v35, v35, v36
	v_ldexp_f32 v41, v39, 1
	v_mul_f32_e32 v39, v39, v40
	v_mov_b32_e32 v36, 0x3f317218
	v_pk_mul_f32 v[36:37], v[38:39], v[36:37]
	v_ldexp_f32 v35, v35, 1
	v_fma_f32 v39, v38, s34, -v36
	v_fmamk_f32 v40, v38, 0xb102e308, v39
	v_pk_add_f32 v[38:39], v[36:37], v[40:41]
	v_mov_b32_e32 v42, v36
	v_sub_f32_e32 v41, v39, v41
	v_sub_f32_e32 v41, v37, v41
	v_add_f32_e32 v43, v35, v41
	v_pk_add_f32 v[36:37], v[38:39], v[36:37] neg_lo:[0,1] neg_hi:[0,1]
	v_pk_add_f32 v[44:45], v[38:39], v[42:43]
	v_mov_b32_e32 v41, v38
	v_mov_b32_e32 v37, v45
	v_pk_add_f32 v[46:47], v[40:41], v[36:37] neg_lo:[0,1] neg_hi:[0,1]
	v_pk_add_f32 v[36:37], v[40:41], v[36:37]
	v_mov_b32_e32 v42, v43
	v_pk_add_f32 v[40:41], v[36:37], v[38:39] op_sel:[1,0] op_sel_hi:[0,1] neg_lo:[0,1] neg_hi:[0,1]
	v_pk_add_f32 v[48:49], v[44:45], v[40:41] op_sel_hi:[1,0] neg_lo:[0,1] neg_hi:[0,1]
	v_mov_b32_e32 v44, v45
	v_mov_b32_e32 v45, v37
	v_pk_mov_b32 v[40:41], v[38:39], v[40:41] op_sel:[1,0]
	v_mov_b32_e32 v43, v38
	v_pk_add_f32 v[40:41], v[44:45], v[40:41] neg_lo:[0,1] neg_hi:[0,1]
	v_mov_b32_e32 v48, v46
	v_pk_add_f32 v[38:39], v[42:43], v[40:41] neg_lo:[0,1] neg_hi:[0,1]
	v_mov_b32_e32 v47, v37
	v_pk_add_f32 v[40:41], v[48:49], v[38:39]
	v_cmp_neq_f32_e64 s[34:35], s38, v7
	v_pk_add_f32 v[42:43], v[40:41], v[40:41] op_sel:[0,1] op_sel_hi:[1,0]
	s_nop 0
	v_pk_add_f32 v[36:37], v[36:37], v[42:43] op_sel:[1,0] op_sel_hi:[0,1]
	v_mov_b32_e32 v41, v36
	v_pk_add_f32 v[44:45], v[40:41], v[46:47] neg_lo:[0,1] neg_hi:[0,1]
	v_mov_b32_e32 v39, v42
	v_sub_f32_e32 v35, v40, v44
	v_pk_add_f32 v[38:39], v[38:39], v[44:45] neg_lo:[0,1] neg_hi:[0,1]
	v_sub_f32_e32 v35, v46, v35
	v_add_f32_e32 v35, v38, v35
	v_add_f32_e32 v35, v35, v39
	;; [unrolled: 1-line block ×3, first 2 shown]
	v_cndmask_b32_e64 v35, v50, v35, s[34:35]
	s_mov_b32 s34, 0x33800000
	v_cmp_lt_f32_e64 s[34:35], |v7|, s34
	s_nop 1
	v_cndmask_b32_e64 v7, v35, v7, s[34:35]
	v_add_f32_e32 v36, v6, v7
.LBB153_240:
	s_or_b64 exec, exec, s[36:37]
	v_lshrrev_b32_e32 v6, 3, v0
	v_and_b32_e32 v6, 28, v6
	v_lshl_add_u32 v6, v0, 2, v6
	v_cmp_gt_u32_e64 s[34:35], 64, v0
	ds_write_b32 v6, v36
	s_waitcnt lgkmcnt(0)
	s_barrier
	s_and_saveexec_b64 s[40:41], s[34:35]
	s_cbranch_execz .LBB153_280
; %bb.241:
	v_lshrrev_b32_e32 v6, 1, v0
	v_and_b32_e32 v6, 0x7c, v6
	v_lshlrev_b32_e32 v7, 4, v0
	v_add_u32_e32 v35, v6, v7
	ds_read2_b32 v[6:7], v35 offset1:1
	s_movk_i32 s44, 0x1f8
	s_waitcnt lgkmcnt(0)
	v_max_f32_e32 v39, v7, v7
	v_max_f32_e32 v37, v6, v6
	v_min_f32_e32 v38, v37, v39
	v_cmp_u_f32_e64 s[34:35], v6, v6
	v_max_f32_e32 v39, v37, v39
	v_cmp_u_f32_e64 s[36:37], v7, v7
	v_cndmask_b32_e64 v38, v38, v6, s[34:35]
	v_cndmask_b32_e64 v39, v39, v6, s[34:35]
	;; [unrolled: 1-line block ×4, first 2 shown]
	v_cmp_neq_f32_e64 s[36:37], v38, v7
	v_cmp_class_f32_e64 s[38:39], v38, s44
	s_or_b64 s[36:37], s[36:37], s[38:39]
	v_mov_b32_e32 v39, v6
	s_and_saveexec_b64 s[38:39], s[36:37]
	s_cbranch_execz .LBB153_243
; %bb.242:
	v_sub_f32_e32 v38, v38, v7
	s_mov_b32 s36, 0x3fb8aa3b
	v_mul_f32_e32 v39, 0x3fb8aa3b, v38
	v_fma_f32 v40, v38, s36, -v39
	v_rndne_f32_e32 v41, v39
	v_fmamk_f32 v40, v38, 0x32a5705f, v40
	v_sub_f32_e32 v39, v39, v41
	v_add_f32_e32 v39, v39, v40
	v_exp_f32_e32 v39, v39
	v_cvt_i32_f32_e32 v40, v41
	s_mov_b32 s36, 0xc2ce8ed0
	v_cmp_ngt_f32_e64 s[36:37], s36, v38
	v_mov_b32_e32 v52, 0x7f800000
	v_ldexp_f32 v39, v39, v40
	v_cndmask_b32_e64 v39, 0, v39, s[36:37]
	s_mov_b32 s36, 0x42b17218
	v_cmp_nlt_f32_e64 s[36:37], s36, v38
	s_mov_b32 s45, 0x7f800000
	s_nop 0
	v_cndmask_b32_e64 v53, v52, v39, s[36:37]
	v_add_f32_e32 v40, 1.0, v53
	v_add_f32_e32 v38, -1.0, v40
	v_sub_f32_e32 v39, v38, v40
	v_add_f32_e32 v39, 1.0, v39
	v_sub_f32_e32 v38, v53, v38
	v_add_f32_e32 v41, v38, v39
	v_frexp_mant_f32_e32 v42, v40
	s_mov_b32 s36, 0x3f2aaaab
	v_cvt_f64_f32_e32 v[38:39], v40
	v_frexp_exp_i32_f64_e32 v38, v[38:39]
	v_cmp_gt_f32_e64 s[36:37], s36, v42
	s_nop 1
	v_subbrev_co_u32_e64 v46, s[36:37], 0, v38, s[36:37]
	v_sub_u32_e32 v38, 0, v46
	v_ldexp_f32 v39, v40, v38
	v_add_f32_e32 v40, -1.0, v39
	v_add_f32_e32 v42, 1.0, v39
	v_ldexp_f32 v38, v41, v38
	v_add_f32_e32 v41, 1.0, v40
	v_add_f32_e32 v43, -1.0, v42
	v_sub_f32_e32 v41, v39, v41
	v_sub_f32_e32 v39, v39, v43
	v_add_f32_e32 v41, v38, v41
	v_add_f32_e32 v38, v38, v39
	;; [unrolled: 1-line block ×3, first 2 shown]
	v_rcp_f32_e32 v49, v47
	v_sub_f32_e32 v39, v42, v47
	v_add_f32_e32 v48, v38, v39
	v_add_f32_e32 v39, v40, v41
	v_mul_f32_e32 v51, v39, v49
	v_sub_f32_e32 v38, v40, v39
	v_mul_f32_e32 v40, v47, v51
	v_fma_f32 v42, v51, v47, -v40
	v_fmac_f32_e32 v42, v51, v48
	v_add_f32_e32 v50, v41, v38
	v_add_f32_e32 v38, v40, v42
	v_sub_f32_e32 v41, v39, v38
	v_pk_add_f32 v[44:45], v[38:39], v[40:41] neg_lo:[0,1] neg_hi:[0,1]
	v_mov_b32_e32 v43, v38
	v_pk_add_f32 v[38:39], v[44:45], v[42:43] neg_lo:[0,1] neg_hi:[0,1]
	s_mov_b32 s36, 0x3f317218
	v_add_f32_e32 v39, v50, v39
	v_add_f32_e32 v38, v38, v39
	;; [unrolled: 1-line block ×3, first 2 shown]
	v_mul_f32_e32 v50, v49, v39
	v_mul_f32_e32 v40, v47, v50
	v_fma_f32 v42, v50, v47, -v40
	v_fmac_f32_e32 v42, v50, v48
	v_sub_f32_e32 v41, v41, v39
	v_add_f32_e32 v47, v38, v41
	v_add_f32_e32 v38, v40, v42
	v_sub_f32_e32 v41, v39, v38
	v_pk_add_f32 v[44:45], v[38:39], v[40:41] neg_lo:[0,1] neg_hi:[0,1]
	v_mov_b32_e32 v43, v38
	v_pk_add_f32 v[38:39], v[44:45], v[42:43] neg_lo:[0,1] neg_hi:[0,1]
	v_cvt_f32_i32_e32 v40, v46
	v_add_f32_e32 v39, v47, v39
	v_add_f32_e32 v38, v38, v39
	;; [unrolled: 1-line block ×4, first 2 shown]
	v_sub_f32_e32 v39, v41, v51
	v_mul_f32_e32 v38, v49, v38
	v_sub_f32_e32 v39, v50, v39
	v_add_f32_e32 v38, v39, v38
	v_add_f32_e32 v42, v41, v38
	v_mul_f32_e32 v44, v42, v42
	v_mov_b32_e32 v39, 0x3ecc95a3
	v_sub_f32_e32 v41, v42, v41
	v_fmac_f32_e32 v39, 0x3e9b6dac, v44
	v_sub_f32_e32 v38, v38, v41
	v_fmaak_f32 v39, v44, v39, 0x3f2aaada
	v_ldexp_f32 v45, v38, 1
	v_mul_f32_e32 v41, v42, v44
	v_mov_b32_e32 v38, 0x3f317218
	v_pk_mul_f32 v[38:39], v[40:41], v[38:39]
	v_ldexp_f32 v43, v42, 1
	v_fma_f32 v41, v40, s36, -v38
	v_fmamk_f32 v42, v40, 0xb102e308, v41
	v_pk_add_f32 v[40:41], v[38:39], v[42:43]
	v_mov_b32_e32 v44, v38
	v_sub_f32_e32 v43, v41, v43
	v_sub_f32_e32 v43, v39, v43
	v_add_f32_e32 v45, v45, v43
	v_pk_add_f32 v[38:39], v[40:41], v[38:39] neg_lo:[0,1] neg_hi:[0,1]
	v_pk_add_f32 v[46:47], v[40:41], v[44:45]
	v_mov_b32_e32 v43, v40
	v_mov_b32_e32 v39, v47
	v_pk_add_f32 v[48:49], v[42:43], v[38:39] neg_lo:[0,1] neg_hi:[0,1]
	v_pk_add_f32 v[38:39], v[42:43], v[38:39]
	v_mov_b32_e32 v44, v45
	v_pk_add_f32 v[42:43], v[38:39], v[40:41] op_sel:[1,0] op_sel_hi:[0,1] neg_lo:[0,1] neg_hi:[0,1]
	v_pk_add_f32 v[50:51], v[46:47], v[42:43] op_sel_hi:[1,0] neg_lo:[0,1] neg_hi:[0,1]
	v_mov_b32_e32 v46, v47
	v_mov_b32_e32 v47, v39
	v_pk_mov_b32 v[42:43], v[40:41], v[42:43] op_sel:[1,0]
	v_mov_b32_e32 v45, v40
	v_pk_add_f32 v[42:43], v[46:47], v[42:43] neg_lo:[0,1] neg_hi:[0,1]
	v_mov_b32_e32 v50, v48
	v_pk_add_f32 v[40:41], v[44:45], v[42:43] neg_lo:[0,1] neg_hi:[0,1]
	v_mov_b32_e32 v49, v39
	v_pk_add_f32 v[42:43], v[50:51], v[40:41]
	v_cmp_neq_f32_e64 s[36:37], s45, v53
	v_pk_add_f32 v[44:45], v[42:43], v[42:43] op_sel:[0,1] op_sel_hi:[1,0]
	s_nop 0
	v_pk_add_f32 v[38:39], v[38:39], v[44:45] op_sel:[1,0] op_sel_hi:[0,1]
	v_mov_b32_e32 v43, v38
	v_pk_add_f32 v[46:47], v[42:43], v[48:49] neg_lo:[0,1] neg_hi:[0,1]
	v_mov_b32_e32 v41, v44
	v_sub_f32_e32 v39, v42, v46
	v_pk_add_f32 v[40:41], v[40:41], v[46:47] neg_lo:[0,1] neg_hi:[0,1]
	v_sub_f32_e32 v39, v48, v39
	v_add_f32_e32 v39, v40, v39
	v_add_f32_e32 v39, v39, v41
	;; [unrolled: 1-line block ×3, first 2 shown]
	v_cndmask_b32_e64 v38, v52, v38, s[36:37]
	s_mov_b32 s36, 0x33800000
	v_cmp_lt_f32_e64 s[36:37], |v53|, s36
	s_nop 1
	v_cndmask_b32_e64 v38, v38, v53, s[36:37]
	v_add_f32_e32 v39, v7, v38
.LBB153_243:
	s_or_b64 exec, exec, s[38:39]
	ds_read_b32 v7, v35 offset:8
	v_max_f32_e32 v38, v39, v39
	v_cmp_u_f32_e64 s[36:37], v39, v39
	s_waitcnt lgkmcnt(0)
	v_max_f32_e32 v40, v7, v7
	v_min_f32_e32 v41, v38, v40
	v_max_f32_e32 v40, v38, v40
	v_cndmask_b32_e64 v38, v41, v39, s[36:37]
	v_cmp_u_f32_e64 s[38:39], v7, v7
	v_cndmask_b32_e64 v40, v40, v39, s[36:37]
	s_nop 0
	v_cndmask_b32_e64 v38, v38, v7, s[38:39]
	v_cndmask_b32_e64 v7, v40, v7, s[38:39]
	v_cmp_neq_f32_e64 s[36:37], v38, v7
	v_cmp_class_f32_e64 s[38:39], v38, s44
	s_or_b64 s[36:37], s[36:37], s[38:39]
	s_and_saveexec_b64 s[38:39], s[36:37]
	s_cbranch_execz .LBB153_245
; %bb.244:
	v_sub_f32_e32 v38, v38, v7
	s_mov_b32 s36, 0x3fb8aa3b
	v_mul_f32_e32 v39, 0x3fb8aa3b, v38
	v_fma_f32 v40, v38, s36, -v39
	v_rndne_f32_e32 v41, v39
	v_fmamk_f32 v40, v38, 0x32a5705f, v40
	v_sub_f32_e32 v39, v39, v41
	v_add_f32_e32 v39, v39, v40
	v_exp_f32_e32 v39, v39
	v_cvt_i32_f32_e32 v40, v41
	s_mov_b32 s36, 0xc2ce8ed0
	v_cmp_ngt_f32_e64 s[36:37], s36, v38
	v_mov_b32_e32 v52, 0x7f800000
	v_ldexp_f32 v39, v39, v40
	v_cndmask_b32_e64 v39, 0, v39, s[36:37]
	s_mov_b32 s36, 0x42b17218
	v_cmp_nlt_f32_e64 s[36:37], s36, v38
	s_mov_b32 s44, 0x7f800000
	s_nop 0
	v_cndmask_b32_e64 v53, v52, v39, s[36:37]
	v_add_f32_e32 v40, 1.0, v53
	v_add_f32_e32 v38, -1.0, v40
	v_sub_f32_e32 v39, v38, v40
	v_add_f32_e32 v39, 1.0, v39
	v_sub_f32_e32 v38, v53, v38
	v_add_f32_e32 v41, v38, v39
	v_frexp_mant_f32_e32 v42, v40
	s_mov_b32 s36, 0x3f2aaaab
	v_cvt_f64_f32_e32 v[38:39], v40
	v_frexp_exp_i32_f64_e32 v38, v[38:39]
	v_cmp_gt_f32_e64 s[36:37], s36, v42
	s_nop 1
	v_subbrev_co_u32_e64 v46, s[36:37], 0, v38, s[36:37]
	v_sub_u32_e32 v38, 0, v46
	v_ldexp_f32 v39, v40, v38
	v_add_f32_e32 v40, -1.0, v39
	v_add_f32_e32 v42, 1.0, v39
	v_ldexp_f32 v38, v41, v38
	v_add_f32_e32 v41, 1.0, v40
	v_add_f32_e32 v43, -1.0, v42
	v_sub_f32_e32 v41, v39, v41
	v_sub_f32_e32 v39, v39, v43
	v_add_f32_e32 v41, v38, v41
	v_add_f32_e32 v38, v38, v39
	;; [unrolled: 1-line block ×3, first 2 shown]
	v_rcp_f32_e32 v49, v47
	v_sub_f32_e32 v39, v42, v47
	v_add_f32_e32 v48, v38, v39
	v_add_f32_e32 v39, v40, v41
	v_mul_f32_e32 v51, v39, v49
	v_sub_f32_e32 v38, v40, v39
	v_mul_f32_e32 v40, v47, v51
	v_fma_f32 v42, v51, v47, -v40
	v_fmac_f32_e32 v42, v51, v48
	v_add_f32_e32 v50, v41, v38
	v_add_f32_e32 v38, v40, v42
	v_sub_f32_e32 v41, v39, v38
	v_pk_add_f32 v[44:45], v[38:39], v[40:41] neg_lo:[0,1] neg_hi:[0,1]
	v_mov_b32_e32 v43, v38
	v_pk_add_f32 v[38:39], v[44:45], v[42:43] neg_lo:[0,1] neg_hi:[0,1]
	s_mov_b32 s36, 0x3f317218
	v_add_f32_e32 v39, v50, v39
	v_add_f32_e32 v38, v38, v39
	v_add_f32_e32 v39, v41, v38
	v_mul_f32_e32 v50, v49, v39
	v_mul_f32_e32 v40, v47, v50
	v_fma_f32 v42, v50, v47, -v40
	v_fmac_f32_e32 v42, v50, v48
	v_sub_f32_e32 v41, v41, v39
	v_add_f32_e32 v47, v38, v41
	v_add_f32_e32 v38, v40, v42
	v_sub_f32_e32 v41, v39, v38
	v_pk_add_f32 v[44:45], v[38:39], v[40:41] neg_lo:[0,1] neg_hi:[0,1]
	v_mov_b32_e32 v43, v38
	v_pk_add_f32 v[38:39], v[44:45], v[42:43] neg_lo:[0,1] neg_hi:[0,1]
	v_cvt_f32_i32_e32 v40, v46
	v_add_f32_e32 v39, v47, v39
	v_add_f32_e32 v38, v38, v39
	;; [unrolled: 1-line block ×4, first 2 shown]
	v_sub_f32_e32 v39, v41, v51
	v_mul_f32_e32 v38, v49, v38
	v_sub_f32_e32 v39, v50, v39
	v_add_f32_e32 v38, v39, v38
	v_add_f32_e32 v42, v41, v38
	v_mul_f32_e32 v44, v42, v42
	v_mov_b32_e32 v39, 0x3ecc95a3
	v_sub_f32_e32 v41, v42, v41
	v_fmac_f32_e32 v39, 0x3e9b6dac, v44
	v_sub_f32_e32 v38, v38, v41
	v_fmaak_f32 v39, v44, v39, 0x3f2aaada
	v_ldexp_f32 v45, v38, 1
	v_mul_f32_e32 v41, v42, v44
	v_mov_b32_e32 v38, 0x3f317218
	v_pk_mul_f32 v[38:39], v[40:41], v[38:39]
	v_ldexp_f32 v43, v42, 1
	v_fma_f32 v41, v40, s36, -v38
	v_fmamk_f32 v42, v40, 0xb102e308, v41
	v_pk_add_f32 v[40:41], v[38:39], v[42:43]
	v_mov_b32_e32 v44, v38
	v_sub_f32_e32 v43, v41, v43
	v_sub_f32_e32 v43, v39, v43
	v_add_f32_e32 v45, v45, v43
	v_pk_add_f32 v[38:39], v[40:41], v[38:39] neg_lo:[0,1] neg_hi:[0,1]
	v_pk_add_f32 v[46:47], v[40:41], v[44:45]
	v_mov_b32_e32 v43, v40
	v_mov_b32_e32 v39, v47
	v_pk_add_f32 v[48:49], v[42:43], v[38:39] neg_lo:[0,1] neg_hi:[0,1]
	v_pk_add_f32 v[38:39], v[42:43], v[38:39]
	v_mov_b32_e32 v44, v45
	v_pk_add_f32 v[42:43], v[38:39], v[40:41] op_sel:[1,0] op_sel_hi:[0,1] neg_lo:[0,1] neg_hi:[0,1]
	v_pk_add_f32 v[50:51], v[46:47], v[42:43] op_sel_hi:[1,0] neg_lo:[0,1] neg_hi:[0,1]
	v_mov_b32_e32 v46, v47
	v_mov_b32_e32 v47, v39
	v_pk_mov_b32 v[42:43], v[40:41], v[42:43] op_sel:[1,0]
	v_mov_b32_e32 v45, v40
	v_pk_add_f32 v[42:43], v[46:47], v[42:43] neg_lo:[0,1] neg_hi:[0,1]
	v_mov_b32_e32 v50, v48
	v_pk_add_f32 v[40:41], v[44:45], v[42:43] neg_lo:[0,1] neg_hi:[0,1]
	v_mov_b32_e32 v49, v39
	v_pk_add_f32 v[42:43], v[50:51], v[40:41]
	v_cmp_neq_f32_e64 s[36:37], s44, v53
	v_pk_add_f32 v[44:45], v[42:43], v[42:43] op_sel:[0,1] op_sel_hi:[1,0]
	s_nop 0
	v_pk_add_f32 v[38:39], v[38:39], v[44:45] op_sel:[1,0] op_sel_hi:[0,1]
	v_mov_b32_e32 v43, v38
	v_pk_add_f32 v[46:47], v[42:43], v[48:49] neg_lo:[0,1] neg_hi:[0,1]
	v_mov_b32_e32 v41, v44
	v_sub_f32_e32 v39, v42, v46
	v_pk_add_f32 v[40:41], v[40:41], v[46:47] neg_lo:[0,1] neg_hi:[0,1]
	v_sub_f32_e32 v39, v48, v39
	v_add_f32_e32 v39, v40, v39
	v_add_f32_e32 v39, v39, v41
	;; [unrolled: 1-line block ×3, first 2 shown]
	v_cndmask_b32_e64 v38, v52, v38, s[36:37]
	s_mov_b32 s36, 0x33800000
	v_cmp_lt_f32_e64 s[36:37], |v53|, s36
	s_nop 1
	v_cndmask_b32_e64 v38, v38, v53, s[36:37]
	v_add_f32_e32 v39, v7, v38
.LBB153_245:
	s_or_b64 exec, exec, s[38:39]
	ds_read_b32 v7, v35 offset:12
	v_max_f32_e32 v38, v39, v39
	v_cmp_u_f32_e64 s[36:37], v39, v39
	s_waitcnt lgkmcnt(0)
	v_max_f32_e32 v40, v7, v7
	v_min_f32_e32 v41, v38, v40
	v_max_f32_e32 v40, v38, v40
	v_cndmask_b32_e64 v38, v41, v39, s[36:37]
	v_cmp_u_f32_e64 s[38:39], v7, v7
	v_cndmask_b32_e64 v40, v40, v39, s[36:37]
	s_nop 0
	v_cndmask_b32_e64 v38, v38, v7, s[38:39]
	v_cndmask_b32_e64 v7, v40, v7, s[38:39]
	s_movk_i32 s38, 0x1f8
	v_cmp_neq_f32_e64 s[36:37], v38, v7
	v_cmp_class_f32_e64 s[38:39], v38, s38
	s_or_b64 s[36:37], s[36:37], s[38:39]
	s_and_saveexec_b64 s[38:39], s[36:37]
	s_cbranch_execz .LBB153_247
; %bb.246:
	v_sub_f32_e32 v38, v38, v7
	s_mov_b32 s36, 0x3fb8aa3b
	v_mul_f32_e32 v39, 0x3fb8aa3b, v38
	v_fma_f32 v40, v38, s36, -v39
	v_rndne_f32_e32 v41, v39
	v_fmamk_f32 v40, v38, 0x32a5705f, v40
	v_sub_f32_e32 v39, v39, v41
	v_add_f32_e32 v39, v39, v40
	v_exp_f32_e32 v39, v39
	v_cvt_i32_f32_e32 v40, v41
	s_mov_b32 s36, 0xc2ce8ed0
	v_cmp_ngt_f32_e64 s[36:37], s36, v38
	v_mov_b32_e32 v52, 0x7f800000
	v_ldexp_f32 v39, v39, v40
	v_cndmask_b32_e64 v39, 0, v39, s[36:37]
	s_mov_b32 s36, 0x42b17218
	v_cmp_nlt_f32_e64 s[36:37], s36, v38
	s_mov_b32 s44, 0x7f800000
	s_nop 0
	v_cndmask_b32_e64 v53, v52, v39, s[36:37]
	v_add_f32_e32 v40, 1.0, v53
	v_add_f32_e32 v38, -1.0, v40
	v_sub_f32_e32 v39, v38, v40
	v_add_f32_e32 v39, 1.0, v39
	v_sub_f32_e32 v38, v53, v38
	v_add_f32_e32 v41, v38, v39
	v_frexp_mant_f32_e32 v42, v40
	s_mov_b32 s36, 0x3f2aaaab
	v_cvt_f64_f32_e32 v[38:39], v40
	v_frexp_exp_i32_f64_e32 v38, v[38:39]
	v_cmp_gt_f32_e64 s[36:37], s36, v42
	s_nop 1
	v_subbrev_co_u32_e64 v46, s[36:37], 0, v38, s[36:37]
	v_sub_u32_e32 v38, 0, v46
	v_ldexp_f32 v39, v40, v38
	v_add_f32_e32 v40, -1.0, v39
	v_add_f32_e32 v42, 1.0, v39
	v_ldexp_f32 v38, v41, v38
	v_add_f32_e32 v41, 1.0, v40
	v_add_f32_e32 v43, -1.0, v42
	v_sub_f32_e32 v41, v39, v41
	v_sub_f32_e32 v39, v39, v43
	v_add_f32_e32 v41, v38, v41
	v_add_f32_e32 v38, v38, v39
	;; [unrolled: 1-line block ×3, first 2 shown]
	v_rcp_f32_e32 v49, v47
	v_sub_f32_e32 v39, v42, v47
	v_add_f32_e32 v48, v38, v39
	v_add_f32_e32 v39, v40, v41
	v_mul_f32_e32 v51, v39, v49
	v_sub_f32_e32 v38, v40, v39
	v_mul_f32_e32 v40, v47, v51
	v_fma_f32 v42, v51, v47, -v40
	v_fmac_f32_e32 v42, v51, v48
	v_add_f32_e32 v50, v41, v38
	v_add_f32_e32 v38, v40, v42
	v_sub_f32_e32 v41, v39, v38
	v_pk_add_f32 v[44:45], v[38:39], v[40:41] neg_lo:[0,1] neg_hi:[0,1]
	v_mov_b32_e32 v43, v38
	v_pk_add_f32 v[38:39], v[44:45], v[42:43] neg_lo:[0,1] neg_hi:[0,1]
	s_mov_b32 s36, 0x3f317218
	v_add_f32_e32 v39, v50, v39
	v_add_f32_e32 v38, v38, v39
	;; [unrolled: 1-line block ×3, first 2 shown]
	v_mul_f32_e32 v50, v49, v39
	v_mul_f32_e32 v40, v47, v50
	v_fma_f32 v42, v50, v47, -v40
	v_fmac_f32_e32 v42, v50, v48
	v_sub_f32_e32 v41, v41, v39
	v_add_f32_e32 v47, v38, v41
	v_add_f32_e32 v38, v40, v42
	v_sub_f32_e32 v41, v39, v38
	v_pk_add_f32 v[44:45], v[38:39], v[40:41] neg_lo:[0,1] neg_hi:[0,1]
	v_mov_b32_e32 v43, v38
	v_pk_add_f32 v[38:39], v[44:45], v[42:43] neg_lo:[0,1] neg_hi:[0,1]
	v_cvt_f32_i32_e32 v40, v46
	v_add_f32_e32 v39, v47, v39
	v_add_f32_e32 v38, v38, v39
	;; [unrolled: 1-line block ×4, first 2 shown]
	v_sub_f32_e32 v39, v41, v51
	v_mul_f32_e32 v38, v49, v38
	v_sub_f32_e32 v39, v50, v39
	v_add_f32_e32 v38, v39, v38
	v_add_f32_e32 v42, v41, v38
	v_mul_f32_e32 v44, v42, v42
	v_mov_b32_e32 v39, 0x3ecc95a3
	v_sub_f32_e32 v41, v42, v41
	v_fmac_f32_e32 v39, 0x3e9b6dac, v44
	v_sub_f32_e32 v38, v38, v41
	v_fmaak_f32 v39, v44, v39, 0x3f2aaada
	v_ldexp_f32 v45, v38, 1
	v_mul_f32_e32 v41, v42, v44
	v_mov_b32_e32 v38, 0x3f317218
	v_pk_mul_f32 v[38:39], v[40:41], v[38:39]
	v_ldexp_f32 v43, v42, 1
	v_fma_f32 v41, v40, s36, -v38
	v_fmamk_f32 v42, v40, 0xb102e308, v41
	v_pk_add_f32 v[40:41], v[38:39], v[42:43]
	v_mov_b32_e32 v44, v38
	v_sub_f32_e32 v43, v41, v43
	v_sub_f32_e32 v43, v39, v43
	v_add_f32_e32 v45, v45, v43
	v_pk_add_f32 v[38:39], v[40:41], v[38:39] neg_lo:[0,1] neg_hi:[0,1]
	v_pk_add_f32 v[46:47], v[40:41], v[44:45]
	v_mov_b32_e32 v43, v40
	v_mov_b32_e32 v39, v47
	v_pk_add_f32 v[48:49], v[42:43], v[38:39] neg_lo:[0,1] neg_hi:[0,1]
	v_pk_add_f32 v[38:39], v[42:43], v[38:39]
	v_mov_b32_e32 v44, v45
	v_pk_add_f32 v[42:43], v[38:39], v[40:41] op_sel:[1,0] op_sel_hi:[0,1] neg_lo:[0,1] neg_hi:[0,1]
	v_pk_add_f32 v[50:51], v[46:47], v[42:43] op_sel_hi:[1,0] neg_lo:[0,1] neg_hi:[0,1]
	v_mov_b32_e32 v46, v47
	v_mov_b32_e32 v47, v39
	v_pk_mov_b32 v[42:43], v[40:41], v[42:43] op_sel:[1,0]
	v_mov_b32_e32 v45, v40
	v_pk_add_f32 v[42:43], v[46:47], v[42:43] neg_lo:[0,1] neg_hi:[0,1]
	v_mov_b32_e32 v50, v48
	v_pk_add_f32 v[40:41], v[44:45], v[42:43] neg_lo:[0,1] neg_hi:[0,1]
	v_mov_b32_e32 v49, v39
	v_pk_add_f32 v[42:43], v[50:51], v[40:41]
	v_cmp_neq_f32_e64 s[36:37], s44, v53
	v_pk_add_f32 v[44:45], v[42:43], v[42:43] op_sel:[0,1] op_sel_hi:[1,0]
	s_nop 0
	v_pk_add_f32 v[38:39], v[38:39], v[44:45] op_sel:[1,0] op_sel_hi:[0,1]
	v_mov_b32_e32 v43, v38
	v_pk_add_f32 v[46:47], v[42:43], v[48:49] neg_lo:[0,1] neg_hi:[0,1]
	v_mov_b32_e32 v41, v44
	v_sub_f32_e32 v39, v42, v46
	v_pk_add_f32 v[40:41], v[40:41], v[46:47] neg_lo:[0,1] neg_hi:[0,1]
	v_sub_f32_e32 v39, v48, v39
	v_add_f32_e32 v39, v40, v39
	v_add_f32_e32 v39, v39, v41
	;; [unrolled: 1-line block ×3, first 2 shown]
	v_cndmask_b32_e64 v38, v52, v38, s[36:37]
	s_mov_b32 s36, 0x33800000
	v_cmp_lt_f32_e64 s[36:37], |v53|, s36
	s_nop 1
	v_cndmask_b32_e64 v38, v38, v53, s[36:37]
	v_add_f32_e32 v39, v7, v38
.LBB153_247:
	s_or_b64 exec, exec, s[38:39]
	v_mbcnt_lo_u32_b32 v7, -1, 0
	v_mbcnt_hi_u32_b32 v7, -1, v7
	v_and_b32_e32 v38, 15, v7
	v_mov_b32_dpp v40, v39 row_shr:1 row_mask:0xf bank_mask:0xf
	v_cmp_ne_u32_e64 s[36:37], 0, v38
	s_and_saveexec_b64 s[38:39], s[36:37]
	s_xor_b64 s[44:45], exec, s[38:39]
	s_cbranch_execz .LBB153_251
; %bb.248:
	v_max_f32_e32 v42, v39, v39
	v_max_f32_e32 v43, v40, v40
	v_min_f32_e32 v41, v43, v42
	v_cmp_u_f32_e64 s[36:37], v40, v40
	v_max_f32_e32 v42, v43, v42
	v_cmp_u_f32_e64 s[38:39], v39, v39
	v_cndmask_b32_e64 v41, v41, v40, s[36:37]
	v_cndmask_b32_e64 v42, v42, v40, s[36:37]
	;; [unrolled: 1-line block ×4, first 2 shown]
	s_movk_i32 s38, 0x1f8
	v_cmp_neq_f32_e64 s[36:37], v41, v39
	v_cmp_class_f32_e64 s[38:39], v41, s38
	s_or_b64 s[36:37], s[36:37], s[38:39]
	s_and_saveexec_b64 s[38:39], s[36:37]
	s_cbranch_execz .LBB153_250
; %bb.249:
	v_sub_f32_e32 v40, v41, v39
	s_mov_b32 s36, 0x3fb8aa3b
	v_mul_f32_e32 v41, 0x3fb8aa3b, v40
	v_fma_f32 v42, v40, s36, -v41
	v_rndne_f32_e32 v43, v41
	v_fmamk_f32 v42, v40, 0x32a5705f, v42
	v_sub_f32_e32 v41, v41, v43
	v_add_f32_e32 v41, v41, v42
	v_exp_f32_e32 v41, v41
	v_cvt_i32_f32_e32 v42, v43
	s_mov_b32 s36, 0xc2ce8ed0
	v_cmp_ngt_f32_e64 s[36:37], s36, v40
	v_mov_b32_e32 v54, 0x7f800000
	v_ldexp_f32 v41, v41, v42
	v_cndmask_b32_e64 v41, 0, v41, s[36:37]
	s_mov_b32 s36, 0x42b17218
	v_cmp_nlt_f32_e64 s[36:37], s36, v40
	s_mov_b32 s48, 0x7f800000
	s_nop 0
	v_cndmask_b32_e64 v55, v54, v41, s[36:37]
	v_add_f32_e32 v42, 1.0, v55
	v_add_f32_e32 v40, -1.0, v42
	v_sub_f32_e32 v41, v40, v42
	v_add_f32_e32 v41, 1.0, v41
	v_sub_f32_e32 v40, v55, v40
	v_add_f32_e32 v43, v40, v41
	v_frexp_mant_f32_e32 v44, v42
	s_mov_b32 s36, 0x3f2aaaab
	v_cvt_f64_f32_e32 v[40:41], v42
	v_frexp_exp_i32_f64_e32 v40, v[40:41]
	v_cmp_gt_f32_e64 s[36:37], s36, v44
	s_nop 1
	v_subbrev_co_u32_e64 v48, s[36:37], 0, v40, s[36:37]
	v_sub_u32_e32 v40, 0, v48
	v_ldexp_f32 v41, v42, v40
	v_add_f32_e32 v42, -1.0, v41
	v_add_f32_e32 v44, 1.0, v41
	v_ldexp_f32 v40, v43, v40
	v_add_f32_e32 v43, 1.0, v42
	v_add_f32_e32 v45, -1.0, v44
	v_sub_f32_e32 v43, v41, v43
	v_sub_f32_e32 v41, v41, v45
	v_add_f32_e32 v43, v40, v43
	v_add_f32_e32 v40, v40, v41
	;; [unrolled: 1-line block ×3, first 2 shown]
	v_rcp_f32_e32 v51, v49
	v_sub_f32_e32 v41, v44, v49
	v_add_f32_e32 v50, v40, v41
	v_add_f32_e32 v41, v42, v43
	v_mul_f32_e32 v53, v41, v51
	v_sub_f32_e32 v40, v42, v41
	v_mul_f32_e32 v42, v49, v53
	v_fma_f32 v44, v53, v49, -v42
	v_fmac_f32_e32 v44, v53, v50
	v_add_f32_e32 v52, v43, v40
	v_add_f32_e32 v40, v42, v44
	v_sub_f32_e32 v43, v41, v40
	v_pk_add_f32 v[46:47], v[40:41], v[42:43] neg_lo:[0,1] neg_hi:[0,1]
	v_mov_b32_e32 v45, v40
	v_pk_add_f32 v[40:41], v[46:47], v[44:45] neg_lo:[0,1] neg_hi:[0,1]
	s_mov_b32 s36, 0x3f317218
	v_add_f32_e32 v41, v52, v41
	v_add_f32_e32 v40, v40, v41
	v_add_f32_e32 v41, v43, v40
	v_mul_f32_e32 v52, v51, v41
	v_mul_f32_e32 v42, v49, v52
	v_fma_f32 v44, v52, v49, -v42
	v_fmac_f32_e32 v44, v52, v50
	v_sub_f32_e32 v43, v43, v41
	v_add_f32_e32 v49, v40, v43
	v_add_f32_e32 v40, v42, v44
	v_sub_f32_e32 v43, v41, v40
	v_pk_add_f32 v[46:47], v[40:41], v[42:43] neg_lo:[0,1] neg_hi:[0,1]
	v_mov_b32_e32 v45, v40
	v_pk_add_f32 v[40:41], v[46:47], v[44:45] neg_lo:[0,1] neg_hi:[0,1]
	v_cvt_f32_i32_e32 v42, v48
	v_add_f32_e32 v41, v49, v41
	v_add_f32_e32 v40, v40, v41
	;; [unrolled: 1-line block ×4, first 2 shown]
	v_sub_f32_e32 v41, v43, v53
	v_mul_f32_e32 v40, v51, v40
	v_sub_f32_e32 v41, v52, v41
	v_add_f32_e32 v40, v41, v40
	v_add_f32_e32 v44, v43, v40
	v_mul_f32_e32 v46, v44, v44
	v_mov_b32_e32 v41, 0x3ecc95a3
	v_sub_f32_e32 v43, v44, v43
	v_fmac_f32_e32 v41, 0x3e9b6dac, v46
	v_sub_f32_e32 v40, v40, v43
	v_fmaak_f32 v41, v46, v41, 0x3f2aaada
	v_ldexp_f32 v47, v40, 1
	v_mul_f32_e32 v43, v44, v46
	v_mov_b32_e32 v40, 0x3f317218
	v_pk_mul_f32 v[40:41], v[42:43], v[40:41]
	v_ldexp_f32 v45, v44, 1
	v_fma_f32 v43, v42, s36, -v40
	v_fmamk_f32 v44, v42, 0xb102e308, v43
	v_pk_add_f32 v[42:43], v[40:41], v[44:45]
	v_mov_b32_e32 v46, v40
	v_sub_f32_e32 v45, v43, v45
	v_sub_f32_e32 v45, v41, v45
	v_add_f32_e32 v47, v47, v45
	v_pk_add_f32 v[40:41], v[42:43], v[40:41] neg_lo:[0,1] neg_hi:[0,1]
	v_pk_add_f32 v[48:49], v[42:43], v[46:47]
	v_mov_b32_e32 v45, v42
	v_mov_b32_e32 v41, v49
	v_pk_add_f32 v[50:51], v[44:45], v[40:41] neg_lo:[0,1] neg_hi:[0,1]
	v_pk_add_f32 v[40:41], v[44:45], v[40:41]
	v_mov_b32_e32 v46, v47
	v_pk_add_f32 v[44:45], v[40:41], v[42:43] op_sel:[1,0] op_sel_hi:[0,1] neg_lo:[0,1] neg_hi:[0,1]
	v_pk_add_f32 v[52:53], v[48:49], v[44:45] op_sel_hi:[1,0] neg_lo:[0,1] neg_hi:[0,1]
	v_mov_b32_e32 v48, v49
	v_mov_b32_e32 v49, v41
	v_pk_mov_b32 v[44:45], v[42:43], v[44:45] op_sel:[1,0]
	v_mov_b32_e32 v47, v42
	v_pk_add_f32 v[44:45], v[48:49], v[44:45] neg_lo:[0,1] neg_hi:[0,1]
	v_mov_b32_e32 v52, v50
	v_pk_add_f32 v[42:43], v[46:47], v[44:45] neg_lo:[0,1] neg_hi:[0,1]
	v_mov_b32_e32 v51, v41
	v_pk_add_f32 v[44:45], v[52:53], v[42:43]
	v_cmp_neq_f32_e64 s[36:37], s48, v55
	v_pk_add_f32 v[46:47], v[44:45], v[44:45] op_sel:[0,1] op_sel_hi:[1,0]
	s_nop 0
	v_pk_add_f32 v[40:41], v[40:41], v[46:47] op_sel:[1,0] op_sel_hi:[0,1]
	v_mov_b32_e32 v45, v40
	v_pk_add_f32 v[48:49], v[44:45], v[50:51] neg_lo:[0,1] neg_hi:[0,1]
	v_mov_b32_e32 v43, v46
	v_sub_f32_e32 v41, v44, v48
	v_pk_add_f32 v[42:43], v[42:43], v[48:49] neg_lo:[0,1] neg_hi:[0,1]
	v_sub_f32_e32 v41, v50, v41
	v_add_f32_e32 v41, v42, v41
	v_add_f32_e32 v41, v41, v43
	;; [unrolled: 1-line block ×3, first 2 shown]
	v_cndmask_b32_e64 v40, v54, v40, s[36:37]
	s_mov_b32 s36, 0x33800000
	v_cmp_lt_f32_e64 s[36:37], |v55|, s36
	s_nop 1
	v_cndmask_b32_e64 v40, v40, v55, s[36:37]
	v_add_f32_e32 v40, v39, v40
.LBB153_250:
	s_or_b64 exec, exec, s[38:39]
	v_mov_b32_e32 v39, v40
.LBB153_251:
	s_or_b64 exec, exec, s[44:45]
	s_nop 0
	v_mov_b32_dpp v40, v39 row_shr:2 row_mask:0xf bank_mask:0xf
	v_cmp_lt_u32_e64 s[36:37], 1, v38
	s_and_saveexec_b64 s[44:45], s[36:37]
	s_cbranch_execz .LBB153_255
; %bb.252:
	v_max_f32_e32 v42, v39, v39
	v_max_f32_e32 v43, v40, v40
	v_min_f32_e32 v41, v43, v42
	v_cmp_u_f32_e64 s[36:37], v40, v40
	v_max_f32_e32 v42, v43, v42
	v_cmp_u_f32_e64 s[38:39], v39, v39
	v_cndmask_b32_e64 v41, v41, v40, s[36:37]
	v_cndmask_b32_e64 v42, v42, v40, s[36:37]
	;; [unrolled: 1-line block ×4, first 2 shown]
	s_movk_i32 s38, 0x1f8
	v_cmp_neq_f32_e64 s[36:37], v41, v39
	v_cmp_class_f32_e64 s[38:39], v41, s38
	s_or_b64 s[36:37], s[36:37], s[38:39]
	s_and_saveexec_b64 s[38:39], s[36:37]
	s_cbranch_execz .LBB153_254
; %bb.253:
	v_sub_f32_e32 v40, v41, v39
	s_mov_b32 s36, 0x3fb8aa3b
	v_mul_f32_e32 v41, 0x3fb8aa3b, v40
	v_fma_f32 v42, v40, s36, -v41
	v_rndne_f32_e32 v43, v41
	v_fmamk_f32 v42, v40, 0x32a5705f, v42
	v_sub_f32_e32 v41, v41, v43
	v_add_f32_e32 v41, v41, v42
	v_exp_f32_e32 v41, v41
	v_cvt_i32_f32_e32 v42, v43
	s_mov_b32 s36, 0xc2ce8ed0
	v_cmp_ngt_f32_e64 s[36:37], s36, v40
	v_mov_b32_e32 v54, 0x7f800000
	v_ldexp_f32 v41, v41, v42
	v_cndmask_b32_e64 v41, 0, v41, s[36:37]
	s_mov_b32 s36, 0x42b17218
	v_cmp_nlt_f32_e64 s[36:37], s36, v40
	s_mov_b32 s48, 0x7f800000
	s_nop 0
	v_cndmask_b32_e64 v55, v54, v41, s[36:37]
	v_add_f32_e32 v42, 1.0, v55
	v_add_f32_e32 v40, -1.0, v42
	v_sub_f32_e32 v41, v40, v42
	v_add_f32_e32 v41, 1.0, v41
	v_sub_f32_e32 v40, v55, v40
	v_add_f32_e32 v43, v40, v41
	v_frexp_mant_f32_e32 v44, v42
	s_mov_b32 s36, 0x3f2aaaab
	v_cvt_f64_f32_e32 v[40:41], v42
	v_frexp_exp_i32_f64_e32 v40, v[40:41]
	v_cmp_gt_f32_e64 s[36:37], s36, v44
	s_nop 1
	v_subbrev_co_u32_e64 v48, s[36:37], 0, v40, s[36:37]
	v_sub_u32_e32 v40, 0, v48
	v_ldexp_f32 v41, v42, v40
	v_add_f32_e32 v42, -1.0, v41
	v_add_f32_e32 v44, 1.0, v41
	v_ldexp_f32 v40, v43, v40
	v_add_f32_e32 v43, 1.0, v42
	v_add_f32_e32 v45, -1.0, v44
	v_sub_f32_e32 v43, v41, v43
	v_sub_f32_e32 v41, v41, v45
	v_add_f32_e32 v43, v40, v43
	v_add_f32_e32 v40, v40, v41
	;; [unrolled: 1-line block ×3, first 2 shown]
	v_rcp_f32_e32 v51, v49
	v_sub_f32_e32 v41, v44, v49
	v_add_f32_e32 v50, v40, v41
	v_add_f32_e32 v41, v42, v43
	v_mul_f32_e32 v53, v41, v51
	v_sub_f32_e32 v40, v42, v41
	v_mul_f32_e32 v42, v49, v53
	v_fma_f32 v44, v53, v49, -v42
	v_fmac_f32_e32 v44, v53, v50
	v_add_f32_e32 v52, v43, v40
	v_add_f32_e32 v40, v42, v44
	v_sub_f32_e32 v43, v41, v40
	v_pk_add_f32 v[46:47], v[40:41], v[42:43] neg_lo:[0,1] neg_hi:[0,1]
	v_mov_b32_e32 v45, v40
	v_pk_add_f32 v[40:41], v[46:47], v[44:45] neg_lo:[0,1] neg_hi:[0,1]
	s_mov_b32 s36, 0x3f317218
	v_add_f32_e32 v41, v52, v41
	v_add_f32_e32 v40, v40, v41
	;; [unrolled: 1-line block ×3, first 2 shown]
	v_mul_f32_e32 v52, v51, v41
	v_mul_f32_e32 v42, v49, v52
	v_fma_f32 v44, v52, v49, -v42
	v_fmac_f32_e32 v44, v52, v50
	v_sub_f32_e32 v43, v43, v41
	v_add_f32_e32 v49, v40, v43
	v_add_f32_e32 v40, v42, v44
	v_sub_f32_e32 v43, v41, v40
	v_pk_add_f32 v[46:47], v[40:41], v[42:43] neg_lo:[0,1] neg_hi:[0,1]
	v_mov_b32_e32 v45, v40
	v_pk_add_f32 v[40:41], v[46:47], v[44:45] neg_lo:[0,1] neg_hi:[0,1]
	v_cvt_f32_i32_e32 v42, v48
	v_add_f32_e32 v41, v49, v41
	v_add_f32_e32 v40, v40, v41
	;; [unrolled: 1-line block ×4, first 2 shown]
	v_sub_f32_e32 v41, v43, v53
	v_mul_f32_e32 v40, v51, v40
	v_sub_f32_e32 v41, v52, v41
	v_add_f32_e32 v40, v41, v40
	v_add_f32_e32 v44, v43, v40
	v_mul_f32_e32 v46, v44, v44
	v_mov_b32_e32 v41, 0x3ecc95a3
	v_sub_f32_e32 v43, v44, v43
	v_fmac_f32_e32 v41, 0x3e9b6dac, v46
	v_sub_f32_e32 v40, v40, v43
	v_fmaak_f32 v41, v46, v41, 0x3f2aaada
	v_ldexp_f32 v47, v40, 1
	v_mul_f32_e32 v43, v44, v46
	v_mov_b32_e32 v40, 0x3f317218
	v_pk_mul_f32 v[40:41], v[42:43], v[40:41]
	v_ldexp_f32 v45, v44, 1
	v_fma_f32 v43, v42, s36, -v40
	v_fmamk_f32 v44, v42, 0xb102e308, v43
	v_pk_add_f32 v[42:43], v[40:41], v[44:45]
	v_mov_b32_e32 v46, v40
	v_sub_f32_e32 v45, v43, v45
	v_sub_f32_e32 v45, v41, v45
	v_add_f32_e32 v47, v47, v45
	v_pk_add_f32 v[40:41], v[42:43], v[40:41] neg_lo:[0,1] neg_hi:[0,1]
	v_pk_add_f32 v[48:49], v[42:43], v[46:47]
	v_mov_b32_e32 v45, v42
	v_mov_b32_e32 v41, v49
	v_pk_add_f32 v[50:51], v[44:45], v[40:41] neg_lo:[0,1] neg_hi:[0,1]
	v_pk_add_f32 v[40:41], v[44:45], v[40:41]
	v_mov_b32_e32 v46, v47
	v_pk_add_f32 v[44:45], v[40:41], v[42:43] op_sel:[1,0] op_sel_hi:[0,1] neg_lo:[0,1] neg_hi:[0,1]
	v_pk_add_f32 v[52:53], v[48:49], v[44:45] op_sel_hi:[1,0] neg_lo:[0,1] neg_hi:[0,1]
	v_mov_b32_e32 v48, v49
	v_mov_b32_e32 v49, v41
	v_pk_mov_b32 v[44:45], v[42:43], v[44:45] op_sel:[1,0]
	v_mov_b32_e32 v47, v42
	v_pk_add_f32 v[44:45], v[48:49], v[44:45] neg_lo:[0,1] neg_hi:[0,1]
	v_mov_b32_e32 v52, v50
	v_pk_add_f32 v[42:43], v[46:47], v[44:45] neg_lo:[0,1] neg_hi:[0,1]
	v_mov_b32_e32 v51, v41
	v_pk_add_f32 v[44:45], v[52:53], v[42:43]
	v_cmp_neq_f32_e64 s[36:37], s48, v55
	v_pk_add_f32 v[46:47], v[44:45], v[44:45] op_sel:[0,1] op_sel_hi:[1,0]
	s_nop 0
	v_pk_add_f32 v[40:41], v[40:41], v[46:47] op_sel:[1,0] op_sel_hi:[0,1]
	v_mov_b32_e32 v45, v40
	v_pk_add_f32 v[48:49], v[44:45], v[50:51] neg_lo:[0,1] neg_hi:[0,1]
	v_mov_b32_e32 v43, v46
	v_sub_f32_e32 v41, v44, v48
	v_pk_add_f32 v[42:43], v[42:43], v[48:49] neg_lo:[0,1] neg_hi:[0,1]
	v_sub_f32_e32 v41, v50, v41
	v_add_f32_e32 v41, v42, v41
	v_add_f32_e32 v41, v41, v43
	;; [unrolled: 1-line block ×3, first 2 shown]
	v_cndmask_b32_e64 v40, v54, v40, s[36:37]
	s_mov_b32 s36, 0x33800000
	v_cmp_lt_f32_e64 s[36:37], |v55|, s36
	s_nop 1
	v_cndmask_b32_e64 v40, v40, v55, s[36:37]
	v_add_f32_e32 v40, v39, v40
.LBB153_254:
	s_or_b64 exec, exec, s[38:39]
	v_mov_b32_e32 v39, v40
.LBB153_255:
	s_or_b64 exec, exec, s[44:45]
	s_nop 0
	v_mov_b32_dpp v40, v39 row_shr:4 row_mask:0xf bank_mask:0xf
	v_cmp_lt_u32_e64 s[36:37], 3, v38
	s_and_saveexec_b64 s[44:45], s[36:37]
	s_cbranch_execz .LBB153_259
; %bb.256:
	v_max_f32_e32 v42, v39, v39
	v_max_f32_e32 v43, v40, v40
	v_min_f32_e32 v41, v43, v42
	v_cmp_u_f32_e64 s[36:37], v40, v40
	v_max_f32_e32 v42, v43, v42
	v_cmp_u_f32_e64 s[38:39], v39, v39
	v_cndmask_b32_e64 v41, v41, v40, s[36:37]
	v_cndmask_b32_e64 v42, v42, v40, s[36:37]
	v_cndmask_b32_e64 v41, v41, v39, s[38:39]
	v_cndmask_b32_e64 v39, v42, v39, s[38:39]
	s_movk_i32 s38, 0x1f8
	v_cmp_neq_f32_e64 s[36:37], v41, v39
	v_cmp_class_f32_e64 s[38:39], v41, s38
	s_or_b64 s[36:37], s[36:37], s[38:39]
	s_and_saveexec_b64 s[38:39], s[36:37]
	s_cbranch_execz .LBB153_258
; %bb.257:
	v_sub_f32_e32 v40, v41, v39
	s_mov_b32 s36, 0x3fb8aa3b
	v_mul_f32_e32 v41, 0x3fb8aa3b, v40
	v_fma_f32 v42, v40, s36, -v41
	v_rndne_f32_e32 v43, v41
	v_fmamk_f32 v42, v40, 0x32a5705f, v42
	v_sub_f32_e32 v41, v41, v43
	v_add_f32_e32 v41, v41, v42
	v_exp_f32_e32 v41, v41
	v_cvt_i32_f32_e32 v42, v43
	s_mov_b32 s36, 0xc2ce8ed0
	v_cmp_ngt_f32_e64 s[36:37], s36, v40
	v_mov_b32_e32 v54, 0x7f800000
	v_ldexp_f32 v41, v41, v42
	v_cndmask_b32_e64 v41, 0, v41, s[36:37]
	s_mov_b32 s36, 0x42b17218
	v_cmp_nlt_f32_e64 s[36:37], s36, v40
	s_mov_b32 s48, 0x7f800000
	s_nop 0
	v_cndmask_b32_e64 v55, v54, v41, s[36:37]
	v_add_f32_e32 v42, 1.0, v55
	v_add_f32_e32 v40, -1.0, v42
	v_sub_f32_e32 v41, v40, v42
	v_add_f32_e32 v41, 1.0, v41
	v_sub_f32_e32 v40, v55, v40
	v_add_f32_e32 v43, v40, v41
	v_frexp_mant_f32_e32 v44, v42
	s_mov_b32 s36, 0x3f2aaaab
	v_cvt_f64_f32_e32 v[40:41], v42
	v_frexp_exp_i32_f64_e32 v40, v[40:41]
	v_cmp_gt_f32_e64 s[36:37], s36, v44
	s_nop 1
	v_subbrev_co_u32_e64 v48, s[36:37], 0, v40, s[36:37]
	v_sub_u32_e32 v40, 0, v48
	v_ldexp_f32 v41, v42, v40
	v_add_f32_e32 v42, -1.0, v41
	v_add_f32_e32 v44, 1.0, v41
	v_ldexp_f32 v40, v43, v40
	v_add_f32_e32 v43, 1.0, v42
	v_add_f32_e32 v45, -1.0, v44
	v_sub_f32_e32 v43, v41, v43
	v_sub_f32_e32 v41, v41, v45
	v_add_f32_e32 v43, v40, v43
	v_add_f32_e32 v40, v40, v41
	;; [unrolled: 1-line block ×3, first 2 shown]
	v_rcp_f32_e32 v51, v49
	v_sub_f32_e32 v41, v44, v49
	v_add_f32_e32 v50, v40, v41
	v_add_f32_e32 v41, v42, v43
	v_mul_f32_e32 v53, v41, v51
	v_sub_f32_e32 v40, v42, v41
	v_mul_f32_e32 v42, v49, v53
	v_fma_f32 v44, v53, v49, -v42
	v_fmac_f32_e32 v44, v53, v50
	v_add_f32_e32 v52, v43, v40
	v_add_f32_e32 v40, v42, v44
	v_sub_f32_e32 v43, v41, v40
	v_pk_add_f32 v[46:47], v[40:41], v[42:43] neg_lo:[0,1] neg_hi:[0,1]
	v_mov_b32_e32 v45, v40
	v_pk_add_f32 v[40:41], v[46:47], v[44:45] neg_lo:[0,1] neg_hi:[0,1]
	s_mov_b32 s36, 0x3f317218
	v_add_f32_e32 v41, v52, v41
	v_add_f32_e32 v40, v40, v41
	;; [unrolled: 1-line block ×3, first 2 shown]
	v_mul_f32_e32 v52, v51, v41
	v_mul_f32_e32 v42, v49, v52
	v_fma_f32 v44, v52, v49, -v42
	v_fmac_f32_e32 v44, v52, v50
	v_sub_f32_e32 v43, v43, v41
	v_add_f32_e32 v49, v40, v43
	v_add_f32_e32 v40, v42, v44
	v_sub_f32_e32 v43, v41, v40
	v_pk_add_f32 v[46:47], v[40:41], v[42:43] neg_lo:[0,1] neg_hi:[0,1]
	v_mov_b32_e32 v45, v40
	v_pk_add_f32 v[40:41], v[46:47], v[44:45] neg_lo:[0,1] neg_hi:[0,1]
	v_cvt_f32_i32_e32 v42, v48
	v_add_f32_e32 v41, v49, v41
	v_add_f32_e32 v40, v40, v41
	;; [unrolled: 1-line block ×4, first 2 shown]
	v_sub_f32_e32 v41, v43, v53
	v_mul_f32_e32 v40, v51, v40
	v_sub_f32_e32 v41, v52, v41
	v_add_f32_e32 v40, v41, v40
	v_add_f32_e32 v44, v43, v40
	v_mul_f32_e32 v46, v44, v44
	v_mov_b32_e32 v41, 0x3ecc95a3
	v_sub_f32_e32 v43, v44, v43
	v_fmac_f32_e32 v41, 0x3e9b6dac, v46
	v_sub_f32_e32 v40, v40, v43
	v_fmaak_f32 v41, v46, v41, 0x3f2aaada
	v_ldexp_f32 v47, v40, 1
	v_mul_f32_e32 v43, v44, v46
	v_mov_b32_e32 v40, 0x3f317218
	v_pk_mul_f32 v[40:41], v[42:43], v[40:41]
	v_ldexp_f32 v45, v44, 1
	v_fma_f32 v43, v42, s36, -v40
	v_fmamk_f32 v44, v42, 0xb102e308, v43
	v_pk_add_f32 v[42:43], v[40:41], v[44:45]
	v_mov_b32_e32 v46, v40
	v_sub_f32_e32 v45, v43, v45
	v_sub_f32_e32 v45, v41, v45
	v_add_f32_e32 v47, v47, v45
	v_pk_add_f32 v[40:41], v[42:43], v[40:41] neg_lo:[0,1] neg_hi:[0,1]
	v_pk_add_f32 v[48:49], v[42:43], v[46:47]
	v_mov_b32_e32 v45, v42
	v_mov_b32_e32 v41, v49
	v_pk_add_f32 v[50:51], v[44:45], v[40:41] neg_lo:[0,1] neg_hi:[0,1]
	v_pk_add_f32 v[40:41], v[44:45], v[40:41]
	v_mov_b32_e32 v46, v47
	v_pk_add_f32 v[44:45], v[40:41], v[42:43] op_sel:[1,0] op_sel_hi:[0,1] neg_lo:[0,1] neg_hi:[0,1]
	v_pk_add_f32 v[52:53], v[48:49], v[44:45] op_sel_hi:[1,0] neg_lo:[0,1] neg_hi:[0,1]
	v_mov_b32_e32 v48, v49
	v_mov_b32_e32 v49, v41
	v_pk_mov_b32 v[44:45], v[42:43], v[44:45] op_sel:[1,0]
	v_mov_b32_e32 v47, v42
	v_pk_add_f32 v[44:45], v[48:49], v[44:45] neg_lo:[0,1] neg_hi:[0,1]
	v_mov_b32_e32 v52, v50
	v_pk_add_f32 v[42:43], v[46:47], v[44:45] neg_lo:[0,1] neg_hi:[0,1]
	v_mov_b32_e32 v51, v41
	v_pk_add_f32 v[44:45], v[52:53], v[42:43]
	v_cmp_neq_f32_e64 s[36:37], s48, v55
	v_pk_add_f32 v[46:47], v[44:45], v[44:45] op_sel:[0,1] op_sel_hi:[1,0]
	s_nop 0
	v_pk_add_f32 v[40:41], v[40:41], v[46:47] op_sel:[1,0] op_sel_hi:[0,1]
	v_mov_b32_e32 v45, v40
	v_pk_add_f32 v[48:49], v[44:45], v[50:51] neg_lo:[0,1] neg_hi:[0,1]
	v_mov_b32_e32 v43, v46
	v_sub_f32_e32 v41, v44, v48
	v_pk_add_f32 v[42:43], v[42:43], v[48:49] neg_lo:[0,1] neg_hi:[0,1]
	v_sub_f32_e32 v41, v50, v41
	v_add_f32_e32 v41, v42, v41
	v_add_f32_e32 v41, v41, v43
	;; [unrolled: 1-line block ×3, first 2 shown]
	v_cndmask_b32_e64 v40, v54, v40, s[36:37]
	s_mov_b32 s36, 0x33800000
	v_cmp_lt_f32_e64 s[36:37], |v55|, s36
	s_nop 1
	v_cndmask_b32_e64 v40, v40, v55, s[36:37]
	v_add_f32_e32 v40, v39, v40
.LBB153_258:
	s_or_b64 exec, exec, s[38:39]
	v_mov_b32_e32 v39, v40
.LBB153_259:
	s_or_b64 exec, exec, s[44:45]
	s_nop 0
	v_mov_b32_dpp v40, v39 row_shr:8 row_mask:0xf bank_mask:0xf
	v_cmp_lt_u32_e64 s[36:37], 7, v38
	s_and_saveexec_b64 s[44:45], s[36:37]
	s_cbranch_execz .LBB153_263
; %bb.260:
	v_max_f32_e32 v38, v39, v39
	v_max_f32_e32 v42, v40, v40
	v_min_f32_e32 v41, v42, v38
	v_cmp_u_f32_e64 s[36:37], v40, v40
	v_max_f32_e32 v38, v42, v38
	v_cmp_u_f32_e64 s[38:39], v39, v39
	v_cndmask_b32_e64 v41, v41, v40, s[36:37]
	v_cndmask_b32_e64 v38, v38, v40, s[36:37]
	;; [unrolled: 1-line block ×4, first 2 shown]
	s_movk_i32 s38, 0x1f8
	v_cmp_neq_f32_e64 s[36:37], v41, v38
	v_cmp_class_f32_e64 s[38:39], v41, s38
	s_or_b64 s[36:37], s[36:37], s[38:39]
	s_and_saveexec_b64 s[38:39], s[36:37]
	s_cbranch_execz .LBB153_262
; %bb.261:
	v_sub_f32_e32 v39, v41, v38
	s_mov_b32 s36, 0x3fb8aa3b
	v_mul_f32_e32 v40, 0x3fb8aa3b, v39
	v_fma_f32 v41, v39, s36, -v40
	v_rndne_f32_e32 v42, v40
	v_fmamk_f32 v41, v39, 0x32a5705f, v41
	v_sub_f32_e32 v40, v40, v42
	v_add_f32_e32 v40, v40, v41
	v_exp_f32_e32 v40, v40
	v_cvt_i32_f32_e32 v41, v42
	s_mov_b32 s36, 0xc2ce8ed0
	v_cmp_ngt_f32_e64 s[36:37], s36, v39
	v_mov_b32_e32 v54, 0x7f800000
	v_ldexp_f32 v40, v40, v41
	v_cndmask_b32_e64 v40, 0, v40, s[36:37]
	s_mov_b32 s36, 0x42b17218
	v_cmp_nlt_f32_e64 s[36:37], s36, v39
	s_mov_b32 s48, 0x7f800000
	s_nop 0
	v_cndmask_b32_e64 v39, v54, v40, s[36:37]
	v_add_f32_e32 v42, 1.0, v39
	v_add_f32_e32 v40, -1.0, v42
	v_sub_f32_e32 v41, v40, v42
	v_add_f32_e32 v41, 1.0, v41
	v_sub_f32_e32 v40, v39, v40
	v_add_f32_e32 v43, v40, v41
	v_frexp_mant_f32_e32 v44, v42
	s_mov_b32 s36, 0x3f2aaaab
	v_cvt_f64_f32_e32 v[40:41], v42
	v_frexp_exp_i32_f64_e32 v40, v[40:41]
	v_cmp_gt_f32_e64 s[36:37], s36, v44
	s_nop 1
	v_subbrev_co_u32_e64 v48, s[36:37], 0, v40, s[36:37]
	v_sub_u32_e32 v40, 0, v48
	v_ldexp_f32 v41, v42, v40
	v_add_f32_e32 v42, -1.0, v41
	v_add_f32_e32 v44, 1.0, v41
	v_ldexp_f32 v40, v43, v40
	v_add_f32_e32 v43, 1.0, v42
	v_add_f32_e32 v45, -1.0, v44
	v_sub_f32_e32 v43, v41, v43
	v_sub_f32_e32 v41, v41, v45
	v_add_f32_e32 v43, v40, v43
	v_add_f32_e32 v40, v40, v41
	;; [unrolled: 1-line block ×3, first 2 shown]
	v_rcp_f32_e32 v51, v49
	v_sub_f32_e32 v41, v44, v49
	v_add_f32_e32 v50, v40, v41
	v_add_f32_e32 v41, v42, v43
	v_mul_f32_e32 v53, v41, v51
	v_sub_f32_e32 v40, v42, v41
	v_mul_f32_e32 v42, v49, v53
	v_fma_f32 v44, v53, v49, -v42
	v_fmac_f32_e32 v44, v53, v50
	v_add_f32_e32 v52, v43, v40
	v_add_f32_e32 v40, v42, v44
	v_sub_f32_e32 v43, v41, v40
	v_pk_add_f32 v[46:47], v[40:41], v[42:43] neg_lo:[0,1] neg_hi:[0,1]
	v_mov_b32_e32 v45, v40
	v_pk_add_f32 v[40:41], v[46:47], v[44:45] neg_lo:[0,1] neg_hi:[0,1]
	s_mov_b32 s36, 0x3f317218
	v_add_f32_e32 v41, v52, v41
	v_add_f32_e32 v40, v40, v41
	v_add_f32_e32 v41, v43, v40
	v_mul_f32_e32 v52, v51, v41
	v_mul_f32_e32 v42, v49, v52
	v_fma_f32 v44, v52, v49, -v42
	v_fmac_f32_e32 v44, v52, v50
	v_sub_f32_e32 v43, v43, v41
	v_add_f32_e32 v49, v40, v43
	v_add_f32_e32 v40, v42, v44
	v_sub_f32_e32 v43, v41, v40
	v_pk_add_f32 v[46:47], v[40:41], v[42:43] neg_lo:[0,1] neg_hi:[0,1]
	v_mov_b32_e32 v45, v40
	v_pk_add_f32 v[40:41], v[46:47], v[44:45] neg_lo:[0,1] neg_hi:[0,1]
	v_cvt_f32_i32_e32 v42, v48
	v_add_f32_e32 v41, v49, v41
	v_add_f32_e32 v40, v40, v41
	;; [unrolled: 1-line block ×4, first 2 shown]
	v_sub_f32_e32 v41, v43, v53
	v_mul_f32_e32 v40, v51, v40
	v_sub_f32_e32 v41, v52, v41
	v_add_f32_e32 v40, v41, v40
	v_add_f32_e32 v44, v43, v40
	v_mul_f32_e32 v46, v44, v44
	v_mov_b32_e32 v41, 0x3ecc95a3
	v_sub_f32_e32 v43, v44, v43
	v_fmac_f32_e32 v41, 0x3e9b6dac, v46
	v_sub_f32_e32 v40, v40, v43
	v_fmaak_f32 v41, v46, v41, 0x3f2aaada
	v_ldexp_f32 v47, v40, 1
	v_mul_f32_e32 v43, v44, v46
	v_mov_b32_e32 v40, 0x3f317218
	v_pk_mul_f32 v[40:41], v[42:43], v[40:41]
	v_ldexp_f32 v45, v44, 1
	v_fma_f32 v43, v42, s36, -v40
	v_fmamk_f32 v44, v42, 0xb102e308, v43
	v_pk_add_f32 v[42:43], v[40:41], v[44:45]
	v_mov_b32_e32 v46, v40
	v_sub_f32_e32 v45, v43, v45
	v_sub_f32_e32 v45, v41, v45
	v_add_f32_e32 v47, v47, v45
	v_pk_add_f32 v[40:41], v[42:43], v[40:41] neg_lo:[0,1] neg_hi:[0,1]
	v_pk_add_f32 v[48:49], v[42:43], v[46:47]
	v_mov_b32_e32 v45, v42
	v_mov_b32_e32 v41, v49
	v_pk_add_f32 v[50:51], v[44:45], v[40:41] neg_lo:[0,1] neg_hi:[0,1]
	v_pk_add_f32 v[40:41], v[44:45], v[40:41]
	v_mov_b32_e32 v46, v47
	v_pk_add_f32 v[44:45], v[40:41], v[42:43] op_sel:[1,0] op_sel_hi:[0,1] neg_lo:[0,1] neg_hi:[0,1]
	v_pk_add_f32 v[52:53], v[48:49], v[44:45] op_sel_hi:[1,0] neg_lo:[0,1] neg_hi:[0,1]
	v_mov_b32_e32 v48, v49
	v_mov_b32_e32 v49, v41
	v_pk_mov_b32 v[44:45], v[42:43], v[44:45] op_sel:[1,0]
	v_mov_b32_e32 v47, v42
	v_pk_add_f32 v[44:45], v[48:49], v[44:45] neg_lo:[0,1] neg_hi:[0,1]
	v_mov_b32_e32 v52, v50
	v_pk_add_f32 v[42:43], v[46:47], v[44:45] neg_lo:[0,1] neg_hi:[0,1]
	v_mov_b32_e32 v51, v41
	v_pk_add_f32 v[44:45], v[52:53], v[42:43]
	v_cmp_neq_f32_e64 s[36:37], s48, v39
	v_pk_add_f32 v[46:47], v[44:45], v[44:45] op_sel:[0,1] op_sel_hi:[1,0]
	s_nop 0
	v_pk_add_f32 v[40:41], v[40:41], v[46:47] op_sel:[1,0] op_sel_hi:[0,1]
	v_mov_b32_e32 v45, v40
	v_pk_add_f32 v[48:49], v[44:45], v[50:51] neg_lo:[0,1] neg_hi:[0,1]
	v_mov_b32_e32 v43, v46
	v_sub_f32_e32 v41, v44, v48
	v_pk_add_f32 v[42:43], v[42:43], v[48:49] neg_lo:[0,1] neg_hi:[0,1]
	v_sub_f32_e32 v41, v50, v41
	v_add_f32_e32 v41, v42, v41
	v_add_f32_e32 v41, v41, v43
	;; [unrolled: 1-line block ×3, first 2 shown]
	v_cndmask_b32_e64 v40, v54, v40, s[36:37]
	s_mov_b32 s36, 0x33800000
	v_cmp_lt_f32_e64 s[36:37], |v39|, s36
	s_nop 1
	v_cndmask_b32_e64 v39, v40, v39, s[36:37]
	v_add_f32_e32 v40, v38, v39
.LBB153_262:
	s_or_b64 exec, exec, s[38:39]
	v_mov_b32_e32 v39, v40
.LBB153_263:
	s_or_b64 exec, exec, s[44:45]
	v_and_b32_e32 v38, 16, v7
	v_mov_b32_dpp v40, v39 row_bcast:15 row_mask:0xf bank_mask:0xf
	v_cmp_ne_u32_e64 s[36:37], 0, v38
	s_and_saveexec_b64 s[44:45], s[36:37]
	s_cbranch_execz .LBB153_267
; %bb.264:
	v_max_f32_e32 v38, v39, v39
	v_max_f32_e32 v42, v40, v40
	v_min_f32_e32 v41, v42, v38
	v_cmp_u_f32_e64 s[36:37], v40, v40
	v_max_f32_e32 v38, v42, v38
	v_cmp_u_f32_e64 s[38:39], v39, v39
	v_cndmask_b32_e64 v41, v41, v40, s[36:37]
	v_cndmask_b32_e64 v38, v38, v40, s[36:37]
	;; [unrolled: 1-line block ×4, first 2 shown]
	s_movk_i32 s38, 0x1f8
	v_cmp_neq_f32_e64 s[36:37], v41, v38
	v_cmp_class_f32_e64 s[38:39], v41, s38
	s_or_b64 s[36:37], s[36:37], s[38:39]
	s_and_saveexec_b64 s[38:39], s[36:37]
	s_cbranch_execz .LBB153_266
; %bb.265:
	v_sub_f32_e32 v39, v41, v38
	s_mov_b32 s36, 0x3fb8aa3b
	v_mul_f32_e32 v40, 0x3fb8aa3b, v39
	v_fma_f32 v41, v39, s36, -v40
	v_rndne_f32_e32 v42, v40
	v_fmamk_f32 v41, v39, 0x32a5705f, v41
	v_sub_f32_e32 v40, v40, v42
	v_add_f32_e32 v40, v40, v41
	v_exp_f32_e32 v40, v40
	v_cvt_i32_f32_e32 v41, v42
	s_mov_b32 s36, 0xc2ce8ed0
	v_cmp_ngt_f32_e64 s[36:37], s36, v39
	v_mov_b32_e32 v54, 0x7f800000
	v_ldexp_f32 v40, v40, v41
	v_cndmask_b32_e64 v40, 0, v40, s[36:37]
	s_mov_b32 s36, 0x42b17218
	v_cmp_nlt_f32_e64 s[36:37], s36, v39
	s_mov_b32 s48, 0x7f800000
	s_nop 0
	v_cndmask_b32_e64 v39, v54, v40, s[36:37]
	v_add_f32_e32 v42, 1.0, v39
	v_add_f32_e32 v40, -1.0, v42
	v_sub_f32_e32 v41, v40, v42
	v_add_f32_e32 v41, 1.0, v41
	v_sub_f32_e32 v40, v39, v40
	v_add_f32_e32 v43, v40, v41
	v_frexp_mant_f32_e32 v44, v42
	s_mov_b32 s36, 0x3f2aaaab
	v_cvt_f64_f32_e32 v[40:41], v42
	v_frexp_exp_i32_f64_e32 v40, v[40:41]
	v_cmp_gt_f32_e64 s[36:37], s36, v44
	s_nop 1
	v_subbrev_co_u32_e64 v48, s[36:37], 0, v40, s[36:37]
	v_sub_u32_e32 v40, 0, v48
	v_ldexp_f32 v41, v42, v40
	v_add_f32_e32 v42, -1.0, v41
	v_add_f32_e32 v44, 1.0, v41
	v_ldexp_f32 v40, v43, v40
	v_add_f32_e32 v43, 1.0, v42
	v_add_f32_e32 v45, -1.0, v44
	v_sub_f32_e32 v43, v41, v43
	v_sub_f32_e32 v41, v41, v45
	v_add_f32_e32 v43, v40, v43
	v_add_f32_e32 v40, v40, v41
	;; [unrolled: 1-line block ×3, first 2 shown]
	v_rcp_f32_e32 v51, v49
	v_sub_f32_e32 v41, v44, v49
	v_add_f32_e32 v50, v40, v41
	v_add_f32_e32 v41, v42, v43
	v_mul_f32_e32 v53, v41, v51
	v_sub_f32_e32 v40, v42, v41
	v_mul_f32_e32 v42, v49, v53
	v_fma_f32 v44, v53, v49, -v42
	v_fmac_f32_e32 v44, v53, v50
	v_add_f32_e32 v52, v43, v40
	v_add_f32_e32 v40, v42, v44
	v_sub_f32_e32 v43, v41, v40
	v_pk_add_f32 v[46:47], v[40:41], v[42:43] neg_lo:[0,1] neg_hi:[0,1]
	v_mov_b32_e32 v45, v40
	v_pk_add_f32 v[40:41], v[46:47], v[44:45] neg_lo:[0,1] neg_hi:[0,1]
	s_mov_b32 s36, 0x3f317218
	v_add_f32_e32 v41, v52, v41
	v_add_f32_e32 v40, v40, v41
	;; [unrolled: 1-line block ×3, first 2 shown]
	v_mul_f32_e32 v52, v51, v41
	v_mul_f32_e32 v42, v49, v52
	v_fma_f32 v44, v52, v49, -v42
	v_fmac_f32_e32 v44, v52, v50
	v_sub_f32_e32 v43, v43, v41
	v_add_f32_e32 v49, v40, v43
	v_add_f32_e32 v40, v42, v44
	v_sub_f32_e32 v43, v41, v40
	v_pk_add_f32 v[46:47], v[40:41], v[42:43] neg_lo:[0,1] neg_hi:[0,1]
	v_mov_b32_e32 v45, v40
	v_pk_add_f32 v[40:41], v[46:47], v[44:45] neg_lo:[0,1] neg_hi:[0,1]
	v_cvt_f32_i32_e32 v42, v48
	v_add_f32_e32 v41, v49, v41
	v_add_f32_e32 v40, v40, v41
	;; [unrolled: 1-line block ×4, first 2 shown]
	v_sub_f32_e32 v41, v43, v53
	v_mul_f32_e32 v40, v51, v40
	v_sub_f32_e32 v41, v52, v41
	v_add_f32_e32 v40, v41, v40
	v_add_f32_e32 v44, v43, v40
	v_mul_f32_e32 v46, v44, v44
	v_mov_b32_e32 v41, 0x3ecc95a3
	v_sub_f32_e32 v43, v44, v43
	v_fmac_f32_e32 v41, 0x3e9b6dac, v46
	v_sub_f32_e32 v40, v40, v43
	v_fmaak_f32 v41, v46, v41, 0x3f2aaada
	v_ldexp_f32 v47, v40, 1
	v_mul_f32_e32 v43, v44, v46
	v_mov_b32_e32 v40, 0x3f317218
	v_pk_mul_f32 v[40:41], v[42:43], v[40:41]
	v_ldexp_f32 v45, v44, 1
	v_fma_f32 v43, v42, s36, -v40
	v_fmamk_f32 v44, v42, 0xb102e308, v43
	v_pk_add_f32 v[42:43], v[40:41], v[44:45]
	v_mov_b32_e32 v46, v40
	v_sub_f32_e32 v45, v43, v45
	v_sub_f32_e32 v45, v41, v45
	v_add_f32_e32 v47, v47, v45
	v_pk_add_f32 v[40:41], v[42:43], v[40:41] neg_lo:[0,1] neg_hi:[0,1]
	v_pk_add_f32 v[48:49], v[42:43], v[46:47]
	v_mov_b32_e32 v45, v42
	v_mov_b32_e32 v41, v49
	v_pk_add_f32 v[50:51], v[44:45], v[40:41] neg_lo:[0,1] neg_hi:[0,1]
	v_pk_add_f32 v[40:41], v[44:45], v[40:41]
	v_mov_b32_e32 v46, v47
	v_pk_add_f32 v[44:45], v[40:41], v[42:43] op_sel:[1,0] op_sel_hi:[0,1] neg_lo:[0,1] neg_hi:[0,1]
	v_pk_add_f32 v[52:53], v[48:49], v[44:45] op_sel_hi:[1,0] neg_lo:[0,1] neg_hi:[0,1]
	v_mov_b32_e32 v48, v49
	v_mov_b32_e32 v49, v41
	v_pk_mov_b32 v[44:45], v[42:43], v[44:45] op_sel:[1,0]
	v_mov_b32_e32 v47, v42
	v_pk_add_f32 v[44:45], v[48:49], v[44:45] neg_lo:[0,1] neg_hi:[0,1]
	v_mov_b32_e32 v52, v50
	v_pk_add_f32 v[42:43], v[46:47], v[44:45] neg_lo:[0,1] neg_hi:[0,1]
	v_mov_b32_e32 v51, v41
	v_pk_add_f32 v[44:45], v[52:53], v[42:43]
	v_cmp_neq_f32_e64 s[36:37], s48, v39
	v_pk_add_f32 v[46:47], v[44:45], v[44:45] op_sel:[0,1] op_sel_hi:[1,0]
	s_nop 0
	v_pk_add_f32 v[40:41], v[40:41], v[46:47] op_sel:[1,0] op_sel_hi:[0,1]
	v_mov_b32_e32 v45, v40
	v_pk_add_f32 v[48:49], v[44:45], v[50:51] neg_lo:[0,1] neg_hi:[0,1]
	v_mov_b32_e32 v43, v46
	v_sub_f32_e32 v41, v44, v48
	v_pk_add_f32 v[42:43], v[42:43], v[48:49] neg_lo:[0,1] neg_hi:[0,1]
	v_sub_f32_e32 v41, v50, v41
	v_add_f32_e32 v41, v42, v41
	v_add_f32_e32 v41, v41, v43
	;; [unrolled: 1-line block ×3, first 2 shown]
	v_cndmask_b32_e64 v40, v54, v40, s[36:37]
	s_mov_b32 s36, 0x33800000
	v_cmp_lt_f32_e64 s[36:37], |v39|, s36
	s_nop 1
	v_cndmask_b32_e64 v39, v40, v39, s[36:37]
	v_add_f32_e32 v40, v38, v39
.LBB153_266:
	s_or_b64 exec, exec, s[38:39]
	v_mov_b32_e32 v39, v40
.LBB153_267:
	s_or_b64 exec, exec, s[44:45]
	s_nop 0
	v_mov_b32_dpp v40, v39 row_bcast:31 row_mask:0xf bank_mask:0xf
	v_cmp_lt_u32_e64 s[36:37], 31, v7
	s_and_saveexec_b64 s[44:45], s[36:37]
	s_cbranch_execz .LBB153_271
; %bb.268:
	v_max_f32_e32 v38, v39, v39
	v_max_f32_e32 v42, v40, v40
	v_min_f32_e32 v41, v42, v38
	v_cmp_u_f32_e64 s[36:37], v40, v40
	v_max_f32_e32 v38, v42, v38
	v_cmp_u_f32_e64 s[38:39], v39, v39
	v_cndmask_b32_e64 v41, v41, v40, s[36:37]
	v_cndmask_b32_e64 v38, v38, v40, s[36:37]
	;; [unrolled: 1-line block ×4, first 2 shown]
	s_movk_i32 s38, 0x1f8
	v_cmp_neq_f32_e64 s[36:37], v41, v38
	v_cmp_class_f32_e64 s[38:39], v41, s38
	s_or_b64 s[36:37], s[36:37], s[38:39]
	s_and_saveexec_b64 s[38:39], s[36:37]
	s_cbranch_execz .LBB153_270
; %bb.269:
	v_sub_f32_e32 v39, v41, v38
	s_mov_b32 s36, 0x3fb8aa3b
	v_mul_f32_e32 v40, 0x3fb8aa3b, v39
	v_fma_f32 v41, v39, s36, -v40
	v_rndne_f32_e32 v42, v40
	v_fmamk_f32 v41, v39, 0x32a5705f, v41
	v_sub_f32_e32 v40, v40, v42
	v_add_f32_e32 v40, v40, v41
	v_exp_f32_e32 v40, v40
	v_cvt_i32_f32_e32 v41, v42
	s_mov_b32 s36, 0xc2ce8ed0
	v_cmp_ngt_f32_e64 s[36:37], s36, v39
	v_mov_b32_e32 v54, 0x7f800000
	v_ldexp_f32 v40, v40, v41
	v_cndmask_b32_e64 v40, 0, v40, s[36:37]
	s_mov_b32 s36, 0x42b17218
	v_cmp_nlt_f32_e64 s[36:37], s36, v39
	s_mov_b32 s48, 0x7f800000
	s_nop 0
	v_cndmask_b32_e64 v39, v54, v40, s[36:37]
	v_add_f32_e32 v42, 1.0, v39
	v_add_f32_e32 v40, -1.0, v42
	v_sub_f32_e32 v41, v40, v42
	v_add_f32_e32 v41, 1.0, v41
	v_sub_f32_e32 v40, v39, v40
	v_add_f32_e32 v43, v40, v41
	v_frexp_mant_f32_e32 v44, v42
	s_mov_b32 s36, 0x3f2aaaab
	v_cvt_f64_f32_e32 v[40:41], v42
	v_frexp_exp_i32_f64_e32 v40, v[40:41]
	v_cmp_gt_f32_e64 s[36:37], s36, v44
	s_nop 1
	v_subbrev_co_u32_e64 v48, s[36:37], 0, v40, s[36:37]
	v_sub_u32_e32 v40, 0, v48
	v_ldexp_f32 v41, v42, v40
	v_add_f32_e32 v42, -1.0, v41
	v_add_f32_e32 v44, 1.0, v41
	v_ldexp_f32 v40, v43, v40
	v_add_f32_e32 v43, 1.0, v42
	v_add_f32_e32 v45, -1.0, v44
	v_sub_f32_e32 v43, v41, v43
	v_sub_f32_e32 v41, v41, v45
	v_add_f32_e32 v43, v40, v43
	v_add_f32_e32 v40, v40, v41
	;; [unrolled: 1-line block ×3, first 2 shown]
	v_rcp_f32_e32 v51, v49
	v_sub_f32_e32 v41, v44, v49
	v_add_f32_e32 v50, v40, v41
	v_add_f32_e32 v41, v42, v43
	v_mul_f32_e32 v53, v41, v51
	v_sub_f32_e32 v40, v42, v41
	v_mul_f32_e32 v42, v49, v53
	v_fma_f32 v44, v53, v49, -v42
	v_fmac_f32_e32 v44, v53, v50
	v_add_f32_e32 v52, v43, v40
	v_add_f32_e32 v40, v42, v44
	v_sub_f32_e32 v43, v41, v40
	v_pk_add_f32 v[46:47], v[40:41], v[42:43] neg_lo:[0,1] neg_hi:[0,1]
	v_mov_b32_e32 v45, v40
	v_pk_add_f32 v[40:41], v[46:47], v[44:45] neg_lo:[0,1] neg_hi:[0,1]
	s_mov_b32 s36, 0x3f317218
	v_add_f32_e32 v41, v52, v41
	v_add_f32_e32 v40, v40, v41
	;; [unrolled: 1-line block ×3, first 2 shown]
	v_mul_f32_e32 v52, v51, v41
	v_mul_f32_e32 v42, v49, v52
	v_fma_f32 v44, v52, v49, -v42
	v_fmac_f32_e32 v44, v52, v50
	v_sub_f32_e32 v43, v43, v41
	v_add_f32_e32 v49, v40, v43
	v_add_f32_e32 v40, v42, v44
	v_sub_f32_e32 v43, v41, v40
	v_pk_add_f32 v[46:47], v[40:41], v[42:43] neg_lo:[0,1] neg_hi:[0,1]
	v_mov_b32_e32 v45, v40
	v_pk_add_f32 v[40:41], v[46:47], v[44:45] neg_lo:[0,1] neg_hi:[0,1]
	v_cvt_f32_i32_e32 v42, v48
	v_add_f32_e32 v41, v49, v41
	v_add_f32_e32 v40, v40, v41
	v_add_f32_e32 v40, v43, v40
	v_add_f32_e32 v43, v53, v52
	v_sub_f32_e32 v41, v43, v53
	v_mul_f32_e32 v40, v51, v40
	v_sub_f32_e32 v41, v52, v41
	v_add_f32_e32 v40, v41, v40
	v_add_f32_e32 v44, v43, v40
	v_mul_f32_e32 v46, v44, v44
	v_mov_b32_e32 v41, 0x3ecc95a3
	v_sub_f32_e32 v43, v44, v43
	v_fmac_f32_e32 v41, 0x3e9b6dac, v46
	v_sub_f32_e32 v40, v40, v43
	v_fmaak_f32 v41, v46, v41, 0x3f2aaada
	v_ldexp_f32 v47, v40, 1
	v_mul_f32_e32 v43, v44, v46
	v_mov_b32_e32 v40, 0x3f317218
	v_pk_mul_f32 v[40:41], v[42:43], v[40:41]
	v_ldexp_f32 v45, v44, 1
	v_fma_f32 v43, v42, s36, -v40
	v_fmamk_f32 v44, v42, 0xb102e308, v43
	v_pk_add_f32 v[42:43], v[40:41], v[44:45]
	v_mov_b32_e32 v46, v40
	v_sub_f32_e32 v45, v43, v45
	v_sub_f32_e32 v45, v41, v45
	v_add_f32_e32 v47, v47, v45
	v_pk_add_f32 v[40:41], v[42:43], v[40:41] neg_lo:[0,1] neg_hi:[0,1]
	v_pk_add_f32 v[48:49], v[42:43], v[46:47]
	v_mov_b32_e32 v45, v42
	v_mov_b32_e32 v41, v49
	v_pk_add_f32 v[50:51], v[44:45], v[40:41] neg_lo:[0,1] neg_hi:[0,1]
	v_pk_add_f32 v[40:41], v[44:45], v[40:41]
	v_mov_b32_e32 v46, v47
	v_pk_add_f32 v[44:45], v[40:41], v[42:43] op_sel:[1,0] op_sel_hi:[0,1] neg_lo:[0,1] neg_hi:[0,1]
	v_pk_add_f32 v[52:53], v[48:49], v[44:45] op_sel_hi:[1,0] neg_lo:[0,1] neg_hi:[0,1]
	v_mov_b32_e32 v48, v49
	v_mov_b32_e32 v49, v41
	v_pk_mov_b32 v[44:45], v[42:43], v[44:45] op_sel:[1,0]
	v_mov_b32_e32 v47, v42
	v_pk_add_f32 v[44:45], v[48:49], v[44:45] neg_lo:[0,1] neg_hi:[0,1]
	v_mov_b32_e32 v52, v50
	v_pk_add_f32 v[42:43], v[46:47], v[44:45] neg_lo:[0,1] neg_hi:[0,1]
	v_mov_b32_e32 v51, v41
	v_pk_add_f32 v[44:45], v[52:53], v[42:43]
	v_cmp_neq_f32_e64 s[36:37], s48, v39
	v_pk_add_f32 v[46:47], v[44:45], v[44:45] op_sel:[0,1] op_sel_hi:[1,0]
	s_nop 0
	v_pk_add_f32 v[40:41], v[40:41], v[46:47] op_sel:[1,0] op_sel_hi:[0,1]
	v_mov_b32_e32 v45, v40
	v_pk_add_f32 v[48:49], v[44:45], v[50:51] neg_lo:[0,1] neg_hi:[0,1]
	v_mov_b32_e32 v43, v46
	v_sub_f32_e32 v41, v44, v48
	v_pk_add_f32 v[42:43], v[42:43], v[48:49] neg_lo:[0,1] neg_hi:[0,1]
	v_sub_f32_e32 v41, v50, v41
	v_add_f32_e32 v41, v42, v41
	v_add_f32_e32 v41, v41, v43
	;; [unrolled: 1-line block ×3, first 2 shown]
	v_cndmask_b32_e64 v40, v54, v40, s[36:37]
	s_mov_b32 s36, 0x33800000
	v_cmp_lt_f32_e64 s[36:37], |v39|, s36
	s_nop 1
	v_cndmask_b32_e64 v39, v40, v39, s[36:37]
	v_add_f32_e32 v40, v38, v39
.LBB153_270:
	s_or_b64 exec, exec, s[38:39]
	v_mov_b32_e32 v39, v40
.LBB153_271:
	s_or_b64 exec, exec, s[44:45]
	v_add_u32_e32 v38, -1, v7
	v_and_b32_e32 v40, 64, v7
	v_cmp_lt_i32_e64 s[36:37], v38, v40
	s_movk_i32 s38, 0x1f8
	s_nop 0
	v_cndmask_b32_e64 v7, v38, v7, s[36:37]
	v_lshlrev_b32_e32 v7, 2, v7
	ds_bpermute_b32 v7, v7, v39
	s_waitcnt lgkmcnt(0)
	v_max_f32_e32 v38, v7, v7
	v_min_f32_e32 v39, v38, v37
	v_max_f32_e32 v38, v38, v37
	v_cmp_u_f32_e64 s[36:37], v7, v7
	s_nop 1
	v_cndmask_b32_e64 v37, v39, v7, s[36:37]
	v_cndmask_b32_e64 v38, v38, v7, s[36:37]
	;; [unrolled: 1-line block ×4, first 2 shown]
	v_cmp_neq_f32_e64 s[34:35], v37, v6
	v_cmp_class_f32_e64 s[36:37], v37, s38
	s_or_b64 s[34:35], s[34:35], s[36:37]
	s_and_saveexec_b64 s[36:37], s[34:35]
	s_cbranch_execz .LBB153_273
; %bb.272:
	v_sub_f32_e32 v7, v37, v6
	s_mov_b32 s34, 0x3fb8aa3b
	v_mul_f32_e32 v37, 0x3fb8aa3b, v7
	v_fma_f32 v38, v7, s34, -v37
	v_rndne_f32_e32 v39, v37
	v_fmamk_f32 v38, v7, 0x32a5705f, v38
	v_sub_f32_e32 v37, v37, v39
	v_add_f32_e32 v37, v37, v38
	v_exp_f32_e32 v37, v37
	v_cvt_i32_f32_e32 v38, v39
	s_mov_b32 s34, 0xc2ce8ed0
	v_cmp_ngt_f32_e64 s[34:35], s34, v7
	v_mov_b32_e32 v52, 0x7f800000
	v_ldexp_f32 v37, v37, v38
	v_cndmask_b32_e64 v37, 0, v37, s[34:35]
	s_mov_b32 s34, 0x42b17218
	v_cmp_nlt_f32_e64 s[34:35], s34, v7
	s_mov_b32 s39, 0x7f800000
	s_nop 0
	v_cndmask_b32_e64 v7, v52, v37, s[34:35]
	v_add_f32_e32 v37, 1.0, v7
	v_add_f32_e32 v38, -1.0, v37
	v_sub_f32_e32 v39, v38, v37
	v_add_f32_e32 v39, 1.0, v39
	v_sub_f32_e32 v38, v7, v38
	v_add_f32_e32 v40, v38, v39
	v_frexp_mant_f32_e32 v41, v37
	s_mov_b32 s34, 0x3f2aaaab
	v_cvt_f64_f32_e32 v[38:39], v37
	v_frexp_exp_i32_f64_e32 v38, v[38:39]
	v_cmp_gt_f32_e64 s[34:35], s34, v41
	s_nop 1
	v_subbrev_co_u32_e64 v46, s[34:35], 0, v38, s[34:35]
	v_sub_u32_e32 v38, 0, v46
	v_ldexp_f32 v37, v37, v38
	v_ldexp_f32 v38, v40, v38
	v_add_f32_e32 v40, -1.0, v37
	v_add_f32_e32 v39, 1.0, v40
	v_sub_f32_e32 v39, v37, v39
	v_add_f32_e32 v41, v38, v39
	v_add_f32_e32 v39, 1.0, v37
	v_add_f32_e32 v42, -1.0, v39
	v_sub_f32_e32 v37, v37, v42
	v_add_f32_e32 v37, v38, v37
	v_add_f32_e32 v47, v39, v37
	v_rcp_f32_e32 v48, v47
	v_sub_f32_e32 v38, v39, v47
	v_add_f32_e32 v39, v40, v41
	v_add_f32_e32 v37, v37, v38
	v_mul_f32_e32 v50, v39, v48
	v_sub_f32_e32 v38, v40, v39
	v_mul_f32_e32 v40, v47, v50
	v_fma_f32 v42, v50, v47, -v40
	v_fmac_f32_e32 v42, v50, v37
	v_add_f32_e32 v49, v41, v38
	v_add_f32_e32 v38, v40, v42
	v_sub_f32_e32 v41, v39, v38
	v_pk_add_f32 v[44:45], v[38:39], v[40:41] neg_lo:[0,1] neg_hi:[0,1]
	v_mov_b32_e32 v43, v38
	v_pk_add_f32 v[38:39], v[44:45], v[42:43] neg_lo:[0,1] neg_hi:[0,1]
	s_mov_b32 s34, 0x3f317218
	v_add_f32_e32 v39, v49, v39
	v_add_f32_e32 v38, v38, v39
	;; [unrolled: 1-line block ×3, first 2 shown]
	v_mul_f32_e32 v49, v48, v39
	v_mul_f32_e32 v40, v47, v49
	v_fma_f32 v42, v49, v47, -v40
	v_fmac_f32_e32 v42, v49, v37
	v_sub_f32_e32 v37, v41, v39
	v_add_f32_e32 v37, v38, v37
	v_add_f32_e32 v38, v40, v42
	v_sub_f32_e32 v41, v39, v38
	v_pk_add_f32 v[44:45], v[38:39], v[40:41] neg_lo:[0,1] neg_hi:[0,1]
	v_mov_b32_e32 v43, v38
	v_pk_add_f32 v[38:39], v[44:45], v[42:43] neg_lo:[0,1] neg_hi:[0,1]
	v_cvt_f32_i32_e32 v40, v46
	v_add_f32_e32 v37, v37, v39
	v_add_f32_e32 v37, v38, v37
	;; [unrolled: 1-line block ×4, first 2 shown]
	v_sub_f32_e32 v39, v38, v50
	v_mul_f32_e32 v37, v48, v37
	v_sub_f32_e32 v39, v49, v39
	v_add_f32_e32 v37, v39, v37
	v_add_f32_e32 v41, v38, v37
	v_mul_f32_e32 v42, v41, v41
	v_mov_b32_e32 v39, 0x3ecc95a3
	v_fmac_f32_e32 v39, 0x3e9b6dac, v42
	v_sub_f32_e32 v38, v41, v38
	v_fmaak_f32 v39, v42, v39, 0x3f2aaada
	v_sub_f32_e32 v37, v37, v38
	v_ldexp_f32 v43, v41, 1
	v_mul_f32_e32 v41, v41, v42
	v_mov_b32_e32 v38, 0x3f317218
	v_pk_mul_f32 v[38:39], v[40:41], v[38:39]
	v_ldexp_f32 v37, v37, 1
	v_fma_f32 v41, v40, s34, -v38
	v_fmamk_f32 v42, v40, 0xb102e308, v41
	v_pk_add_f32 v[40:41], v[38:39], v[42:43]
	v_mov_b32_e32 v44, v38
	v_sub_f32_e32 v43, v41, v43
	v_sub_f32_e32 v43, v39, v43
	v_add_f32_e32 v45, v37, v43
	v_pk_add_f32 v[38:39], v[40:41], v[38:39] neg_lo:[0,1] neg_hi:[0,1]
	v_pk_add_f32 v[46:47], v[40:41], v[44:45]
	v_mov_b32_e32 v43, v40
	v_mov_b32_e32 v39, v47
	v_pk_add_f32 v[48:49], v[42:43], v[38:39] neg_lo:[0,1] neg_hi:[0,1]
	v_pk_add_f32 v[38:39], v[42:43], v[38:39]
	v_mov_b32_e32 v44, v45
	v_pk_add_f32 v[42:43], v[38:39], v[40:41] op_sel:[1,0] op_sel_hi:[0,1] neg_lo:[0,1] neg_hi:[0,1]
	v_pk_add_f32 v[50:51], v[46:47], v[42:43] op_sel_hi:[1,0] neg_lo:[0,1] neg_hi:[0,1]
	v_mov_b32_e32 v46, v47
	v_mov_b32_e32 v47, v39
	v_pk_mov_b32 v[42:43], v[40:41], v[42:43] op_sel:[1,0]
	v_mov_b32_e32 v45, v40
	v_pk_add_f32 v[42:43], v[46:47], v[42:43] neg_lo:[0,1] neg_hi:[0,1]
	v_mov_b32_e32 v50, v48
	v_pk_add_f32 v[40:41], v[44:45], v[42:43] neg_lo:[0,1] neg_hi:[0,1]
	v_mov_b32_e32 v49, v39
	v_pk_add_f32 v[42:43], v[50:51], v[40:41]
	v_cmp_neq_f32_e64 s[34:35], s39, v7
	v_pk_add_f32 v[44:45], v[42:43], v[42:43] op_sel:[0,1] op_sel_hi:[1,0]
	s_nop 0
	v_pk_add_f32 v[38:39], v[38:39], v[44:45] op_sel:[1,0] op_sel_hi:[0,1]
	v_mov_b32_e32 v43, v38
	v_pk_add_f32 v[46:47], v[42:43], v[48:49] neg_lo:[0,1] neg_hi:[0,1]
	v_mov_b32_e32 v41, v44
	v_sub_f32_e32 v37, v42, v46
	v_pk_add_f32 v[40:41], v[40:41], v[46:47] neg_lo:[0,1] neg_hi:[0,1]
	v_sub_f32_e32 v37, v48, v37
	v_add_f32_e32 v37, v40, v37
	v_add_f32_e32 v37, v37, v41
	;; [unrolled: 1-line block ×3, first 2 shown]
	v_cndmask_b32_e64 v37, v52, v37, s[34:35]
	s_mov_b32 s34, 0x33800000
	v_cmp_lt_f32_e64 s[34:35], |v7|, s34
	s_nop 1
	v_cndmask_b32_e64 v7, v37, v7, s[34:35]
	v_add_f32_e32 v7, v6, v7
.LBB153_273:
	s_or_b64 exec, exec, s[36:37]
	v_cndmask_b32_e64 v7, v7, v36, s[4:5]
	; wave barrier
	ds_write_b32 v35, v7
	; wave barrier
	ds_read_b32 v6, v35 offset:4
	v_max_f32_e32 v37, v7, v7
	v_cmp_u_f32_e64 s[4:5], v7, v7
	s_waitcnt lgkmcnt(0)
	v_max_f32_e32 v38, v6, v6
	v_min_f32_e32 v36, v37, v38
	v_max_f32_e32 v37, v37, v38
	v_cndmask_b32_e64 v36, v36, v7, s[4:5]
	v_cmp_u_f32_e64 s[34:35], v6, v6
	v_cndmask_b32_e64 v37, v37, v7, s[4:5]
	s_nop 0
	v_cndmask_b32_e64 v36, v36, v6, s[34:35]
	v_cndmask_b32_e64 v6, v37, v6, s[34:35]
	v_cmp_neq_f32_e64 s[4:5], v36, v6
	v_cmp_class_f32_e64 s[34:35], v36, s38
	s_or_b64 s[4:5], s[4:5], s[34:35]
	s_and_saveexec_b64 s[34:35], s[4:5]
	s_cbranch_execz .LBB153_275
; %bb.274:
	v_sub_f32_e32 v7, v36, v6
	s_mov_b32 s4, 0x3fb8aa3b
	v_mul_f32_e32 v36, 0x3fb8aa3b, v7
	v_fma_f32 v37, v7, s4, -v36
	v_rndne_f32_e32 v38, v36
	v_fmamk_f32 v37, v7, 0x32a5705f, v37
	v_sub_f32_e32 v36, v36, v38
	v_add_f32_e32 v36, v36, v37
	v_exp_f32_e32 v36, v36
	v_cvt_i32_f32_e32 v37, v38
	s_mov_b32 s4, 0xc2ce8ed0
	v_cmp_ngt_f32_e64 s[4:5], s4, v7
	v_mov_b32_e32 v50, 0x7f800000
	v_ldexp_f32 v36, v36, v37
	v_cndmask_b32_e64 v36, 0, v36, s[4:5]
	s_mov_b32 s4, 0x42b17218
	v_cmp_nlt_f32_e64 s[4:5], s4, v7
	s_mov_b32 s36, 0x7f800000
	s_nop 0
	v_cndmask_b32_e64 v7, v50, v36, s[4:5]
	v_add_f32_e32 v38, 1.0, v7
	v_add_f32_e32 v36, -1.0, v38
	v_sub_f32_e32 v37, v36, v38
	v_add_f32_e32 v37, 1.0, v37
	v_sub_f32_e32 v36, v7, v36
	v_add_f32_e32 v39, v36, v37
	v_frexp_mant_f32_e32 v40, v38
	s_mov_b32 s4, 0x3f2aaaab
	v_cvt_f64_f32_e32 v[36:37], v38
	v_frexp_exp_i32_f64_e32 v36, v[36:37]
	v_cmp_gt_f32_e64 s[4:5], s4, v40
	s_nop 1
	v_subbrev_co_u32_e64 v44, s[4:5], 0, v36, s[4:5]
	v_sub_u32_e32 v36, 0, v44
	v_ldexp_f32 v37, v38, v36
	v_add_f32_e32 v38, -1.0, v37
	v_add_f32_e32 v40, 1.0, v37
	v_ldexp_f32 v36, v39, v36
	v_add_f32_e32 v39, 1.0, v38
	v_add_f32_e32 v41, -1.0, v40
	v_sub_f32_e32 v39, v37, v39
	v_sub_f32_e32 v37, v37, v41
	v_add_f32_e32 v39, v36, v39
	v_add_f32_e32 v36, v36, v37
	;; [unrolled: 1-line block ×3, first 2 shown]
	v_rcp_f32_e32 v47, v45
	v_sub_f32_e32 v37, v40, v45
	v_add_f32_e32 v46, v36, v37
	v_add_f32_e32 v37, v38, v39
	v_mul_f32_e32 v49, v37, v47
	v_sub_f32_e32 v36, v38, v37
	v_mul_f32_e32 v38, v45, v49
	v_fma_f32 v40, v49, v45, -v38
	v_fmac_f32_e32 v40, v49, v46
	v_add_f32_e32 v48, v39, v36
	v_add_f32_e32 v36, v38, v40
	v_sub_f32_e32 v39, v37, v36
	v_pk_add_f32 v[42:43], v[36:37], v[38:39] neg_lo:[0,1] neg_hi:[0,1]
	v_mov_b32_e32 v41, v36
	v_pk_add_f32 v[36:37], v[42:43], v[40:41] neg_lo:[0,1] neg_hi:[0,1]
	s_mov_b32 s4, 0x3f317218
	v_add_f32_e32 v37, v48, v37
	v_add_f32_e32 v36, v36, v37
	;; [unrolled: 1-line block ×3, first 2 shown]
	v_mul_f32_e32 v48, v47, v37
	v_mul_f32_e32 v38, v45, v48
	v_fma_f32 v40, v48, v45, -v38
	v_fmac_f32_e32 v40, v48, v46
	v_sub_f32_e32 v39, v39, v37
	v_add_f32_e32 v45, v36, v39
	v_add_f32_e32 v36, v38, v40
	v_sub_f32_e32 v39, v37, v36
	v_pk_add_f32 v[42:43], v[36:37], v[38:39] neg_lo:[0,1] neg_hi:[0,1]
	v_mov_b32_e32 v41, v36
	v_pk_add_f32 v[36:37], v[42:43], v[40:41] neg_lo:[0,1] neg_hi:[0,1]
	v_cvt_f32_i32_e32 v38, v44
	v_add_f32_e32 v37, v45, v37
	v_add_f32_e32 v36, v36, v37
	;; [unrolled: 1-line block ×4, first 2 shown]
	v_sub_f32_e32 v37, v39, v49
	v_mul_f32_e32 v36, v47, v36
	v_sub_f32_e32 v37, v48, v37
	v_add_f32_e32 v36, v37, v36
	v_add_f32_e32 v40, v39, v36
	v_mul_f32_e32 v42, v40, v40
	v_mov_b32_e32 v37, 0x3ecc95a3
	v_sub_f32_e32 v39, v40, v39
	v_fmac_f32_e32 v37, 0x3e9b6dac, v42
	v_sub_f32_e32 v36, v36, v39
	v_fmaak_f32 v37, v42, v37, 0x3f2aaada
	v_ldexp_f32 v43, v36, 1
	v_mul_f32_e32 v39, v40, v42
	v_mov_b32_e32 v36, 0x3f317218
	v_pk_mul_f32 v[36:37], v[38:39], v[36:37]
	v_ldexp_f32 v41, v40, 1
	v_fma_f32 v39, v38, s4, -v36
	v_fmamk_f32 v40, v38, 0xb102e308, v39
	v_pk_add_f32 v[38:39], v[36:37], v[40:41]
	v_mov_b32_e32 v42, v36
	v_sub_f32_e32 v41, v39, v41
	v_sub_f32_e32 v41, v37, v41
	v_add_f32_e32 v43, v43, v41
	v_pk_add_f32 v[36:37], v[38:39], v[36:37] neg_lo:[0,1] neg_hi:[0,1]
	v_pk_add_f32 v[44:45], v[38:39], v[42:43]
	v_mov_b32_e32 v41, v38
	v_mov_b32_e32 v37, v45
	v_pk_add_f32 v[46:47], v[40:41], v[36:37] neg_lo:[0,1] neg_hi:[0,1]
	v_pk_add_f32 v[36:37], v[40:41], v[36:37]
	v_mov_b32_e32 v42, v43
	v_pk_add_f32 v[40:41], v[36:37], v[38:39] op_sel:[1,0] op_sel_hi:[0,1] neg_lo:[0,1] neg_hi:[0,1]
	v_pk_add_f32 v[48:49], v[44:45], v[40:41] op_sel_hi:[1,0] neg_lo:[0,1] neg_hi:[0,1]
	v_mov_b32_e32 v44, v45
	v_mov_b32_e32 v45, v37
	v_pk_mov_b32 v[40:41], v[38:39], v[40:41] op_sel:[1,0]
	v_mov_b32_e32 v43, v38
	v_pk_add_f32 v[40:41], v[44:45], v[40:41] neg_lo:[0,1] neg_hi:[0,1]
	v_mov_b32_e32 v48, v46
	v_pk_add_f32 v[38:39], v[42:43], v[40:41] neg_lo:[0,1] neg_hi:[0,1]
	v_mov_b32_e32 v47, v37
	v_pk_add_f32 v[40:41], v[48:49], v[38:39]
	v_cmp_neq_f32_e64 s[4:5], s36, v7
	v_pk_add_f32 v[42:43], v[40:41], v[40:41] op_sel:[0,1] op_sel_hi:[1,0]
	s_nop 0
	v_pk_add_f32 v[36:37], v[36:37], v[42:43] op_sel:[1,0] op_sel_hi:[0,1]
	v_mov_b32_e32 v41, v36
	v_pk_add_f32 v[44:45], v[40:41], v[46:47] neg_lo:[0,1] neg_hi:[0,1]
	v_mov_b32_e32 v39, v42
	v_sub_f32_e32 v37, v40, v44
	v_pk_add_f32 v[38:39], v[38:39], v[44:45] neg_lo:[0,1] neg_hi:[0,1]
	v_sub_f32_e32 v37, v46, v37
	v_add_f32_e32 v37, v38, v37
	v_add_f32_e32 v37, v37, v39
	;; [unrolled: 1-line block ×3, first 2 shown]
	v_cndmask_b32_e64 v36, v50, v36, s[4:5]
	s_mov_b32 s4, 0x33800000
	v_cmp_lt_f32_e64 s[4:5], |v7|, s4
	s_nop 1
	v_cndmask_b32_e64 v7, v36, v7, s[4:5]
	v_add_f32_e32 v7, v6, v7
.LBB153_275:
	s_or_b64 exec, exec, s[34:35]
	ds_read_b32 v6, v35 offset:8
	v_max_f32_e32 v37, v7, v7
	v_cmp_u_f32_e64 s[4:5], v7, v7
	s_movk_i32 s36, 0x1f8
	ds_write_b32 v35, v7 offset:4
	s_waitcnt lgkmcnt(1)
	v_max_f32_e32 v38, v6, v6
	v_min_f32_e32 v36, v37, v38
	v_max_f32_e32 v37, v37, v38
	v_cndmask_b32_e64 v36, v36, v7, s[4:5]
	v_cmp_u_f32_e64 s[34:35], v6, v6
	v_cndmask_b32_e64 v37, v37, v7, s[4:5]
	s_nop 0
	v_cndmask_b32_e64 v36, v36, v6, s[34:35]
	v_cndmask_b32_e64 v6, v37, v6, s[34:35]
	v_cmp_neq_f32_e64 s[4:5], v36, v6
	v_cmp_class_f32_e64 s[34:35], v36, s36
	s_or_b64 s[4:5], s[4:5], s[34:35]
	s_and_saveexec_b64 s[34:35], s[4:5]
	s_cbranch_execz .LBB153_277
; %bb.276:
	v_sub_f32_e32 v7, v36, v6
	s_mov_b32 s4, 0x3fb8aa3b
	v_mul_f32_e32 v36, 0x3fb8aa3b, v7
	v_fma_f32 v37, v7, s4, -v36
	v_rndne_f32_e32 v38, v36
	v_fmamk_f32 v37, v7, 0x32a5705f, v37
	v_sub_f32_e32 v36, v36, v38
	v_add_f32_e32 v36, v36, v37
	v_exp_f32_e32 v36, v36
	v_cvt_i32_f32_e32 v37, v38
	s_mov_b32 s4, 0xc2ce8ed0
	v_cmp_ngt_f32_e64 s[4:5], s4, v7
	v_mov_b32_e32 v50, 0x7f800000
	v_ldexp_f32 v36, v36, v37
	v_cndmask_b32_e64 v36, 0, v36, s[4:5]
	s_mov_b32 s4, 0x42b17218
	v_cmp_nlt_f32_e64 s[4:5], s4, v7
	s_mov_b32 s37, 0x7f800000
	s_nop 0
	v_cndmask_b32_e64 v7, v50, v36, s[4:5]
	v_add_f32_e32 v38, 1.0, v7
	v_add_f32_e32 v36, -1.0, v38
	v_sub_f32_e32 v37, v36, v38
	v_add_f32_e32 v37, 1.0, v37
	v_sub_f32_e32 v36, v7, v36
	v_add_f32_e32 v39, v36, v37
	v_frexp_mant_f32_e32 v40, v38
	s_mov_b32 s4, 0x3f2aaaab
	v_cvt_f64_f32_e32 v[36:37], v38
	v_frexp_exp_i32_f64_e32 v36, v[36:37]
	v_cmp_gt_f32_e64 s[4:5], s4, v40
	s_nop 1
	v_subbrev_co_u32_e64 v44, s[4:5], 0, v36, s[4:5]
	v_sub_u32_e32 v36, 0, v44
	v_ldexp_f32 v37, v38, v36
	v_add_f32_e32 v38, -1.0, v37
	v_add_f32_e32 v40, 1.0, v37
	v_ldexp_f32 v36, v39, v36
	v_add_f32_e32 v39, 1.0, v38
	v_add_f32_e32 v41, -1.0, v40
	v_sub_f32_e32 v39, v37, v39
	v_sub_f32_e32 v37, v37, v41
	v_add_f32_e32 v39, v36, v39
	v_add_f32_e32 v36, v36, v37
	;; [unrolled: 1-line block ×3, first 2 shown]
	v_rcp_f32_e32 v47, v45
	v_sub_f32_e32 v37, v40, v45
	v_add_f32_e32 v46, v36, v37
	v_add_f32_e32 v37, v38, v39
	v_mul_f32_e32 v49, v37, v47
	v_sub_f32_e32 v36, v38, v37
	v_mul_f32_e32 v38, v45, v49
	v_fma_f32 v40, v49, v45, -v38
	v_fmac_f32_e32 v40, v49, v46
	v_add_f32_e32 v48, v39, v36
	v_add_f32_e32 v36, v38, v40
	v_sub_f32_e32 v39, v37, v36
	v_pk_add_f32 v[42:43], v[36:37], v[38:39] neg_lo:[0,1] neg_hi:[0,1]
	v_mov_b32_e32 v41, v36
	v_pk_add_f32 v[36:37], v[42:43], v[40:41] neg_lo:[0,1] neg_hi:[0,1]
	s_mov_b32 s4, 0x3f317218
	v_add_f32_e32 v37, v48, v37
	v_add_f32_e32 v36, v36, v37
	;; [unrolled: 1-line block ×3, first 2 shown]
	v_mul_f32_e32 v48, v47, v37
	v_mul_f32_e32 v38, v45, v48
	v_fma_f32 v40, v48, v45, -v38
	v_fmac_f32_e32 v40, v48, v46
	v_sub_f32_e32 v39, v39, v37
	v_add_f32_e32 v45, v36, v39
	v_add_f32_e32 v36, v38, v40
	v_sub_f32_e32 v39, v37, v36
	v_pk_add_f32 v[42:43], v[36:37], v[38:39] neg_lo:[0,1] neg_hi:[0,1]
	v_mov_b32_e32 v41, v36
	v_pk_add_f32 v[36:37], v[42:43], v[40:41] neg_lo:[0,1] neg_hi:[0,1]
	v_cvt_f32_i32_e32 v38, v44
	v_add_f32_e32 v37, v45, v37
	v_add_f32_e32 v36, v36, v37
	;; [unrolled: 1-line block ×4, first 2 shown]
	v_sub_f32_e32 v37, v39, v49
	v_mul_f32_e32 v36, v47, v36
	v_sub_f32_e32 v37, v48, v37
	v_add_f32_e32 v36, v37, v36
	v_add_f32_e32 v40, v39, v36
	v_mul_f32_e32 v42, v40, v40
	v_mov_b32_e32 v37, 0x3ecc95a3
	v_sub_f32_e32 v39, v40, v39
	v_fmac_f32_e32 v37, 0x3e9b6dac, v42
	v_sub_f32_e32 v36, v36, v39
	v_fmaak_f32 v37, v42, v37, 0x3f2aaada
	v_ldexp_f32 v43, v36, 1
	v_mul_f32_e32 v39, v40, v42
	v_mov_b32_e32 v36, 0x3f317218
	v_pk_mul_f32 v[36:37], v[38:39], v[36:37]
	v_ldexp_f32 v41, v40, 1
	v_fma_f32 v39, v38, s4, -v36
	v_fmamk_f32 v40, v38, 0xb102e308, v39
	v_pk_add_f32 v[38:39], v[36:37], v[40:41]
	v_mov_b32_e32 v42, v36
	v_sub_f32_e32 v41, v39, v41
	v_sub_f32_e32 v41, v37, v41
	v_add_f32_e32 v43, v43, v41
	v_pk_add_f32 v[36:37], v[38:39], v[36:37] neg_lo:[0,1] neg_hi:[0,1]
	v_pk_add_f32 v[44:45], v[38:39], v[42:43]
	v_mov_b32_e32 v41, v38
	v_mov_b32_e32 v37, v45
	v_pk_add_f32 v[46:47], v[40:41], v[36:37] neg_lo:[0,1] neg_hi:[0,1]
	v_pk_add_f32 v[36:37], v[40:41], v[36:37]
	v_mov_b32_e32 v42, v43
	v_pk_add_f32 v[40:41], v[36:37], v[38:39] op_sel:[1,0] op_sel_hi:[0,1] neg_lo:[0,1] neg_hi:[0,1]
	v_pk_add_f32 v[48:49], v[44:45], v[40:41] op_sel_hi:[1,0] neg_lo:[0,1] neg_hi:[0,1]
	v_mov_b32_e32 v44, v45
	v_mov_b32_e32 v45, v37
	v_pk_mov_b32 v[40:41], v[38:39], v[40:41] op_sel:[1,0]
	v_mov_b32_e32 v43, v38
	v_pk_add_f32 v[40:41], v[44:45], v[40:41] neg_lo:[0,1] neg_hi:[0,1]
	v_mov_b32_e32 v48, v46
	v_pk_add_f32 v[38:39], v[42:43], v[40:41] neg_lo:[0,1] neg_hi:[0,1]
	v_mov_b32_e32 v47, v37
	v_pk_add_f32 v[40:41], v[48:49], v[38:39]
	v_cmp_neq_f32_e64 s[4:5], s37, v7
	v_pk_add_f32 v[42:43], v[40:41], v[40:41] op_sel:[0,1] op_sel_hi:[1,0]
	s_nop 0
	v_pk_add_f32 v[36:37], v[36:37], v[42:43] op_sel:[1,0] op_sel_hi:[0,1]
	v_mov_b32_e32 v41, v36
	v_pk_add_f32 v[44:45], v[40:41], v[46:47] neg_lo:[0,1] neg_hi:[0,1]
	v_mov_b32_e32 v39, v42
	v_sub_f32_e32 v37, v40, v44
	v_pk_add_f32 v[38:39], v[38:39], v[44:45] neg_lo:[0,1] neg_hi:[0,1]
	v_sub_f32_e32 v37, v46, v37
	v_add_f32_e32 v37, v38, v37
	v_add_f32_e32 v37, v37, v39
	;; [unrolled: 1-line block ×3, first 2 shown]
	v_cndmask_b32_e64 v36, v50, v36, s[4:5]
	s_mov_b32 s4, 0x33800000
	v_cmp_lt_f32_e64 s[4:5], |v7|, s4
	s_nop 1
	v_cndmask_b32_e64 v7, v36, v7, s[4:5]
	v_add_f32_e32 v7, v6, v7
.LBB153_277:
	s_or_b64 exec, exec, s[34:35]
	ds_read_b32 v6, v35 offset:12
	v_max_f32_e32 v37, v7, v7
	v_cmp_u_f32_e64 s[4:5], v7, v7
	ds_write_b32 v35, v7 offset:8
	s_waitcnt lgkmcnt(1)
	v_max_f32_e32 v38, v6, v6
	v_min_f32_e32 v36, v37, v38
	v_max_f32_e32 v37, v37, v38
	v_cndmask_b32_e64 v36, v36, v7, s[4:5]
	v_cmp_u_f32_e64 s[34:35], v6, v6
	v_cndmask_b32_e64 v37, v37, v7, s[4:5]
	s_nop 0
	v_cndmask_b32_e64 v36, v36, v6, s[34:35]
	v_cndmask_b32_e64 v6, v37, v6, s[34:35]
	v_cmp_neq_f32_e64 s[4:5], v36, v6
	v_cmp_class_f32_e64 s[34:35], v36, s36
	s_or_b64 s[4:5], s[4:5], s[34:35]
	s_and_saveexec_b64 s[34:35], s[4:5]
	s_cbranch_execz .LBB153_279
; %bb.278:
	v_sub_f32_e32 v7, v36, v6
	s_mov_b32 s4, 0x3fb8aa3b
	v_mul_f32_e32 v36, 0x3fb8aa3b, v7
	v_fma_f32 v37, v7, s4, -v36
	v_rndne_f32_e32 v38, v36
	v_fmamk_f32 v37, v7, 0x32a5705f, v37
	v_sub_f32_e32 v36, v36, v38
	v_add_f32_e32 v36, v36, v37
	v_exp_f32_e32 v36, v36
	v_cvt_i32_f32_e32 v37, v38
	s_mov_b32 s4, 0xc2ce8ed0
	v_cmp_ngt_f32_e64 s[4:5], s4, v7
	v_mov_b32_e32 v50, 0x7f800000
	v_ldexp_f32 v36, v36, v37
	v_cndmask_b32_e64 v36, 0, v36, s[4:5]
	s_mov_b32 s4, 0x42b17218
	v_cmp_nlt_f32_e64 s[4:5], s4, v7
	s_mov_b32 s36, 0x7f800000
	s_nop 0
	v_cndmask_b32_e64 v7, v50, v36, s[4:5]
	v_add_f32_e32 v38, 1.0, v7
	v_add_f32_e32 v36, -1.0, v38
	v_sub_f32_e32 v37, v36, v38
	v_add_f32_e32 v37, 1.0, v37
	v_sub_f32_e32 v36, v7, v36
	v_add_f32_e32 v39, v36, v37
	v_frexp_mant_f32_e32 v40, v38
	s_mov_b32 s4, 0x3f2aaaab
	v_cvt_f64_f32_e32 v[36:37], v38
	v_frexp_exp_i32_f64_e32 v36, v[36:37]
	v_cmp_gt_f32_e64 s[4:5], s4, v40
	s_nop 1
	v_subbrev_co_u32_e64 v44, s[4:5], 0, v36, s[4:5]
	v_sub_u32_e32 v36, 0, v44
	v_ldexp_f32 v37, v38, v36
	v_add_f32_e32 v38, -1.0, v37
	v_add_f32_e32 v40, 1.0, v37
	v_ldexp_f32 v36, v39, v36
	v_add_f32_e32 v39, 1.0, v38
	v_add_f32_e32 v41, -1.0, v40
	v_sub_f32_e32 v39, v37, v39
	v_sub_f32_e32 v37, v37, v41
	v_add_f32_e32 v39, v36, v39
	v_add_f32_e32 v36, v36, v37
	;; [unrolled: 1-line block ×3, first 2 shown]
	v_rcp_f32_e32 v47, v45
	v_sub_f32_e32 v37, v40, v45
	v_add_f32_e32 v46, v36, v37
	v_add_f32_e32 v37, v38, v39
	v_mul_f32_e32 v49, v37, v47
	v_sub_f32_e32 v36, v38, v37
	v_mul_f32_e32 v38, v45, v49
	v_fma_f32 v40, v49, v45, -v38
	v_fmac_f32_e32 v40, v49, v46
	v_add_f32_e32 v48, v39, v36
	v_add_f32_e32 v36, v38, v40
	v_sub_f32_e32 v39, v37, v36
	v_pk_add_f32 v[42:43], v[36:37], v[38:39] neg_lo:[0,1] neg_hi:[0,1]
	v_mov_b32_e32 v41, v36
	v_pk_add_f32 v[36:37], v[42:43], v[40:41] neg_lo:[0,1] neg_hi:[0,1]
	s_mov_b32 s4, 0x3f317218
	v_add_f32_e32 v37, v48, v37
	v_add_f32_e32 v36, v36, v37
	;; [unrolled: 1-line block ×3, first 2 shown]
	v_mul_f32_e32 v48, v47, v37
	v_mul_f32_e32 v38, v45, v48
	v_fma_f32 v40, v48, v45, -v38
	v_fmac_f32_e32 v40, v48, v46
	v_sub_f32_e32 v39, v39, v37
	v_add_f32_e32 v45, v36, v39
	v_add_f32_e32 v36, v38, v40
	v_sub_f32_e32 v39, v37, v36
	v_pk_add_f32 v[42:43], v[36:37], v[38:39] neg_lo:[0,1] neg_hi:[0,1]
	v_mov_b32_e32 v41, v36
	v_pk_add_f32 v[36:37], v[42:43], v[40:41] neg_lo:[0,1] neg_hi:[0,1]
	v_cvt_f32_i32_e32 v38, v44
	v_add_f32_e32 v37, v45, v37
	v_add_f32_e32 v36, v36, v37
	;; [unrolled: 1-line block ×4, first 2 shown]
	v_sub_f32_e32 v37, v39, v49
	v_mul_f32_e32 v36, v47, v36
	v_sub_f32_e32 v37, v48, v37
	v_add_f32_e32 v36, v37, v36
	v_add_f32_e32 v40, v39, v36
	v_mul_f32_e32 v42, v40, v40
	v_mov_b32_e32 v37, 0x3ecc95a3
	v_sub_f32_e32 v39, v40, v39
	v_fmac_f32_e32 v37, 0x3e9b6dac, v42
	v_sub_f32_e32 v36, v36, v39
	v_fmaak_f32 v37, v42, v37, 0x3f2aaada
	v_ldexp_f32 v43, v36, 1
	v_mul_f32_e32 v39, v40, v42
	v_mov_b32_e32 v36, 0x3f317218
	v_pk_mul_f32 v[36:37], v[38:39], v[36:37]
	v_ldexp_f32 v41, v40, 1
	v_fma_f32 v39, v38, s4, -v36
	v_fmamk_f32 v40, v38, 0xb102e308, v39
	v_pk_add_f32 v[38:39], v[36:37], v[40:41]
	v_mov_b32_e32 v42, v36
	v_sub_f32_e32 v41, v39, v41
	v_sub_f32_e32 v41, v37, v41
	v_add_f32_e32 v43, v43, v41
	v_pk_add_f32 v[36:37], v[38:39], v[36:37] neg_lo:[0,1] neg_hi:[0,1]
	v_pk_add_f32 v[44:45], v[38:39], v[42:43]
	v_mov_b32_e32 v41, v38
	v_mov_b32_e32 v37, v45
	v_pk_add_f32 v[46:47], v[40:41], v[36:37] neg_lo:[0,1] neg_hi:[0,1]
	v_pk_add_f32 v[36:37], v[40:41], v[36:37]
	v_mov_b32_e32 v42, v43
	v_pk_add_f32 v[40:41], v[36:37], v[38:39] op_sel:[1,0] op_sel_hi:[0,1] neg_lo:[0,1] neg_hi:[0,1]
	v_pk_add_f32 v[48:49], v[44:45], v[40:41] op_sel_hi:[1,0] neg_lo:[0,1] neg_hi:[0,1]
	v_mov_b32_e32 v44, v45
	v_mov_b32_e32 v45, v37
	v_pk_mov_b32 v[40:41], v[38:39], v[40:41] op_sel:[1,0]
	v_mov_b32_e32 v43, v38
	v_pk_add_f32 v[40:41], v[44:45], v[40:41] neg_lo:[0,1] neg_hi:[0,1]
	v_mov_b32_e32 v48, v46
	v_pk_add_f32 v[38:39], v[42:43], v[40:41] neg_lo:[0,1] neg_hi:[0,1]
	v_mov_b32_e32 v47, v37
	v_pk_add_f32 v[40:41], v[48:49], v[38:39]
	v_cmp_neq_f32_e64 s[4:5], s36, v7
	v_pk_add_f32 v[42:43], v[40:41], v[40:41] op_sel:[0,1] op_sel_hi:[1,0]
	s_nop 0
	v_pk_add_f32 v[36:37], v[36:37], v[42:43] op_sel:[1,0] op_sel_hi:[0,1]
	v_mov_b32_e32 v41, v36
	v_pk_add_f32 v[44:45], v[40:41], v[46:47] neg_lo:[0,1] neg_hi:[0,1]
	v_mov_b32_e32 v39, v42
	v_sub_f32_e32 v37, v40, v44
	v_pk_add_f32 v[38:39], v[38:39], v[44:45] neg_lo:[0,1] neg_hi:[0,1]
	v_sub_f32_e32 v37, v46, v37
	v_add_f32_e32 v37, v38, v37
	v_add_f32_e32 v37, v37, v39
	;; [unrolled: 1-line block ×3, first 2 shown]
	v_cndmask_b32_e64 v36, v50, v36, s[4:5]
	s_mov_b32 s4, 0x33800000
	v_cmp_lt_f32_e64 s[4:5], |v7|, s4
	s_nop 1
	v_cndmask_b32_e64 v7, v36, v7, s[4:5]
	v_add_f32_e32 v7, v6, v7
.LBB153_279:
	s_or_b64 exec, exec, s[34:35]
	ds_write_b32 v35, v7 offset:12
.LBB153_280:
	s_or_b64 exec, exec, s[40:41]
	s_waitcnt lgkmcnt(0)
	s_barrier
	s_and_saveexec_b64 s[4:5], s[2:3]
	s_cbranch_execz .LBB153_284
; %bb.281:
	v_add_u32_e32 v6, -1, v0
	v_lshrrev_b32_e32 v7, 3, v6
	v_and_b32_e32 v7, 0x1ffffffc, v7
	v_lshl_add_u32 v6, v6, 2, v7
	ds_read_b32 v6, v6
	s_waitcnt lgkmcnt(0)
	v_max_f32_e32 v7, v6, v6
	v_min_f32_e32 v21, v7, v31
	v_max_f32_e32 v7, v7, v31
	v_cmp_u_f32_e64 s[2:3], v6, v6
	s_nop 1
	v_cndmask_b32_e64 v21, v21, v6, s[2:3]
	v_cndmask_b32_e64 v31, v7, v6, s[2:3]
	v_cndmask_b32_e64 v7, v21, v2, s[30:31]
	v_cndmask_b32_e64 v2, v31, v2, s[30:31]
	s_movk_i32 s30, 0x1f8
	v_cmp_neq_f32_e64 s[2:3], v7, v2
	v_cmp_class_f32_e64 s[30:31], v7, s30
	s_or_b64 s[2:3], s[2:3], s[30:31]
	s_and_saveexec_b64 s[30:31], s[2:3]
	s_cbranch_execz .LBB153_283
; %bb.282:
	v_sub_f32_e32 v6, v7, v2
	s_mov_b32 s2, 0x3fb8aa3b
	v_mul_f32_e32 v7, 0x3fb8aa3b, v6
	v_fma_f32 v21, v6, s2, -v7
	v_rndne_f32_e32 v31, v7
	v_fmamk_f32 v21, v6, 0x32a5705f, v21
	v_sub_f32_e32 v7, v7, v31
	v_add_f32_e32 v7, v7, v21
	v_exp_f32_e32 v7, v7
	v_cvt_i32_f32_e32 v21, v31
	s_mov_b32 s2, 0xc2ce8ed0
	v_cmp_ngt_f32_e64 s[2:3], s2, v6
	s_mov_b32 s34, 0x7f800000
	v_ldexp_f32 v7, v7, v21
	v_cndmask_b32_e64 v7, 0, v7, s[2:3]
	s_mov_b32 s2, 0x42b17218
	v_mov_b32_e32 v21, 0x7f800000
	v_cmp_nlt_f32_e64 s[2:3], s2, v6
	s_nop 1
	v_cndmask_b32_e64 v31, v21, v7, s[2:3]
	v_add_f32_e32 v34, 1.0, v31
	v_add_f32_e32 v6, -1.0, v34
	v_sub_f32_e32 v7, v6, v34
	v_add_f32_e32 v7, 1.0, v7
	v_sub_f32_e32 v6, v31, v6
	v_add_f32_e32 v35, v6, v7
	v_frexp_mant_f32_e32 v36, v34
	s_mov_b32 s2, 0x3f2aaaab
	v_cvt_f64_f32_e32 v[6:7], v34
	v_frexp_exp_i32_f64_e32 v6, v[6:7]
	v_cmp_gt_f32_e64 s[2:3], s2, v36
	s_nop 1
	v_subbrev_co_u32_e64 v40, s[2:3], 0, v6, s[2:3]
	v_sub_u32_e32 v6, 0, v40
	v_ldexp_f32 v7, v34, v6
	v_add_f32_e32 v34, -1.0, v7
	v_add_f32_e32 v36, 1.0, v7
	v_ldexp_f32 v6, v35, v6
	v_add_f32_e32 v35, 1.0, v34
	v_add_f32_e32 v37, -1.0, v36
	v_sub_f32_e32 v35, v7, v35
	v_sub_f32_e32 v7, v7, v37
	v_add_f32_e32 v35, v6, v35
	v_add_f32_e32 v6, v6, v7
	;; [unrolled: 1-line block ×3, first 2 shown]
	v_rcp_f32_e32 v43, v41
	v_sub_f32_e32 v7, v36, v41
	v_add_f32_e32 v42, v6, v7
	v_add_f32_e32 v7, v34, v35
	v_mul_f32_e32 v45, v7, v43
	v_sub_f32_e32 v6, v34, v7
	v_mul_f32_e32 v34, v41, v45
	v_fma_f32 v36, v45, v41, -v34
	v_fmac_f32_e32 v36, v45, v42
	v_add_f32_e32 v44, v35, v6
	v_add_f32_e32 v6, v34, v36
	v_sub_f32_e32 v35, v7, v6
	v_pk_add_f32 v[38:39], v[6:7], v[34:35] neg_lo:[0,1] neg_hi:[0,1]
	v_mov_b32_e32 v37, v6
	v_pk_add_f32 v[6:7], v[38:39], v[36:37] neg_lo:[0,1] neg_hi:[0,1]
	s_mov_b32 s2, 0x3f317218
	v_add_f32_e32 v7, v44, v7
	v_add_f32_e32 v6, v6, v7
	;; [unrolled: 1-line block ×3, first 2 shown]
	v_mul_f32_e32 v44, v43, v7
	v_mul_f32_e32 v34, v41, v44
	v_fma_f32 v36, v44, v41, -v34
	v_fmac_f32_e32 v36, v44, v42
	v_sub_f32_e32 v35, v35, v7
	v_add_f32_e32 v41, v6, v35
	v_add_f32_e32 v6, v34, v36
	v_sub_f32_e32 v35, v7, v6
	v_pk_add_f32 v[38:39], v[6:7], v[34:35] neg_lo:[0,1] neg_hi:[0,1]
	v_mov_b32_e32 v37, v6
	v_pk_add_f32 v[6:7], v[38:39], v[36:37] neg_lo:[0,1] neg_hi:[0,1]
	v_cvt_f32_i32_e32 v34, v40
	v_add_f32_e32 v7, v41, v7
	v_add_f32_e32 v6, v6, v7
	v_add_f32_e32 v6, v35, v6
	v_add_f32_e32 v35, v45, v44
	v_sub_f32_e32 v7, v35, v45
	v_mul_f32_e32 v6, v43, v6
	v_sub_f32_e32 v7, v44, v7
	v_add_f32_e32 v6, v7, v6
	v_add_f32_e32 v36, v35, v6
	v_mul_f32_e32 v38, v36, v36
	v_mov_b32_e32 v7, 0x3ecc95a3
	v_sub_f32_e32 v35, v36, v35
	v_fmac_f32_e32 v7, 0x3e9b6dac, v38
	v_sub_f32_e32 v6, v6, v35
	v_fmaak_f32 v7, v38, v7, 0x3f2aaada
	v_ldexp_f32 v39, v6, 1
	v_mul_f32_e32 v35, v36, v38
	v_mov_b32_e32 v6, 0x3f317218
	v_pk_mul_f32 v[6:7], v[34:35], v[6:7]
	v_ldexp_f32 v37, v36, 1
	v_fma_f32 v35, v34, s2, -v6
	v_fmamk_f32 v36, v34, 0xb102e308, v35
	v_pk_add_f32 v[34:35], v[6:7], v[36:37]
	v_mov_b32_e32 v38, v6
	v_sub_f32_e32 v37, v35, v37
	v_sub_f32_e32 v37, v7, v37
	v_add_f32_e32 v39, v39, v37
	v_pk_add_f32 v[6:7], v[34:35], v[6:7] neg_lo:[0,1] neg_hi:[0,1]
	v_pk_add_f32 v[40:41], v[34:35], v[38:39]
	v_mov_b32_e32 v37, v34
	v_mov_b32_e32 v7, v41
	v_pk_add_f32 v[42:43], v[36:37], v[6:7] neg_lo:[0,1] neg_hi:[0,1]
	v_pk_add_f32 v[6:7], v[36:37], v[6:7]
	v_mov_b32_e32 v38, v39
	v_pk_add_f32 v[36:37], v[6:7], v[34:35] op_sel:[1,0] op_sel_hi:[0,1] neg_lo:[0,1] neg_hi:[0,1]
	v_pk_add_f32 v[44:45], v[40:41], v[36:37] op_sel_hi:[1,0] neg_lo:[0,1] neg_hi:[0,1]
	v_mov_b32_e32 v40, v41
	v_mov_b32_e32 v41, v7
	v_pk_mov_b32 v[36:37], v[34:35], v[36:37] op_sel:[1,0]
	v_mov_b32_e32 v39, v34
	v_pk_add_f32 v[36:37], v[40:41], v[36:37] neg_lo:[0,1] neg_hi:[0,1]
	v_mov_b32_e32 v44, v42
	v_pk_add_f32 v[34:35], v[38:39], v[36:37] neg_lo:[0,1] neg_hi:[0,1]
	v_mov_b32_e32 v43, v7
	v_pk_add_f32 v[36:37], v[44:45], v[34:35]
	v_cmp_neq_f32_e64 s[2:3], s34, v31
	v_pk_add_f32 v[38:39], v[36:37], v[36:37] op_sel:[0,1] op_sel_hi:[1,0]
	s_nop 0
	v_pk_add_f32 v[6:7], v[6:7], v[38:39] op_sel:[1,0] op_sel_hi:[0,1]
	v_mov_b32_e32 v37, v6
	v_pk_add_f32 v[40:41], v[36:37], v[42:43] neg_lo:[0,1] neg_hi:[0,1]
	v_mov_b32_e32 v35, v38
	v_sub_f32_e32 v7, v36, v40
	v_pk_add_f32 v[34:35], v[34:35], v[40:41] neg_lo:[0,1] neg_hi:[0,1]
	v_sub_f32_e32 v7, v42, v7
	v_add_f32_e32 v7, v34, v7
	v_add_f32_e32 v7, v7, v35
	;; [unrolled: 1-line block ×3, first 2 shown]
	v_cndmask_b32_e64 v6, v21, v6, s[2:3]
	s_mov_b32 s2, 0x33800000
	v_cmp_lt_f32_e64 s[2:3], |v31|, s2
	s_nop 1
	v_cndmask_b32_e64 v6, v6, v31, s[2:3]
	v_add_f32_e32 v6, v2, v6
.LBB153_283:
	s_or_b64 exec, exec, s[30:31]
	v_max_f32_e32 v2, v6, v6
	v_min_f32_e32 v21, v2, v14
	v_max_f32_e32 v34, v2, v14
	v_mov_b32_e32 v2, v6
	;;#ASMSTART
	;;#ASMEND
.LBB153_284:
	s_or_b64 exec, exec, s[4:5]
	v_cmp_u_f32_e64 s[2:3], v2, v2
	s_movk_i32 s4, 0x1f8
	s_nop 0
	v_cndmask_b32_e64 v6, v21, v2, s[2:3]
	v_cndmask_b32_e32 v7, v6, v3, vcc
	v_cndmask_b32_e64 v6, v34, v2, s[2:3]
	v_cndmask_b32_e32 v6, v6, v3, vcc
	v_cmp_neq_f32_e32 vcc, v7, v6
	v_cmp_class_f32_e64 s[2:3], v7, s4
	s_or_b64 s[30:31], vcc, s[2:3]
	v_mov_b32_e32 v3, v2
	s_and_saveexec_b64 s[2:3], s[30:31]
	s_cbranch_execz .LBB153_286
; %bb.285:
	v_sub_f32_e32 v3, v7, v6
	s_mov_b32 s5, 0x3fb8aa3b
	v_mul_f32_e32 v7, 0x3fb8aa3b, v3
	v_fma_f32 v14, v3, s5, -v7
	v_rndne_f32_e32 v21, v7
	v_fmamk_f32 v14, v3, 0x32a5705f, v14
	v_sub_f32_e32 v7, v7, v21
	v_add_f32_e32 v7, v7, v14
	v_exp_f32_e32 v7, v7
	v_cvt_i32_f32_e32 v14, v21
	s_mov_b32 s5, 0xc2ce8ed0
	v_cmp_ngt_f32_e32 vcc, s5, v3
	s_mov_b32 s5, 0x42b17218
	v_ldexp_f32 v7, v7, v14
	v_cndmask_b32_e32 v7, 0, v7, vcc
	v_mov_b32_e32 v14, 0x7f800000
	v_cmp_nlt_f32_e32 vcc, s5, v3
	s_mov_b32 s5, 0x3f2aaaab
	s_mov_b32 s30, 0x7f800000
	v_cndmask_b32_e32 v3, v14, v7, vcc
	v_add_f32_e32 v7, 1.0, v3
	v_add_f32_e32 v21, -1.0, v7
	v_sub_f32_e32 v31, v21, v7
	v_add_f32_e32 v31, 1.0, v31
	v_sub_f32_e32 v21, v3, v21
	v_add_f32_e32 v21, v21, v31
	v_frexp_mant_f32_e32 v31, v7
	v_cvt_f64_f32_e32 v[34:35], v7
	v_frexp_exp_i32_f64_e32 v34, v[34:35]
	v_cmp_gt_f32_e32 vcc, s5, v31
	s_mov_b32 s5, 0x3f317218
	s_nop 0
	v_subbrev_co_u32_e32 v31, vcc, 0, v34, vcc
	v_sub_u32_e32 v34, 0, v31
	v_ldexp_f32 v7, v7, v34
	v_ldexp_f32 v21, v21, v34
	v_add_f32_e32 v34, -1.0, v7
	v_add_f32_e32 v35, 1.0, v34
	v_sub_f32_e32 v35, v7, v35
	v_add_f32_e32 v36, v21, v35
	v_add_f32_e32 v35, 1.0, v7
	v_add_f32_e32 v37, -1.0, v35
	v_sub_f32_e32 v7, v7, v37
	v_add_f32_e32 v7, v21, v7
	v_add_f32_e32 v21, v35, v7
	v_rcp_f32_e32 v42, v21
	v_sub_f32_e32 v35, v35, v21
	v_add_f32_e32 v7, v7, v35
	v_add_f32_e32 v35, v34, v36
	v_sub_f32_e32 v34, v34, v35
	v_mul_f32_e32 v44, v35, v42
	v_add_f32_e32 v43, v36, v34
	v_mul_f32_e32 v36, v21, v44
	v_fma_f32 v38, v44, v21, -v36
	v_fmac_f32_e32 v38, v44, v7
	v_add_f32_e32 v34, v36, v38
	v_sub_f32_e32 v37, v35, v34
	v_pk_add_f32 v[40:41], v[34:35], v[36:37] neg_lo:[0,1] neg_hi:[0,1]
	v_mov_b32_e32 v39, v34
	v_pk_add_f32 v[34:35], v[40:41], v[38:39] neg_lo:[0,1] neg_hi:[0,1]
	v_cmp_neq_f32_e32 vcc, s30, v3
	v_add_f32_e32 v35, v43, v35
	v_add_f32_e32 v34, v34, v35
	;; [unrolled: 1-line block ×3, first 2 shown]
	v_mul_f32_e32 v43, v42, v35
	v_mul_f32_e32 v36, v21, v43
	v_fma_f32 v38, v43, v21, -v36
	v_fmac_f32_e32 v38, v43, v7
	v_sub_f32_e32 v7, v37, v35
	v_add_f32_e32 v7, v34, v7
	v_add_f32_e32 v34, v36, v38
	v_sub_f32_e32 v37, v35, v34
	v_pk_add_f32 v[40:41], v[34:35], v[36:37] neg_lo:[0,1] neg_hi:[0,1]
	v_mov_b32_e32 v39, v34
	v_pk_add_f32 v[34:35], v[40:41], v[38:39] neg_lo:[0,1] neg_hi:[0,1]
	v_add_f32_e32 v21, v44, v43
	v_add_f32_e32 v7, v7, v35
	;; [unrolled: 1-line block ×4, first 2 shown]
	v_sub_f32_e32 v34, v21, v44
	v_mul_f32_e32 v7, v42, v7
	v_sub_f32_e32 v34, v43, v34
	v_add_f32_e32 v7, v34, v7
	v_add_f32_e32 v34, v21, v7
	v_cvt_f32_i32_e32 v36, v31
	v_mul_f32_e32 v37, v34, v34
	v_mov_b32_e32 v35, 0x3ecc95a3
	v_fmac_f32_e32 v35, 0x3e9b6dac, v37
	v_fmaak_f32 v35, v37, v35, 0x3f2aaada
	v_sub_f32_e32 v21, v34, v21
	v_ldexp_f32 v39, v34, 1
	v_mul_f32_e32 v37, v34, v37
	v_mov_b32_e32 v34, 0x3f317218
	v_pk_mul_f32 v[34:35], v[36:37], v[34:35]
	v_sub_f32_e32 v7, v7, v21
	v_fma_f32 v21, v36, s5, -v34
	v_fmamk_f32 v38, v36, 0xb102e308, v21
	v_pk_add_f32 v[36:37], v[34:35], v[38:39]
	v_ldexp_f32 v7, v7, 1
	v_sub_f32_e32 v21, v37, v39
	v_sub_f32_e32 v21, v35, v21
	v_add_f32_e32 v41, v7, v21
	v_mov_b32_e32 v40, v34
	v_pk_add_f32 v[34:35], v[36:37], v[34:35] neg_lo:[0,1] neg_hi:[0,1]
	v_pk_add_f32 v[42:43], v[36:37], v[40:41]
	v_mov_b32_e32 v39, v36
	v_mov_b32_e32 v35, v43
	v_pk_add_f32 v[44:45], v[38:39], v[34:35] neg_lo:[0,1] neg_hi:[0,1]
	v_pk_add_f32 v[34:35], v[38:39], v[34:35]
	v_mov_b32_e32 v40, v41
	v_pk_add_f32 v[38:39], v[34:35], v[36:37] op_sel:[1,0] op_sel_hi:[0,1] neg_lo:[0,1] neg_hi:[0,1]
	v_pk_add_f32 v[46:47], v[42:43], v[38:39] op_sel_hi:[1,0] neg_lo:[0,1] neg_hi:[0,1]
	v_mov_b32_e32 v42, v43
	v_mov_b32_e32 v43, v35
	v_pk_mov_b32 v[38:39], v[36:37], v[38:39] op_sel:[1,0]
	v_mov_b32_e32 v41, v36
	v_pk_add_f32 v[38:39], v[42:43], v[38:39] neg_lo:[0,1] neg_hi:[0,1]
	v_mov_b32_e32 v46, v44
	v_pk_add_f32 v[36:37], v[40:41], v[38:39] neg_lo:[0,1] neg_hi:[0,1]
	v_mov_b32_e32 v45, v35
	v_pk_add_f32 v[38:39], v[46:47], v[36:37]
	s_mov_b32 s5, 0x33800000
	v_pk_add_f32 v[40:41], v[38:39], v[38:39] op_sel:[0,1] op_sel_hi:[1,0]
	s_nop 0
	v_pk_add_f32 v[34:35], v[34:35], v[40:41] op_sel:[1,0] op_sel_hi:[0,1]
	v_mov_b32_e32 v39, v34
	v_pk_add_f32 v[42:43], v[38:39], v[44:45] neg_lo:[0,1] neg_hi:[0,1]
	v_mov_b32_e32 v37, v40
	v_sub_f32_e32 v7, v38, v42
	v_pk_add_f32 v[36:37], v[36:37], v[42:43] neg_lo:[0,1] neg_hi:[0,1]
	v_sub_f32_e32 v7, v44, v7
	v_add_f32_e32 v7, v36, v7
	v_add_f32_e32 v7, v7, v37
	;; [unrolled: 1-line block ×3, first 2 shown]
	v_cndmask_b32_e32 v7, v14, v7, vcc
	v_cmp_lt_f32_e64 vcc, |v3|, s5
	s_nop 1
	v_cndmask_b32_e32 v3, v7, v3, vcc
	v_add_f32_e32 v3, v6, v3
.LBB153_286:
	s_or_b64 exec, exec, s[2:3]
	v_max_f32_e32 v6, v3, v3
	v_min_f32_e32 v7, v6, v8
	v_cmp_u_f32_e32 vcc, v3, v3
	v_max_f32_e32 v6, v6, v8
	s_nop 0
	v_cndmask_b32_e32 v7, v7, v3, vcc
	v_cndmask_b32_e32 v6, v6, v3, vcc
	v_cndmask_b32_e64 v7, v7, v4, s[6:7]
	v_cndmask_b32_e64 v6, v6, v4, s[6:7]
	v_cmp_neq_f32_e32 vcc, v7, v6
	v_cmp_class_f32_e64 s[2:3], v7, s4
	s_or_b64 s[4:5], vcc, s[2:3]
	v_mov_b32_e32 v4, v3
	s_and_saveexec_b64 s[2:3], s[4:5]
	s_cbranch_execz .LBB153_288
; %bb.287:
	v_sub_f32_e32 v4, v7, v6
	s_mov_b32 s4, 0x3fb8aa3b
	v_mul_f32_e32 v7, 0x3fb8aa3b, v4
	v_fma_f32 v8, v4, s4, -v7
	v_rndne_f32_e32 v14, v7
	v_fmamk_f32 v8, v4, 0x32a5705f, v8
	v_sub_f32_e32 v7, v7, v14
	v_add_f32_e32 v7, v7, v8
	v_exp_f32_e32 v7, v7
	v_cvt_i32_f32_e32 v8, v14
	s_mov_b32 s4, 0xc2ce8ed0
	v_cmp_ngt_f32_e32 vcc, s4, v4
	s_mov_b32 s4, 0x42b17218
	v_ldexp_f32 v7, v7, v8
	v_cndmask_b32_e32 v7, 0, v7, vcc
	v_mov_b32_e32 v8, 0x7f800000
	v_cmp_nlt_f32_e32 vcc, s4, v4
	s_mov_b32 s4, 0x3f2aaaab
	s_mov_b32 s5, 0x7f800000
	v_cndmask_b32_e32 v4, v8, v7, vcc
	v_add_f32_e32 v7, 1.0, v4
	v_add_f32_e32 v14, -1.0, v7
	v_sub_f32_e32 v21, v14, v7
	v_add_f32_e32 v21, 1.0, v21
	v_sub_f32_e32 v14, v4, v14
	v_add_f32_e32 v14, v14, v21
	v_frexp_mant_f32_e32 v21, v7
	v_cvt_f64_f32_e32 v[34:35], v7
	v_frexp_exp_i32_f64_e32 v31, v[34:35]
	v_cmp_gt_f32_e32 vcc, s4, v21
	s_mov_b32 s4, 0x3f317218
	s_nop 0
	v_subbrev_co_u32_e32 v21, vcc, 0, v31, vcc
	v_sub_u32_e32 v31, 0, v21
	v_ldexp_f32 v7, v7, v31
	v_ldexp_f32 v14, v14, v31
	v_add_f32_e32 v31, -1.0, v7
	v_add_f32_e32 v35, 1.0, v7
	v_add_f32_e32 v34, 1.0, v31
	v_add_f32_e32 v36, -1.0, v35
	v_sub_f32_e32 v34, v7, v34
	v_sub_f32_e32 v7, v7, v36
	v_add_f32_e32 v7, v14, v7
	v_add_f32_e32 v34, v14, v34
	;; [unrolled: 1-line block ×3, first 2 shown]
	v_rcp_f32_e32 v42, v14
	v_sub_f32_e32 v35, v35, v14
	v_add_f32_e32 v7, v7, v35
	v_add_f32_e32 v35, v31, v34
	v_mul_f32_e32 v43, v35, v42
	v_mul_f32_e32 v36, v14, v43
	v_fma_f32 v38, v43, v14, -v36
	v_sub_f32_e32 v31, v31, v35
	v_fmac_f32_e32 v38, v43, v7
	v_add_f32_e32 v31, v34, v31
	v_add_f32_e32 v34, v36, v38
	v_sub_f32_e32 v37, v35, v34
	v_pk_add_f32 v[40:41], v[34:35], v[36:37] neg_lo:[0,1] neg_hi:[0,1]
	v_mov_b32_e32 v39, v34
	v_pk_add_f32 v[34:35], v[40:41], v[38:39] neg_lo:[0,1] neg_hi:[0,1]
	v_cmp_neq_f32_e32 vcc, s5, v4
	v_add_f32_e32 v31, v31, v35
	v_add_f32_e32 v31, v34, v31
	;; [unrolled: 1-line block ×3, first 2 shown]
	v_mul_f32_e32 v44, v42, v35
	v_mul_f32_e32 v36, v14, v44
	v_fma_f32 v38, v44, v14, -v36
	v_fmac_f32_e32 v38, v44, v7
	v_add_f32_e32 v34, v36, v38
	v_sub_f32_e32 v7, v37, v35
	v_sub_f32_e32 v37, v35, v34
	v_pk_add_f32 v[40:41], v[34:35], v[36:37] neg_lo:[0,1] neg_hi:[0,1]
	v_mov_b32_e32 v39, v34
	v_add_f32_e32 v7, v31, v7
	v_pk_add_f32 v[34:35], v[40:41], v[38:39] neg_lo:[0,1] neg_hi:[0,1]
	v_add_f32_e32 v14, v43, v44
	v_add_f32_e32 v7, v7, v35
	;; [unrolled: 1-line block ×4, first 2 shown]
	v_sub_f32_e32 v31, v14, v43
	v_mul_f32_e32 v7, v42, v7
	v_sub_f32_e32 v31, v44, v31
	v_add_f32_e32 v7, v31, v7
	v_add_f32_e32 v31, v14, v7
	v_cvt_f32_i32_e32 v36, v21
	v_mul_f32_e32 v34, v31, v31
	v_mov_b32_e32 v35, 0x3ecc95a3
	v_fmac_f32_e32 v35, 0x3e9b6dac, v34
	v_fmaak_f32 v35, v34, v35, 0x3f2aaada
	v_mul_f32_e32 v37, v31, v34
	v_mov_b32_e32 v34, 0x3f317218
	v_sub_f32_e32 v14, v31, v14
	v_pk_mul_f32 v[34:35], v[36:37], v[34:35]
	v_sub_f32_e32 v7, v7, v14
	v_fma_f32 v14, v36, s4, -v34
	v_ldexp_f32 v39, v31, 1
	v_fmamk_f32 v38, v36, 0xb102e308, v14
	v_pk_add_f32 v[36:37], v[34:35], v[38:39]
	v_ldexp_f32 v7, v7, 1
	v_sub_f32_e32 v14, v37, v39
	v_sub_f32_e32 v14, v35, v14
	v_add_f32_e32 v41, v7, v14
	v_mov_b32_e32 v40, v34
	v_pk_add_f32 v[34:35], v[36:37], v[34:35] neg_lo:[0,1] neg_hi:[0,1]
	v_pk_add_f32 v[42:43], v[36:37], v[40:41]
	v_mov_b32_e32 v39, v36
	v_mov_b32_e32 v35, v43
	v_pk_add_f32 v[44:45], v[38:39], v[34:35] neg_lo:[0,1] neg_hi:[0,1]
	v_pk_add_f32 v[34:35], v[38:39], v[34:35]
	v_mov_b32_e32 v40, v41
	v_pk_add_f32 v[38:39], v[34:35], v[36:37] op_sel:[1,0] op_sel_hi:[0,1] neg_lo:[0,1] neg_hi:[0,1]
	v_pk_add_f32 v[46:47], v[42:43], v[38:39] op_sel_hi:[1,0] neg_lo:[0,1] neg_hi:[0,1]
	v_mov_b32_e32 v42, v43
	v_mov_b32_e32 v43, v35
	v_pk_mov_b32 v[38:39], v[36:37], v[38:39] op_sel:[1,0]
	v_mov_b32_e32 v41, v36
	v_pk_add_f32 v[38:39], v[42:43], v[38:39] neg_lo:[0,1] neg_hi:[0,1]
	v_mov_b32_e32 v46, v44
	v_pk_add_f32 v[36:37], v[40:41], v[38:39] neg_lo:[0,1] neg_hi:[0,1]
	v_mov_b32_e32 v45, v35
	v_pk_add_f32 v[38:39], v[46:47], v[36:37]
	s_mov_b32 s4, 0x33800000
	v_pk_add_f32 v[40:41], v[38:39], v[38:39] op_sel:[0,1] op_sel_hi:[1,0]
	s_nop 0
	v_pk_add_f32 v[34:35], v[34:35], v[40:41] op_sel:[1,0] op_sel_hi:[0,1]
	v_mov_b32_e32 v39, v34
	v_pk_add_f32 v[42:43], v[38:39], v[44:45] neg_lo:[0,1] neg_hi:[0,1]
	v_mov_b32_e32 v37, v40
	v_sub_f32_e32 v7, v38, v42
	v_pk_add_f32 v[36:37], v[36:37], v[42:43] neg_lo:[0,1] neg_hi:[0,1]
	v_sub_f32_e32 v7, v44, v7
	v_add_f32_e32 v7, v36, v7
	v_add_f32_e32 v7, v7, v37
	;; [unrolled: 1-line block ×3, first 2 shown]
	v_cndmask_b32_e32 v7, v8, v7, vcc
	v_cmp_lt_f32_e64 vcc, |v4|, s4
	s_nop 1
	v_cndmask_b32_e32 v4, v7, v4, vcc
	v_add_f32_e32 v4, v6, v4
.LBB153_288:
	s_or_b64 exec, exec, s[2:3]
	v_max_f32_e32 v6, v4, v4
	v_min_f32_e32 v7, v6, v9
	v_cmp_u_f32_e32 vcc, v4, v4
	v_max_f32_e32 v6, v6, v9
	s_movk_i32 s4, 0x1f8
	v_cndmask_b32_e32 v7, v7, v4, vcc
	v_cndmask_b32_e32 v6, v6, v4, vcc
	v_cndmask_b32_e64 v7, v7, v5, s[8:9]
	v_cndmask_b32_e64 v6, v6, v5, s[8:9]
	v_cmp_neq_f32_e32 vcc, v7, v6
	v_cmp_class_f32_e64 s[2:3], v7, s4
	s_or_b64 s[6:7], vcc, s[2:3]
	v_mov_b32_e32 v5, v4
	s_and_saveexec_b64 s[2:3], s[6:7]
	s_cbranch_execz .LBB153_290
; %bb.289:
	v_sub_f32_e32 v5, v7, v6
	s_mov_b32 s5, 0x3fb8aa3b
	v_mul_f32_e32 v7, 0x3fb8aa3b, v5
	v_fma_f32 v8, v5, s5, -v7
	v_rndne_f32_e32 v9, v7
	v_fmamk_f32 v8, v5, 0x32a5705f, v8
	v_sub_f32_e32 v7, v7, v9
	v_add_f32_e32 v7, v7, v8
	v_exp_f32_e32 v7, v7
	v_cvt_i32_f32_e32 v8, v9
	s_mov_b32 s5, 0xc2ce8ed0
	v_cmp_ngt_f32_e32 vcc, s5, v5
	s_mov_b32 s5, 0x42b17218
	v_ldexp_f32 v7, v7, v8
	v_cndmask_b32_e32 v7, 0, v7, vcc
	v_mov_b32_e32 v14, 0x7f800000
	v_cmp_nlt_f32_e32 vcc, s5, v5
	s_mov_b32 s5, 0x3f2aaaab
	s_mov_b32 s6, 0x7f800000
	v_cndmask_b32_e32 v5, v14, v7, vcc
	v_add_f32_e32 v7, 1.0, v5
	v_add_f32_e32 v8, -1.0, v7
	v_sub_f32_e32 v9, v8, v7
	v_add_f32_e32 v9, 1.0, v9
	v_sub_f32_e32 v8, v5, v8
	v_add_f32_e32 v21, v8, v9
	v_frexp_mant_f32_e32 v31, v7
	v_cvt_f64_f32_e32 v[8:9], v7
	v_frexp_exp_i32_f64_e32 v8, v[8:9]
	v_cmp_gt_f32_e32 vcc, s5, v31
	s_mov_b32 s5, 0x3f317218
	s_nop 0
	v_subbrev_co_u32_e32 v31, vcc, 0, v8, vcc
	v_sub_u32_e32 v8, 0, v31
	v_ldexp_f32 v7, v7, v8
	v_ldexp_f32 v8, v21, v8
	v_add_f32_e32 v21, -1.0, v7
	v_add_f32_e32 v9, 1.0, v21
	v_sub_f32_e32 v9, v7, v9
	v_add_f32_e32 v34, v8, v9
	v_add_f32_e32 v9, 1.0, v7
	v_add_f32_e32 v35, -1.0, v9
	v_sub_f32_e32 v7, v7, v35
	v_add_f32_e32 v7, v8, v7
	v_add_f32_e32 v40, v9, v7
	v_rcp_f32_e32 v41, v40
	v_sub_f32_e32 v8, v9, v40
	v_add_f32_e32 v9, v21, v34
	v_add_f32_e32 v7, v7, v8
	v_sub_f32_e32 v8, v21, v9
	v_mul_f32_e32 v42, v9, v41
	v_add_f32_e32 v21, v34, v8
	v_mul_f32_e32 v34, v40, v42
	v_fma_f32 v36, v42, v40, -v34
	v_fmac_f32_e32 v36, v42, v7
	v_add_f32_e32 v8, v34, v36
	v_sub_f32_e32 v35, v9, v8
	v_pk_add_f32 v[38:39], v[8:9], v[34:35] neg_lo:[0,1] neg_hi:[0,1]
	v_mov_b32_e32 v37, v8
	v_pk_add_f32 v[8:9], v[38:39], v[36:37] neg_lo:[0,1] neg_hi:[0,1]
	v_cmp_neq_f32_e32 vcc, s6, v5
	v_add_f32_e32 v9, v21, v9
	v_add_f32_e32 v8, v8, v9
	;; [unrolled: 1-line block ×3, first 2 shown]
	v_mul_f32_e32 v21, v41, v9
	v_mul_f32_e32 v34, v40, v21
	v_fma_f32 v36, v21, v40, -v34
	v_fmac_f32_e32 v36, v21, v7
	v_sub_f32_e32 v7, v35, v9
	v_add_f32_e32 v7, v8, v7
	v_add_f32_e32 v8, v34, v36
	v_sub_f32_e32 v35, v9, v8
	v_pk_add_f32 v[38:39], v[8:9], v[34:35] neg_lo:[0,1] neg_hi:[0,1]
	v_mov_b32_e32 v37, v8
	v_pk_add_f32 v[8:9], v[38:39], v[36:37] neg_lo:[0,1] neg_hi:[0,1]
	v_cvt_f32_i32_e32 v34, v31
	v_add_f32_e32 v7, v7, v9
	v_add_f32_e32 v7, v8, v7
	;; [unrolled: 1-line block ×4, first 2 shown]
	v_sub_f32_e32 v9, v8, v42
	v_mul_f32_e32 v7, v41, v7
	v_sub_f32_e32 v9, v21, v9
	v_add_f32_e32 v7, v9, v7
	v_add_f32_e32 v21, v8, v7
	v_mul_f32_e32 v35, v21, v21
	v_mov_b32_e32 v9, 0x3ecc95a3
	v_fmac_f32_e32 v9, 0x3e9b6dac, v35
	v_sub_f32_e32 v8, v21, v8
	v_fmaak_f32 v9, v35, v9, 0x3f2aaada
	v_sub_f32_e32 v7, v7, v8
	v_mul_f32_e32 v35, v21, v35
	v_mov_b32_e32 v8, 0x3f317218
	v_pk_mul_f32 v[8:9], v[34:35], v[8:9]
	v_ldexp_f32 v37, v21, 1
	v_fma_f32 v21, v34, s5, -v8
	v_fmamk_f32 v36, v34, 0xb102e308, v21
	v_pk_add_f32 v[34:35], v[8:9], v[36:37]
	v_ldexp_f32 v7, v7, 1
	v_sub_f32_e32 v21, v35, v37
	v_sub_f32_e32 v21, v9, v21
	v_add_f32_e32 v39, v7, v21
	v_mov_b32_e32 v38, v8
	v_pk_add_f32 v[8:9], v[34:35], v[8:9] neg_lo:[0,1] neg_hi:[0,1]
	v_pk_add_f32 v[40:41], v[34:35], v[38:39]
	v_mov_b32_e32 v37, v34
	v_mov_b32_e32 v9, v41
	v_pk_add_f32 v[42:43], v[36:37], v[8:9] neg_lo:[0,1] neg_hi:[0,1]
	v_pk_add_f32 v[8:9], v[36:37], v[8:9]
	v_mov_b32_e32 v38, v39
	v_pk_add_f32 v[36:37], v[8:9], v[34:35] op_sel:[1,0] op_sel_hi:[0,1] neg_lo:[0,1] neg_hi:[0,1]
	v_pk_add_f32 v[44:45], v[40:41], v[36:37] op_sel_hi:[1,0] neg_lo:[0,1] neg_hi:[0,1]
	v_mov_b32_e32 v40, v41
	v_mov_b32_e32 v41, v9
	v_pk_mov_b32 v[36:37], v[34:35], v[36:37] op_sel:[1,0]
	v_mov_b32_e32 v39, v34
	v_pk_add_f32 v[36:37], v[40:41], v[36:37] neg_lo:[0,1] neg_hi:[0,1]
	v_mov_b32_e32 v44, v42
	v_pk_add_f32 v[34:35], v[38:39], v[36:37] neg_lo:[0,1] neg_hi:[0,1]
	v_mov_b32_e32 v43, v9
	v_pk_add_f32 v[36:37], v[44:45], v[34:35]
	s_mov_b32 s5, 0x33800000
	v_pk_add_f32 v[38:39], v[36:37], v[36:37] op_sel:[0,1] op_sel_hi:[1,0]
	s_nop 0
	v_pk_add_f32 v[8:9], v[8:9], v[38:39] op_sel:[1,0] op_sel_hi:[0,1]
	v_mov_b32_e32 v37, v8
	v_pk_add_f32 v[40:41], v[36:37], v[42:43] neg_lo:[0,1] neg_hi:[0,1]
	v_mov_b32_e32 v35, v38
	v_sub_f32_e32 v7, v36, v40
	v_pk_add_f32 v[34:35], v[34:35], v[40:41] neg_lo:[0,1] neg_hi:[0,1]
	v_sub_f32_e32 v7, v42, v7
	v_add_f32_e32 v7, v34, v7
	v_add_f32_e32 v7, v7, v35
	;; [unrolled: 1-line block ×3, first 2 shown]
	v_cndmask_b32_e32 v7, v14, v7, vcc
	v_cmp_lt_f32_e64 vcc, |v5|, s5
	s_nop 1
	v_cndmask_b32_e32 v5, v7, v5, vcc
	v_add_f32_e32 v5, v6, v5
.LBB153_290:
	s_or_b64 exec, exec, s[2:3]
	v_max_f32_e32 v6, v5, v5
	v_min_f32_e32 v7, v6, v10
	v_cmp_u_f32_e32 vcc, v5, v5
	v_max_f32_e32 v6, v6, v10
	s_nop 0
	v_cndmask_b32_e32 v7, v7, v5, vcc
	v_cndmask_b32_e32 v6, v6, v5, vcc
	v_cndmask_b32_e64 v8, v7, v26, s[10:11]
	v_cndmask_b32_e64 v7, v6, v26, s[10:11]
	v_cmp_neq_f32_e32 vcc, v8, v7
	v_cmp_class_f32_e64 s[2:3], v8, s4
	s_or_b64 s[4:5], vcc, s[2:3]
	v_mov_b32_e32 v6, v5
	s_and_saveexec_b64 s[2:3], s[4:5]
	s_cbranch_execz .LBB153_292
; %bb.291:
	v_sub_f32_e32 v6, v8, v7
	s_mov_b32 s4, 0x3fb8aa3b
	v_mul_f32_e32 v8, 0x3fb8aa3b, v6
	v_fma_f32 v9, v6, s4, -v8
	v_rndne_f32_e32 v10, v8
	v_fmamk_f32 v9, v6, 0x32a5705f, v9
	v_sub_f32_e32 v8, v8, v10
	v_add_f32_e32 v8, v8, v9
	v_exp_f32_e32 v8, v8
	v_cvt_i32_f32_e32 v9, v10
	s_mov_b32 s4, 0xc2ce8ed0
	v_cmp_ngt_f32_e32 vcc, s4, v6
	s_mov_b32 s4, 0x42b17218
	v_ldexp_f32 v8, v8, v9
	v_cndmask_b32_e32 v8, 0, v8, vcc
	v_mov_b32_e32 v10, 0x7f800000
	v_cmp_nlt_f32_e32 vcc, s4, v6
	s_mov_b32 s4, 0x3f2aaaab
	s_mov_b32 s5, 0x7f800000
	v_cndmask_b32_e32 v6, v10, v8, vcc
	v_add_f32_e32 v14, 1.0, v6
	v_add_f32_e32 v8, -1.0, v14
	v_sub_f32_e32 v9, v8, v14
	v_add_f32_e32 v9, 1.0, v9
	v_sub_f32_e32 v8, v6, v8
	v_add_f32_e32 v21, v8, v9
	v_frexp_mant_f32_e32 v26, v14
	v_cvt_f64_f32_e32 v[8:9], v14
	v_frexp_exp_i32_f64_e32 v8, v[8:9]
	v_cmp_gt_f32_e32 vcc, s4, v26
	s_mov_b32 s4, 0x3f317218
	s_nop 0
	v_subbrev_co_u32_e32 v26, vcc, 0, v8, vcc
	v_sub_u32_e32 v8, 0, v26
	v_ldexp_f32 v9, v14, v8
	v_add_f32_e32 v14, -1.0, v9
	v_add_f32_e32 v31, 1.0, v9
	v_ldexp_f32 v8, v21, v8
	v_add_f32_e32 v21, 1.0, v14
	v_add_f32_e32 v34, -1.0, v31
	v_sub_f32_e32 v21, v9, v21
	v_sub_f32_e32 v9, v9, v34
	v_add_f32_e32 v21, v8, v21
	v_add_f32_e32 v8, v8, v9
	;; [unrolled: 1-line block ×3, first 2 shown]
	v_rcp_f32_e32 v41, v40
	v_sub_f32_e32 v9, v31, v40
	v_add_f32_e32 v31, v8, v9
	v_add_f32_e32 v9, v14, v21
	v_sub_f32_e32 v8, v14, v9
	v_add_f32_e32 v14, v21, v8
	v_mul_f32_e32 v21, v9, v41
	v_mul_f32_e32 v34, v40, v21
	v_fma_f32 v36, v21, v40, -v34
	v_fmac_f32_e32 v36, v21, v31
	v_add_f32_e32 v8, v34, v36
	v_sub_f32_e32 v35, v9, v8
	v_pk_add_f32 v[38:39], v[8:9], v[34:35] neg_lo:[0,1] neg_hi:[0,1]
	v_mov_b32_e32 v37, v8
	v_pk_add_f32 v[8:9], v[38:39], v[36:37] neg_lo:[0,1] neg_hi:[0,1]
	v_cmp_neq_f32_e32 vcc, s5, v6
	v_add_f32_e32 v9, v14, v9
	v_add_f32_e32 v8, v8, v9
	;; [unrolled: 1-line block ×3, first 2 shown]
	v_mul_f32_e32 v14, v41, v9
	v_mul_f32_e32 v34, v40, v14
	v_fma_f32 v36, v14, v40, -v34
	v_fmac_f32_e32 v36, v14, v31
	v_sub_f32_e32 v31, v35, v9
	v_add_f32_e32 v31, v8, v31
	v_add_f32_e32 v8, v34, v36
	v_sub_f32_e32 v35, v9, v8
	v_pk_add_f32 v[38:39], v[8:9], v[34:35] neg_lo:[0,1] neg_hi:[0,1]
	v_mov_b32_e32 v37, v8
	v_pk_add_f32 v[8:9], v[38:39], v[36:37] neg_lo:[0,1] neg_hi:[0,1]
	v_cvt_f32_i32_e32 v34, v26
	v_add_f32_e32 v9, v31, v9
	v_add_f32_e32 v8, v8, v9
	;; [unrolled: 1-line block ×4, first 2 shown]
	v_sub_f32_e32 v9, v31, v21
	v_mul_f32_e32 v8, v41, v8
	v_sub_f32_e32 v9, v14, v9
	v_add_f32_e32 v8, v9, v8
	v_add_f32_e32 v14, v31, v8
	v_mul_f32_e32 v21, v14, v14
	v_mov_b32_e32 v9, 0x3ecc95a3
	v_sub_f32_e32 v26, v14, v31
	v_fmac_f32_e32 v9, 0x3e9b6dac, v21
	v_sub_f32_e32 v8, v8, v26
	v_fmaak_f32 v9, v21, v9, 0x3f2aaada
	v_ldexp_f32 v26, v8, 1
	v_mul_f32_e32 v35, v14, v21
	v_mov_b32_e32 v8, 0x3f317218
	v_pk_mul_f32 v[8:9], v[34:35], v[8:9]
	v_ldexp_f32 v37, v14, 1
	v_fma_f32 v14, v34, s4, -v8
	v_fmamk_f32 v36, v34, 0xb102e308, v14
	v_pk_add_f32 v[34:35], v[8:9], v[36:37]
	v_mov_b32_e32 v38, v8
	v_sub_f32_e32 v14, v35, v37
	v_sub_f32_e32 v14, v9, v14
	v_add_f32_e32 v39, v26, v14
	v_pk_add_f32 v[8:9], v[34:35], v[8:9] neg_lo:[0,1] neg_hi:[0,1]
	v_pk_add_f32 v[40:41], v[34:35], v[38:39]
	v_mov_b32_e32 v37, v34
	v_mov_b32_e32 v9, v41
	v_pk_add_f32 v[42:43], v[36:37], v[8:9] neg_lo:[0,1] neg_hi:[0,1]
	v_pk_add_f32 v[8:9], v[36:37], v[8:9]
	v_mov_b32_e32 v38, v39
	v_pk_add_f32 v[36:37], v[8:9], v[34:35] op_sel:[1,0] op_sel_hi:[0,1] neg_lo:[0,1] neg_hi:[0,1]
	v_pk_add_f32 v[44:45], v[40:41], v[36:37] op_sel_hi:[1,0] neg_lo:[0,1] neg_hi:[0,1]
	v_mov_b32_e32 v40, v41
	v_mov_b32_e32 v41, v9
	v_pk_mov_b32 v[36:37], v[34:35], v[36:37] op_sel:[1,0]
	v_mov_b32_e32 v39, v34
	v_pk_add_f32 v[36:37], v[40:41], v[36:37] neg_lo:[0,1] neg_hi:[0,1]
	v_mov_b32_e32 v44, v42
	v_pk_add_f32 v[34:35], v[38:39], v[36:37] neg_lo:[0,1] neg_hi:[0,1]
	v_mov_b32_e32 v43, v9
	v_pk_add_f32 v[36:37], v[44:45], v[34:35]
	s_mov_b32 s4, 0x33800000
	v_pk_add_f32 v[38:39], v[36:37], v[36:37] op_sel:[0,1] op_sel_hi:[1,0]
	s_nop 0
	v_pk_add_f32 v[8:9], v[8:9], v[38:39] op_sel:[1,0] op_sel_hi:[0,1]
	v_mov_b32_e32 v37, v8
	v_pk_add_f32 v[40:41], v[36:37], v[42:43] neg_lo:[0,1] neg_hi:[0,1]
	v_mov_b32_e32 v35, v38
	v_sub_f32_e32 v9, v36, v40
	v_pk_add_f32 v[34:35], v[34:35], v[40:41] neg_lo:[0,1] neg_hi:[0,1]
	v_sub_f32_e32 v9, v42, v9
	v_add_f32_e32 v9, v34, v9
	v_add_f32_e32 v9, v9, v35
	;; [unrolled: 1-line block ×3, first 2 shown]
	v_cndmask_b32_e32 v8, v10, v8, vcc
	v_cmp_lt_f32_e64 vcc, |v6|, s4
	s_nop 1
	v_cndmask_b32_e32 v6, v8, v6, vcc
	v_add_f32_e32 v6, v7, v6
.LBB153_292:
	s_or_b64 exec, exec, s[2:3]
	v_max_f32_e32 v7, v6, v6
	v_min_f32_e32 v8, v7, v11
	v_cmp_u_f32_e32 vcc, v6, v6
	v_max_f32_e32 v7, v7, v11
	s_movk_i32 s4, 0x1f8
	v_cndmask_b32_e32 v8, v8, v6, vcc
	v_cndmask_b32_e32 v7, v7, v6, vcc
	v_cndmask_b32_e64 v9, v8, v27, s[12:13]
	v_cndmask_b32_e64 v8, v7, v27, s[12:13]
	v_cmp_neq_f32_e32 vcc, v9, v8
	v_cmp_class_f32_e64 s[2:3], v9, s4
	s_or_b64 s[6:7], vcc, s[2:3]
	v_mov_b32_e32 v7, v6
	s_and_saveexec_b64 s[2:3], s[6:7]
	s_cbranch_execz .LBB153_294
; %bb.293:
	v_sub_f32_e32 v7, v9, v8
	s_mov_b32 s5, 0x3fb8aa3b
	v_mul_f32_e32 v9, 0x3fb8aa3b, v7
	v_fma_f32 v10, v7, s5, -v9
	v_rndne_f32_e32 v11, v9
	v_fmamk_f32 v10, v7, 0x32a5705f, v10
	v_sub_f32_e32 v9, v9, v11
	v_add_f32_e32 v9, v9, v10
	v_exp_f32_e32 v9, v9
	v_cvt_i32_f32_e32 v10, v11
	s_mov_b32 s5, 0xc2ce8ed0
	v_cmp_ngt_f32_e32 vcc, s5, v7
	s_mov_b32 s5, 0x42b17218
	v_ldexp_f32 v9, v9, v10
	v_cndmask_b32_e32 v9, 0, v9, vcc
	v_mov_b32_e32 v14, 0x7f800000
	v_cmp_nlt_f32_e32 vcc, s5, v7
	s_mov_b32 s5, 0x3f2aaaab
	s_mov_b32 s6, 0x7f800000
	v_cndmask_b32_e32 v7, v14, v9, vcc
	v_add_f32_e32 v9, 1.0, v7
	v_add_f32_e32 v10, -1.0, v9
	v_sub_f32_e32 v11, v10, v9
	v_add_f32_e32 v11, 1.0, v11
	v_sub_f32_e32 v10, v7, v10
	v_add_f32_e32 v21, v10, v11
	v_frexp_mant_f32_e32 v26, v9
	v_cvt_f64_f32_e32 v[10:11], v9
	v_frexp_exp_i32_f64_e32 v10, v[10:11]
	v_cmp_gt_f32_e32 vcc, s5, v26
	s_mov_b32 s5, 0x3f317218
	s_nop 0
	v_subbrev_co_u32_e32 v31, vcc, 0, v10, vcc
	v_sub_u32_e32 v10, 0, v31
	v_ldexp_f32 v9, v9, v10
	v_ldexp_f32 v10, v21, v10
	v_add_f32_e32 v21, -1.0, v9
	v_add_f32_e32 v11, 1.0, v21
	v_sub_f32_e32 v11, v9, v11
	v_add_f32_e32 v26, v10, v11
	v_add_f32_e32 v11, 1.0, v9
	v_add_f32_e32 v27, -1.0, v11
	v_sub_f32_e32 v9, v9, v27
	v_add_f32_e32 v9, v10, v9
	v_add_f32_e32 v38, v11, v9
	v_rcp_f32_e32 v39, v38
	v_sub_f32_e32 v10, v11, v38
	v_add_f32_e32 v11, v21, v26
	v_add_f32_e32 v9, v9, v10
	v_sub_f32_e32 v10, v21, v11
	v_mul_f32_e32 v40, v11, v39
	v_add_f32_e32 v21, v26, v10
	v_mul_f32_e32 v26, v38, v40
	v_fma_f32 v34, v40, v38, -v26
	v_fmac_f32_e32 v34, v40, v9
	v_add_f32_e32 v10, v26, v34
	v_sub_f32_e32 v27, v11, v10
	v_pk_add_f32 v[36:37], v[10:11], v[26:27] neg_lo:[0,1] neg_hi:[0,1]
	v_mov_b32_e32 v35, v10
	v_pk_add_f32 v[10:11], v[36:37], v[34:35] neg_lo:[0,1] neg_hi:[0,1]
	v_cmp_neq_f32_e32 vcc, s6, v7
	v_add_f32_e32 v11, v21, v11
	v_add_f32_e32 v10, v10, v11
	v_add_f32_e32 v11, v27, v10
	v_mul_f32_e32 v21, v39, v11
	v_mul_f32_e32 v26, v38, v21
	v_fma_f32 v34, v21, v38, -v26
	v_fmac_f32_e32 v34, v21, v9
	v_sub_f32_e32 v9, v27, v11
	v_add_f32_e32 v9, v10, v9
	v_add_f32_e32 v10, v26, v34
	v_sub_f32_e32 v27, v11, v10
	v_pk_add_f32 v[36:37], v[10:11], v[26:27] neg_lo:[0,1] neg_hi:[0,1]
	v_mov_b32_e32 v35, v10
	v_pk_add_f32 v[10:11], v[36:37], v[34:35] neg_lo:[0,1] neg_hi:[0,1]
	v_cvt_f32_i32_e32 v26, v31
	v_add_f32_e32 v9, v9, v11
	v_add_f32_e32 v9, v10, v9
	;; [unrolled: 1-line block ×4, first 2 shown]
	v_sub_f32_e32 v11, v10, v40
	v_mul_f32_e32 v9, v39, v9
	v_sub_f32_e32 v11, v21, v11
	v_add_f32_e32 v9, v11, v9
	v_add_f32_e32 v21, v10, v9
	v_mul_f32_e32 v27, v21, v21
	v_mov_b32_e32 v11, 0x3ecc95a3
	v_fmac_f32_e32 v11, 0x3e9b6dac, v27
	v_sub_f32_e32 v10, v21, v10
	v_fmaak_f32 v11, v27, v11, 0x3f2aaada
	v_sub_f32_e32 v9, v9, v10
	v_mul_f32_e32 v27, v21, v27
	v_mov_b32_e32 v10, 0x3f317218
	v_pk_mul_f32 v[10:11], v[26:27], v[10:11]
	v_ldexp_f32 v35, v21, 1
	v_fma_f32 v21, v26, s5, -v10
	v_fmamk_f32 v34, v26, 0xb102e308, v21
	v_pk_add_f32 v[26:27], v[10:11], v[34:35]
	v_ldexp_f32 v9, v9, 1
	v_sub_f32_e32 v21, v27, v35
	v_sub_f32_e32 v21, v11, v21
	v_add_f32_e32 v37, v9, v21
	v_mov_b32_e32 v36, v10
	v_pk_add_f32 v[10:11], v[26:27], v[10:11] neg_lo:[0,1] neg_hi:[0,1]
	v_pk_add_f32 v[38:39], v[26:27], v[36:37]
	v_mov_b32_e32 v35, v26
	v_mov_b32_e32 v11, v39
	v_pk_add_f32 v[40:41], v[34:35], v[10:11] neg_lo:[0,1] neg_hi:[0,1]
	v_pk_add_f32 v[10:11], v[34:35], v[10:11]
	v_mov_b32_e32 v36, v37
	v_pk_add_f32 v[34:35], v[10:11], v[26:27] op_sel:[1,0] op_sel_hi:[0,1] neg_lo:[0,1] neg_hi:[0,1]
	v_pk_add_f32 v[42:43], v[38:39], v[34:35] op_sel_hi:[1,0] neg_lo:[0,1] neg_hi:[0,1]
	v_mov_b32_e32 v38, v39
	v_mov_b32_e32 v39, v11
	v_pk_mov_b32 v[34:35], v[26:27], v[34:35] op_sel:[1,0]
	v_mov_b32_e32 v37, v26
	v_pk_add_f32 v[34:35], v[38:39], v[34:35] neg_lo:[0,1] neg_hi:[0,1]
	v_mov_b32_e32 v42, v40
	v_pk_add_f32 v[26:27], v[36:37], v[34:35] neg_lo:[0,1] neg_hi:[0,1]
	v_mov_b32_e32 v41, v11
	v_pk_add_f32 v[34:35], v[42:43], v[26:27]
	s_mov_b32 s5, 0x33800000
	v_pk_add_f32 v[36:37], v[34:35], v[34:35] op_sel:[0,1] op_sel_hi:[1,0]
	s_nop 0
	v_pk_add_f32 v[10:11], v[10:11], v[36:37] op_sel:[1,0] op_sel_hi:[0,1]
	v_mov_b32_e32 v35, v10
	v_pk_add_f32 v[38:39], v[34:35], v[40:41] neg_lo:[0,1] neg_hi:[0,1]
	v_mov_b32_e32 v27, v36
	v_sub_f32_e32 v9, v34, v38
	v_pk_add_f32 v[26:27], v[26:27], v[38:39] neg_lo:[0,1] neg_hi:[0,1]
	v_sub_f32_e32 v9, v40, v9
	v_add_f32_e32 v9, v26, v9
	v_add_f32_e32 v9, v9, v27
	;; [unrolled: 1-line block ×3, first 2 shown]
	v_cndmask_b32_e32 v9, v14, v9, vcc
	v_cmp_lt_f32_e64 vcc, |v7|, s5
	s_nop 1
	v_cndmask_b32_e32 v7, v9, v7, vcc
	v_add_f32_e32 v7, v8, v7
.LBB153_294:
	s_or_b64 exec, exec, s[2:3]
	v_max_f32_e32 v8, v7, v7
	v_min_f32_e32 v9, v8, v12
	v_cmp_u_f32_e32 vcc, v7, v7
	v_max_f32_e32 v8, v8, v12
	s_nop 0
	v_cndmask_b32_e32 v9, v9, v7, vcc
	v_cndmask_b32_e32 v8, v8, v7, vcc
	v_cndmask_b32_e64 v10, v9, v28, s[14:15]
	v_cndmask_b32_e64 v9, v8, v28, s[14:15]
	v_cmp_neq_f32_e32 vcc, v10, v9
	v_cmp_class_f32_e64 s[2:3], v10, s4
	s_or_b64 s[4:5], vcc, s[2:3]
	v_mov_b32_e32 v8, v7
	s_and_saveexec_b64 s[2:3], s[4:5]
	s_cbranch_execz .LBB153_296
; %bb.295:
	v_sub_f32_e32 v8, v10, v9
	s_mov_b32 s4, 0x3fb8aa3b
	v_mul_f32_e32 v10, 0x3fb8aa3b, v8
	v_fma_f32 v11, v8, s4, -v10
	v_rndne_f32_e32 v12, v10
	v_fmamk_f32 v11, v8, 0x32a5705f, v11
	v_sub_f32_e32 v10, v10, v12
	v_add_f32_e32 v10, v10, v11
	v_exp_f32_e32 v10, v10
	v_cvt_i32_f32_e32 v11, v12
	s_mov_b32 s4, 0xc2ce8ed0
	v_cmp_ngt_f32_e32 vcc, s4, v8
	s_mov_b32 s4, 0x42b17218
	v_ldexp_f32 v10, v10, v11
	v_cndmask_b32_e32 v10, 0, v10, vcc
	v_mov_b32_e32 v12, 0x7f800000
	v_cmp_nlt_f32_e32 vcc, s4, v8
	s_mov_b32 s4, 0x3f2aaaab
	s_mov_b32 s5, 0x7f800000
	v_cndmask_b32_e32 v8, v12, v10, vcc
	v_add_f32_e32 v14, 1.0, v8
	v_add_f32_e32 v10, -1.0, v14
	v_sub_f32_e32 v11, v10, v14
	v_add_f32_e32 v11, 1.0, v11
	v_sub_f32_e32 v10, v8, v10
	v_add_f32_e32 v21, v10, v11
	v_frexp_mant_f32_e32 v26, v14
	v_cvt_f64_f32_e32 v[10:11], v14
	v_frexp_exp_i32_f64_e32 v10, v[10:11]
	v_cmp_gt_f32_e32 vcc, s4, v26
	s_mov_b32 s4, 0x3f317218
	s_nop 0
	v_subbrev_co_u32_e32 v28, vcc, 0, v10, vcc
	v_sub_u32_e32 v10, 0, v28
	v_ldexp_f32 v11, v14, v10
	v_add_f32_e32 v14, -1.0, v11
	v_add_f32_e32 v26, 1.0, v11
	v_ldexp_f32 v10, v21, v10
	v_add_f32_e32 v21, 1.0, v14
	v_add_f32_e32 v27, -1.0, v26
	v_sub_f32_e32 v21, v11, v21
	v_sub_f32_e32 v11, v11, v27
	v_add_f32_e32 v21, v10, v21
	v_add_f32_e32 v10, v10, v11
	;; [unrolled: 1-line block ×3, first 2 shown]
	v_rcp_f32_e32 v39, v31
	v_sub_f32_e32 v11, v26, v31
	v_add_f32_e32 v38, v10, v11
	v_add_f32_e32 v11, v14, v21
	v_sub_f32_e32 v10, v14, v11
	v_add_f32_e32 v14, v21, v10
	v_mul_f32_e32 v21, v11, v39
	v_mul_f32_e32 v26, v31, v21
	v_fma_f32 v34, v21, v31, -v26
	v_fmac_f32_e32 v34, v21, v38
	v_add_f32_e32 v10, v26, v34
	v_sub_f32_e32 v27, v11, v10
	v_pk_add_f32 v[36:37], v[10:11], v[26:27] neg_lo:[0,1] neg_hi:[0,1]
	v_mov_b32_e32 v35, v10
	v_pk_add_f32 v[10:11], v[36:37], v[34:35] neg_lo:[0,1] neg_hi:[0,1]
	v_cmp_neq_f32_e32 vcc, s5, v8
	v_add_f32_e32 v11, v14, v11
	v_add_f32_e32 v10, v10, v11
	;; [unrolled: 1-line block ×3, first 2 shown]
	v_mul_f32_e32 v14, v39, v11
	v_mul_f32_e32 v26, v31, v14
	v_fma_f32 v34, v14, v31, -v26
	v_fmac_f32_e32 v34, v14, v38
	v_sub_f32_e32 v27, v27, v11
	v_add_f32_e32 v31, v10, v27
	v_add_f32_e32 v10, v26, v34
	v_sub_f32_e32 v27, v11, v10
	v_pk_add_f32 v[36:37], v[10:11], v[26:27] neg_lo:[0,1] neg_hi:[0,1]
	v_mov_b32_e32 v35, v10
	v_pk_add_f32 v[10:11], v[36:37], v[34:35] neg_lo:[0,1] neg_hi:[0,1]
	v_cvt_f32_i32_e32 v26, v28
	v_add_f32_e32 v11, v31, v11
	v_add_f32_e32 v10, v10, v11
	v_add_f32_e32 v10, v27, v10
	v_add_f32_e32 v27, v21, v14
	v_sub_f32_e32 v11, v27, v21
	v_mul_f32_e32 v10, v39, v10
	v_sub_f32_e32 v11, v14, v11
	v_add_f32_e32 v10, v11, v10
	v_add_f32_e32 v14, v27, v10
	v_mul_f32_e32 v21, v14, v14
	v_mov_b32_e32 v11, 0x3ecc95a3
	v_sub_f32_e32 v27, v14, v27
	v_fmac_f32_e32 v11, 0x3e9b6dac, v21
	v_sub_f32_e32 v10, v10, v27
	v_fmaak_f32 v11, v21, v11, 0x3f2aaada
	v_ldexp_f32 v28, v10, 1
	v_mul_f32_e32 v27, v14, v21
	v_mov_b32_e32 v10, 0x3f317218
	v_pk_mul_f32 v[10:11], v[26:27], v[10:11]
	v_ldexp_f32 v35, v14, 1
	v_fma_f32 v14, v26, s4, -v10
	v_fmamk_f32 v34, v26, 0xb102e308, v14
	v_pk_add_f32 v[26:27], v[10:11], v[34:35]
	v_mov_b32_e32 v36, v10
	v_sub_f32_e32 v14, v27, v35
	v_sub_f32_e32 v14, v11, v14
	v_add_f32_e32 v37, v28, v14
	v_pk_add_f32 v[10:11], v[26:27], v[10:11] neg_lo:[0,1] neg_hi:[0,1]
	v_pk_add_f32 v[38:39], v[26:27], v[36:37]
	v_mov_b32_e32 v35, v26
	v_mov_b32_e32 v11, v39
	v_pk_add_f32 v[40:41], v[34:35], v[10:11] neg_lo:[0,1] neg_hi:[0,1]
	v_pk_add_f32 v[10:11], v[34:35], v[10:11]
	v_mov_b32_e32 v36, v37
	v_pk_add_f32 v[34:35], v[10:11], v[26:27] op_sel:[1,0] op_sel_hi:[0,1] neg_lo:[0,1] neg_hi:[0,1]
	v_pk_add_f32 v[42:43], v[38:39], v[34:35] op_sel_hi:[1,0] neg_lo:[0,1] neg_hi:[0,1]
	v_mov_b32_e32 v38, v39
	v_mov_b32_e32 v39, v11
	v_pk_mov_b32 v[34:35], v[26:27], v[34:35] op_sel:[1,0]
	v_mov_b32_e32 v37, v26
	v_pk_add_f32 v[34:35], v[38:39], v[34:35] neg_lo:[0,1] neg_hi:[0,1]
	v_mov_b32_e32 v42, v40
	v_pk_add_f32 v[26:27], v[36:37], v[34:35] neg_lo:[0,1] neg_hi:[0,1]
	v_mov_b32_e32 v41, v11
	v_pk_add_f32 v[34:35], v[42:43], v[26:27]
	s_mov_b32 s4, 0x33800000
	v_pk_add_f32 v[36:37], v[34:35], v[34:35] op_sel:[0,1] op_sel_hi:[1,0]
	s_nop 0
	v_pk_add_f32 v[10:11], v[10:11], v[36:37] op_sel:[1,0] op_sel_hi:[0,1]
	v_mov_b32_e32 v35, v10
	v_pk_add_f32 v[38:39], v[34:35], v[40:41] neg_lo:[0,1] neg_hi:[0,1]
	v_mov_b32_e32 v27, v36
	v_sub_f32_e32 v11, v34, v38
	v_pk_add_f32 v[26:27], v[26:27], v[38:39] neg_lo:[0,1] neg_hi:[0,1]
	v_sub_f32_e32 v11, v40, v11
	v_add_f32_e32 v11, v26, v11
	v_add_f32_e32 v11, v11, v27
	;; [unrolled: 1-line block ×3, first 2 shown]
	v_cndmask_b32_e32 v10, v12, v10, vcc
	v_cmp_lt_f32_e64 vcc, |v8|, s4
	s_nop 1
	v_cndmask_b32_e32 v8, v10, v8, vcc
	v_add_f32_e32 v8, v9, v8
.LBB153_296:
	s_or_b64 exec, exec, s[2:3]
	v_max_f32_e32 v9, v8, v8
	v_min_f32_e32 v10, v9, v13
	v_cmp_u_f32_e32 vcc, v8, v8
	v_max_f32_e32 v9, v9, v13
	s_movk_i32 s4, 0x1f8
	v_cndmask_b32_e32 v10, v10, v8, vcc
	v_cndmask_b32_e32 v9, v9, v8, vcc
	v_cndmask_b32_e64 v11, v10, v29, s[16:17]
	v_cndmask_b32_e64 v10, v9, v29, s[16:17]
	v_cmp_neq_f32_e32 vcc, v11, v10
	v_cmp_class_f32_e64 s[2:3], v11, s4
	s_or_b64 s[6:7], vcc, s[2:3]
	v_mov_b32_e32 v9, v8
	s_and_saveexec_b64 s[2:3], s[6:7]
	s_cbranch_execz .LBB153_298
; %bb.297:
	v_sub_f32_e32 v9, v11, v10
	s_mov_b32 s5, 0x3fb8aa3b
	v_mul_f32_e32 v11, 0x3fb8aa3b, v9
	v_fma_f32 v12, v9, s5, -v11
	v_rndne_f32_e32 v13, v11
	v_fmamk_f32 v12, v9, 0x32a5705f, v12
	v_sub_f32_e32 v11, v11, v13
	v_add_f32_e32 v11, v11, v12
	v_exp_f32_e32 v11, v11
	v_cvt_i32_f32_e32 v12, v13
	s_mov_b32 s5, 0xc2ce8ed0
	v_cmp_ngt_f32_e32 vcc, s5, v9
	s_mov_b32 s5, 0x42b17218
	v_ldexp_f32 v11, v11, v12
	v_cndmask_b32_e32 v11, 0, v11, vcc
	v_mov_b32_e32 v14, 0x7f800000
	v_cmp_nlt_f32_e32 vcc, s5, v9
	s_mov_b32 s5, 0x3f2aaaab
	s_mov_b32 s6, 0x7f800000
	v_cndmask_b32_e32 v9, v14, v11, vcc
	v_add_f32_e32 v11, 1.0, v9
	v_add_f32_e32 v12, -1.0, v11
	v_sub_f32_e32 v13, v12, v11
	v_add_f32_e32 v13, 1.0, v13
	v_sub_f32_e32 v12, v9, v12
	v_add_f32_e32 v21, v12, v13
	v_frexp_mant_f32_e32 v26, v11
	v_cvt_f64_f32_e32 v[12:13], v11
	v_frexp_exp_i32_f64_e32 v12, v[12:13]
	v_cmp_gt_f32_e32 vcc, s5, v26
	s_mov_b32 s5, 0x3f317218
	s_nop 0
	v_subbrev_co_u32_e32 v31, vcc, 0, v12, vcc
	v_sub_u32_e32 v12, 0, v31
	v_ldexp_f32 v11, v11, v12
	v_ldexp_f32 v12, v21, v12
	v_add_f32_e32 v21, -1.0, v11
	v_add_f32_e32 v13, 1.0, v21
	v_sub_f32_e32 v13, v11, v13
	v_add_f32_e32 v26, v12, v13
	v_add_f32_e32 v13, 1.0, v11
	v_add_f32_e32 v27, -1.0, v13
	v_sub_f32_e32 v11, v11, v27
	v_add_f32_e32 v11, v12, v11
	v_add_f32_e32 v36, v13, v11
	v_rcp_f32_e32 v37, v36
	v_sub_f32_e32 v12, v13, v36
	v_add_f32_e32 v13, v21, v26
	v_add_f32_e32 v11, v11, v12
	v_sub_f32_e32 v12, v21, v13
	v_mul_f32_e32 v38, v13, v37
	v_add_f32_e32 v21, v26, v12
	v_mul_f32_e32 v26, v36, v38
	v_fma_f32 v28, v38, v36, -v26
	v_fmac_f32_e32 v28, v38, v11
	v_add_f32_e32 v12, v26, v28
	v_sub_f32_e32 v27, v13, v12
	v_pk_add_f32 v[34:35], v[12:13], v[26:27] neg_lo:[0,1] neg_hi:[0,1]
	v_mov_b32_e32 v29, v12
	v_pk_add_f32 v[12:13], v[34:35], v[28:29] neg_lo:[0,1] neg_hi:[0,1]
	v_cmp_neq_f32_e32 vcc, s6, v9
	v_add_f32_e32 v13, v21, v13
	v_add_f32_e32 v12, v12, v13
	;; [unrolled: 1-line block ×3, first 2 shown]
	v_mul_f32_e32 v21, v37, v13
	v_mul_f32_e32 v26, v36, v21
	v_fma_f32 v28, v21, v36, -v26
	v_fmac_f32_e32 v28, v21, v11
	v_sub_f32_e32 v11, v27, v13
	v_add_f32_e32 v11, v12, v11
	v_add_f32_e32 v12, v26, v28
	v_sub_f32_e32 v27, v13, v12
	v_pk_add_f32 v[34:35], v[12:13], v[26:27] neg_lo:[0,1] neg_hi:[0,1]
	v_mov_b32_e32 v29, v12
	v_pk_add_f32 v[12:13], v[34:35], v[28:29] neg_lo:[0,1] neg_hi:[0,1]
	v_cvt_f32_i32_e32 v26, v31
	v_add_f32_e32 v11, v11, v13
	v_add_f32_e32 v11, v12, v11
	v_add_f32_e32 v12, v38, v21
	v_add_f32_e32 v11, v27, v11
	v_sub_f32_e32 v13, v12, v38
	v_mul_f32_e32 v11, v37, v11
	v_sub_f32_e32 v13, v21, v13
	v_add_f32_e32 v11, v13, v11
	v_add_f32_e32 v21, v12, v11
	v_mul_f32_e32 v27, v21, v21
	v_mov_b32_e32 v13, 0x3ecc95a3
	v_fmac_f32_e32 v13, 0x3e9b6dac, v27
	v_sub_f32_e32 v12, v21, v12
	v_fmaak_f32 v13, v27, v13, 0x3f2aaada
	v_sub_f32_e32 v11, v11, v12
	v_mul_f32_e32 v27, v21, v27
	v_mov_b32_e32 v12, 0x3f317218
	v_pk_mul_f32 v[12:13], v[26:27], v[12:13]
	v_ldexp_f32 v29, v21, 1
	v_fma_f32 v21, v26, s5, -v12
	v_fmamk_f32 v28, v26, 0xb102e308, v21
	v_pk_add_f32 v[26:27], v[12:13], v[28:29]
	v_ldexp_f32 v11, v11, 1
	v_sub_f32_e32 v21, v27, v29
	v_sub_f32_e32 v21, v13, v21
	v_add_f32_e32 v35, v11, v21
	v_mov_b32_e32 v34, v12
	v_pk_add_f32 v[12:13], v[26:27], v[12:13] neg_lo:[0,1] neg_hi:[0,1]
	v_pk_add_f32 v[36:37], v[26:27], v[34:35]
	v_mov_b32_e32 v29, v26
	v_mov_b32_e32 v13, v37
	v_pk_add_f32 v[38:39], v[28:29], v[12:13] neg_lo:[0,1] neg_hi:[0,1]
	v_pk_add_f32 v[12:13], v[28:29], v[12:13]
	v_mov_b32_e32 v34, v35
	v_pk_add_f32 v[28:29], v[12:13], v[26:27] op_sel:[1,0] op_sel_hi:[0,1] neg_lo:[0,1] neg_hi:[0,1]
	v_pk_add_f32 v[40:41], v[36:37], v[28:29] op_sel_hi:[1,0] neg_lo:[0,1] neg_hi:[0,1]
	v_mov_b32_e32 v36, v37
	v_mov_b32_e32 v37, v13
	v_pk_mov_b32 v[28:29], v[26:27], v[28:29] op_sel:[1,0]
	v_mov_b32_e32 v35, v26
	v_pk_add_f32 v[28:29], v[36:37], v[28:29] neg_lo:[0,1] neg_hi:[0,1]
	v_mov_b32_e32 v40, v38
	v_pk_add_f32 v[26:27], v[34:35], v[28:29] neg_lo:[0,1] neg_hi:[0,1]
	v_mov_b32_e32 v39, v13
	v_pk_add_f32 v[28:29], v[40:41], v[26:27]
	s_mov_b32 s5, 0x33800000
	v_pk_add_f32 v[34:35], v[28:29], v[28:29] op_sel:[0,1] op_sel_hi:[1,0]
	s_nop 0
	v_pk_add_f32 v[12:13], v[12:13], v[34:35] op_sel:[1,0] op_sel_hi:[0,1]
	v_mov_b32_e32 v29, v12
	v_pk_add_f32 v[36:37], v[28:29], v[38:39] neg_lo:[0,1] neg_hi:[0,1]
	v_mov_b32_e32 v27, v34
	v_sub_f32_e32 v11, v28, v36
	v_pk_add_f32 v[26:27], v[26:27], v[36:37] neg_lo:[0,1] neg_hi:[0,1]
	v_sub_f32_e32 v11, v38, v11
	v_add_f32_e32 v11, v26, v11
	v_add_f32_e32 v11, v11, v27
	;; [unrolled: 1-line block ×3, first 2 shown]
	v_cndmask_b32_e32 v11, v14, v11, vcc
	v_cmp_lt_f32_e64 vcc, |v9|, s5
	s_nop 1
	v_cndmask_b32_e32 v9, v11, v9, vcc
	v_add_f32_e32 v9, v10, v9
.LBB153_298:
	s_or_b64 exec, exec, s[2:3]
	v_max_f32_e32 v10, v9, v9
	v_min_f32_e32 v11, v10, v15
	v_cmp_u_f32_e32 vcc, v9, v9
	v_max_f32_e32 v10, v10, v15
	s_nop 0
	v_cndmask_b32_e32 v11, v11, v9, vcc
	v_cndmask_b32_e32 v10, v10, v9, vcc
	v_cndmask_b32_e64 v12, v11, v22, s[18:19]
	v_cndmask_b32_e64 v11, v10, v22, s[18:19]
	v_cmp_neq_f32_e32 vcc, v12, v11
	v_cmp_class_f32_e64 s[2:3], v12, s4
	s_or_b64 s[4:5], vcc, s[2:3]
	v_mov_b32_e32 v10, v9
	s_and_saveexec_b64 s[2:3], s[4:5]
	s_cbranch_execz .LBB153_300
; %bb.299:
	v_sub_f32_e32 v10, v12, v11
	s_mov_b32 s4, 0x3fb8aa3b
	v_mul_f32_e32 v12, 0x3fb8aa3b, v10
	v_fma_f32 v13, v10, s4, -v12
	v_rndne_f32_e32 v14, v12
	v_fmamk_f32 v13, v10, 0x32a5705f, v13
	v_sub_f32_e32 v12, v12, v14
	v_add_f32_e32 v12, v12, v13
	v_exp_f32_e32 v12, v12
	v_cvt_i32_f32_e32 v13, v14
	s_mov_b32 s4, 0xc2ce8ed0
	v_cmp_ngt_f32_e32 vcc, s4, v10
	s_mov_b32 s4, 0x42b17218
	v_ldexp_f32 v12, v12, v13
	v_cndmask_b32_e32 v12, 0, v12, vcc
	v_mov_b32_e32 v21, 0x7f800000
	v_cmp_nlt_f32_e32 vcc, s4, v10
	s_mov_b32 s4, 0x3f2aaaab
	s_mov_b32 s5, 0x7f800000
	v_cndmask_b32_e32 v10, v21, v12, vcc
	v_add_f32_e32 v14, 1.0, v10
	v_add_f32_e32 v12, -1.0, v14
	v_sub_f32_e32 v13, v12, v14
	v_add_f32_e32 v13, 1.0, v13
	v_sub_f32_e32 v12, v10, v12
	v_add_f32_e32 v15, v12, v13
	v_frexp_mant_f32_e32 v22, v14
	v_cvt_f64_f32_e32 v[12:13], v14
	v_frexp_exp_i32_f64_e32 v12, v[12:13]
	v_cmp_gt_f32_e32 vcc, s4, v22
	s_mov_b32 s4, 0x3f317218
	s_nop 0
	v_subbrev_co_u32_e32 v22, vcc, 0, v12, vcc
	v_sub_u32_e32 v12, 0, v22
	v_ldexp_f32 v13, v14, v12
	v_add_f32_e32 v14, -1.0, v13
	v_add_f32_e32 v26, 1.0, v13
	v_ldexp_f32 v12, v15, v12
	v_add_f32_e32 v15, 1.0, v14
	v_add_f32_e32 v27, -1.0, v26
	v_sub_f32_e32 v15, v13, v15
	v_sub_f32_e32 v13, v13, v27
	v_add_f32_e32 v15, v12, v15
	v_add_f32_e32 v12, v12, v13
	;; [unrolled: 1-line block ×3, first 2 shown]
	v_rcp_f32_e32 v35, v31
	v_sub_f32_e32 v13, v26, v31
	v_add_f32_e32 v34, v12, v13
	v_add_f32_e32 v13, v14, v15
	v_mul_f32_e32 v37, v13, v35
	v_sub_f32_e32 v12, v14, v13
	v_mul_f32_e32 v14, v31, v37
	v_fma_f32 v26, v37, v31, -v14
	v_fmac_f32_e32 v26, v37, v34
	v_add_f32_e32 v36, v15, v12
	v_add_f32_e32 v12, v14, v26
	v_sub_f32_e32 v15, v13, v12
	v_pk_add_f32 v[28:29], v[12:13], v[14:15] neg_lo:[0,1] neg_hi:[0,1]
	v_mov_b32_e32 v27, v12
	v_pk_add_f32 v[12:13], v[28:29], v[26:27] neg_lo:[0,1] neg_hi:[0,1]
	v_cmp_neq_f32_e32 vcc, s5, v10
	v_add_f32_e32 v13, v36, v13
	v_add_f32_e32 v12, v12, v13
	;; [unrolled: 1-line block ×3, first 2 shown]
	v_mul_f32_e32 v36, v35, v13
	v_mul_f32_e32 v14, v31, v36
	v_fma_f32 v26, v36, v31, -v14
	v_fmac_f32_e32 v26, v36, v34
	v_sub_f32_e32 v15, v15, v13
	v_add_f32_e32 v31, v12, v15
	v_add_f32_e32 v12, v14, v26
	v_sub_f32_e32 v15, v13, v12
	v_pk_add_f32 v[28:29], v[12:13], v[14:15] neg_lo:[0,1] neg_hi:[0,1]
	v_mov_b32_e32 v27, v12
	v_pk_add_f32 v[12:13], v[28:29], v[26:27] neg_lo:[0,1] neg_hi:[0,1]
	v_cvt_f32_i32_e32 v14, v22
	v_add_f32_e32 v13, v31, v13
	v_add_f32_e32 v12, v12, v13
	;; [unrolled: 1-line block ×4, first 2 shown]
	v_sub_f32_e32 v13, v15, v37
	v_mul_f32_e32 v12, v35, v12
	v_sub_f32_e32 v13, v36, v13
	v_add_f32_e32 v12, v13, v12
	v_add_f32_e32 v26, v15, v12
	v_mul_f32_e32 v28, v26, v26
	v_mov_b32_e32 v13, 0x3ecc95a3
	v_sub_f32_e32 v15, v26, v15
	v_fmac_f32_e32 v13, 0x3e9b6dac, v28
	v_sub_f32_e32 v12, v12, v15
	v_fmaak_f32 v13, v28, v13, 0x3f2aaada
	v_ldexp_f32 v22, v12, 1
	v_mul_f32_e32 v15, v26, v28
	v_mov_b32_e32 v12, 0x3f317218
	v_pk_mul_f32 v[12:13], v[14:15], v[12:13]
	v_ldexp_f32 v27, v26, 1
	v_fma_f32 v15, v14, s4, -v12
	v_fmamk_f32 v26, v14, 0xb102e308, v15
	v_pk_add_f32 v[14:15], v[12:13], v[26:27]
	v_mov_b32_e32 v28, v12
	v_sub_f32_e32 v27, v15, v27
	v_sub_f32_e32 v27, v13, v27
	v_add_f32_e32 v29, v22, v27
	v_pk_add_f32 v[12:13], v[14:15], v[12:13] neg_lo:[0,1] neg_hi:[0,1]
	v_pk_add_f32 v[34:35], v[14:15], v[28:29]
	v_mov_b32_e32 v27, v14
	v_mov_b32_e32 v13, v35
	v_pk_add_f32 v[36:37], v[26:27], v[12:13] neg_lo:[0,1] neg_hi:[0,1]
	v_pk_add_f32 v[12:13], v[26:27], v[12:13]
	v_mov_b32_e32 v28, v29
	v_pk_add_f32 v[26:27], v[12:13], v[14:15] op_sel:[1,0] op_sel_hi:[0,1] neg_lo:[0,1] neg_hi:[0,1]
	v_pk_add_f32 v[38:39], v[34:35], v[26:27] op_sel_hi:[1,0] neg_lo:[0,1] neg_hi:[0,1]
	v_mov_b32_e32 v34, v35
	v_mov_b32_e32 v35, v13
	v_pk_mov_b32 v[26:27], v[14:15], v[26:27] op_sel:[1,0]
	v_mov_b32_e32 v29, v14
	v_pk_add_f32 v[26:27], v[34:35], v[26:27] neg_lo:[0,1] neg_hi:[0,1]
	v_mov_b32_e32 v38, v36
	v_pk_add_f32 v[14:15], v[28:29], v[26:27] neg_lo:[0,1] neg_hi:[0,1]
	v_mov_b32_e32 v37, v13
	v_pk_add_f32 v[26:27], v[38:39], v[14:15]
	s_mov_b32 s4, 0x33800000
	v_pk_add_f32 v[28:29], v[26:27], v[26:27] op_sel:[0,1] op_sel_hi:[1,0]
	s_nop 0
	v_pk_add_f32 v[12:13], v[12:13], v[28:29] op_sel:[1,0] op_sel_hi:[0,1]
	v_mov_b32_e32 v27, v12
	v_pk_add_f32 v[34:35], v[26:27], v[36:37] neg_lo:[0,1] neg_hi:[0,1]
	v_mov_b32_e32 v15, v28
	v_sub_f32_e32 v13, v26, v34
	v_pk_add_f32 v[14:15], v[14:15], v[34:35] neg_lo:[0,1] neg_hi:[0,1]
	v_sub_f32_e32 v13, v36, v13
	v_add_f32_e32 v13, v14, v13
	v_add_f32_e32 v13, v13, v15
	;; [unrolled: 1-line block ×3, first 2 shown]
	v_cndmask_b32_e32 v12, v21, v12, vcc
	v_cmp_lt_f32_e64 vcc, |v10|, s4
	s_nop 1
	v_cndmask_b32_e32 v10, v12, v10, vcc
	v_add_f32_e32 v10, v11, v10
.LBB153_300:
	s_or_b64 exec, exec, s[2:3]
	v_max_f32_e32 v11, v10, v10
	v_min_f32_e32 v12, v11, v16
	v_cmp_u_f32_e32 vcc, v10, v10
	v_max_f32_e32 v11, v11, v16
	s_movk_i32 s4, 0x1f8
	v_cndmask_b32_e32 v12, v12, v10, vcc
	v_cndmask_b32_e32 v11, v11, v10, vcc
	v_cndmask_b32_e64 v13, v12, v23, s[20:21]
	v_cndmask_b32_e64 v12, v11, v23, s[20:21]
	v_cmp_neq_f32_e32 vcc, v13, v12
	v_cmp_class_f32_e64 s[2:3], v13, s4
	s_or_b64 s[6:7], vcc, s[2:3]
	v_mov_b32_e32 v11, v10
	s_and_saveexec_b64 s[2:3], s[6:7]
	s_cbranch_execz .LBB153_302
; %bb.301:
	v_sub_f32_e32 v11, v13, v12
	s_mov_b32 s5, 0x3fb8aa3b
	v_mul_f32_e32 v13, 0x3fb8aa3b, v11
	v_fma_f32 v14, v11, s5, -v13
	v_rndne_f32_e32 v15, v13
	v_fmamk_f32 v14, v11, 0x32a5705f, v14
	v_sub_f32_e32 v13, v13, v15
	v_add_f32_e32 v13, v13, v14
	v_exp_f32_e32 v13, v13
	v_cvt_i32_f32_e32 v14, v15
	s_mov_b32 s5, 0xc2ce8ed0
	v_cmp_ngt_f32_e32 vcc, s5, v11
	s_mov_b32 s5, 0x42b17218
	v_ldexp_f32 v13, v13, v14
	v_cndmask_b32_e32 v13, 0, v13, vcc
	v_mov_b32_e32 v16, 0x7f800000
	v_cmp_nlt_f32_e32 vcc, s5, v11
	s_mov_b32 s5, 0x3f2aaaab
	s_mov_b32 s6, 0x7f800000
	v_cndmask_b32_e32 v11, v16, v13, vcc
	v_add_f32_e32 v13, 1.0, v11
	v_add_f32_e32 v14, -1.0, v13
	v_sub_f32_e32 v15, v14, v13
	v_add_f32_e32 v15, 1.0, v15
	v_sub_f32_e32 v14, v11, v14
	v_add_f32_e32 v21, v14, v15
	v_frexp_mant_f32_e32 v22, v13
	v_cvt_f64_f32_e32 v[14:15], v13
	v_frexp_exp_i32_f64_e32 v14, v[14:15]
	v_cmp_gt_f32_e32 vcc, s5, v22
	s_mov_b32 s5, 0x3f317218
	s_nop 0
	v_subbrev_co_u32_e32 v31, vcc, 0, v14, vcc
	v_sub_u32_e32 v14, 0, v31
	v_ldexp_f32 v13, v13, v14
	v_ldexp_f32 v14, v21, v14
	v_add_f32_e32 v21, -1.0, v13
	v_add_f32_e32 v15, 1.0, v21
	v_sub_f32_e32 v15, v13, v15
	v_add_f32_e32 v22, v14, v15
	v_add_f32_e32 v15, 1.0, v13
	v_add_f32_e32 v23, -1.0, v15
	v_sub_f32_e32 v13, v13, v23
	v_add_f32_e32 v13, v14, v13
	v_add_f32_e32 v34, v15, v13
	v_rcp_f32_e32 v35, v34
	v_sub_f32_e32 v14, v15, v34
	v_add_f32_e32 v15, v21, v22
	v_add_f32_e32 v13, v13, v14
	v_sub_f32_e32 v14, v21, v15
	v_mul_f32_e32 v36, v15, v35
	v_add_f32_e32 v21, v22, v14
	v_mul_f32_e32 v22, v34, v36
	v_fma_f32 v26, v36, v34, -v22
	v_fmac_f32_e32 v26, v36, v13
	v_add_f32_e32 v14, v22, v26
	v_sub_f32_e32 v23, v15, v14
	v_pk_add_f32 v[28:29], v[14:15], v[22:23] neg_lo:[0,1] neg_hi:[0,1]
	v_mov_b32_e32 v27, v14
	v_pk_add_f32 v[14:15], v[28:29], v[26:27] neg_lo:[0,1] neg_hi:[0,1]
	v_cmp_neq_f32_e32 vcc, s6, v11
	v_add_f32_e32 v15, v21, v15
	v_add_f32_e32 v14, v14, v15
	v_add_f32_e32 v15, v23, v14
	v_mul_f32_e32 v21, v35, v15
	v_mul_f32_e32 v22, v34, v21
	v_fma_f32 v26, v21, v34, -v22
	v_fmac_f32_e32 v26, v21, v13
	v_sub_f32_e32 v13, v23, v15
	v_add_f32_e32 v13, v14, v13
	v_add_f32_e32 v14, v22, v26
	v_sub_f32_e32 v23, v15, v14
	v_pk_add_f32 v[28:29], v[14:15], v[22:23] neg_lo:[0,1] neg_hi:[0,1]
	v_mov_b32_e32 v27, v14
	v_pk_add_f32 v[14:15], v[28:29], v[26:27] neg_lo:[0,1] neg_hi:[0,1]
	v_cvt_f32_i32_e32 v22, v31
	v_add_f32_e32 v13, v13, v15
	v_add_f32_e32 v13, v14, v13
	;; [unrolled: 1-line block ×4, first 2 shown]
	v_sub_f32_e32 v15, v14, v36
	v_mul_f32_e32 v13, v35, v13
	v_sub_f32_e32 v15, v21, v15
	v_add_f32_e32 v13, v15, v13
	v_add_f32_e32 v21, v14, v13
	v_mul_f32_e32 v23, v21, v21
	v_mov_b32_e32 v15, 0x3ecc95a3
	v_fmac_f32_e32 v15, 0x3e9b6dac, v23
	v_sub_f32_e32 v14, v21, v14
	v_fmaak_f32 v15, v23, v15, 0x3f2aaada
	v_sub_f32_e32 v13, v13, v14
	v_mul_f32_e32 v23, v21, v23
	v_mov_b32_e32 v14, 0x3f317218
	v_pk_mul_f32 v[14:15], v[22:23], v[14:15]
	v_ldexp_f32 v27, v21, 1
	v_fma_f32 v21, v22, s5, -v14
	v_fmamk_f32 v26, v22, 0xb102e308, v21
	v_pk_add_f32 v[22:23], v[14:15], v[26:27]
	v_ldexp_f32 v13, v13, 1
	v_sub_f32_e32 v21, v23, v27
	v_sub_f32_e32 v21, v15, v21
	v_add_f32_e32 v29, v13, v21
	v_mov_b32_e32 v28, v14
	v_pk_add_f32 v[14:15], v[22:23], v[14:15] neg_lo:[0,1] neg_hi:[0,1]
	v_pk_add_f32 v[34:35], v[22:23], v[28:29]
	v_mov_b32_e32 v27, v22
	v_mov_b32_e32 v15, v35
	v_pk_add_f32 v[36:37], v[26:27], v[14:15] neg_lo:[0,1] neg_hi:[0,1]
	v_pk_add_f32 v[14:15], v[26:27], v[14:15]
	v_mov_b32_e32 v28, v29
	v_pk_add_f32 v[26:27], v[14:15], v[22:23] op_sel:[1,0] op_sel_hi:[0,1] neg_lo:[0,1] neg_hi:[0,1]
	v_pk_add_f32 v[38:39], v[34:35], v[26:27] op_sel_hi:[1,0] neg_lo:[0,1] neg_hi:[0,1]
	v_mov_b32_e32 v34, v35
	v_mov_b32_e32 v35, v15
	v_pk_mov_b32 v[26:27], v[22:23], v[26:27] op_sel:[1,0]
	v_mov_b32_e32 v29, v22
	v_pk_add_f32 v[26:27], v[34:35], v[26:27] neg_lo:[0,1] neg_hi:[0,1]
	v_mov_b32_e32 v38, v36
	v_pk_add_f32 v[22:23], v[28:29], v[26:27] neg_lo:[0,1] neg_hi:[0,1]
	v_mov_b32_e32 v37, v15
	v_pk_add_f32 v[26:27], v[38:39], v[22:23]
	s_mov_b32 s5, 0x33800000
	v_pk_add_f32 v[28:29], v[26:27], v[26:27] op_sel:[0,1] op_sel_hi:[1,0]
	s_nop 0
	v_pk_add_f32 v[14:15], v[14:15], v[28:29] op_sel:[1,0] op_sel_hi:[0,1]
	v_mov_b32_e32 v27, v14
	v_pk_add_f32 v[34:35], v[26:27], v[36:37] neg_lo:[0,1] neg_hi:[0,1]
	v_mov_b32_e32 v23, v28
	v_sub_f32_e32 v13, v26, v34
	v_pk_add_f32 v[22:23], v[22:23], v[34:35] neg_lo:[0,1] neg_hi:[0,1]
	v_sub_f32_e32 v13, v36, v13
	v_add_f32_e32 v13, v22, v13
	v_add_f32_e32 v13, v13, v23
	;; [unrolled: 1-line block ×3, first 2 shown]
	v_cndmask_b32_e32 v13, v16, v13, vcc
	v_cmp_lt_f32_e64 vcc, |v11|, s5
	s_nop 1
	v_cndmask_b32_e32 v11, v13, v11, vcc
	v_add_f32_e32 v11, v12, v11
.LBB153_302:
	s_or_b64 exec, exec, s[2:3]
	v_max_f32_e32 v12, v11, v11
	v_min_f32_e32 v13, v12, v17
	v_cmp_u_f32_e32 vcc, v11, v11
	v_max_f32_e32 v12, v12, v17
	s_nop 0
	v_cndmask_b32_e32 v13, v13, v11, vcc
	v_cndmask_b32_e32 v12, v12, v11, vcc
	v_cndmask_b32_e64 v14, v13, v24, s[22:23]
	v_cndmask_b32_e64 v13, v12, v24, s[22:23]
	v_cmp_neq_f32_e32 vcc, v14, v13
	v_cmp_class_f32_e64 s[2:3], v14, s4
	s_or_b64 s[4:5], vcc, s[2:3]
	v_mov_b32_e32 v12, v11
	s_and_saveexec_b64 s[2:3], s[4:5]
	s_cbranch_execz .LBB153_304
; %bb.303:
	v_sub_f32_e32 v12, v14, v13
	s_mov_b32 s4, 0x3fb8aa3b
	v_mul_f32_e32 v14, 0x3fb8aa3b, v12
	v_fma_f32 v15, v12, s4, -v14
	v_rndne_f32_e32 v16, v14
	v_fmamk_f32 v15, v12, 0x32a5705f, v15
	v_sub_f32_e32 v14, v14, v16
	v_add_f32_e32 v14, v14, v15
	v_exp_f32_e32 v14, v14
	v_cvt_i32_f32_e32 v15, v16
	s_mov_b32 s4, 0xc2ce8ed0
	v_cmp_ngt_f32_e32 vcc, s4, v12
	s_mov_b32 s4, 0x42b17218
	v_ldexp_f32 v14, v14, v15
	v_cndmask_b32_e32 v14, 0, v14, vcc
	v_mov_b32_e32 v21, 0x7f800000
	v_cmp_nlt_f32_e32 vcc, s4, v12
	s_mov_b32 s4, 0x3f2aaaab
	s_mov_b32 s5, 0x7f800000
	v_cndmask_b32_e32 v12, v21, v14, vcc
	v_add_f32_e32 v16, 1.0, v12
	v_add_f32_e32 v14, -1.0, v16
	v_sub_f32_e32 v15, v14, v16
	v_add_f32_e32 v15, 1.0, v15
	v_sub_f32_e32 v14, v12, v14
	v_add_f32_e32 v17, v14, v15
	v_frexp_mant_f32_e32 v22, v16
	v_cvt_f64_f32_e32 v[14:15], v16
	v_frexp_exp_i32_f64_e32 v14, v[14:15]
	v_cmp_gt_f32_e32 vcc, s4, v22
	s_mov_b32 s4, 0x3f317218
	s_nop 0
	v_subbrev_co_u32_e32 v24, vcc, 0, v14, vcc
	v_sub_u32_e32 v14, 0, v24
	v_ldexp_f32 v15, v16, v14
	v_add_f32_e32 v16, -1.0, v15
	v_add_f32_e32 v22, 1.0, v15
	v_ldexp_f32 v14, v17, v14
	v_add_f32_e32 v17, 1.0, v16
	v_add_f32_e32 v23, -1.0, v22
	v_sub_f32_e32 v17, v15, v17
	v_sub_f32_e32 v15, v15, v23
	v_add_f32_e32 v17, v14, v17
	v_add_f32_e32 v14, v14, v15
	;; [unrolled: 1-line block ×3, first 2 shown]
	v_rcp_f32_e32 v31, v28
	v_sub_f32_e32 v15, v22, v28
	v_add_f32_e32 v29, v14, v15
	v_add_f32_e32 v15, v16, v17
	v_mul_f32_e32 v35, v15, v31
	v_sub_f32_e32 v14, v16, v15
	v_mul_f32_e32 v16, v28, v35
	v_fma_f32 v22, v35, v28, -v16
	v_fmac_f32_e32 v22, v35, v29
	v_add_f32_e32 v34, v17, v14
	v_add_f32_e32 v14, v16, v22
	v_sub_f32_e32 v17, v15, v14
	v_pk_add_f32 v[26:27], v[14:15], v[16:17] neg_lo:[0,1] neg_hi:[0,1]
	v_mov_b32_e32 v23, v14
	v_pk_add_f32 v[14:15], v[26:27], v[22:23] neg_lo:[0,1] neg_hi:[0,1]
	v_cmp_neq_f32_e32 vcc, s5, v12
	v_add_f32_e32 v15, v34, v15
	v_add_f32_e32 v14, v14, v15
	v_add_f32_e32 v15, v17, v14
	v_mul_f32_e32 v34, v31, v15
	v_mul_f32_e32 v16, v28, v34
	v_fma_f32 v22, v34, v28, -v16
	v_fmac_f32_e32 v22, v34, v29
	v_sub_f32_e32 v17, v17, v15
	v_add_f32_e32 v28, v14, v17
	v_add_f32_e32 v14, v16, v22
	v_sub_f32_e32 v17, v15, v14
	v_pk_add_f32 v[26:27], v[14:15], v[16:17] neg_lo:[0,1] neg_hi:[0,1]
	v_mov_b32_e32 v23, v14
	v_pk_add_f32 v[14:15], v[26:27], v[22:23] neg_lo:[0,1] neg_hi:[0,1]
	v_cvt_f32_i32_e32 v16, v24
	v_add_f32_e32 v15, v28, v15
	v_add_f32_e32 v14, v14, v15
	;; [unrolled: 1-line block ×4, first 2 shown]
	v_sub_f32_e32 v15, v17, v35
	v_mul_f32_e32 v14, v31, v14
	v_sub_f32_e32 v15, v34, v15
	v_add_f32_e32 v14, v15, v14
	v_add_f32_e32 v22, v17, v14
	v_mul_f32_e32 v26, v22, v22
	v_mov_b32_e32 v15, 0x3ecc95a3
	v_sub_f32_e32 v17, v22, v17
	v_fmac_f32_e32 v15, 0x3e9b6dac, v26
	v_sub_f32_e32 v14, v14, v17
	v_fmaak_f32 v15, v26, v15, 0x3f2aaada
	v_ldexp_f32 v24, v14, 1
	v_mul_f32_e32 v17, v22, v26
	v_mov_b32_e32 v14, 0x3f317218
	v_pk_mul_f32 v[14:15], v[16:17], v[14:15]
	v_ldexp_f32 v23, v22, 1
	v_fma_f32 v17, v16, s4, -v14
	v_fmamk_f32 v22, v16, 0xb102e308, v17
	v_pk_add_f32 v[16:17], v[14:15], v[22:23]
	v_mov_b32_e32 v26, v14
	v_sub_f32_e32 v23, v17, v23
	v_sub_f32_e32 v23, v15, v23
	v_add_f32_e32 v27, v24, v23
	v_pk_add_f32 v[14:15], v[16:17], v[14:15] neg_lo:[0,1] neg_hi:[0,1]
	v_pk_add_f32 v[28:29], v[16:17], v[26:27]
	v_mov_b32_e32 v23, v16
	v_mov_b32_e32 v15, v29
	v_pk_add_f32 v[34:35], v[22:23], v[14:15] neg_lo:[0,1] neg_hi:[0,1]
	v_pk_add_f32 v[14:15], v[22:23], v[14:15]
	v_mov_b32_e32 v26, v27
	v_pk_add_f32 v[22:23], v[14:15], v[16:17] op_sel:[1,0] op_sel_hi:[0,1] neg_lo:[0,1] neg_hi:[0,1]
	v_pk_add_f32 v[36:37], v[28:29], v[22:23] op_sel_hi:[1,0] neg_lo:[0,1] neg_hi:[0,1]
	v_mov_b32_e32 v28, v29
	v_mov_b32_e32 v29, v15
	v_pk_mov_b32 v[22:23], v[16:17], v[22:23] op_sel:[1,0]
	v_mov_b32_e32 v27, v16
	v_pk_add_f32 v[22:23], v[28:29], v[22:23] neg_lo:[0,1] neg_hi:[0,1]
	v_mov_b32_e32 v36, v34
	v_pk_add_f32 v[16:17], v[26:27], v[22:23] neg_lo:[0,1] neg_hi:[0,1]
	v_mov_b32_e32 v35, v15
	v_pk_add_f32 v[22:23], v[36:37], v[16:17]
	s_mov_b32 s4, 0x33800000
	v_pk_add_f32 v[26:27], v[22:23], v[22:23] op_sel:[0,1] op_sel_hi:[1,0]
	s_nop 0
	v_pk_add_f32 v[14:15], v[14:15], v[26:27] op_sel:[1,0] op_sel_hi:[0,1]
	v_mov_b32_e32 v23, v14
	v_pk_add_f32 v[28:29], v[22:23], v[34:35] neg_lo:[0,1] neg_hi:[0,1]
	v_mov_b32_e32 v17, v26
	v_sub_f32_e32 v15, v22, v28
	v_pk_add_f32 v[16:17], v[16:17], v[28:29] neg_lo:[0,1] neg_hi:[0,1]
	v_sub_f32_e32 v15, v34, v15
	v_add_f32_e32 v15, v16, v15
	v_add_f32_e32 v15, v15, v17
	;; [unrolled: 1-line block ×3, first 2 shown]
	v_cndmask_b32_e32 v14, v21, v14, vcc
	v_cmp_lt_f32_e64 vcc, |v12|, s4
	s_nop 1
	v_cndmask_b32_e32 v12, v14, v12, vcc
	v_add_f32_e32 v12, v13, v12
.LBB153_304:
	s_or_b64 exec, exec, s[2:3]
	v_max_f32_e32 v13, v12, v12
	v_min_f32_e32 v14, v13, v18
	v_cmp_u_f32_e32 vcc, v12, v12
	v_max_f32_e32 v13, v13, v18
	s_movk_i32 s4, 0x1f8
	v_cndmask_b32_e32 v14, v14, v12, vcc
	v_cndmask_b32_e32 v13, v13, v12, vcc
	v_cndmask_b32_e64 v15, v14, v25, s[24:25]
	v_cndmask_b32_e64 v14, v13, v25, s[24:25]
	v_cmp_neq_f32_e32 vcc, v15, v14
	v_cmp_class_f32_e64 s[2:3], v15, s4
	s_or_b64 s[6:7], vcc, s[2:3]
	v_mov_b32_e32 v13, v12
	s_and_saveexec_b64 s[2:3], s[6:7]
	s_cbranch_execz .LBB153_306
; %bb.305:
	v_sub_f32_e32 v13, v15, v14
	s_mov_b32 s5, 0x3fb8aa3b
	v_mul_f32_e32 v15, 0x3fb8aa3b, v13
	v_fma_f32 v16, v13, s5, -v15
	v_rndne_f32_e32 v17, v15
	v_fmamk_f32 v16, v13, 0x32a5705f, v16
	v_sub_f32_e32 v15, v15, v17
	v_add_f32_e32 v15, v15, v16
	v_exp_f32_e32 v15, v15
	v_cvt_i32_f32_e32 v16, v17
	s_mov_b32 s5, 0xc2ce8ed0
	v_cmp_ngt_f32_e32 vcc, s5, v13
	s_mov_b32 s5, 0x42b17218
	v_ldexp_f32 v15, v15, v16
	v_cndmask_b32_e32 v15, 0, v15, vcc
	v_mov_b32_e32 v18, 0x7f800000
	v_cmp_nlt_f32_e32 vcc, s5, v13
	s_mov_b32 s5, 0x3f2aaaab
	s_mov_b32 s6, 0x7f800000
	v_cndmask_b32_e32 v13, v18, v15, vcc
	v_add_f32_e32 v15, 1.0, v13
	v_add_f32_e32 v16, -1.0, v15
	v_sub_f32_e32 v17, v16, v15
	v_add_f32_e32 v17, 1.0, v17
	v_sub_f32_e32 v16, v13, v16
	v_add_f32_e32 v21, v16, v17
	v_frexp_mant_f32_e32 v22, v15
	v_cvt_f64_f32_e32 v[16:17], v15
	v_frexp_exp_i32_f64_e32 v16, v[16:17]
	v_cmp_gt_f32_e32 vcc, s5, v22
	s_mov_b32 s5, 0x3f317218
	s_nop 0
	v_subbrev_co_u32_e32 v28, vcc, 0, v16, vcc
	v_sub_u32_e32 v16, 0, v28
	v_ldexp_f32 v15, v15, v16
	v_ldexp_f32 v16, v21, v16
	v_add_f32_e32 v21, -1.0, v15
	v_add_f32_e32 v17, 1.0, v21
	v_sub_f32_e32 v17, v15, v17
	v_add_f32_e32 v22, v16, v17
	v_add_f32_e32 v17, 1.0, v15
	v_add_f32_e32 v23, -1.0, v17
	v_sub_f32_e32 v15, v15, v23
	v_add_f32_e32 v15, v16, v15
	v_add_f32_e32 v29, v17, v15
	v_rcp_f32_e32 v31, v29
	v_sub_f32_e32 v16, v17, v29
	v_add_f32_e32 v17, v21, v22
	v_add_f32_e32 v15, v15, v16
	v_sub_f32_e32 v16, v21, v17
	v_mul_f32_e32 v34, v17, v31
	v_add_f32_e32 v21, v22, v16
	v_mul_f32_e32 v22, v29, v34
	v_fma_f32 v24, v34, v29, -v22
	v_fmac_f32_e32 v24, v34, v15
	v_add_f32_e32 v16, v22, v24
	v_sub_f32_e32 v23, v17, v16
	v_pk_add_f32 v[26:27], v[16:17], v[22:23] neg_lo:[0,1] neg_hi:[0,1]
	v_mov_b32_e32 v25, v16
	v_pk_add_f32 v[16:17], v[26:27], v[24:25] neg_lo:[0,1] neg_hi:[0,1]
	v_cmp_neq_f32_e32 vcc, s6, v13
	v_add_f32_e32 v17, v21, v17
	v_add_f32_e32 v16, v16, v17
	;; [unrolled: 1-line block ×3, first 2 shown]
	v_mul_f32_e32 v21, v31, v17
	v_mul_f32_e32 v22, v29, v21
	v_fma_f32 v24, v21, v29, -v22
	v_fmac_f32_e32 v24, v21, v15
	v_sub_f32_e32 v15, v23, v17
	v_add_f32_e32 v15, v16, v15
	v_add_f32_e32 v16, v22, v24
	v_sub_f32_e32 v23, v17, v16
	v_pk_add_f32 v[26:27], v[16:17], v[22:23] neg_lo:[0,1] neg_hi:[0,1]
	v_mov_b32_e32 v25, v16
	v_pk_add_f32 v[16:17], v[26:27], v[24:25] neg_lo:[0,1] neg_hi:[0,1]
	v_cvt_f32_i32_e32 v22, v28
	v_add_f32_e32 v15, v15, v17
	v_add_f32_e32 v15, v16, v15
	;; [unrolled: 1-line block ×4, first 2 shown]
	v_sub_f32_e32 v17, v16, v34
	v_mul_f32_e32 v15, v31, v15
	v_sub_f32_e32 v17, v21, v17
	v_add_f32_e32 v15, v17, v15
	v_add_f32_e32 v21, v16, v15
	v_mul_f32_e32 v23, v21, v21
	v_mov_b32_e32 v17, 0x3ecc95a3
	v_fmac_f32_e32 v17, 0x3e9b6dac, v23
	v_sub_f32_e32 v16, v21, v16
	v_fmaak_f32 v17, v23, v17, 0x3f2aaada
	v_sub_f32_e32 v15, v15, v16
	v_mul_f32_e32 v23, v21, v23
	v_mov_b32_e32 v16, 0x3f317218
	v_pk_mul_f32 v[16:17], v[22:23], v[16:17]
	v_ldexp_f32 v25, v21, 1
	v_fma_f32 v21, v22, s5, -v16
	v_fmamk_f32 v24, v22, 0xb102e308, v21
	v_pk_add_f32 v[22:23], v[16:17], v[24:25]
	v_ldexp_f32 v15, v15, 1
	v_sub_f32_e32 v21, v23, v25
	v_sub_f32_e32 v21, v17, v21
	v_add_f32_e32 v27, v15, v21
	v_mov_b32_e32 v26, v16
	v_pk_add_f32 v[16:17], v[22:23], v[16:17] neg_lo:[0,1] neg_hi:[0,1]
	v_pk_add_f32 v[28:29], v[22:23], v[26:27]
	v_mov_b32_e32 v25, v22
	v_mov_b32_e32 v17, v29
	v_pk_add_f32 v[34:35], v[24:25], v[16:17] neg_lo:[0,1] neg_hi:[0,1]
	v_pk_add_f32 v[16:17], v[24:25], v[16:17]
	v_mov_b32_e32 v26, v27
	v_pk_add_f32 v[24:25], v[16:17], v[22:23] op_sel:[1,0] op_sel_hi:[0,1] neg_lo:[0,1] neg_hi:[0,1]
	v_pk_add_f32 v[36:37], v[28:29], v[24:25] op_sel_hi:[1,0] neg_lo:[0,1] neg_hi:[0,1]
	v_mov_b32_e32 v28, v29
	v_mov_b32_e32 v29, v17
	v_pk_mov_b32 v[24:25], v[22:23], v[24:25] op_sel:[1,0]
	v_mov_b32_e32 v27, v22
	v_pk_add_f32 v[24:25], v[28:29], v[24:25] neg_lo:[0,1] neg_hi:[0,1]
	v_mov_b32_e32 v36, v34
	v_pk_add_f32 v[22:23], v[26:27], v[24:25] neg_lo:[0,1] neg_hi:[0,1]
	v_mov_b32_e32 v35, v17
	v_pk_add_f32 v[24:25], v[36:37], v[22:23]
	s_mov_b32 s5, 0x33800000
	v_pk_add_f32 v[26:27], v[24:25], v[24:25] op_sel:[0,1] op_sel_hi:[1,0]
	s_nop 0
	v_pk_add_f32 v[16:17], v[16:17], v[26:27] op_sel:[1,0] op_sel_hi:[0,1]
	v_mov_b32_e32 v25, v16
	v_pk_add_f32 v[28:29], v[24:25], v[34:35] neg_lo:[0,1] neg_hi:[0,1]
	v_mov_b32_e32 v23, v26
	v_sub_f32_e32 v15, v24, v28
	v_pk_add_f32 v[22:23], v[22:23], v[28:29] neg_lo:[0,1] neg_hi:[0,1]
	v_sub_f32_e32 v15, v34, v15
	v_add_f32_e32 v15, v22, v15
	v_add_f32_e32 v15, v15, v23
	;; [unrolled: 1-line block ×3, first 2 shown]
	v_cndmask_b32_e32 v15, v18, v15, vcc
	v_cmp_lt_f32_e64 vcc, |v13|, s5
	s_nop 1
	v_cndmask_b32_e32 v13, v15, v13, vcc
	v_add_f32_e32 v13, v14, v13
.LBB153_306:
	s_or_b64 exec, exec, s[2:3]
	v_max_f32_e32 v14, v13, v13
	v_min_f32_e32 v15, v14, v19
	v_cmp_u_f32_e32 vcc, v13, v13
	v_max_f32_e32 v14, v14, v19
	s_nop 0
	v_cndmask_b32_e32 v15, v15, v13, vcc
	v_cndmask_b32_e32 v14, v14, v13, vcc
	v_cndmask_b32_e64 v16, v15, v32, s[26:27]
	v_cndmask_b32_e64 v15, v14, v32, s[26:27]
	v_cmp_neq_f32_e32 vcc, v16, v15
	v_cmp_class_f32_e64 s[2:3], v16, s4
	s_or_b64 s[4:5], vcc, s[2:3]
	v_mov_b32_e32 v14, v13
	s_and_saveexec_b64 s[2:3], s[4:5]
	s_cbranch_execz .LBB153_308
; %bb.307:
	v_sub_f32_e32 v14, v16, v15
	s_mov_b32 s4, 0x3fb8aa3b
	v_mul_f32_e32 v16, 0x3fb8aa3b, v14
	v_fma_f32 v17, v14, s4, -v16
	v_rndne_f32_e32 v18, v16
	v_fmamk_f32 v17, v14, 0x32a5705f, v17
	v_sub_f32_e32 v16, v16, v18
	v_add_f32_e32 v16, v16, v17
	v_exp_f32_e32 v16, v16
	v_cvt_i32_f32_e32 v17, v18
	s_mov_b32 s4, 0xc2ce8ed0
	v_cmp_ngt_f32_e32 vcc, s4, v14
	s_mov_b32 s4, 0x42b17218
	v_ldexp_f32 v16, v16, v17
	v_cndmask_b32_e32 v16, 0, v16, vcc
	v_mov_b32_e32 v21, 0x7f800000
	v_cmp_nlt_f32_e32 vcc, s4, v14
	s_mov_b32 s4, 0x3f2aaaab
	s_mov_b32 s5, 0x7f800000
	v_cndmask_b32_e32 v14, v21, v16, vcc
	v_add_f32_e32 v18, 1.0, v14
	v_add_f32_e32 v16, -1.0, v18
	v_sub_f32_e32 v17, v16, v18
	v_add_f32_e32 v17, 1.0, v17
	v_sub_f32_e32 v16, v14, v16
	v_add_f32_e32 v19, v16, v17
	v_frexp_mant_f32_e32 v22, v18
	v_cvt_f64_f32_e32 v[16:17], v18
	v_frexp_exp_i32_f64_e32 v16, v[16:17]
	v_cmp_gt_f32_e32 vcc, s4, v22
	s_mov_b32 s4, 0x3f317218
	s_nop 0
	v_subbrev_co_u32_e32 v26, vcc, 0, v16, vcc
	v_sub_u32_e32 v16, 0, v26
	v_ldexp_f32 v17, v18, v16
	v_add_f32_e32 v18, -1.0, v17
	v_add_f32_e32 v22, 1.0, v17
	v_ldexp_f32 v16, v19, v16
	v_add_f32_e32 v19, 1.0, v18
	v_add_f32_e32 v23, -1.0, v22
	v_sub_f32_e32 v19, v17, v19
	v_sub_f32_e32 v17, v17, v23
	v_add_f32_e32 v19, v16, v19
	v_add_f32_e32 v16, v16, v17
	;; [unrolled: 1-line block ×3, first 2 shown]
	v_rcp_f32_e32 v29, v27
	v_sub_f32_e32 v17, v22, v27
	v_add_f32_e32 v28, v16, v17
	v_add_f32_e32 v17, v18, v19
	v_mul_f32_e32 v32, v17, v29
	v_sub_f32_e32 v16, v18, v17
	v_mul_f32_e32 v18, v27, v32
	v_fma_f32 v22, v32, v27, -v18
	v_fmac_f32_e32 v22, v32, v28
	v_add_f32_e32 v31, v19, v16
	v_add_f32_e32 v16, v18, v22
	v_sub_f32_e32 v19, v17, v16
	v_pk_add_f32 v[24:25], v[16:17], v[18:19] neg_lo:[0,1] neg_hi:[0,1]
	v_mov_b32_e32 v23, v16
	v_pk_add_f32 v[16:17], v[24:25], v[22:23] neg_lo:[0,1] neg_hi:[0,1]
	v_cmp_neq_f32_e32 vcc, s5, v14
	v_add_f32_e32 v17, v31, v17
	v_add_f32_e32 v16, v16, v17
	;; [unrolled: 1-line block ×3, first 2 shown]
	v_mul_f32_e32 v31, v29, v17
	v_mul_f32_e32 v18, v27, v31
	v_fma_f32 v22, v31, v27, -v18
	v_fmac_f32_e32 v22, v31, v28
	v_sub_f32_e32 v19, v19, v17
	v_add_f32_e32 v27, v16, v19
	v_add_f32_e32 v16, v18, v22
	v_sub_f32_e32 v19, v17, v16
	v_pk_add_f32 v[24:25], v[16:17], v[18:19] neg_lo:[0,1] neg_hi:[0,1]
	v_mov_b32_e32 v23, v16
	v_pk_add_f32 v[16:17], v[24:25], v[22:23] neg_lo:[0,1] neg_hi:[0,1]
	v_cvt_f32_i32_e32 v18, v26
	v_add_f32_e32 v17, v27, v17
	v_add_f32_e32 v16, v16, v17
	;; [unrolled: 1-line block ×4, first 2 shown]
	v_sub_f32_e32 v17, v19, v32
	v_mul_f32_e32 v16, v29, v16
	v_sub_f32_e32 v17, v31, v17
	v_add_f32_e32 v16, v17, v16
	v_add_f32_e32 v22, v19, v16
	v_mul_f32_e32 v24, v22, v22
	v_mov_b32_e32 v17, 0x3ecc95a3
	v_sub_f32_e32 v19, v22, v19
	v_fmac_f32_e32 v17, 0x3e9b6dac, v24
	v_sub_f32_e32 v16, v16, v19
	v_fmaak_f32 v17, v24, v17, 0x3f2aaada
	v_ldexp_f32 v25, v16, 1
	v_mul_f32_e32 v19, v22, v24
	v_mov_b32_e32 v16, 0x3f317218
	v_pk_mul_f32 v[16:17], v[18:19], v[16:17]
	v_ldexp_f32 v23, v22, 1
	v_fma_f32 v19, v18, s4, -v16
	v_fmamk_f32 v22, v18, 0xb102e308, v19
	v_pk_add_f32 v[18:19], v[16:17], v[22:23]
	v_mov_b32_e32 v24, v16
	v_sub_f32_e32 v23, v19, v23
	v_sub_f32_e32 v23, v17, v23
	v_add_f32_e32 v25, v25, v23
	v_pk_add_f32 v[16:17], v[18:19], v[16:17] neg_lo:[0,1] neg_hi:[0,1]
	v_pk_add_f32 v[26:27], v[18:19], v[24:25]
	v_mov_b32_e32 v23, v18
	v_mov_b32_e32 v17, v27
	v_pk_add_f32 v[28:29], v[22:23], v[16:17] neg_lo:[0,1] neg_hi:[0,1]
	v_pk_add_f32 v[16:17], v[22:23], v[16:17]
	v_mov_b32_e32 v24, v25
	v_pk_add_f32 v[22:23], v[16:17], v[18:19] op_sel:[1,0] op_sel_hi:[0,1] neg_lo:[0,1] neg_hi:[0,1]
	v_pk_add_f32 v[34:35], v[26:27], v[22:23] op_sel_hi:[1,0] neg_lo:[0,1] neg_hi:[0,1]
	v_mov_b32_e32 v26, v27
	v_mov_b32_e32 v27, v17
	v_pk_mov_b32 v[22:23], v[18:19], v[22:23] op_sel:[1,0]
	v_mov_b32_e32 v25, v18
	v_pk_add_f32 v[22:23], v[26:27], v[22:23] neg_lo:[0,1] neg_hi:[0,1]
	v_mov_b32_e32 v34, v28
	v_pk_add_f32 v[18:19], v[24:25], v[22:23] neg_lo:[0,1] neg_hi:[0,1]
	v_mov_b32_e32 v29, v17
	v_pk_add_f32 v[22:23], v[34:35], v[18:19]
	s_mov_b32 s4, 0x33800000
	v_pk_add_f32 v[24:25], v[22:23], v[22:23] op_sel:[0,1] op_sel_hi:[1,0]
	s_nop 0
	v_pk_add_f32 v[16:17], v[16:17], v[24:25] op_sel:[1,0] op_sel_hi:[0,1]
	v_mov_b32_e32 v23, v16
	v_pk_add_f32 v[26:27], v[22:23], v[28:29] neg_lo:[0,1] neg_hi:[0,1]
	v_mov_b32_e32 v19, v24
	v_sub_f32_e32 v17, v22, v26
	v_pk_add_f32 v[18:19], v[18:19], v[26:27] neg_lo:[0,1] neg_hi:[0,1]
	v_sub_f32_e32 v17, v28, v17
	v_add_f32_e32 v17, v18, v17
	v_add_f32_e32 v17, v17, v19
	;; [unrolled: 1-line block ×3, first 2 shown]
	v_cndmask_b32_e32 v16, v21, v16, vcc
	v_cmp_lt_f32_e64 vcc, |v14|, s4
	s_nop 1
	v_cndmask_b32_e32 v14, v16, v14, vcc
	v_add_f32_e32 v14, v15, v14
.LBB153_308:
	s_or_b64 exec, exec, s[2:3]
	v_max_f32_e32 v15, v14, v14
	v_min_f32_e32 v16, v15, v20
	v_cmp_u_f32_e32 vcc, v14, v14
	v_max_f32_e32 v15, v15, v20
	s_movk_i32 s2, 0x1f8
	v_cndmask_b32_e32 v16, v16, v14, vcc
	v_cndmask_b32_e32 v15, v15, v14, vcc
	v_cndmask_b32_e64 v17, v16, v33, s[28:29]
	v_cndmask_b32_e64 v16, v15, v33, s[28:29]
	v_cmp_neq_f32_e32 vcc, v17, v16
	v_cmp_class_f32_e64 s[2:3], v17, s2
	s_or_b64 s[4:5], vcc, s[2:3]
	v_mov_b32_e32 v15, v14
	s_and_saveexec_b64 s[2:3], s[4:5]
	s_cbranch_execz .LBB153_310
; %bb.309:
	v_sub_f32_e32 v15, v17, v16
	s_mov_b32 s4, 0x3fb8aa3b
	v_mul_f32_e32 v17, 0x3fb8aa3b, v15
	v_fma_f32 v18, v15, s4, -v17
	v_rndne_f32_e32 v19, v17
	v_fmamk_f32 v18, v15, 0x32a5705f, v18
	v_sub_f32_e32 v17, v17, v19
	v_add_f32_e32 v17, v17, v18
	v_exp_f32_e32 v17, v17
	v_cvt_i32_f32_e32 v18, v19
	s_mov_b32 s4, 0xc2ce8ed0
	v_cmp_ngt_f32_e32 vcc, s4, v15
	s_mov_b32 s4, 0x42b17218
	v_ldexp_f32 v17, v17, v18
	v_cndmask_b32_e32 v17, 0, v17, vcc
	v_mov_b32_e32 v31, 0x7f800000
	v_cmp_nlt_f32_e32 vcc, s4, v15
	s_mov_b32 s4, 0x3f2aaaab
	s_mov_b32 s5, 0x7f800000
	v_cndmask_b32_e32 v15, v31, v17, vcc
	v_add_f32_e32 v17, 1.0, v15
	v_add_f32_e32 v18, -1.0, v17
	v_sub_f32_e32 v19, v18, v17
	v_add_f32_e32 v19, 1.0, v19
	v_sub_f32_e32 v18, v15, v18
	v_add_f32_e32 v20, v18, v19
	v_frexp_mant_f32_e32 v21, v17
	v_cvt_f64_f32_e32 v[18:19], v17
	v_frexp_exp_i32_f64_e32 v18, v[18:19]
	v_cmp_gt_f32_e32 vcc, s4, v21
	s_mov_b32 s4, 0x3f317218
	s_nop 0
	v_subbrev_co_u32_e32 v26, vcc, 0, v18, vcc
	v_sub_u32_e32 v18, 0, v26
	v_ldexp_f32 v17, v17, v18
	v_ldexp_f32 v18, v20, v18
	v_add_f32_e32 v20, -1.0, v17
	v_add_f32_e32 v19, 1.0, v20
	v_sub_f32_e32 v19, v17, v19
	v_add_f32_e32 v21, v18, v19
	v_add_f32_e32 v19, 1.0, v17
	v_add_f32_e32 v22, -1.0, v19
	v_sub_f32_e32 v17, v17, v22
	v_add_f32_e32 v17, v18, v17
	v_add_f32_e32 v27, v19, v17
	v_rcp_f32_e32 v28, v27
	v_sub_f32_e32 v18, v19, v27
	v_add_f32_e32 v19, v20, v21
	v_add_f32_e32 v17, v17, v18
	v_mul_f32_e32 v32, v19, v28
	v_sub_f32_e32 v18, v20, v19
	v_mul_f32_e32 v20, v27, v32
	v_fma_f32 v22, v32, v27, -v20
	v_fmac_f32_e32 v22, v32, v17
	v_add_f32_e32 v29, v21, v18
	v_add_f32_e32 v18, v20, v22
	v_sub_f32_e32 v21, v19, v18
	v_pk_add_f32 v[24:25], v[18:19], v[20:21] neg_lo:[0,1] neg_hi:[0,1]
	v_mov_b32_e32 v23, v18
	v_pk_add_f32 v[18:19], v[24:25], v[22:23] neg_lo:[0,1] neg_hi:[0,1]
	v_cmp_neq_f32_e32 vcc, s5, v15
	v_add_f32_e32 v19, v29, v19
	v_add_f32_e32 v18, v18, v19
	;; [unrolled: 1-line block ×3, first 2 shown]
	v_mul_f32_e32 v29, v28, v19
	v_mul_f32_e32 v20, v27, v29
	v_fma_f32 v22, v29, v27, -v20
	v_fmac_f32_e32 v22, v29, v17
	v_sub_f32_e32 v17, v21, v19
	v_add_f32_e32 v17, v18, v17
	v_add_f32_e32 v18, v20, v22
	v_sub_f32_e32 v21, v19, v18
	v_pk_add_f32 v[24:25], v[18:19], v[20:21] neg_lo:[0,1] neg_hi:[0,1]
	v_mov_b32_e32 v23, v18
	v_pk_add_f32 v[18:19], v[24:25], v[22:23] neg_lo:[0,1] neg_hi:[0,1]
	v_cvt_f32_i32_e32 v20, v26
	v_add_f32_e32 v17, v17, v19
	v_add_f32_e32 v17, v18, v17
	;; [unrolled: 1-line block ×4, first 2 shown]
	v_sub_f32_e32 v19, v18, v32
	v_mul_f32_e32 v17, v28, v17
	v_sub_f32_e32 v19, v29, v19
	v_add_f32_e32 v17, v19, v17
	v_add_f32_e32 v21, v18, v17
	v_mul_f32_e32 v22, v21, v21
	v_mov_b32_e32 v19, 0x3ecc95a3
	v_fmac_f32_e32 v19, 0x3e9b6dac, v22
	v_sub_f32_e32 v18, v21, v18
	v_fmaak_f32 v19, v22, v19, 0x3f2aaada
	v_sub_f32_e32 v17, v17, v18
	v_ldexp_f32 v23, v21, 1
	v_mul_f32_e32 v21, v21, v22
	v_mov_b32_e32 v18, 0x3f317218
	v_pk_mul_f32 v[18:19], v[20:21], v[18:19]
	v_ldexp_f32 v17, v17, 1
	v_fma_f32 v21, v20, s4, -v18
	v_fmamk_f32 v22, v20, 0xb102e308, v21
	v_pk_add_f32 v[20:21], v[18:19], v[22:23]
	v_mov_b32_e32 v24, v18
	v_sub_f32_e32 v23, v21, v23
	v_sub_f32_e32 v23, v19, v23
	v_add_f32_e32 v25, v17, v23
	v_pk_add_f32 v[18:19], v[20:21], v[18:19] neg_lo:[0,1] neg_hi:[0,1]
	v_pk_add_f32 v[26:27], v[20:21], v[24:25]
	v_mov_b32_e32 v23, v20
	v_mov_b32_e32 v19, v27
	v_pk_add_f32 v[28:29], v[22:23], v[18:19] neg_lo:[0,1] neg_hi:[0,1]
	v_pk_add_f32 v[18:19], v[22:23], v[18:19]
	v_mov_b32_e32 v24, v25
	v_pk_add_f32 v[22:23], v[18:19], v[20:21] op_sel:[1,0] op_sel_hi:[0,1] neg_lo:[0,1] neg_hi:[0,1]
	v_pk_add_f32 v[32:33], v[26:27], v[22:23] op_sel_hi:[1,0] neg_lo:[0,1] neg_hi:[0,1]
	v_mov_b32_e32 v26, v27
	v_mov_b32_e32 v27, v19
	v_pk_mov_b32 v[22:23], v[20:21], v[22:23] op_sel:[1,0]
	v_mov_b32_e32 v25, v20
	v_pk_add_f32 v[22:23], v[26:27], v[22:23] neg_lo:[0,1] neg_hi:[0,1]
	v_mov_b32_e32 v32, v28
	v_pk_add_f32 v[20:21], v[24:25], v[22:23] neg_lo:[0,1] neg_hi:[0,1]
	v_mov_b32_e32 v29, v19
	v_pk_add_f32 v[22:23], v[32:33], v[20:21]
	s_mov_b32 s4, 0x33800000
	v_pk_add_f32 v[24:25], v[22:23], v[22:23] op_sel:[0,1] op_sel_hi:[1,0]
	s_nop 0
	v_pk_add_f32 v[18:19], v[18:19], v[24:25] op_sel:[1,0] op_sel_hi:[0,1]
	v_mov_b32_e32 v23, v18
	v_pk_add_f32 v[26:27], v[22:23], v[28:29] neg_lo:[0,1] neg_hi:[0,1]
	v_mov_b32_e32 v21, v24
	v_sub_f32_e32 v17, v22, v26
	v_pk_add_f32 v[20:21], v[20:21], v[26:27] neg_lo:[0,1] neg_hi:[0,1]
	v_sub_f32_e32 v17, v28, v17
	v_add_f32_e32 v17, v20, v17
	v_add_f32_e32 v17, v17, v21
	;; [unrolled: 1-line block ×3, first 2 shown]
	v_cndmask_b32_e32 v17, v31, v17, vcc
	v_cmp_lt_f32_e64 vcc, |v15|, s4
	s_nop 1
	v_cndmask_b32_e32 v15, v17, v15, vcc
	v_add_f32_e32 v15, v16, v15
.LBB153_310:
	s_or_b64 exec, exec, s[2:3]
	s_movk_i32 s2, 0xff
	v_cmp_eq_u32_e32 vcc, s2, v0
	s_and_saveexec_b64 s[2:3], vcc
	s_cbranch_execz .LBB153_312
; %bb.311:
	v_mov_b32_e32 v16, 0
	v_mov_b32_e32 v19, 2
	;; [unrolled: 1-line block ×3, first 2 shown]
	global_store_dwordx2 v16, v[18:19], s[42:43] offset:512 sc1
.LBB153_312:
	s_or_b64 exec, exec, s[2:3]
	v_mov_b64_e32 v[20:21], v[16:17]
	v_mov_b64_e32 v[18:19], v[14:15]
	v_mov_b64_e32 v[16:17], v[12:13]
	v_mov_b64_e32 v[14:15], v[10:11]
	v_mov_b64_e32 v[12:13], v[8:9]
	v_mov_b64_e32 v[10:11], v[6:7]
	v_mov_b64_e32 v[8:9], v[4:5]
	v_mov_b64_e32 v[6:7], v[2:3]
.LBB153_313:
	s_add_u32 s2, s56, s54
	s_addc_u32 s3, s57, s55
	s_add_u32 s2, s2, s52
	s_addc_u32 s3, s3, s53
	s_mov_b64 s[4:5], -1
	s_and_b64 vcc, exec, s[0:1]
	s_barrier
	s_cbranch_vccz .LBB153_315
; %bb.314:
	v_mov_b32_e32 v31, 0
	ds_write2_b64 v1, v[6:7], v[8:9] offset1:1
	ds_write2_b64 v1, v[10:11], v[12:13] offset0:2 offset1:3
	ds_write2_b64 v1, v[14:15], v[16:17] offset0:4 offset1:5
	ds_write_b64 v1, v[18:19] offset:48
	s_waitcnt lgkmcnt(0)
	s_barrier
	ds_read2st64_b32 v[2:3], v30 offset1:4
	ds_read2st64_b32 v[4:5], v30 offset0:8 offset1:12
	ds_read2st64_b32 v[20:21], v30 offset0:16 offset1:20
	;; [unrolled: 1-line block ×6, first 2 shown]
	v_lshl_add_u64 v[32:33], s[2:3], 0, v[30:31]
	s_movk_i32 s0, 0x1000
	s_waitcnt lgkmcnt(6)
	global_store_dword v30, v2, s[2:3]
	global_store_dword v30, v3, s[2:3] offset:1024
	s_waitcnt lgkmcnt(5)
	global_store_dword v30, v4, s[2:3] offset:2048
	global_store_dword v30, v5, s[2:3] offset:3072
	v_add_co_u32_e32 v2, vcc, s0, v32
	s_movk_i32 s0, 0x2000
	s_nop 0
	v_addc_co_u32_e32 v3, vcc, 0, v33, vcc
	v_add_co_u32_e32 v4, vcc, s0, v32
	s_mov_b64 s[4:5], 0
	s_nop 0
	v_addc_co_u32_e32 v5, vcc, 0, v33, vcc
	s_waitcnt lgkmcnt(4)
	global_store_dword v[4:5], v20, off offset:-4096
	global_store_dword v[2:3], v21, off offset:1024
	s_waitcnt lgkmcnt(3)
	global_store_dword v[2:3], v22, off offset:2048
	global_store_dword v[2:3], v23, off offset:3072
	s_waitcnt lgkmcnt(2)
	global_store_dword v[4:5], v24, off
	global_store_dword v[4:5], v25, off offset:1024
	s_waitcnt lgkmcnt(1)
	global_store_dword v[4:5], v26, off offset:2048
	global_store_dword v[4:5], v27, off offset:3072
	v_add_co_u32_e32 v2, vcc, 0x3000, v32
	s_nop 1
	v_addc_co_u32_e32 v3, vcc, 0, v33, vcc
	s_waitcnt lgkmcnt(0)
	global_store_dword v[2:3], v28, off
	global_store_dword v[2:3], v29, off offset:1024
.LBB153_315:
	s_andn2_b64 vcc, exec, s[4:5]
	s_cbranch_vccnz .LBB153_395
; %bb.316:
	ds_write2_b64 v1, v[6:7], v[8:9] offset1:1
	ds_write2_b64 v1, v[10:11], v[12:13] offset0:2 offset1:3
	ds_write2_b64 v1, v[14:15], v[16:17] offset0:4 offset1:5
	ds_write_b64 v1, v[18:19] offset:48
	s_waitcnt lgkmcnt(0)
	s_barrier
	ds_read2st64_b32 v[6:7], v30 offset1:4
	ds_read2st64_b32 v[8:9], v30 offset0:8 offset1:12
	ds_read2st64_b32 v[10:11], v30 offset0:16 offset1:20
	;; [unrolled: 1-line block ×6, first 2 shown]
	v_mov_b32_e32 v31, 0
	v_lshl_add_u64 v[2:3], s[2:3], 0, v[30:31]
	v_cmp_gt_u32_e32 vcc, s33, v0
	s_and_saveexec_b64 s[0:1], vcc
	s_cbranch_execz .LBB153_318
; %bb.317:
	s_waitcnt lgkmcnt(6)
	global_store_dword v[2:3], v6, off
.LBB153_318:
	s_or_b64 exec, exec, s[0:1]
	v_or_b32_e32 v1, 0x100, v0
	v_cmp_gt_u32_e32 vcc, s33, v1
	s_and_saveexec_b64 s[0:1], vcc
	s_cbranch_execz .LBB153_320
; %bb.319:
	s_waitcnt lgkmcnt(6)
	global_store_dword v[2:3], v7, off offset:1024
.LBB153_320:
	s_or_b64 exec, exec, s[0:1]
	v_or_b32_e32 v1, 0x200, v0
	v_cmp_gt_u32_e32 vcc, s33, v1
	s_and_saveexec_b64 s[0:1], vcc
	s_cbranch_execz .LBB153_322
; %bb.321:
	s_waitcnt lgkmcnt(5)
	global_store_dword v[2:3], v8, off offset:2048
.LBB153_322:
	;; [unrolled: 9-line block ×3, first 2 shown]
	s_or_b64 exec, exec, s[0:1]
	v_or_b32_e32 v1, 0x400, v0
	v_cmp_gt_u32_e32 vcc, s33, v1
	s_and_saveexec_b64 s[0:1], vcc
	s_cbranch_execz .LBB153_326
; %bb.325:
	v_add_co_u32_e32 v18, vcc, 0x1000, v2
	s_nop 1
	v_addc_co_u32_e32 v19, vcc, 0, v3, vcc
	s_waitcnt lgkmcnt(4)
	global_store_dword v[18:19], v10, off
.LBB153_326:
	s_or_b64 exec, exec, s[0:1]
	v_or_b32_e32 v1, 0x500, v0
	v_cmp_gt_u32_e32 vcc, s33, v1
	s_and_saveexec_b64 s[0:1], vcc
	s_cbranch_execz .LBB153_328
; %bb.327:
	v_add_co_u32_e32 v18, vcc, 0x1000, v2
	s_nop 1
	v_addc_co_u32_e32 v19, vcc, 0, v3, vcc
	s_waitcnt lgkmcnt(4)
	global_store_dword v[18:19], v11, off offset:1024
.LBB153_328:
	s_or_b64 exec, exec, s[0:1]
	v_or_b32_e32 v1, 0x600, v0
	v_cmp_gt_u32_e32 vcc, s33, v1
	s_and_saveexec_b64 s[0:1], vcc
	s_cbranch_execz .LBB153_330
; %bb.329:
	v_add_co_u32_e32 v18, vcc, 0x1000, v2
	s_nop 1
	v_addc_co_u32_e32 v19, vcc, 0, v3, vcc
	s_waitcnt lgkmcnt(3)
	global_store_dword v[18:19], v4, off offset:2048
.LBB153_330:
	s_or_b64 exec, exec, s[0:1]
	v_or_b32_e32 v1, 0x700, v0
	v_cmp_gt_u32_e32 vcc, s33, v1
	s_and_saveexec_b64 s[0:1], vcc
	s_cbranch_execz .LBB153_332
; %bb.331:
	v_add_co_u32_e32 v18, vcc, 0x1000, v2
	s_nop 1
	v_addc_co_u32_e32 v19, vcc, 0, v3, vcc
	s_waitcnt lgkmcnt(3)
	global_store_dword v[18:19], v5, off offset:3072
.LBB153_332:
	s_or_b64 exec, exec, s[0:1]
	v_or_b32_e32 v1, 0x800, v0
	v_cmp_gt_u32_e32 vcc, s33, v1
	s_and_saveexec_b64 s[0:1], vcc
	s_cbranch_execz .LBB153_334
; %bb.333:
	v_add_co_u32_e32 v18, vcc, 0x2000, v2
	s_nop 1
	v_addc_co_u32_e32 v19, vcc, 0, v3, vcc
	s_waitcnt lgkmcnt(2)
	global_store_dword v[18:19], v14, off
.LBB153_334:
	s_or_b64 exec, exec, s[0:1]
	v_or_b32_e32 v1, 0x900, v0
	v_cmp_gt_u32_e32 vcc, s33, v1
	s_and_saveexec_b64 s[0:1], vcc
	s_cbranch_execz .LBB153_336
; %bb.335:
	v_add_co_u32_e32 v18, vcc, 0x2000, v2
	s_nop 1
	v_addc_co_u32_e32 v19, vcc, 0, v3, vcc
	s_waitcnt lgkmcnt(2)
	global_store_dword v[18:19], v15, off offset:1024
.LBB153_336:
	s_or_b64 exec, exec, s[0:1]
	v_or_b32_e32 v1, 0xa00, v0
	v_cmp_gt_u32_e32 vcc, s33, v1
	s_and_saveexec_b64 s[0:1], vcc
	s_cbranch_execz .LBB153_338
; %bb.337:
	v_add_co_u32_e32 v18, vcc, 0x2000, v2
	s_nop 1
	v_addc_co_u32_e32 v19, vcc, 0, v3, vcc
	s_waitcnt lgkmcnt(1)
	global_store_dword v[18:19], v12, off offset:2048
.LBB153_338:
	;; [unrolled: 12-line block ×3, first 2 shown]
	s_or_b64 exec, exec, s[0:1]
	v_or_b32_e32 v1, 0xc00, v0
	v_cmp_gt_u32_e32 vcc, s33, v1
	s_and_saveexec_b64 s[0:1], vcc
	s_cbranch_execz .LBB153_342
; %bb.341:
	v_add_co_u32_e32 v18, vcc, 0x3000, v2
	s_nop 1
	v_addc_co_u32_e32 v19, vcc, 0, v3, vcc
	s_waitcnt lgkmcnt(0)
	global_store_dword v[18:19], v16, off
.LBB153_342:
	s_or_b64 exec, exec, s[0:1]
	v_or_b32_e32 v1, 0xd00, v0
	v_cmp_gt_u32_e32 vcc, s33, v1
	s_and_saveexec_b64 s[0:1], vcc
	s_cbranch_execz .LBB153_344
; %bb.343:
	v_add_co_u32_e32 v2, vcc, 0x3000, v2
	s_nop 1
	v_addc_co_u32_e32 v3, vcc, 0, v3, vcc
	s_waitcnt lgkmcnt(0)
	global_store_dword v[2:3], v17, off offset:1024
.LBB153_344:
	s_or_b64 exec, exec, s[0:1]
	v_cmp_lt_u64_e64 s[0:1], s[50:51], 2
	s_and_b64 vcc, exec, s[0:1]
	s_cbranch_vccnz .LBB153_395
; %bb.345:
	s_add_u32 s0, s33, -1
	s_addc_u32 s1, s62, -1
	s_lshr_b64 s[2:3], s[0:1], 1
	s_lshr_b32 s5, s1, 1
	s_mul_hi_u32 s3, s2, 0x49249249
	s_mul_i32 s4, s2, 0x49249249
	s_mul_i32 s7, s5, 0x24924925
	s_mul_hi_u32 s2, s2, 0x24924925
	s_mul_hi_u32 s6, s5, 0x24924925
	s_add_u32 s2, s7, s2
	s_addc_u32 s6, s6, 0
	s_add_u32 s2, s4, s2
	s_addc_u32 s2, s3, 0
	;; [unrolled: 2-line block ×3, first 2 shown]
	s_mul_hi_u32 s4, s5, 0x49249249
	s_mul_i32 s5, s5, 0x49249249
	s_add_u32 s2, s5, s2
	s_addc_u32 s3, s4, s3
	v_mov_b32_e32 v1, v31
	s_lshr_b64 s[2:3], s[2:3], 1
	v_cmp_eq_u64_e32 vcc, s[2:3], v[0:1]
	s_and_saveexec_b64 s[2:3], vcc
	s_cbranch_execz .LBB153_395
; %bb.346:
	v_mul_hi_u32_u24_e32 v1, 14, v0
	v_mul_u32_u24_e32 v0, 14, v0
	v_mov_b32_e32 v2, s1
	v_sub_co_u32_e32 v0, vcc, s0, v0
	s_nop 1
	v_subb_co_u32_e32 v1, vcc, v2, v1, vcc
	v_cmp_lt_i64_e32 vcc, 6, v[0:1]
	s_and_saveexec_b64 s[0:1], vcc
	s_xor_b64 s[0:1], exec, s[0:1]
	s_cbranch_execz .LBB153_372
; %bb.347:
	v_cmp_lt_i64_e32 vcc, 9, v[0:1]
	s_and_saveexec_b64 s[2:3], vcc
	s_xor_b64 s[2:3], exec, s[2:3]
	s_cbranch_execz .LBB153_361
; %bb.348:
	;; [unrolled: 5-line block ×4, first 2 shown]
	v_mov_b32_e32 v0, 0
	s_waitcnt lgkmcnt(0)
	global_store_dword v0, v17, s[46:47]
                                        ; implicit-def: $vgpr16_vgpr17
.LBB153_351:
	s_andn2_saveexec_b64 s[6:7], s[6:7]
	s_cbranch_execz .LBB153_353
; %bb.352:
	v_mov_b32_e32 v0, 0
	s_waitcnt lgkmcnt(0)
	global_store_dword v0, v16, s[46:47]
.LBB153_353:
	s_or_b64 exec, exec, s[6:7]
                                        ; implicit-def: $vgpr12_vgpr13
                                        ; implicit-def: $vgpr0_vgpr1
.LBB153_354:
	s_andn2_saveexec_b64 s[4:5], s[4:5]
	s_cbranch_execz .LBB153_360
; %bb.355:
	v_cmp_lt_i64_e32 vcc, 10, v[0:1]
	s_and_saveexec_b64 s[6:7], vcc
	s_xor_b64 s[6:7], exec, s[6:7]
	s_cbranch_execz .LBB153_357
; %bb.356:
	v_mov_b32_e32 v0, 0
	s_waitcnt lgkmcnt(1)
	global_store_dword v0, v13, s[46:47]
                                        ; implicit-def: $vgpr12_vgpr13
.LBB153_357:
	s_andn2_saveexec_b64 s[6:7], s[6:7]
	s_cbranch_execz .LBB153_359
; %bb.358:
	v_mov_b32_e32 v0, 0
	s_waitcnt lgkmcnt(1)
	global_store_dword v0, v12, s[46:47]
.LBB153_359:
	s_or_b64 exec, exec, s[6:7]
.LBB153_360:
	s_or_b64 exec, exec, s[4:5]
                                        ; implicit-def: $vgpr4_vgpr5
                                        ; implicit-def: $vgpr0_vgpr1
                                        ; implicit-def: $vgpr14_vgpr15
.LBB153_361:
	s_andn2_saveexec_b64 s[2:3], s[2:3]
	s_cbranch_execz .LBB153_371
; %bb.362:
	v_cmp_lt_i64_e32 vcc, 7, v[0:1]
	s_and_saveexec_b64 s[4:5], vcc
	s_xor_b64 s[4:5], exec, s[4:5]
	s_cbranch_execz .LBB153_368
; %bb.363:
	v_cmp_lt_i64_e32 vcc, 8, v[0:1]
	s_and_saveexec_b64 s[6:7], vcc
	s_xor_b64 s[6:7], exec, s[6:7]
	s_cbranch_execz .LBB153_365
; %bb.364:
	v_mov_b32_e32 v0, 0
	s_waitcnt lgkmcnt(2)
	global_store_dword v0, v15, s[46:47]
                                        ; implicit-def: $vgpr14_vgpr15
.LBB153_365:
	s_andn2_saveexec_b64 s[6:7], s[6:7]
	s_cbranch_execz .LBB153_367
; %bb.366:
	v_mov_b32_e32 v0, 0
	s_waitcnt lgkmcnt(2)
	global_store_dword v0, v14, s[46:47]
.LBB153_367:
	s_or_b64 exec, exec, s[6:7]
                                        ; implicit-def: $vgpr4_vgpr5
.LBB153_368:
	s_andn2_saveexec_b64 s[4:5], s[4:5]
	s_cbranch_execz .LBB153_370
; %bb.369:
	v_mov_b32_e32 v0, 0
	s_waitcnt lgkmcnt(3)
	global_store_dword v0, v5, s[46:47]
.LBB153_370:
	s_or_b64 exec, exec, s[4:5]
.LBB153_371:
	s_or_b64 exec, exec, s[2:3]
                                        ; implicit-def: $vgpr0_vgpr1
                                        ; implicit-def: $vgpr10_vgpr11
                                        ; implicit-def: $vgpr6_vgpr7
                                        ; implicit-def: $vgpr8_vgpr9
                                        ; implicit-def: $vgpr4_vgpr5
.LBB153_372:
	s_andn2_saveexec_b64 s[0:1], s[0:1]
	s_cbranch_execz .LBB153_395
; %bb.373:
	v_cmp_lt_i64_e32 vcc, 3, v[0:1]
	s_and_saveexec_b64 s[0:1], vcc
	s_xor_b64 s[0:1], exec, s[0:1]
	s_cbranch_execz .LBB153_383
; %bb.374:
	v_cmp_lt_i64_e32 vcc, 4, v[0:1]
	s_and_saveexec_b64 s[2:3], vcc
	s_xor_b64 s[2:3], exec, s[2:3]
	;; [unrolled: 5-line block ×3, first 2 shown]
	s_cbranch_execz .LBB153_377
; %bb.376:
	v_mov_b32_e32 v0, 0
	s_waitcnt lgkmcnt(3)
	global_store_dword v0, v4, s[46:47]
                                        ; implicit-def: $vgpr10_vgpr11
.LBB153_377:
	s_andn2_saveexec_b64 s[4:5], s[4:5]
	s_cbranch_execz .LBB153_379
; %bb.378:
	v_mov_b32_e32 v0, 0
	s_waitcnt lgkmcnt(4)
	global_store_dword v0, v11, s[46:47]
.LBB153_379:
	s_or_b64 exec, exec, s[4:5]
                                        ; implicit-def: $vgpr10_vgpr11
.LBB153_380:
	s_andn2_saveexec_b64 s[2:3], s[2:3]
	s_cbranch_execz .LBB153_382
; %bb.381:
	v_mov_b32_e32 v0, 0
	s_waitcnt lgkmcnt(4)
	global_store_dword v0, v10, s[46:47]
.LBB153_382:
	s_or_b64 exec, exec, s[2:3]
                                        ; implicit-def: $vgpr0_vgpr1
                                        ; implicit-def: $vgpr6_vgpr7
                                        ; implicit-def: $vgpr8_vgpr9
.LBB153_383:
	s_andn2_saveexec_b64 s[0:1], s[0:1]
	s_cbranch_execz .LBB153_395
; %bb.384:
	v_cmp_lt_i64_e32 vcc, 1, v[0:1]
	s_and_saveexec_b64 s[0:1], vcc
	s_xor_b64 s[0:1], exec, s[0:1]
	s_cbranch_execz .LBB153_390
; %bb.385:
	v_cmp_lt_i64_e32 vcc, 2, v[0:1]
	s_and_saveexec_b64 s[2:3], vcc
	s_xor_b64 s[2:3], exec, s[2:3]
	s_cbranch_execz .LBB153_387
; %bb.386:
	v_mov_b32_e32 v0, 0
	s_waitcnt lgkmcnt(5)
	global_store_dword v0, v9, s[46:47]
                                        ; implicit-def: $vgpr8_vgpr9
.LBB153_387:
	s_andn2_saveexec_b64 s[2:3], s[2:3]
	s_cbranch_execz .LBB153_389
; %bb.388:
	v_mov_b32_e32 v0, 0
	s_waitcnt lgkmcnt(5)
	global_store_dword v0, v8, s[46:47]
.LBB153_389:
	s_or_b64 exec, exec, s[2:3]
                                        ; implicit-def: $vgpr6_vgpr7
                                        ; implicit-def: $vgpr0_vgpr1
.LBB153_390:
	s_andn2_saveexec_b64 s[0:1], s[0:1]
	s_cbranch_execz .LBB153_395
; %bb.391:
	v_cmp_ne_u64_e32 vcc, 1, v[0:1]
	s_and_saveexec_b64 s[0:1], vcc
	s_xor_b64 s[0:1], exec, s[0:1]
	s_cbranch_execz .LBB153_393
; %bb.392:
	v_mov_b32_e32 v0, 0
	s_waitcnt lgkmcnt(6)
	global_store_dword v0, v6, s[46:47]
                                        ; implicit-def: $vgpr6_vgpr7
.LBB153_393:
	s_andn2_saveexec_b64 s[0:1], s[0:1]
	s_cbranch_execz .LBB153_395
; %bb.394:
	v_mov_b32_e32 v0, 0
	s_waitcnt lgkmcnt(6)
	global_store_dword v0, v7, s[46:47]
.LBB153_395:
	s_endpgm
	.section	.rodata,"a",@progbits
	.p2align	6, 0x0
	.amdhsa_kernel _ZN7rocprim17ROCPRIM_400000_NS6detail17trampoline_kernelINS0_14default_configENS1_20scan_config_selectorIfEEZZNS1_9scan_implILNS1_25lookback_scan_determinismE0ELb0ELb0ES3_PKfPffZZZN2at6native31launch_logcumsumexp_cuda_kernelERKNSB_10TensorBaseESF_lENKUlvE_clEvENKUlvE0_clEvEUlffE_fEEDaPvRmT3_T4_T5_mT6_P12ihipStream_tbENKUlT_T0_E_clISt17integral_constantIbLb0EESV_IbLb1EEEEDaSR_SS_EUlSR_E_NS1_11comp_targetILNS1_3genE0ELNS1_11target_archE4294967295ELNS1_3gpuE0ELNS1_3repE0EEENS1_30default_config_static_selectorELNS0_4arch9wavefront6targetE1EEEvT1_
		.amdhsa_group_segment_fixed_size 14336
		.amdhsa_private_segment_fixed_size 0
		.amdhsa_kernarg_size 96
		.amdhsa_user_sgpr_count 2
		.amdhsa_user_sgpr_dispatch_ptr 0
		.amdhsa_user_sgpr_queue_ptr 0
		.amdhsa_user_sgpr_kernarg_segment_ptr 1
		.amdhsa_user_sgpr_dispatch_id 0
		.amdhsa_user_sgpr_kernarg_preload_length 0
		.amdhsa_user_sgpr_kernarg_preload_offset 0
		.amdhsa_user_sgpr_private_segment_size 0
		.amdhsa_uses_dynamic_stack 0
		.amdhsa_enable_private_segment 0
		.amdhsa_system_sgpr_workgroup_id_x 1
		.amdhsa_system_sgpr_workgroup_id_y 0
		.amdhsa_system_sgpr_workgroup_id_z 0
		.amdhsa_system_sgpr_workgroup_info 0
		.amdhsa_system_vgpr_workitem_id 0
		.amdhsa_next_free_vgpr 74
		.amdhsa_next_free_sgpr 72
		.amdhsa_accum_offset 76
		.amdhsa_reserve_vcc 1
		.amdhsa_float_round_mode_32 0
		.amdhsa_float_round_mode_16_64 0
		.amdhsa_float_denorm_mode_32 3
		.amdhsa_float_denorm_mode_16_64 3
		.amdhsa_dx10_clamp 1
		.amdhsa_ieee_mode 1
		.amdhsa_fp16_overflow 0
		.amdhsa_tg_split 0
		.amdhsa_exception_fp_ieee_invalid_op 0
		.amdhsa_exception_fp_denorm_src 0
		.amdhsa_exception_fp_ieee_div_zero 0
		.amdhsa_exception_fp_ieee_overflow 0
		.amdhsa_exception_fp_ieee_underflow 0
		.amdhsa_exception_fp_ieee_inexact 0
		.amdhsa_exception_int_div_zero 0
	.end_amdhsa_kernel
	.section	.text._ZN7rocprim17ROCPRIM_400000_NS6detail17trampoline_kernelINS0_14default_configENS1_20scan_config_selectorIfEEZZNS1_9scan_implILNS1_25lookback_scan_determinismE0ELb0ELb0ES3_PKfPffZZZN2at6native31launch_logcumsumexp_cuda_kernelERKNSB_10TensorBaseESF_lENKUlvE_clEvENKUlvE0_clEvEUlffE_fEEDaPvRmT3_T4_T5_mT6_P12ihipStream_tbENKUlT_T0_E_clISt17integral_constantIbLb0EESV_IbLb1EEEEDaSR_SS_EUlSR_E_NS1_11comp_targetILNS1_3genE0ELNS1_11target_archE4294967295ELNS1_3gpuE0ELNS1_3repE0EEENS1_30default_config_static_selectorELNS0_4arch9wavefront6targetE1EEEvT1_,"axG",@progbits,_ZN7rocprim17ROCPRIM_400000_NS6detail17trampoline_kernelINS0_14default_configENS1_20scan_config_selectorIfEEZZNS1_9scan_implILNS1_25lookback_scan_determinismE0ELb0ELb0ES3_PKfPffZZZN2at6native31launch_logcumsumexp_cuda_kernelERKNSB_10TensorBaseESF_lENKUlvE_clEvENKUlvE0_clEvEUlffE_fEEDaPvRmT3_T4_T5_mT6_P12ihipStream_tbENKUlT_T0_E_clISt17integral_constantIbLb0EESV_IbLb1EEEEDaSR_SS_EUlSR_E_NS1_11comp_targetILNS1_3genE0ELNS1_11target_archE4294967295ELNS1_3gpuE0ELNS1_3repE0EEENS1_30default_config_static_selectorELNS0_4arch9wavefront6targetE1EEEvT1_,comdat
.Lfunc_end153:
	.size	_ZN7rocprim17ROCPRIM_400000_NS6detail17trampoline_kernelINS0_14default_configENS1_20scan_config_selectorIfEEZZNS1_9scan_implILNS1_25lookback_scan_determinismE0ELb0ELb0ES3_PKfPffZZZN2at6native31launch_logcumsumexp_cuda_kernelERKNSB_10TensorBaseESF_lENKUlvE_clEvENKUlvE0_clEvEUlffE_fEEDaPvRmT3_T4_T5_mT6_P12ihipStream_tbENKUlT_T0_E_clISt17integral_constantIbLb0EESV_IbLb1EEEEDaSR_SS_EUlSR_E_NS1_11comp_targetILNS1_3genE0ELNS1_11target_archE4294967295ELNS1_3gpuE0ELNS1_3repE0EEENS1_30default_config_static_selectorELNS0_4arch9wavefront6targetE1EEEvT1_, .Lfunc_end153-_ZN7rocprim17ROCPRIM_400000_NS6detail17trampoline_kernelINS0_14default_configENS1_20scan_config_selectorIfEEZZNS1_9scan_implILNS1_25lookback_scan_determinismE0ELb0ELb0ES3_PKfPffZZZN2at6native31launch_logcumsumexp_cuda_kernelERKNSB_10TensorBaseESF_lENKUlvE_clEvENKUlvE0_clEvEUlffE_fEEDaPvRmT3_T4_T5_mT6_P12ihipStream_tbENKUlT_T0_E_clISt17integral_constantIbLb0EESV_IbLb1EEEEDaSR_SS_EUlSR_E_NS1_11comp_targetILNS1_3genE0ELNS1_11target_archE4294967295ELNS1_3gpuE0ELNS1_3repE0EEENS1_30default_config_static_selectorELNS0_4arch9wavefront6targetE1EEEvT1_
                                        ; -- End function
	.set _ZN7rocprim17ROCPRIM_400000_NS6detail17trampoline_kernelINS0_14default_configENS1_20scan_config_selectorIfEEZZNS1_9scan_implILNS1_25lookback_scan_determinismE0ELb0ELb0ES3_PKfPffZZZN2at6native31launch_logcumsumexp_cuda_kernelERKNSB_10TensorBaseESF_lENKUlvE_clEvENKUlvE0_clEvEUlffE_fEEDaPvRmT3_T4_T5_mT6_P12ihipStream_tbENKUlT_T0_E_clISt17integral_constantIbLb0EESV_IbLb1EEEEDaSR_SS_EUlSR_E_NS1_11comp_targetILNS1_3genE0ELNS1_11target_archE4294967295ELNS1_3gpuE0ELNS1_3repE0EEENS1_30default_config_static_selectorELNS0_4arch9wavefront6targetE1EEEvT1_.num_vgpr, 74
	.set _ZN7rocprim17ROCPRIM_400000_NS6detail17trampoline_kernelINS0_14default_configENS1_20scan_config_selectorIfEEZZNS1_9scan_implILNS1_25lookback_scan_determinismE0ELb0ELb0ES3_PKfPffZZZN2at6native31launch_logcumsumexp_cuda_kernelERKNSB_10TensorBaseESF_lENKUlvE_clEvENKUlvE0_clEvEUlffE_fEEDaPvRmT3_T4_T5_mT6_P12ihipStream_tbENKUlT_T0_E_clISt17integral_constantIbLb0EESV_IbLb1EEEEDaSR_SS_EUlSR_E_NS1_11comp_targetILNS1_3genE0ELNS1_11target_archE4294967295ELNS1_3gpuE0ELNS1_3repE0EEENS1_30default_config_static_selectorELNS0_4arch9wavefront6targetE1EEEvT1_.num_agpr, 0
	.set _ZN7rocprim17ROCPRIM_400000_NS6detail17trampoline_kernelINS0_14default_configENS1_20scan_config_selectorIfEEZZNS1_9scan_implILNS1_25lookback_scan_determinismE0ELb0ELb0ES3_PKfPffZZZN2at6native31launch_logcumsumexp_cuda_kernelERKNSB_10TensorBaseESF_lENKUlvE_clEvENKUlvE0_clEvEUlffE_fEEDaPvRmT3_T4_T5_mT6_P12ihipStream_tbENKUlT_T0_E_clISt17integral_constantIbLb0EESV_IbLb1EEEEDaSR_SS_EUlSR_E_NS1_11comp_targetILNS1_3genE0ELNS1_11target_archE4294967295ELNS1_3gpuE0ELNS1_3repE0EEENS1_30default_config_static_selectorELNS0_4arch9wavefront6targetE1EEEvT1_.numbered_sgpr, 72
	.set _ZN7rocprim17ROCPRIM_400000_NS6detail17trampoline_kernelINS0_14default_configENS1_20scan_config_selectorIfEEZZNS1_9scan_implILNS1_25lookback_scan_determinismE0ELb0ELb0ES3_PKfPffZZZN2at6native31launch_logcumsumexp_cuda_kernelERKNSB_10TensorBaseESF_lENKUlvE_clEvENKUlvE0_clEvEUlffE_fEEDaPvRmT3_T4_T5_mT6_P12ihipStream_tbENKUlT_T0_E_clISt17integral_constantIbLb0EESV_IbLb1EEEEDaSR_SS_EUlSR_E_NS1_11comp_targetILNS1_3genE0ELNS1_11target_archE4294967295ELNS1_3gpuE0ELNS1_3repE0EEENS1_30default_config_static_selectorELNS0_4arch9wavefront6targetE1EEEvT1_.num_named_barrier, 0
	.set _ZN7rocprim17ROCPRIM_400000_NS6detail17trampoline_kernelINS0_14default_configENS1_20scan_config_selectorIfEEZZNS1_9scan_implILNS1_25lookback_scan_determinismE0ELb0ELb0ES3_PKfPffZZZN2at6native31launch_logcumsumexp_cuda_kernelERKNSB_10TensorBaseESF_lENKUlvE_clEvENKUlvE0_clEvEUlffE_fEEDaPvRmT3_T4_T5_mT6_P12ihipStream_tbENKUlT_T0_E_clISt17integral_constantIbLb0EESV_IbLb1EEEEDaSR_SS_EUlSR_E_NS1_11comp_targetILNS1_3genE0ELNS1_11target_archE4294967295ELNS1_3gpuE0ELNS1_3repE0EEENS1_30default_config_static_selectorELNS0_4arch9wavefront6targetE1EEEvT1_.private_seg_size, 0
	.set _ZN7rocprim17ROCPRIM_400000_NS6detail17trampoline_kernelINS0_14default_configENS1_20scan_config_selectorIfEEZZNS1_9scan_implILNS1_25lookback_scan_determinismE0ELb0ELb0ES3_PKfPffZZZN2at6native31launch_logcumsumexp_cuda_kernelERKNSB_10TensorBaseESF_lENKUlvE_clEvENKUlvE0_clEvEUlffE_fEEDaPvRmT3_T4_T5_mT6_P12ihipStream_tbENKUlT_T0_E_clISt17integral_constantIbLb0EESV_IbLb1EEEEDaSR_SS_EUlSR_E_NS1_11comp_targetILNS1_3genE0ELNS1_11target_archE4294967295ELNS1_3gpuE0ELNS1_3repE0EEENS1_30default_config_static_selectorELNS0_4arch9wavefront6targetE1EEEvT1_.uses_vcc, 1
	.set _ZN7rocprim17ROCPRIM_400000_NS6detail17trampoline_kernelINS0_14default_configENS1_20scan_config_selectorIfEEZZNS1_9scan_implILNS1_25lookback_scan_determinismE0ELb0ELb0ES3_PKfPffZZZN2at6native31launch_logcumsumexp_cuda_kernelERKNSB_10TensorBaseESF_lENKUlvE_clEvENKUlvE0_clEvEUlffE_fEEDaPvRmT3_T4_T5_mT6_P12ihipStream_tbENKUlT_T0_E_clISt17integral_constantIbLb0EESV_IbLb1EEEEDaSR_SS_EUlSR_E_NS1_11comp_targetILNS1_3genE0ELNS1_11target_archE4294967295ELNS1_3gpuE0ELNS1_3repE0EEENS1_30default_config_static_selectorELNS0_4arch9wavefront6targetE1EEEvT1_.uses_flat_scratch, 0
	.set _ZN7rocprim17ROCPRIM_400000_NS6detail17trampoline_kernelINS0_14default_configENS1_20scan_config_selectorIfEEZZNS1_9scan_implILNS1_25lookback_scan_determinismE0ELb0ELb0ES3_PKfPffZZZN2at6native31launch_logcumsumexp_cuda_kernelERKNSB_10TensorBaseESF_lENKUlvE_clEvENKUlvE0_clEvEUlffE_fEEDaPvRmT3_T4_T5_mT6_P12ihipStream_tbENKUlT_T0_E_clISt17integral_constantIbLb0EESV_IbLb1EEEEDaSR_SS_EUlSR_E_NS1_11comp_targetILNS1_3genE0ELNS1_11target_archE4294967295ELNS1_3gpuE0ELNS1_3repE0EEENS1_30default_config_static_selectorELNS0_4arch9wavefront6targetE1EEEvT1_.has_dyn_sized_stack, 0
	.set _ZN7rocprim17ROCPRIM_400000_NS6detail17trampoline_kernelINS0_14default_configENS1_20scan_config_selectorIfEEZZNS1_9scan_implILNS1_25lookback_scan_determinismE0ELb0ELb0ES3_PKfPffZZZN2at6native31launch_logcumsumexp_cuda_kernelERKNSB_10TensorBaseESF_lENKUlvE_clEvENKUlvE0_clEvEUlffE_fEEDaPvRmT3_T4_T5_mT6_P12ihipStream_tbENKUlT_T0_E_clISt17integral_constantIbLb0EESV_IbLb1EEEEDaSR_SS_EUlSR_E_NS1_11comp_targetILNS1_3genE0ELNS1_11target_archE4294967295ELNS1_3gpuE0ELNS1_3repE0EEENS1_30default_config_static_selectorELNS0_4arch9wavefront6targetE1EEEvT1_.has_recursion, 0
	.set _ZN7rocprim17ROCPRIM_400000_NS6detail17trampoline_kernelINS0_14default_configENS1_20scan_config_selectorIfEEZZNS1_9scan_implILNS1_25lookback_scan_determinismE0ELb0ELb0ES3_PKfPffZZZN2at6native31launch_logcumsumexp_cuda_kernelERKNSB_10TensorBaseESF_lENKUlvE_clEvENKUlvE0_clEvEUlffE_fEEDaPvRmT3_T4_T5_mT6_P12ihipStream_tbENKUlT_T0_E_clISt17integral_constantIbLb0EESV_IbLb1EEEEDaSR_SS_EUlSR_E_NS1_11comp_targetILNS1_3genE0ELNS1_11target_archE4294967295ELNS1_3gpuE0ELNS1_3repE0EEENS1_30default_config_static_selectorELNS0_4arch9wavefront6targetE1EEEvT1_.has_indirect_call, 0
	.section	.AMDGPU.csdata,"",@progbits
; Kernel info:
; codeLenInByte = 85788
; TotalNumSgprs: 78
; NumVgprs: 74
; NumAgprs: 0
; TotalNumVgprs: 74
; ScratchSize: 0
; MemoryBound: 0
; FloatMode: 240
; IeeeMode: 1
; LDSByteSize: 14336 bytes/workgroup (compile time only)
; SGPRBlocks: 9
; VGPRBlocks: 9
; NumSGPRsForWavesPerEU: 78
; NumVGPRsForWavesPerEU: 74
; AccumOffset: 76
; Occupancy: 6
; WaveLimiterHint : 1
; COMPUTE_PGM_RSRC2:SCRATCH_EN: 0
; COMPUTE_PGM_RSRC2:USER_SGPR: 2
; COMPUTE_PGM_RSRC2:TRAP_HANDLER: 0
; COMPUTE_PGM_RSRC2:TGID_X_EN: 1
; COMPUTE_PGM_RSRC2:TGID_Y_EN: 0
; COMPUTE_PGM_RSRC2:TGID_Z_EN: 0
; COMPUTE_PGM_RSRC2:TIDIG_COMP_CNT: 0
; COMPUTE_PGM_RSRC3_GFX90A:ACCUM_OFFSET: 18
; COMPUTE_PGM_RSRC3_GFX90A:TG_SPLIT: 0
	.section	.text._ZN7rocprim17ROCPRIM_400000_NS6detail17trampoline_kernelINS0_14default_configENS1_20scan_config_selectorIfEEZZNS1_9scan_implILNS1_25lookback_scan_determinismE0ELb0ELb0ES3_PKfPffZZZN2at6native31launch_logcumsumexp_cuda_kernelERKNSB_10TensorBaseESF_lENKUlvE_clEvENKUlvE0_clEvEUlffE_fEEDaPvRmT3_T4_T5_mT6_P12ihipStream_tbENKUlT_T0_E_clISt17integral_constantIbLb0EESV_IbLb1EEEEDaSR_SS_EUlSR_E_NS1_11comp_targetILNS1_3genE5ELNS1_11target_archE942ELNS1_3gpuE9ELNS1_3repE0EEENS1_30default_config_static_selectorELNS0_4arch9wavefront6targetE1EEEvT1_,"axG",@progbits,_ZN7rocprim17ROCPRIM_400000_NS6detail17trampoline_kernelINS0_14default_configENS1_20scan_config_selectorIfEEZZNS1_9scan_implILNS1_25lookback_scan_determinismE0ELb0ELb0ES3_PKfPffZZZN2at6native31launch_logcumsumexp_cuda_kernelERKNSB_10TensorBaseESF_lENKUlvE_clEvENKUlvE0_clEvEUlffE_fEEDaPvRmT3_T4_T5_mT6_P12ihipStream_tbENKUlT_T0_E_clISt17integral_constantIbLb0EESV_IbLb1EEEEDaSR_SS_EUlSR_E_NS1_11comp_targetILNS1_3genE5ELNS1_11target_archE942ELNS1_3gpuE9ELNS1_3repE0EEENS1_30default_config_static_selectorELNS0_4arch9wavefront6targetE1EEEvT1_,comdat
	.globl	_ZN7rocprim17ROCPRIM_400000_NS6detail17trampoline_kernelINS0_14default_configENS1_20scan_config_selectorIfEEZZNS1_9scan_implILNS1_25lookback_scan_determinismE0ELb0ELb0ES3_PKfPffZZZN2at6native31launch_logcumsumexp_cuda_kernelERKNSB_10TensorBaseESF_lENKUlvE_clEvENKUlvE0_clEvEUlffE_fEEDaPvRmT3_T4_T5_mT6_P12ihipStream_tbENKUlT_T0_E_clISt17integral_constantIbLb0EESV_IbLb1EEEEDaSR_SS_EUlSR_E_NS1_11comp_targetILNS1_3genE5ELNS1_11target_archE942ELNS1_3gpuE9ELNS1_3repE0EEENS1_30default_config_static_selectorELNS0_4arch9wavefront6targetE1EEEvT1_ ; -- Begin function _ZN7rocprim17ROCPRIM_400000_NS6detail17trampoline_kernelINS0_14default_configENS1_20scan_config_selectorIfEEZZNS1_9scan_implILNS1_25lookback_scan_determinismE0ELb0ELb0ES3_PKfPffZZZN2at6native31launch_logcumsumexp_cuda_kernelERKNSB_10TensorBaseESF_lENKUlvE_clEvENKUlvE0_clEvEUlffE_fEEDaPvRmT3_T4_T5_mT6_P12ihipStream_tbENKUlT_T0_E_clISt17integral_constantIbLb0EESV_IbLb1EEEEDaSR_SS_EUlSR_E_NS1_11comp_targetILNS1_3genE5ELNS1_11target_archE942ELNS1_3gpuE9ELNS1_3repE0EEENS1_30default_config_static_selectorELNS0_4arch9wavefront6targetE1EEEvT1_
	.p2align	8
	.type	_ZN7rocprim17ROCPRIM_400000_NS6detail17trampoline_kernelINS0_14default_configENS1_20scan_config_selectorIfEEZZNS1_9scan_implILNS1_25lookback_scan_determinismE0ELb0ELb0ES3_PKfPffZZZN2at6native31launch_logcumsumexp_cuda_kernelERKNSB_10TensorBaseESF_lENKUlvE_clEvENKUlvE0_clEvEUlffE_fEEDaPvRmT3_T4_T5_mT6_P12ihipStream_tbENKUlT_T0_E_clISt17integral_constantIbLb0EESV_IbLb1EEEEDaSR_SS_EUlSR_E_NS1_11comp_targetILNS1_3genE5ELNS1_11target_archE942ELNS1_3gpuE9ELNS1_3repE0EEENS1_30default_config_static_selectorELNS0_4arch9wavefront6targetE1EEEvT1_,@function
_ZN7rocprim17ROCPRIM_400000_NS6detail17trampoline_kernelINS0_14default_configENS1_20scan_config_selectorIfEEZZNS1_9scan_implILNS1_25lookback_scan_determinismE0ELb0ELb0ES3_PKfPffZZZN2at6native31launch_logcumsumexp_cuda_kernelERKNSB_10TensorBaseESF_lENKUlvE_clEvENKUlvE0_clEvEUlffE_fEEDaPvRmT3_T4_T5_mT6_P12ihipStream_tbENKUlT_T0_E_clISt17integral_constantIbLb0EESV_IbLb1EEEEDaSR_SS_EUlSR_E_NS1_11comp_targetILNS1_3genE5ELNS1_11target_archE942ELNS1_3gpuE9ELNS1_3repE0EEENS1_30default_config_static_selectorELNS0_4arch9wavefront6targetE1EEEvT1_: ; @_ZN7rocprim17ROCPRIM_400000_NS6detail17trampoline_kernelINS0_14default_configENS1_20scan_config_selectorIfEEZZNS1_9scan_implILNS1_25lookback_scan_determinismE0ELb0ELb0ES3_PKfPffZZZN2at6native31launch_logcumsumexp_cuda_kernelERKNSB_10TensorBaseESF_lENKUlvE_clEvENKUlvE0_clEvEUlffE_fEEDaPvRmT3_T4_T5_mT6_P12ihipStream_tbENKUlT_T0_E_clISt17integral_constantIbLb0EESV_IbLb1EEEEDaSR_SS_EUlSR_E_NS1_11comp_targetILNS1_3genE5ELNS1_11target_archE942ELNS1_3gpuE9ELNS1_3repE0EEENS1_30default_config_static_selectorELNS0_4arch9wavefront6targetE1EEEvT1_
; %bb.0:
	.section	.rodata,"a",@progbits
	.p2align	6, 0x0
	.amdhsa_kernel _ZN7rocprim17ROCPRIM_400000_NS6detail17trampoline_kernelINS0_14default_configENS1_20scan_config_selectorIfEEZZNS1_9scan_implILNS1_25lookback_scan_determinismE0ELb0ELb0ES3_PKfPffZZZN2at6native31launch_logcumsumexp_cuda_kernelERKNSB_10TensorBaseESF_lENKUlvE_clEvENKUlvE0_clEvEUlffE_fEEDaPvRmT3_T4_T5_mT6_P12ihipStream_tbENKUlT_T0_E_clISt17integral_constantIbLb0EESV_IbLb1EEEEDaSR_SS_EUlSR_E_NS1_11comp_targetILNS1_3genE5ELNS1_11target_archE942ELNS1_3gpuE9ELNS1_3repE0EEENS1_30default_config_static_selectorELNS0_4arch9wavefront6targetE1EEEvT1_
		.amdhsa_group_segment_fixed_size 0
		.amdhsa_private_segment_fixed_size 0
		.amdhsa_kernarg_size 96
		.amdhsa_user_sgpr_count 2
		.amdhsa_user_sgpr_dispatch_ptr 0
		.amdhsa_user_sgpr_queue_ptr 0
		.amdhsa_user_sgpr_kernarg_segment_ptr 1
		.amdhsa_user_sgpr_dispatch_id 0
		.amdhsa_user_sgpr_kernarg_preload_length 0
		.amdhsa_user_sgpr_kernarg_preload_offset 0
		.amdhsa_user_sgpr_private_segment_size 0
		.amdhsa_uses_dynamic_stack 0
		.amdhsa_enable_private_segment 0
		.amdhsa_system_sgpr_workgroup_id_x 1
		.amdhsa_system_sgpr_workgroup_id_y 0
		.amdhsa_system_sgpr_workgroup_id_z 0
		.amdhsa_system_sgpr_workgroup_info 0
		.amdhsa_system_vgpr_workitem_id 0
		.amdhsa_next_free_vgpr 1
		.amdhsa_next_free_sgpr 0
		.amdhsa_accum_offset 4
		.amdhsa_reserve_vcc 0
		.amdhsa_float_round_mode_32 0
		.amdhsa_float_round_mode_16_64 0
		.amdhsa_float_denorm_mode_32 3
		.amdhsa_float_denorm_mode_16_64 3
		.amdhsa_dx10_clamp 1
		.amdhsa_ieee_mode 1
		.amdhsa_fp16_overflow 0
		.amdhsa_tg_split 0
		.amdhsa_exception_fp_ieee_invalid_op 0
		.amdhsa_exception_fp_denorm_src 0
		.amdhsa_exception_fp_ieee_div_zero 0
		.amdhsa_exception_fp_ieee_overflow 0
		.amdhsa_exception_fp_ieee_underflow 0
		.amdhsa_exception_fp_ieee_inexact 0
		.amdhsa_exception_int_div_zero 0
	.end_amdhsa_kernel
	.section	.text._ZN7rocprim17ROCPRIM_400000_NS6detail17trampoline_kernelINS0_14default_configENS1_20scan_config_selectorIfEEZZNS1_9scan_implILNS1_25lookback_scan_determinismE0ELb0ELb0ES3_PKfPffZZZN2at6native31launch_logcumsumexp_cuda_kernelERKNSB_10TensorBaseESF_lENKUlvE_clEvENKUlvE0_clEvEUlffE_fEEDaPvRmT3_T4_T5_mT6_P12ihipStream_tbENKUlT_T0_E_clISt17integral_constantIbLb0EESV_IbLb1EEEEDaSR_SS_EUlSR_E_NS1_11comp_targetILNS1_3genE5ELNS1_11target_archE942ELNS1_3gpuE9ELNS1_3repE0EEENS1_30default_config_static_selectorELNS0_4arch9wavefront6targetE1EEEvT1_,"axG",@progbits,_ZN7rocprim17ROCPRIM_400000_NS6detail17trampoline_kernelINS0_14default_configENS1_20scan_config_selectorIfEEZZNS1_9scan_implILNS1_25lookback_scan_determinismE0ELb0ELb0ES3_PKfPffZZZN2at6native31launch_logcumsumexp_cuda_kernelERKNSB_10TensorBaseESF_lENKUlvE_clEvENKUlvE0_clEvEUlffE_fEEDaPvRmT3_T4_T5_mT6_P12ihipStream_tbENKUlT_T0_E_clISt17integral_constantIbLb0EESV_IbLb1EEEEDaSR_SS_EUlSR_E_NS1_11comp_targetILNS1_3genE5ELNS1_11target_archE942ELNS1_3gpuE9ELNS1_3repE0EEENS1_30default_config_static_selectorELNS0_4arch9wavefront6targetE1EEEvT1_,comdat
.Lfunc_end154:
	.size	_ZN7rocprim17ROCPRIM_400000_NS6detail17trampoline_kernelINS0_14default_configENS1_20scan_config_selectorIfEEZZNS1_9scan_implILNS1_25lookback_scan_determinismE0ELb0ELb0ES3_PKfPffZZZN2at6native31launch_logcumsumexp_cuda_kernelERKNSB_10TensorBaseESF_lENKUlvE_clEvENKUlvE0_clEvEUlffE_fEEDaPvRmT3_T4_T5_mT6_P12ihipStream_tbENKUlT_T0_E_clISt17integral_constantIbLb0EESV_IbLb1EEEEDaSR_SS_EUlSR_E_NS1_11comp_targetILNS1_3genE5ELNS1_11target_archE942ELNS1_3gpuE9ELNS1_3repE0EEENS1_30default_config_static_selectorELNS0_4arch9wavefront6targetE1EEEvT1_, .Lfunc_end154-_ZN7rocprim17ROCPRIM_400000_NS6detail17trampoline_kernelINS0_14default_configENS1_20scan_config_selectorIfEEZZNS1_9scan_implILNS1_25lookback_scan_determinismE0ELb0ELb0ES3_PKfPffZZZN2at6native31launch_logcumsumexp_cuda_kernelERKNSB_10TensorBaseESF_lENKUlvE_clEvENKUlvE0_clEvEUlffE_fEEDaPvRmT3_T4_T5_mT6_P12ihipStream_tbENKUlT_T0_E_clISt17integral_constantIbLb0EESV_IbLb1EEEEDaSR_SS_EUlSR_E_NS1_11comp_targetILNS1_3genE5ELNS1_11target_archE942ELNS1_3gpuE9ELNS1_3repE0EEENS1_30default_config_static_selectorELNS0_4arch9wavefront6targetE1EEEvT1_
                                        ; -- End function
	.set _ZN7rocprim17ROCPRIM_400000_NS6detail17trampoline_kernelINS0_14default_configENS1_20scan_config_selectorIfEEZZNS1_9scan_implILNS1_25lookback_scan_determinismE0ELb0ELb0ES3_PKfPffZZZN2at6native31launch_logcumsumexp_cuda_kernelERKNSB_10TensorBaseESF_lENKUlvE_clEvENKUlvE0_clEvEUlffE_fEEDaPvRmT3_T4_T5_mT6_P12ihipStream_tbENKUlT_T0_E_clISt17integral_constantIbLb0EESV_IbLb1EEEEDaSR_SS_EUlSR_E_NS1_11comp_targetILNS1_3genE5ELNS1_11target_archE942ELNS1_3gpuE9ELNS1_3repE0EEENS1_30default_config_static_selectorELNS0_4arch9wavefront6targetE1EEEvT1_.num_vgpr, 0
	.set _ZN7rocprim17ROCPRIM_400000_NS6detail17trampoline_kernelINS0_14default_configENS1_20scan_config_selectorIfEEZZNS1_9scan_implILNS1_25lookback_scan_determinismE0ELb0ELb0ES3_PKfPffZZZN2at6native31launch_logcumsumexp_cuda_kernelERKNSB_10TensorBaseESF_lENKUlvE_clEvENKUlvE0_clEvEUlffE_fEEDaPvRmT3_T4_T5_mT6_P12ihipStream_tbENKUlT_T0_E_clISt17integral_constantIbLb0EESV_IbLb1EEEEDaSR_SS_EUlSR_E_NS1_11comp_targetILNS1_3genE5ELNS1_11target_archE942ELNS1_3gpuE9ELNS1_3repE0EEENS1_30default_config_static_selectorELNS0_4arch9wavefront6targetE1EEEvT1_.num_agpr, 0
	.set _ZN7rocprim17ROCPRIM_400000_NS6detail17trampoline_kernelINS0_14default_configENS1_20scan_config_selectorIfEEZZNS1_9scan_implILNS1_25lookback_scan_determinismE0ELb0ELb0ES3_PKfPffZZZN2at6native31launch_logcumsumexp_cuda_kernelERKNSB_10TensorBaseESF_lENKUlvE_clEvENKUlvE0_clEvEUlffE_fEEDaPvRmT3_T4_T5_mT6_P12ihipStream_tbENKUlT_T0_E_clISt17integral_constantIbLb0EESV_IbLb1EEEEDaSR_SS_EUlSR_E_NS1_11comp_targetILNS1_3genE5ELNS1_11target_archE942ELNS1_3gpuE9ELNS1_3repE0EEENS1_30default_config_static_selectorELNS0_4arch9wavefront6targetE1EEEvT1_.numbered_sgpr, 0
	.set _ZN7rocprim17ROCPRIM_400000_NS6detail17trampoline_kernelINS0_14default_configENS1_20scan_config_selectorIfEEZZNS1_9scan_implILNS1_25lookback_scan_determinismE0ELb0ELb0ES3_PKfPffZZZN2at6native31launch_logcumsumexp_cuda_kernelERKNSB_10TensorBaseESF_lENKUlvE_clEvENKUlvE0_clEvEUlffE_fEEDaPvRmT3_T4_T5_mT6_P12ihipStream_tbENKUlT_T0_E_clISt17integral_constantIbLb0EESV_IbLb1EEEEDaSR_SS_EUlSR_E_NS1_11comp_targetILNS1_3genE5ELNS1_11target_archE942ELNS1_3gpuE9ELNS1_3repE0EEENS1_30default_config_static_selectorELNS0_4arch9wavefront6targetE1EEEvT1_.num_named_barrier, 0
	.set _ZN7rocprim17ROCPRIM_400000_NS6detail17trampoline_kernelINS0_14default_configENS1_20scan_config_selectorIfEEZZNS1_9scan_implILNS1_25lookback_scan_determinismE0ELb0ELb0ES3_PKfPffZZZN2at6native31launch_logcumsumexp_cuda_kernelERKNSB_10TensorBaseESF_lENKUlvE_clEvENKUlvE0_clEvEUlffE_fEEDaPvRmT3_T4_T5_mT6_P12ihipStream_tbENKUlT_T0_E_clISt17integral_constantIbLb0EESV_IbLb1EEEEDaSR_SS_EUlSR_E_NS1_11comp_targetILNS1_3genE5ELNS1_11target_archE942ELNS1_3gpuE9ELNS1_3repE0EEENS1_30default_config_static_selectorELNS0_4arch9wavefront6targetE1EEEvT1_.private_seg_size, 0
	.set _ZN7rocprim17ROCPRIM_400000_NS6detail17trampoline_kernelINS0_14default_configENS1_20scan_config_selectorIfEEZZNS1_9scan_implILNS1_25lookback_scan_determinismE0ELb0ELb0ES3_PKfPffZZZN2at6native31launch_logcumsumexp_cuda_kernelERKNSB_10TensorBaseESF_lENKUlvE_clEvENKUlvE0_clEvEUlffE_fEEDaPvRmT3_T4_T5_mT6_P12ihipStream_tbENKUlT_T0_E_clISt17integral_constantIbLb0EESV_IbLb1EEEEDaSR_SS_EUlSR_E_NS1_11comp_targetILNS1_3genE5ELNS1_11target_archE942ELNS1_3gpuE9ELNS1_3repE0EEENS1_30default_config_static_selectorELNS0_4arch9wavefront6targetE1EEEvT1_.uses_vcc, 0
	.set _ZN7rocprim17ROCPRIM_400000_NS6detail17trampoline_kernelINS0_14default_configENS1_20scan_config_selectorIfEEZZNS1_9scan_implILNS1_25lookback_scan_determinismE0ELb0ELb0ES3_PKfPffZZZN2at6native31launch_logcumsumexp_cuda_kernelERKNSB_10TensorBaseESF_lENKUlvE_clEvENKUlvE0_clEvEUlffE_fEEDaPvRmT3_T4_T5_mT6_P12ihipStream_tbENKUlT_T0_E_clISt17integral_constantIbLb0EESV_IbLb1EEEEDaSR_SS_EUlSR_E_NS1_11comp_targetILNS1_3genE5ELNS1_11target_archE942ELNS1_3gpuE9ELNS1_3repE0EEENS1_30default_config_static_selectorELNS0_4arch9wavefront6targetE1EEEvT1_.uses_flat_scratch, 0
	.set _ZN7rocprim17ROCPRIM_400000_NS6detail17trampoline_kernelINS0_14default_configENS1_20scan_config_selectorIfEEZZNS1_9scan_implILNS1_25lookback_scan_determinismE0ELb0ELb0ES3_PKfPffZZZN2at6native31launch_logcumsumexp_cuda_kernelERKNSB_10TensorBaseESF_lENKUlvE_clEvENKUlvE0_clEvEUlffE_fEEDaPvRmT3_T4_T5_mT6_P12ihipStream_tbENKUlT_T0_E_clISt17integral_constantIbLb0EESV_IbLb1EEEEDaSR_SS_EUlSR_E_NS1_11comp_targetILNS1_3genE5ELNS1_11target_archE942ELNS1_3gpuE9ELNS1_3repE0EEENS1_30default_config_static_selectorELNS0_4arch9wavefront6targetE1EEEvT1_.has_dyn_sized_stack, 0
	.set _ZN7rocprim17ROCPRIM_400000_NS6detail17trampoline_kernelINS0_14default_configENS1_20scan_config_selectorIfEEZZNS1_9scan_implILNS1_25lookback_scan_determinismE0ELb0ELb0ES3_PKfPffZZZN2at6native31launch_logcumsumexp_cuda_kernelERKNSB_10TensorBaseESF_lENKUlvE_clEvENKUlvE0_clEvEUlffE_fEEDaPvRmT3_T4_T5_mT6_P12ihipStream_tbENKUlT_T0_E_clISt17integral_constantIbLb0EESV_IbLb1EEEEDaSR_SS_EUlSR_E_NS1_11comp_targetILNS1_3genE5ELNS1_11target_archE942ELNS1_3gpuE9ELNS1_3repE0EEENS1_30default_config_static_selectorELNS0_4arch9wavefront6targetE1EEEvT1_.has_recursion, 0
	.set _ZN7rocprim17ROCPRIM_400000_NS6detail17trampoline_kernelINS0_14default_configENS1_20scan_config_selectorIfEEZZNS1_9scan_implILNS1_25lookback_scan_determinismE0ELb0ELb0ES3_PKfPffZZZN2at6native31launch_logcumsumexp_cuda_kernelERKNSB_10TensorBaseESF_lENKUlvE_clEvENKUlvE0_clEvEUlffE_fEEDaPvRmT3_T4_T5_mT6_P12ihipStream_tbENKUlT_T0_E_clISt17integral_constantIbLb0EESV_IbLb1EEEEDaSR_SS_EUlSR_E_NS1_11comp_targetILNS1_3genE5ELNS1_11target_archE942ELNS1_3gpuE9ELNS1_3repE0EEENS1_30default_config_static_selectorELNS0_4arch9wavefront6targetE1EEEvT1_.has_indirect_call, 0
	.section	.AMDGPU.csdata,"",@progbits
; Kernel info:
; codeLenInByte = 0
; TotalNumSgprs: 6
; NumVgprs: 0
; NumAgprs: 0
; TotalNumVgprs: 0
; ScratchSize: 0
; MemoryBound: 0
; FloatMode: 240
; IeeeMode: 1
; LDSByteSize: 0 bytes/workgroup (compile time only)
; SGPRBlocks: 0
; VGPRBlocks: 0
; NumSGPRsForWavesPerEU: 6
; NumVGPRsForWavesPerEU: 1
; AccumOffset: 4
; Occupancy: 8
; WaveLimiterHint : 0
; COMPUTE_PGM_RSRC2:SCRATCH_EN: 0
; COMPUTE_PGM_RSRC2:USER_SGPR: 2
; COMPUTE_PGM_RSRC2:TRAP_HANDLER: 0
; COMPUTE_PGM_RSRC2:TGID_X_EN: 1
; COMPUTE_PGM_RSRC2:TGID_Y_EN: 0
; COMPUTE_PGM_RSRC2:TGID_Z_EN: 0
; COMPUTE_PGM_RSRC2:TIDIG_COMP_CNT: 0
; COMPUTE_PGM_RSRC3_GFX90A:ACCUM_OFFSET: 0
; COMPUTE_PGM_RSRC3_GFX90A:TG_SPLIT: 0
	.section	.text._ZN7rocprim17ROCPRIM_400000_NS6detail17trampoline_kernelINS0_14default_configENS1_20scan_config_selectorIfEEZZNS1_9scan_implILNS1_25lookback_scan_determinismE0ELb0ELb0ES3_PKfPffZZZN2at6native31launch_logcumsumexp_cuda_kernelERKNSB_10TensorBaseESF_lENKUlvE_clEvENKUlvE0_clEvEUlffE_fEEDaPvRmT3_T4_T5_mT6_P12ihipStream_tbENKUlT_T0_E_clISt17integral_constantIbLb0EESV_IbLb1EEEEDaSR_SS_EUlSR_E_NS1_11comp_targetILNS1_3genE4ELNS1_11target_archE910ELNS1_3gpuE8ELNS1_3repE0EEENS1_30default_config_static_selectorELNS0_4arch9wavefront6targetE1EEEvT1_,"axG",@progbits,_ZN7rocprim17ROCPRIM_400000_NS6detail17trampoline_kernelINS0_14default_configENS1_20scan_config_selectorIfEEZZNS1_9scan_implILNS1_25lookback_scan_determinismE0ELb0ELb0ES3_PKfPffZZZN2at6native31launch_logcumsumexp_cuda_kernelERKNSB_10TensorBaseESF_lENKUlvE_clEvENKUlvE0_clEvEUlffE_fEEDaPvRmT3_T4_T5_mT6_P12ihipStream_tbENKUlT_T0_E_clISt17integral_constantIbLb0EESV_IbLb1EEEEDaSR_SS_EUlSR_E_NS1_11comp_targetILNS1_3genE4ELNS1_11target_archE910ELNS1_3gpuE8ELNS1_3repE0EEENS1_30default_config_static_selectorELNS0_4arch9wavefront6targetE1EEEvT1_,comdat
	.globl	_ZN7rocprim17ROCPRIM_400000_NS6detail17trampoline_kernelINS0_14default_configENS1_20scan_config_selectorIfEEZZNS1_9scan_implILNS1_25lookback_scan_determinismE0ELb0ELb0ES3_PKfPffZZZN2at6native31launch_logcumsumexp_cuda_kernelERKNSB_10TensorBaseESF_lENKUlvE_clEvENKUlvE0_clEvEUlffE_fEEDaPvRmT3_T4_T5_mT6_P12ihipStream_tbENKUlT_T0_E_clISt17integral_constantIbLb0EESV_IbLb1EEEEDaSR_SS_EUlSR_E_NS1_11comp_targetILNS1_3genE4ELNS1_11target_archE910ELNS1_3gpuE8ELNS1_3repE0EEENS1_30default_config_static_selectorELNS0_4arch9wavefront6targetE1EEEvT1_ ; -- Begin function _ZN7rocprim17ROCPRIM_400000_NS6detail17trampoline_kernelINS0_14default_configENS1_20scan_config_selectorIfEEZZNS1_9scan_implILNS1_25lookback_scan_determinismE0ELb0ELb0ES3_PKfPffZZZN2at6native31launch_logcumsumexp_cuda_kernelERKNSB_10TensorBaseESF_lENKUlvE_clEvENKUlvE0_clEvEUlffE_fEEDaPvRmT3_T4_T5_mT6_P12ihipStream_tbENKUlT_T0_E_clISt17integral_constantIbLb0EESV_IbLb1EEEEDaSR_SS_EUlSR_E_NS1_11comp_targetILNS1_3genE4ELNS1_11target_archE910ELNS1_3gpuE8ELNS1_3repE0EEENS1_30default_config_static_selectorELNS0_4arch9wavefront6targetE1EEEvT1_
	.p2align	8
	.type	_ZN7rocprim17ROCPRIM_400000_NS6detail17trampoline_kernelINS0_14default_configENS1_20scan_config_selectorIfEEZZNS1_9scan_implILNS1_25lookback_scan_determinismE0ELb0ELb0ES3_PKfPffZZZN2at6native31launch_logcumsumexp_cuda_kernelERKNSB_10TensorBaseESF_lENKUlvE_clEvENKUlvE0_clEvEUlffE_fEEDaPvRmT3_T4_T5_mT6_P12ihipStream_tbENKUlT_T0_E_clISt17integral_constantIbLb0EESV_IbLb1EEEEDaSR_SS_EUlSR_E_NS1_11comp_targetILNS1_3genE4ELNS1_11target_archE910ELNS1_3gpuE8ELNS1_3repE0EEENS1_30default_config_static_selectorELNS0_4arch9wavefront6targetE1EEEvT1_,@function
_ZN7rocprim17ROCPRIM_400000_NS6detail17trampoline_kernelINS0_14default_configENS1_20scan_config_selectorIfEEZZNS1_9scan_implILNS1_25lookback_scan_determinismE0ELb0ELb0ES3_PKfPffZZZN2at6native31launch_logcumsumexp_cuda_kernelERKNSB_10TensorBaseESF_lENKUlvE_clEvENKUlvE0_clEvEUlffE_fEEDaPvRmT3_T4_T5_mT6_P12ihipStream_tbENKUlT_T0_E_clISt17integral_constantIbLb0EESV_IbLb1EEEEDaSR_SS_EUlSR_E_NS1_11comp_targetILNS1_3genE4ELNS1_11target_archE910ELNS1_3gpuE8ELNS1_3repE0EEENS1_30default_config_static_selectorELNS0_4arch9wavefront6targetE1EEEvT1_: ; @_ZN7rocprim17ROCPRIM_400000_NS6detail17trampoline_kernelINS0_14default_configENS1_20scan_config_selectorIfEEZZNS1_9scan_implILNS1_25lookback_scan_determinismE0ELb0ELb0ES3_PKfPffZZZN2at6native31launch_logcumsumexp_cuda_kernelERKNSB_10TensorBaseESF_lENKUlvE_clEvENKUlvE0_clEvEUlffE_fEEDaPvRmT3_T4_T5_mT6_P12ihipStream_tbENKUlT_T0_E_clISt17integral_constantIbLb0EESV_IbLb1EEEEDaSR_SS_EUlSR_E_NS1_11comp_targetILNS1_3genE4ELNS1_11target_archE910ELNS1_3gpuE8ELNS1_3repE0EEENS1_30default_config_static_selectorELNS0_4arch9wavefront6targetE1EEEvT1_
; %bb.0:
	.section	.rodata,"a",@progbits
	.p2align	6, 0x0
	.amdhsa_kernel _ZN7rocprim17ROCPRIM_400000_NS6detail17trampoline_kernelINS0_14default_configENS1_20scan_config_selectorIfEEZZNS1_9scan_implILNS1_25lookback_scan_determinismE0ELb0ELb0ES3_PKfPffZZZN2at6native31launch_logcumsumexp_cuda_kernelERKNSB_10TensorBaseESF_lENKUlvE_clEvENKUlvE0_clEvEUlffE_fEEDaPvRmT3_T4_T5_mT6_P12ihipStream_tbENKUlT_T0_E_clISt17integral_constantIbLb0EESV_IbLb1EEEEDaSR_SS_EUlSR_E_NS1_11comp_targetILNS1_3genE4ELNS1_11target_archE910ELNS1_3gpuE8ELNS1_3repE0EEENS1_30default_config_static_selectorELNS0_4arch9wavefront6targetE1EEEvT1_
		.amdhsa_group_segment_fixed_size 0
		.amdhsa_private_segment_fixed_size 0
		.amdhsa_kernarg_size 96
		.amdhsa_user_sgpr_count 2
		.amdhsa_user_sgpr_dispatch_ptr 0
		.amdhsa_user_sgpr_queue_ptr 0
		.amdhsa_user_sgpr_kernarg_segment_ptr 1
		.amdhsa_user_sgpr_dispatch_id 0
		.amdhsa_user_sgpr_kernarg_preload_length 0
		.amdhsa_user_sgpr_kernarg_preload_offset 0
		.amdhsa_user_sgpr_private_segment_size 0
		.amdhsa_uses_dynamic_stack 0
		.amdhsa_enable_private_segment 0
		.amdhsa_system_sgpr_workgroup_id_x 1
		.amdhsa_system_sgpr_workgroup_id_y 0
		.amdhsa_system_sgpr_workgroup_id_z 0
		.amdhsa_system_sgpr_workgroup_info 0
		.amdhsa_system_vgpr_workitem_id 0
		.amdhsa_next_free_vgpr 1
		.amdhsa_next_free_sgpr 0
		.amdhsa_accum_offset 4
		.amdhsa_reserve_vcc 0
		.amdhsa_float_round_mode_32 0
		.amdhsa_float_round_mode_16_64 0
		.amdhsa_float_denorm_mode_32 3
		.amdhsa_float_denorm_mode_16_64 3
		.amdhsa_dx10_clamp 1
		.amdhsa_ieee_mode 1
		.amdhsa_fp16_overflow 0
		.amdhsa_tg_split 0
		.amdhsa_exception_fp_ieee_invalid_op 0
		.amdhsa_exception_fp_denorm_src 0
		.amdhsa_exception_fp_ieee_div_zero 0
		.amdhsa_exception_fp_ieee_overflow 0
		.amdhsa_exception_fp_ieee_underflow 0
		.amdhsa_exception_fp_ieee_inexact 0
		.amdhsa_exception_int_div_zero 0
	.end_amdhsa_kernel
	.section	.text._ZN7rocprim17ROCPRIM_400000_NS6detail17trampoline_kernelINS0_14default_configENS1_20scan_config_selectorIfEEZZNS1_9scan_implILNS1_25lookback_scan_determinismE0ELb0ELb0ES3_PKfPffZZZN2at6native31launch_logcumsumexp_cuda_kernelERKNSB_10TensorBaseESF_lENKUlvE_clEvENKUlvE0_clEvEUlffE_fEEDaPvRmT3_T4_T5_mT6_P12ihipStream_tbENKUlT_T0_E_clISt17integral_constantIbLb0EESV_IbLb1EEEEDaSR_SS_EUlSR_E_NS1_11comp_targetILNS1_3genE4ELNS1_11target_archE910ELNS1_3gpuE8ELNS1_3repE0EEENS1_30default_config_static_selectorELNS0_4arch9wavefront6targetE1EEEvT1_,"axG",@progbits,_ZN7rocprim17ROCPRIM_400000_NS6detail17trampoline_kernelINS0_14default_configENS1_20scan_config_selectorIfEEZZNS1_9scan_implILNS1_25lookback_scan_determinismE0ELb0ELb0ES3_PKfPffZZZN2at6native31launch_logcumsumexp_cuda_kernelERKNSB_10TensorBaseESF_lENKUlvE_clEvENKUlvE0_clEvEUlffE_fEEDaPvRmT3_T4_T5_mT6_P12ihipStream_tbENKUlT_T0_E_clISt17integral_constantIbLb0EESV_IbLb1EEEEDaSR_SS_EUlSR_E_NS1_11comp_targetILNS1_3genE4ELNS1_11target_archE910ELNS1_3gpuE8ELNS1_3repE0EEENS1_30default_config_static_selectorELNS0_4arch9wavefront6targetE1EEEvT1_,comdat
.Lfunc_end155:
	.size	_ZN7rocprim17ROCPRIM_400000_NS6detail17trampoline_kernelINS0_14default_configENS1_20scan_config_selectorIfEEZZNS1_9scan_implILNS1_25lookback_scan_determinismE0ELb0ELb0ES3_PKfPffZZZN2at6native31launch_logcumsumexp_cuda_kernelERKNSB_10TensorBaseESF_lENKUlvE_clEvENKUlvE0_clEvEUlffE_fEEDaPvRmT3_T4_T5_mT6_P12ihipStream_tbENKUlT_T0_E_clISt17integral_constantIbLb0EESV_IbLb1EEEEDaSR_SS_EUlSR_E_NS1_11comp_targetILNS1_3genE4ELNS1_11target_archE910ELNS1_3gpuE8ELNS1_3repE0EEENS1_30default_config_static_selectorELNS0_4arch9wavefront6targetE1EEEvT1_, .Lfunc_end155-_ZN7rocprim17ROCPRIM_400000_NS6detail17trampoline_kernelINS0_14default_configENS1_20scan_config_selectorIfEEZZNS1_9scan_implILNS1_25lookback_scan_determinismE0ELb0ELb0ES3_PKfPffZZZN2at6native31launch_logcumsumexp_cuda_kernelERKNSB_10TensorBaseESF_lENKUlvE_clEvENKUlvE0_clEvEUlffE_fEEDaPvRmT3_T4_T5_mT6_P12ihipStream_tbENKUlT_T0_E_clISt17integral_constantIbLb0EESV_IbLb1EEEEDaSR_SS_EUlSR_E_NS1_11comp_targetILNS1_3genE4ELNS1_11target_archE910ELNS1_3gpuE8ELNS1_3repE0EEENS1_30default_config_static_selectorELNS0_4arch9wavefront6targetE1EEEvT1_
                                        ; -- End function
	.set _ZN7rocprim17ROCPRIM_400000_NS6detail17trampoline_kernelINS0_14default_configENS1_20scan_config_selectorIfEEZZNS1_9scan_implILNS1_25lookback_scan_determinismE0ELb0ELb0ES3_PKfPffZZZN2at6native31launch_logcumsumexp_cuda_kernelERKNSB_10TensorBaseESF_lENKUlvE_clEvENKUlvE0_clEvEUlffE_fEEDaPvRmT3_T4_T5_mT6_P12ihipStream_tbENKUlT_T0_E_clISt17integral_constantIbLb0EESV_IbLb1EEEEDaSR_SS_EUlSR_E_NS1_11comp_targetILNS1_3genE4ELNS1_11target_archE910ELNS1_3gpuE8ELNS1_3repE0EEENS1_30default_config_static_selectorELNS0_4arch9wavefront6targetE1EEEvT1_.num_vgpr, 0
	.set _ZN7rocprim17ROCPRIM_400000_NS6detail17trampoline_kernelINS0_14default_configENS1_20scan_config_selectorIfEEZZNS1_9scan_implILNS1_25lookback_scan_determinismE0ELb0ELb0ES3_PKfPffZZZN2at6native31launch_logcumsumexp_cuda_kernelERKNSB_10TensorBaseESF_lENKUlvE_clEvENKUlvE0_clEvEUlffE_fEEDaPvRmT3_T4_T5_mT6_P12ihipStream_tbENKUlT_T0_E_clISt17integral_constantIbLb0EESV_IbLb1EEEEDaSR_SS_EUlSR_E_NS1_11comp_targetILNS1_3genE4ELNS1_11target_archE910ELNS1_3gpuE8ELNS1_3repE0EEENS1_30default_config_static_selectorELNS0_4arch9wavefront6targetE1EEEvT1_.num_agpr, 0
	.set _ZN7rocprim17ROCPRIM_400000_NS6detail17trampoline_kernelINS0_14default_configENS1_20scan_config_selectorIfEEZZNS1_9scan_implILNS1_25lookback_scan_determinismE0ELb0ELb0ES3_PKfPffZZZN2at6native31launch_logcumsumexp_cuda_kernelERKNSB_10TensorBaseESF_lENKUlvE_clEvENKUlvE0_clEvEUlffE_fEEDaPvRmT3_T4_T5_mT6_P12ihipStream_tbENKUlT_T0_E_clISt17integral_constantIbLb0EESV_IbLb1EEEEDaSR_SS_EUlSR_E_NS1_11comp_targetILNS1_3genE4ELNS1_11target_archE910ELNS1_3gpuE8ELNS1_3repE0EEENS1_30default_config_static_selectorELNS0_4arch9wavefront6targetE1EEEvT1_.numbered_sgpr, 0
	.set _ZN7rocprim17ROCPRIM_400000_NS6detail17trampoline_kernelINS0_14default_configENS1_20scan_config_selectorIfEEZZNS1_9scan_implILNS1_25lookback_scan_determinismE0ELb0ELb0ES3_PKfPffZZZN2at6native31launch_logcumsumexp_cuda_kernelERKNSB_10TensorBaseESF_lENKUlvE_clEvENKUlvE0_clEvEUlffE_fEEDaPvRmT3_T4_T5_mT6_P12ihipStream_tbENKUlT_T0_E_clISt17integral_constantIbLb0EESV_IbLb1EEEEDaSR_SS_EUlSR_E_NS1_11comp_targetILNS1_3genE4ELNS1_11target_archE910ELNS1_3gpuE8ELNS1_3repE0EEENS1_30default_config_static_selectorELNS0_4arch9wavefront6targetE1EEEvT1_.num_named_barrier, 0
	.set _ZN7rocprim17ROCPRIM_400000_NS6detail17trampoline_kernelINS0_14default_configENS1_20scan_config_selectorIfEEZZNS1_9scan_implILNS1_25lookback_scan_determinismE0ELb0ELb0ES3_PKfPffZZZN2at6native31launch_logcumsumexp_cuda_kernelERKNSB_10TensorBaseESF_lENKUlvE_clEvENKUlvE0_clEvEUlffE_fEEDaPvRmT3_T4_T5_mT6_P12ihipStream_tbENKUlT_T0_E_clISt17integral_constantIbLb0EESV_IbLb1EEEEDaSR_SS_EUlSR_E_NS1_11comp_targetILNS1_3genE4ELNS1_11target_archE910ELNS1_3gpuE8ELNS1_3repE0EEENS1_30default_config_static_selectorELNS0_4arch9wavefront6targetE1EEEvT1_.private_seg_size, 0
	.set _ZN7rocprim17ROCPRIM_400000_NS6detail17trampoline_kernelINS0_14default_configENS1_20scan_config_selectorIfEEZZNS1_9scan_implILNS1_25lookback_scan_determinismE0ELb0ELb0ES3_PKfPffZZZN2at6native31launch_logcumsumexp_cuda_kernelERKNSB_10TensorBaseESF_lENKUlvE_clEvENKUlvE0_clEvEUlffE_fEEDaPvRmT3_T4_T5_mT6_P12ihipStream_tbENKUlT_T0_E_clISt17integral_constantIbLb0EESV_IbLb1EEEEDaSR_SS_EUlSR_E_NS1_11comp_targetILNS1_3genE4ELNS1_11target_archE910ELNS1_3gpuE8ELNS1_3repE0EEENS1_30default_config_static_selectorELNS0_4arch9wavefront6targetE1EEEvT1_.uses_vcc, 0
	.set _ZN7rocprim17ROCPRIM_400000_NS6detail17trampoline_kernelINS0_14default_configENS1_20scan_config_selectorIfEEZZNS1_9scan_implILNS1_25lookback_scan_determinismE0ELb0ELb0ES3_PKfPffZZZN2at6native31launch_logcumsumexp_cuda_kernelERKNSB_10TensorBaseESF_lENKUlvE_clEvENKUlvE0_clEvEUlffE_fEEDaPvRmT3_T4_T5_mT6_P12ihipStream_tbENKUlT_T0_E_clISt17integral_constantIbLb0EESV_IbLb1EEEEDaSR_SS_EUlSR_E_NS1_11comp_targetILNS1_3genE4ELNS1_11target_archE910ELNS1_3gpuE8ELNS1_3repE0EEENS1_30default_config_static_selectorELNS0_4arch9wavefront6targetE1EEEvT1_.uses_flat_scratch, 0
	.set _ZN7rocprim17ROCPRIM_400000_NS6detail17trampoline_kernelINS0_14default_configENS1_20scan_config_selectorIfEEZZNS1_9scan_implILNS1_25lookback_scan_determinismE0ELb0ELb0ES3_PKfPffZZZN2at6native31launch_logcumsumexp_cuda_kernelERKNSB_10TensorBaseESF_lENKUlvE_clEvENKUlvE0_clEvEUlffE_fEEDaPvRmT3_T4_T5_mT6_P12ihipStream_tbENKUlT_T0_E_clISt17integral_constantIbLb0EESV_IbLb1EEEEDaSR_SS_EUlSR_E_NS1_11comp_targetILNS1_3genE4ELNS1_11target_archE910ELNS1_3gpuE8ELNS1_3repE0EEENS1_30default_config_static_selectorELNS0_4arch9wavefront6targetE1EEEvT1_.has_dyn_sized_stack, 0
	.set _ZN7rocprim17ROCPRIM_400000_NS6detail17trampoline_kernelINS0_14default_configENS1_20scan_config_selectorIfEEZZNS1_9scan_implILNS1_25lookback_scan_determinismE0ELb0ELb0ES3_PKfPffZZZN2at6native31launch_logcumsumexp_cuda_kernelERKNSB_10TensorBaseESF_lENKUlvE_clEvENKUlvE0_clEvEUlffE_fEEDaPvRmT3_T4_T5_mT6_P12ihipStream_tbENKUlT_T0_E_clISt17integral_constantIbLb0EESV_IbLb1EEEEDaSR_SS_EUlSR_E_NS1_11comp_targetILNS1_3genE4ELNS1_11target_archE910ELNS1_3gpuE8ELNS1_3repE0EEENS1_30default_config_static_selectorELNS0_4arch9wavefront6targetE1EEEvT1_.has_recursion, 0
	.set _ZN7rocprim17ROCPRIM_400000_NS6detail17trampoline_kernelINS0_14default_configENS1_20scan_config_selectorIfEEZZNS1_9scan_implILNS1_25lookback_scan_determinismE0ELb0ELb0ES3_PKfPffZZZN2at6native31launch_logcumsumexp_cuda_kernelERKNSB_10TensorBaseESF_lENKUlvE_clEvENKUlvE0_clEvEUlffE_fEEDaPvRmT3_T4_T5_mT6_P12ihipStream_tbENKUlT_T0_E_clISt17integral_constantIbLb0EESV_IbLb1EEEEDaSR_SS_EUlSR_E_NS1_11comp_targetILNS1_3genE4ELNS1_11target_archE910ELNS1_3gpuE8ELNS1_3repE0EEENS1_30default_config_static_selectorELNS0_4arch9wavefront6targetE1EEEvT1_.has_indirect_call, 0
	.section	.AMDGPU.csdata,"",@progbits
; Kernel info:
; codeLenInByte = 0
; TotalNumSgprs: 6
; NumVgprs: 0
; NumAgprs: 0
; TotalNumVgprs: 0
; ScratchSize: 0
; MemoryBound: 0
; FloatMode: 240
; IeeeMode: 1
; LDSByteSize: 0 bytes/workgroup (compile time only)
; SGPRBlocks: 0
; VGPRBlocks: 0
; NumSGPRsForWavesPerEU: 6
; NumVGPRsForWavesPerEU: 1
; AccumOffset: 4
; Occupancy: 8
; WaveLimiterHint : 0
; COMPUTE_PGM_RSRC2:SCRATCH_EN: 0
; COMPUTE_PGM_RSRC2:USER_SGPR: 2
; COMPUTE_PGM_RSRC2:TRAP_HANDLER: 0
; COMPUTE_PGM_RSRC2:TGID_X_EN: 1
; COMPUTE_PGM_RSRC2:TGID_Y_EN: 0
; COMPUTE_PGM_RSRC2:TGID_Z_EN: 0
; COMPUTE_PGM_RSRC2:TIDIG_COMP_CNT: 0
; COMPUTE_PGM_RSRC3_GFX90A:ACCUM_OFFSET: 0
; COMPUTE_PGM_RSRC3_GFX90A:TG_SPLIT: 0
	.section	.text._ZN7rocprim17ROCPRIM_400000_NS6detail17trampoline_kernelINS0_14default_configENS1_20scan_config_selectorIfEEZZNS1_9scan_implILNS1_25lookback_scan_determinismE0ELb0ELb0ES3_PKfPffZZZN2at6native31launch_logcumsumexp_cuda_kernelERKNSB_10TensorBaseESF_lENKUlvE_clEvENKUlvE0_clEvEUlffE_fEEDaPvRmT3_T4_T5_mT6_P12ihipStream_tbENKUlT_T0_E_clISt17integral_constantIbLb0EESV_IbLb1EEEEDaSR_SS_EUlSR_E_NS1_11comp_targetILNS1_3genE3ELNS1_11target_archE908ELNS1_3gpuE7ELNS1_3repE0EEENS1_30default_config_static_selectorELNS0_4arch9wavefront6targetE1EEEvT1_,"axG",@progbits,_ZN7rocprim17ROCPRIM_400000_NS6detail17trampoline_kernelINS0_14default_configENS1_20scan_config_selectorIfEEZZNS1_9scan_implILNS1_25lookback_scan_determinismE0ELb0ELb0ES3_PKfPffZZZN2at6native31launch_logcumsumexp_cuda_kernelERKNSB_10TensorBaseESF_lENKUlvE_clEvENKUlvE0_clEvEUlffE_fEEDaPvRmT3_T4_T5_mT6_P12ihipStream_tbENKUlT_T0_E_clISt17integral_constantIbLb0EESV_IbLb1EEEEDaSR_SS_EUlSR_E_NS1_11comp_targetILNS1_3genE3ELNS1_11target_archE908ELNS1_3gpuE7ELNS1_3repE0EEENS1_30default_config_static_selectorELNS0_4arch9wavefront6targetE1EEEvT1_,comdat
	.globl	_ZN7rocprim17ROCPRIM_400000_NS6detail17trampoline_kernelINS0_14default_configENS1_20scan_config_selectorIfEEZZNS1_9scan_implILNS1_25lookback_scan_determinismE0ELb0ELb0ES3_PKfPffZZZN2at6native31launch_logcumsumexp_cuda_kernelERKNSB_10TensorBaseESF_lENKUlvE_clEvENKUlvE0_clEvEUlffE_fEEDaPvRmT3_T4_T5_mT6_P12ihipStream_tbENKUlT_T0_E_clISt17integral_constantIbLb0EESV_IbLb1EEEEDaSR_SS_EUlSR_E_NS1_11comp_targetILNS1_3genE3ELNS1_11target_archE908ELNS1_3gpuE7ELNS1_3repE0EEENS1_30default_config_static_selectorELNS0_4arch9wavefront6targetE1EEEvT1_ ; -- Begin function _ZN7rocprim17ROCPRIM_400000_NS6detail17trampoline_kernelINS0_14default_configENS1_20scan_config_selectorIfEEZZNS1_9scan_implILNS1_25lookback_scan_determinismE0ELb0ELb0ES3_PKfPffZZZN2at6native31launch_logcumsumexp_cuda_kernelERKNSB_10TensorBaseESF_lENKUlvE_clEvENKUlvE0_clEvEUlffE_fEEDaPvRmT3_T4_T5_mT6_P12ihipStream_tbENKUlT_T0_E_clISt17integral_constantIbLb0EESV_IbLb1EEEEDaSR_SS_EUlSR_E_NS1_11comp_targetILNS1_3genE3ELNS1_11target_archE908ELNS1_3gpuE7ELNS1_3repE0EEENS1_30default_config_static_selectorELNS0_4arch9wavefront6targetE1EEEvT1_
	.p2align	8
	.type	_ZN7rocprim17ROCPRIM_400000_NS6detail17trampoline_kernelINS0_14default_configENS1_20scan_config_selectorIfEEZZNS1_9scan_implILNS1_25lookback_scan_determinismE0ELb0ELb0ES3_PKfPffZZZN2at6native31launch_logcumsumexp_cuda_kernelERKNSB_10TensorBaseESF_lENKUlvE_clEvENKUlvE0_clEvEUlffE_fEEDaPvRmT3_T4_T5_mT6_P12ihipStream_tbENKUlT_T0_E_clISt17integral_constantIbLb0EESV_IbLb1EEEEDaSR_SS_EUlSR_E_NS1_11comp_targetILNS1_3genE3ELNS1_11target_archE908ELNS1_3gpuE7ELNS1_3repE0EEENS1_30default_config_static_selectorELNS0_4arch9wavefront6targetE1EEEvT1_,@function
_ZN7rocprim17ROCPRIM_400000_NS6detail17trampoline_kernelINS0_14default_configENS1_20scan_config_selectorIfEEZZNS1_9scan_implILNS1_25lookback_scan_determinismE0ELb0ELb0ES3_PKfPffZZZN2at6native31launch_logcumsumexp_cuda_kernelERKNSB_10TensorBaseESF_lENKUlvE_clEvENKUlvE0_clEvEUlffE_fEEDaPvRmT3_T4_T5_mT6_P12ihipStream_tbENKUlT_T0_E_clISt17integral_constantIbLb0EESV_IbLb1EEEEDaSR_SS_EUlSR_E_NS1_11comp_targetILNS1_3genE3ELNS1_11target_archE908ELNS1_3gpuE7ELNS1_3repE0EEENS1_30default_config_static_selectorELNS0_4arch9wavefront6targetE1EEEvT1_: ; @_ZN7rocprim17ROCPRIM_400000_NS6detail17trampoline_kernelINS0_14default_configENS1_20scan_config_selectorIfEEZZNS1_9scan_implILNS1_25lookback_scan_determinismE0ELb0ELb0ES3_PKfPffZZZN2at6native31launch_logcumsumexp_cuda_kernelERKNSB_10TensorBaseESF_lENKUlvE_clEvENKUlvE0_clEvEUlffE_fEEDaPvRmT3_T4_T5_mT6_P12ihipStream_tbENKUlT_T0_E_clISt17integral_constantIbLb0EESV_IbLb1EEEEDaSR_SS_EUlSR_E_NS1_11comp_targetILNS1_3genE3ELNS1_11target_archE908ELNS1_3gpuE7ELNS1_3repE0EEENS1_30default_config_static_selectorELNS0_4arch9wavefront6targetE1EEEvT1_
; %bb.0:
	.section	.rodata,"a",@progbits
	.p2align	6, 0x0
	.amdhsa_kernel _ZN7rocprim17ROCPRIM_400000_NS6detail17trampoline_kernelINS0_14default_configENS1_20scan_config_selectorIfEEZZNS1_9scan_implILNS1_25lookback_scan_determinismE0ELb0ELb0ES3_PKfPffZZZN2at6native31launch_logcumsumexp_cuda_kernelERKNSB_10TensorBaseESF_lENKUlvE_clEvENKUlvE0_clEvEUlffE_fEEDaPvRmT3_T4_T5_mT6_P12ihipStream_tbENKUlT_T0_E_clISt17integral_constantIbLb0EESV_IbLb1EEEEDaSR_SS_EUlSR_E_NS1_11comp_targetILNS1_3genE3ELNS1_11target_archE908ELNS1_3gpuE7ELNS1_3repE0EEENS1_30default_config_static_selectorELNS0_4arch9wavefront6targetE1EEEvT1_
		.amdhsa_group_segment_fixed_size 0
		.amdhsa_private_segment_fixed_size 0
		.amdhsa_kernarg_size 96
		.amdhsa_user_sgpr_count 2
		.amdhsa_user_sgpr_dispatch_ptr 0
		.amdhsa_user_sgpr_queue_ptr 0
		.amdhsa_user_sgpr_kernarg_segment_ptr 1
		.amdhsa_user_sgpr_dispatch_id 0
		.amdhsa_user_sgpr_kernarg_preload_length 0
		.amdhsa_user_sgpr_kernarg_preload_offset 0
		.amdhsa_user_sgpr_private_segment_size 0
		.amdhsa_uses_dynamic_stack 0
		.amdhsa_enable_private_segment 0
		.amdhsa_system_sgpr_workgroup_id_x 1
		.amdhsa_system_sgpr_workgroup_id_y 0
		.amdhsa_system_sgpr_workgroup_id_z 0
		.amdhsa_system_sgpr_workgroup_info 0
		.amdhsa_system_vgpr_workitem_id 0
		.amdhsa_next_free_vgpr 1
		.amdhsa_next_free_sgpr 0
		.amdhsa_accum_offset 4
		.amdhsa_reserve_vcc 0
		.amdhsa_float_round_mode_32 0
		.amdhsa_float_round_mode_16_64 0
		.amdhsa_float_denorm_mode_32 3
		.amdhsa_float_denorm_mode_16_64 3
		.amdhsa_dx10_clamp 1
		.amdhsa_ieee_mode 1
		.amdhsa_fp16_overflow 0
		.amdhsa_tg_split 0
		.amdhsa_exception_fp_ieee_invalid_op 0
		.amdhsa_exception_fp_denorm_src 0
		.amdhsa_exception_fp_ieee_div_zero 0
		.amdhsa_exception_fp_ieee_overflow 0
		.amdhsa_exception_fp_ieee_underflow 0
		.amdhsa_exception_fp_ieee_inexact 0
		.amdhsa_exception_int_div_zero 0
	.end_amdhsa_kernel
	.section	.text._ZN7rocprim17ROCPRIM_400000_NS6detail17trampoline_kernelINS0_14default_configENS1_20scan_config_selectorIfEEZZNS1_9scan_implILNS1_25lookback_scan_determinismE0ELb0ELb0ES3_PKfPffZZZN2at6native31launch_logcumsumexp_cuda_kernelERKNSB_10TensorBaseESF_lENKUlvE_clEvENKUlvE0_clEvEUlffE_fEEDaPvRmT3_T4_T5_mT6_P12ihipStream_tbENKUlT_T0_E_clISt17integral_constantIbLb0EESV_IbLb1EEEEDaSR_SS_EUlSR_E_NS1_11comp_targetILNS1_3genE3ELNS1_11target_archE908ELNS1_3gpuE7ELNS1_3repE0EEENS1_30default_config_static_selectorELNS0_4arch9wavefront6targetE1EEEvT1_,"axG",@progbits,_ZN7rocprim17ROCPRIM_400000_NS6detail17trampoline_kernelINS0_14default_configENS1_20scan_config_selectorIfEEZZNS1_9scan_implILNS1_25lookback_scan_determinismE0ELb0ELb0ES3_PKfPffZZZN2at6native31launch_logcumsumexp_cuda_kernelERKNSB_10TensorBaseESF_lENKUlvE_clEvENKUlvE0_clEvEUlffE_fEEDaPvRmT3_T4_T5_mT6_P12ihipStream_tbENKUlT_T0_E_clISt17integral_constantIbLb0EESV_IbLb1EEEEDaSR_SS_EUlSR_E_NS1_11comp_targetILNS1_3genE3ELNS1_11target_archE908ELNS1_3gpuE7ELNS1_3repE0EEENS1_30default_config_static_selectorELNS0_4arch9wavefront6targetE1EEEvT1_,comdat
.Lfunc_end156:
	.size	_ZN7rocprim17ROCPRIM_400000_NS6detail17trampoline_kernelINS0_14default_configENS1_20scan_config_selectorIfEEZZNS1_9scan_implILNS1_25lookback_scan_determinismE0ELb0ELb0ES3_PKfPffZZZN2at6native31launch_logcumsumexp_cuda_kernelERKNSB_10TensorBaseESF_lENKUlvE_clEvENKUlvE0_clEvEUlffE_fEEDaPvRmT3_T4_T5_mT6_P12ihipStream_tbENKUlT_T0_E_clISt17integral_constantIbLb0EESV_IbLb1EEEEDaSR_SS_EUlSR_E_NS1_11comp_targetILNS1_3genE3ELNS1_11target_archE908ELNS1_3gpuE7ELNS1_3repE0EEENS1_30default_config_static_selectorELNS0_4arch9wavefront6targetE1EEEvT1_, .Lfunc_end156-_ZN7rocprim17ROCPRIM_400000_NS6detail17trampoline_kernelINS0_14default_configENS1_20scan_config_selectorIfEEZZNS1_9scan_implILNS1_25lookback_scan_determinismE0ELb0ELb0ES3_PKfPffZZZN2at6native31launch_logcumsumexp_cuda_kernelERKNSB_10TensorBaseESF_lENKUlvE_clEvENKUlvE0_clEvEUlffE_fEEDaPvRmT3_T4_T5_mT6_P12ihipStream_tbENKUlT_T0_E_clISt17integral_constantIbLb0EESV_IbLb1EEEEDaSR_SS_EUlSR_E_NS1_11comp_targetILNS1_3genE3ELNS1_11target_archE908ELNS1_3gpuE7ELNS1_3repE0EEENS1_30default_config_static_selectorELNS0_4arch9wavefront6targetE1EEEvT1_
                                        ; -- End function
	.set _ZN7rocprim17ROCPRIM_400000_NS6detail17trampoline_kernelINS0_14default_configENS1_20scan_config_selectorIfEEZZNS1_9scan_implILNS1_25lookback_scan_determinismE0ELb0ELb0ES3_PKfPffZZZN2at6native31launch_logcumsumexp_cuda_kernelERKNSB_10TensorBaseESF_lENKUlvE_clEvENKUlvE0_clEvEUlffE_fEEDaPvRmT3_T4_T5_mT6_P12ihipStream_tbENKUlT_T0_E_clISt17integral_constantIbLb0EESV_IbLb1EEEEDaSR_SS_EUlSR_E_NS1_11comp_targetILNS1_3genE3ELNS1_11target_archE908ELNS1_3gpuE7ELNS1_3repE0EEENS1_30default_config_static_selectorELNS0_4arch9wavefront6targetE1EEEvT1_.num_vgpr, 0
	.set _ZN7rocprim17ROCPRIM_400000_NS6detail17trampoline_kernelINS0_14default_configENS1_20scan_config_selectorIfEEZZNS1_9scan_implILNS1_25lookback_scan_determinismE0ELb0ELb0ES3_PKfPffZZZN2at6native31launch_logcumsumexp_cuda_kernelERKNSB_10TensorBaseESF_lENKUlvE_clEvENKUlvE0_clEvEUlffE_fEEDaPvRmT3_T4_T5_mT6_P12ihipStream_tbENKUlT_T0_E_clISt17integral_constantIbLb0EESV_IbLb1EEEEDaSR_SS_EUlSR_E_NS1_11comp_targetILNS1_3genE3ELNS1_11target_archE908ELNS1_3gpuE7ELNS1_3repE0EEENS1_30default_config_static_selectorELNS0_4arch9wavefront6targetE1EEEvT1_.num_agpr, 0
	.set _ZN7rocprim17ROCPRIM_400000_NS6detail17trampoline_kernelINS0_14default_configENS1_20scan_config_selectorIfEEZZNS1_9scan_implILNS1_25lookback_scan_determinismE0ELb0ELb0ES3_PKfPffZZZN2at6native31launch_logcumsumexp_cuda_kernelERKNSB_10TensorBaseESF_lENKUlvE_clEvENKUlvE0_clEvEUlffE_fEEDaPvRmT3_T4_T5_mT6_P12ihipStream_tbENKUlT_T0_E_clISt17integral_constantIbLb0EESV_IbLb1EEEEDaSR_SS_EUlSR_E_NS1_11comp_targetILNS1_3genE3ELNS1_11target_archE908ELNS1_3gpuE7ELNS1_3repE0EEENS1_30default_config_static_selectorELNS0_4arch9wavefront6targetE1EEEvT1_.numbered_sgpr, 0
	.set _ZN7rocprim17ROCPRIM_400000_NS6detail17trampoline_kernelINS0_14default_configENS1_20scan_config_selectorIfEEZZNS1_9scan_implILNS1_25lookback_scan_determinismE0ELb0ELb0ES3_PKfPffZZZN2at6native31launch_logcumsumexp_cuda_kernelERKNSB_10TensorBaseESF_lENKUlvE_clEvENKUlvE0_clEvEUlffE_fEEDaPvRmT3_T4_T5_mT6_P12ihipStream_tbENKUlT_T0_E_clISt17integral_constantIbLb0EESV_IbLb1EEEEDaSR_SS_EUlSR_E_NS1_11comp_targetILNS1_3genE3ELNS1_11target_archE908ELNS1_3gpuE7ELNS1_3repE0EEENS1_30default_config_static_selectorELNS0_4arch9wavefront6targetE1EEEvT1_.num_named_barrier, 0
	.set _ZN7rocprim17ROCPRIM_400000_NS6detail17trampoline_kernelINS0_14default_configENS1_20scan_config_selectorIfEEZZNS1_9scan_implILNS1_25lookback_scan_determinismE0ELb0ELb0ES3_PKfPffZZZN2at6native31launch_logcumsumexp_cuda_kernelERKNSB_10TensorBaseESF_lENKUlvE_clEvENKUlvE0_clEvEUlffE_fEEDaPvRmT3_T4_T5_mT6_P12ihipStream_tbENKUlT_T0_E_clISt17integral_constantIbLb0EESV_IbLb1EEEEDaSR_SS_EUlSR_E_NS1_11comp_targetILNS1_3genE3ELNS1_11target_archE908ELNS1_3gpuE7ELNS1_3repE0EEENS1_30default_config_static_selectorELNS0_4arch9wavefront6targetE1EEEvT1_.private_seg_size, 0
	.set _ZN7rocprim17ROCPRIM_400000_NS6detail17trampoline_kernelINS0_14default_configENS1_20scan_config_selectorIfEEZZNS1_9scan_implILNS1_25lookback_scan_determinismE0ELb0ELb0ES3_PKfPffZZZN2at6native31launch_logcumsumexp_cuda_kernelERKNSB_10TensorBaseESF_lENKUlvE_clEvENKUlvE0_clEvEUlffE_fEEDaPvRmT3_T4_T5_mT6_P12ihipStream_tbENKUlT_T0_E_clISt17integral_constantIbLb0EESV_IbLb1EEEEDaSR_SS_EUlSR_E_NS1_11comp_targetILNS1_3genE3ELNS1_11target_archE908ELNS1_3gpuE7ELNS1_3repE0EEENS1_30default_config_static_selectorELNS0_4arch9wavefront6targetE1EEEvT1_.uses_vcc, 0
	.set _ZN7rocprim17ROCPRIM_400000_NS6detail17trampoline_kernelINS0_14default_configENS1_20scan_config_selectorIfEEZZNS1_9scan_implILNS1_25lookback_scan_determinismE0ELb0ELb0ES3_PKfPffZZZN2at6native31launch_logcumsumexp_cuda_kernelERKNSB_10TensorBaseESF_lENKUlvE_clEvENKUlvE0_clEvEUlffE_fEEDaPvRmT3_T4_T5_mT6_P12ihipStream_tbENKUlT_T0_E_clISt17integral_constantIbLb0EESV_IbLb1EEEEDaSR_SS_EUlSR_E_NS1_11comp_targetILNS1_3genE3ELNS1_11target_archE908ELNS1_3gpuE7ELNS1_3repE0EEENS1_30default_config_static_selectorELNS0_4arch9wavefront6targetE1EEEvT1_.uses_flat_scratch, 0
	.set _ZN7rocprim17ROCPRIM_400000_NS6detail17trampoline_kernelINS0_14default_configENS1_20scan_config_selectorIfEEZZNS1_9scan_implILNS1_25lookback_scan_determinismE0ELb0ELb0ES3_PKfPffZZZN2at6native31launch_logcumsumexp_cuda_kernelERKNSB_10TensorBaseESF_lENKUlvE_clEvENKUlvE0_clEvEUlffE_fEEDaPvRmT3_T4_T5_mT6_P12ihipStream_tbENKUlT_T0_E_clISt17integral_constantIbLb0EESV_IbLb1EEEEDaSR_SS_EUlSR_E_NS1_11comp_targetILNS1_3genE3ELNS1_11target_archE908ELNS1_3gpuE7ELNS1_3repE0EEENS1_30default_config_static_selectorELNS0_4arch9wavefront6targetE1EEEvT1_.has_dyn_sized_stack, 0
	.set _ZN7rocprim17ROCPRIM_400000_NS6detail17trampoline_kernelINS0_14default_configENS1_20scan_config_selectorIfEEZZNS1_9scan_implILNS1_25lookback_scan_determinismE0ELb0ELb0ES3_PKfPffZZZN2at6native31launch_logcumsumexp_cuda_kernelERKNSB_10TensorBaseESF_lENKUlvE_clEvENKUlvE0_clEvEUlffE_fEEDaPvRmT3_T4_T5_mT6_P12ihipStream_tbENKUlT_T0_E_clISt17integral_constantIbLb0EESV_IbLb1EEEEDaSR_SS_EUlSR_E_NS1_11comp_targetILNS1_3genE3ELNS1_11target_archE908ELNS1_3gpuE7ELNS1_3repE0EEENS1_30default_config_static_selectorELNS0_4arch9wavefront6targetE1EEEvT1_.has_recursion, 0
	.set _ZN7rocprim17ROCPRIM_400000_NS6detail17trampoline_kernelINS0_14default_configENS1_20scan_config_selectorIfEEZZNS1_9scan_implILNS1_25lookback_scan_determinismE0ELb0ELb0ES3_PKfPffZZZN2at6native31launch_logcumsumexp_cuda_kernelERKNSB_10TensorBaseESF_lENKUlvE_clEvENKUlvE0_clEvEUlffE_fEEDaPvRmT3_T4_T5_mT6_P12ihipStream_tbENKUlT_T0_E_clISt17integral_constantIbLb0EESV_IbLb1EEEEDaSR_SS_EUlSR_E_NS1_11comp_targetILNS1_3genE3ELNS1_11target_archE908ELNS1_3gpuE7ELNS1_3repE0EEENS1_30default_config_static_selectorELNS0_4arch9wavefront6targetE1EEEvT1_.has_indirect_call, 0
	.section	.AMDGPU.csdata,"",@progbits
; Kernel info:
; codeLenInByte = 0
; TotalNumSgprs: 6
; NumVgprs: 0
; NumAgprs: 0
; TotalNumVgprs: 0
; ScratchSize: 0
; MemoryBound: 0
; FloatMode: 240
; IeeeMode: 1
; LDSByteSize: 0 bytes/workgroup (compile time only)
; SGPRBlocks: 0
; VGPRBlocks: 0
; NumSGPRsForWavesPerEU: 6
; NumVGPRsForWavesPerEU: 1
; AccumOffset: 4
; Occupancy: 8
; WaveLimiterHint : 0
; COMPUTE_PGM_RSRC2:SCRATCH_EN: 0
; COMPUTE_PGM_RSRC2:USER_SGPR: 2
; COMPUTE_PGM_RSRC2:TRAP_HANDLER: 0
; COMPUTE_PGM_RSRC2:TGID_X_EN: 1
; COMPUTE_PGM_RSRC2:TGID_Y_EN: 0
; COMPUTE_PGM_RSRC2:TGID_Z_EN: 0
; COMPUTE_PGM_RSRC2:TIDIG_COMP_CNT: 0
; COMPUTE_PGM_RSRC3_GFX90A:ACCUM_OFFSET: 0
; COMPUTE_PGM_RSRC3_GFX90A:TG_SPLIT: 0
	.section	.text._ZN7rocprim17ROCPRIM_400000_NS6detail17trampoline_kernelINS0_14default_configENS1_20scan_config_selectorIfEEZZNS1_9scan_implILNS1_25lookback_scan_determinismE0ELb0ELb0ES3_PKfPffZZZN2at6native31launch_logcumsumexp_cuda_kernelERKNSB_10TensorBaseESF_lENKUlvE_clEvENKUlvE0_clEvEUlffE_fEEDaPvRmT3_T4_T5_mT6_P12ihipStream_tbENKUlT_T0_E_clISt17integral_constantIbLb0EESV_IbLb1EEEEDaSR_SS_EUlSR_E_NS1_11comp_targetILNS1_3genE2ELNS1_11target_archE906ELNS1_3gpuE6ELNS1_3repE0EEENS1_30default_config_static_selectorELNS0_4arch9wavefront6targetE1EEEvT1_,"axG",@progbits,_ZN7rocprim17ROCPRIM_400000_NS6detail17trampoline_kernelINS0_14default_configENS1_20scan_config_selectorIfEEZZNS1_9scan_implILNS1_25lookback_scan_determinismE0ELb0ELb0ES3_PKfPffZZZN2at6native31launch_logcumsumexp_cuda_kernelERKNSB_10TensorBaseESF_lENKUlvE_clEvENKUlvE0_clEvEUlffE_fEEDaPvRmT3_T4_T5_mT6_P12ihipStream_tbENKUlT_T0_E_clISt17integral_constantIbLb0EESV_IbLb1EEEEDaSR_SS_EUlSR_E_NS1_11comp_targetILNS1_3genE2ELNS1_11target_archE906ELNS1_3gpuE6ELNS1_3repE0EEENS1_30default_config_static_selectorELNS0_4arch9wavefront6targetE1EEEvT1_,comdat
	.globl	_ZN7rocprim17ROCPRIM_400000_NS6detail17trampoline_kernelINS0_14default_configENS1_20scan_config_selectorIfEEZZNS1_9scan_implILNS1_25lookback_scan_determinismE0ELb0ELb0ES3_PKfPffZZZN2at6native31launch_logcumsumexp_cuda_kernelERKNSB_10TensorBaseESF_lENKUlvE_clEvENKUlvE0_clEvEUlffE_fEEDaPvRmT3_T4_T5_mT6_P12ihipStream_tbENKUlT_T0_E_clISt17integral_constantIbLb0EESV_IbLb1EEEEDaSR_SS_EUlSR_E_NS1_11comp_targetILNS1_3genE2ELNS1_11target_archE906ELNS1_3gpuE6ELNS1_3repE0EEENS1_30default_config_static_selectorELNS0_4arch9wavefront6targetE1EEEvT1_ ; -- Begin function _ZN7rocprim17ROCPRIM_400000_NS6detail17trampoline_kernelINS0_14default_configENS1_20scan_config_selectorIfEEZZNS1_9scan_implILNS1_25lookback_scan_determinismE0ELb0ELb0ES3_PKfPffZZZN2at6native31launch_logcumsumexp_cuda_kernelERKNSB_10TensorBaseESF_lENKUlvE_clEvENKUlvE0_clEvEUlffE_fEEDaPvRmT3_T4_T5_mT6_P12ihipStream_tbENKUlT_T0_E_clISt17integral_constantIbLb0EESV_IbLb1EEEEDaSR_SS_EUlSR_E_NS1_11comp_targetILNS1_3genE2ELNS1_11target_archE906ELNS1_3gpuE6ELNS1_3repE0EEENS1_30default_config_static_selectorELNS0_4arch9wavefront6targetE1EEEvT1_
	.p2align	8
	.type	_ZN7rocprim17ROCPRIM_400000_NS6detail17trampoline_kernelINS0_14default_configENS1_20scan_config_selectorIfEEZZNS1_9scan_implILNS1_25lookback_scan_determinismE0ELb0ELb0ES3_PKfPffZZZN2at6native31launch_logcumsumexp_cuda_kernelERKNSB_10TensorBaseESF_lENKUlvE_clEvENKUlvE0_clEvEUlffE_fEEDaPvRmT3_T4_T5_mT6_P12ihipStream_tbENKUlT_T0_E_clISt17integral_constantIbLb0EESV_IbLb1EEEEDaSR_SS_EUlSR_E_NS1_11comp_targetILNS1_3genE2ELNS1_11target_archE906ELNS1_3gpuE6ELNS1_3repE0EEENS1_30default_config_static_selectorELNS0_4arch9wavefront6targetE1EEEvT1_,@function
_ZN7rocprim17ROCPRIM_400000_NS6detail17trampoline_kernelINS0_14default_configENS1_20scan_config_selectorIfEEZZNS1_9scan_implILNS1_25lookback_scan_determinismE0ELb0ELb0ES3_PKfPffZZZN2at6native31launch_logcumsumexp_cuda_kernelERKNSB_10TensorBaseESF_lENKUlvE_clEvENKUlvE0_clEvEUlffE_fEEDaPvRmT3_T4_T5_mT6_P12ihipStream_tbENKUlT_T0_E_clISt17integral_constantIbLb0EESV_IbLb1EEEEDaSR_SS_EUlSR_E_NS1_11comp_targetILNS1_3genE2ELNS1_11target_archE906ELNS1_3gpuE6ELNS1_3repE0EEENS1_30default_config_static_selectorELNS0_4arch9wavefront6targetE1EEEvT1_: ; @_ZN7rocprim17ROCPRIM_400000_NS6detail17trampoline_kernelINS0_14default_configENS1_20scan_config_selectorIfEEZZNS1_9scan_implILNS1_25lookback_scan_determinismE0ELb0ELb0ES3_PKfPffZZZN2at6native31launch_logcumsumexp_cuda_kernelERKNSB_10TensorBaseESF_lENKUlvE_clEvENKUlvE0_clEvEUlffE_fEEDaPvRmT3_T4_T5_mT6_P12ihipStream_tbENKUlT_T0_E_clISt17integral_constantIbLb0EESV_IbLb1EEEEDaSR_SS_EUlSR_E_NS1_11comp_targetILNS1_3genE2ELNS1_11target_archE906ELNS1_3gpuE6ELNS1_3repE0EEENS1_30default_config_static_selectorELNS0_4arch9wavefront6targetE1EEEvT1_
; %bb.0:
	.section	.rodata,"a",@progbits
	.p2align	6, 0x0
	.amdhsa_kernel _ZN7rocprim17ROCPRIM_400000_NS6detail17trampoline_kernelINS0_14default_configENS1_20scan_config_selectorIfEEZZNS1_9scan_implILNS1_25lookback_scan_determinismE0ELb0ELb0ES3_PKfPffZZZN2at6native31launch_logcumsumexp_cuda_kernelERKNSB_10TensorBaseESF_lENKUlvE_clEvENKUlvE0_clEvEUlffE_fEEDaPvRmT3_T4_T5_mT6_P12ihipStream_tbENKUlT_T0_E_clISt17integral_constantIbLb0EESV_IbLb1EEEEDaSR_SS_EUlSR_E_NS1_11comp_targetILNS1_3genE2ELNS1_11target_archE906ELNS1_3gpuE6ELNS1_3repE0EEENS1_30default_config_static_selectorELNS0_4arch9wavefront6targetE1EEEvT1_
		.amdhsa_group_segment_fixed_size 0
		.amdhsa_private_segment_fixed_size 0
		.amdhsa_kernarg_size 96
		.amdhsa_user_sgpr_count 2
		.amdhsa_user_sgpr_dispatch_ptr 0
		.amdhsa_user_sgpr_queue_ptr 0
		.amdhsa_user_sgpr_kernarg_segment_ptr 1
		.amdhsa_user_sgpr_dispatch_id 0
		.amdhsa_user_sgpr_kernarg_preload_length 0
		.amdhsa_user_sgpr_kernarg_preload_offset 0
		.amdhsa_user_sgpr_private_segment_size 0
		.amdhsa_uses_dynamic_stack 0
		.amdhsa_enable_private_segment 0
		.amdhsa_system_sgpr_workgroup_id_x 1
		.amdhsa_system_sgpr_workgroup_id_y 0
		.amdhsa_system_sgpr_workgroup_id_z 0
		.amdhsa_system_sgpr_workgroup_info 0
		.amdhsa_system_vgpr_workitem_id 0
		.amdhsa_next_free_vgpr 1
		.amdhsa_next_free_sgpr 0
		.amdhsa_accum_offset 4
		.amdhsa_reserve_vcc 0
		.amdhsa_float_round_mode_32 0
		.amdhsa_float_round_mode_16_64 0
		.amdhsa_float_denorm_mode_32 3
		.amdhsa_float_denorm_mode_16_64 3
		.amdhsa_dx10_clamp 1
		.amdhsa_ieee_mode 1
		.amdhsa_fp16_overflow 0
		.amdhsa_tg_split 0
		.amdhsa_exception_fp_ieee_invalid_op 0
		.amdhsa_exception_fp_denorm_src 0
		.amdhsa_exception_fp_ieee_div_zero 0
		.amdhsa_exception_fp_ieee_overflow 0
		.amdhsa_exception_fp_ieee_underflow 0
		.amdhsa_exception_fp_ieee_inexact 0
		.amdhsa_exception_int_div_zero 0
	.end_amdhsa_kernel
	.section	.text._ZN7rocprim17ROCPRIM_400000_NS6detail17trampoline_kernelINS0_14default_configENS1_20scan_config_selectorIfEEZZNS1_9scan_implILNS1_25lookback_scan_determinismE0ELb0ELb0ES3_PKfPffZZZN2at6native31launch_logcumsumexp_cuda_kernelERKNSB_10TensorBaseESF_lENKUlvE_clEvENKUlvE0_clEvEUlffE_fEEDaPvRmT3_T4_T5_mT6_P12ihipStream_tbENKUlT_T0_E_clISt17integral_constantIbLb0EESV_IbLb1EEEEDaSR_SS_EUlSR_E_NS1_11comp_targetILNS1_3genE2ELNS1_11target_archE906ELNS1_3gpuE6ELNS1_3repE0EEENS1_30default_config_static_selectorELNS0_4arch9wavefront6targetE1EEEvT1_,"axG",@progbits,_ZN7rocprim17ROCPRIM_400000_NS6detail17trampoline_kernelINS0_14default_configENS1_20scan_config_selectorIfEEZZNS1_9scan_implILNS1_25lookback_scan_determinismE0ELb0ELb0ES3_PKfPffZZZN2at6native31launch_logcumsumexp_cuda_kernelERKNSB_10TensorBaseESF_lENKUlvE_clEvENKUlvE0_clEvEUlffE_fEEDaPvRmT3_T4_T5_mT6_P12ihipStream_tbENKUlT_T0_E_clISt17integral_constantIbLb0EESV_IbLb1EEEEDaSR_SS_EUlSR_E_NS1_11comp_targetILNS1_3genE2ELNS1_11target_archE906ELNS1_3gpuE6ELNS1_3repE0EEENS1_30default_config_static_selectorELNS0_4arch9wavefront6targetE1EEEvT1_,comdat
.Lfunc_end157:
	.size	_ZN7rocprim17ROCPRIM_400000_NS6detail17trampoline_kernelINS0_14default_configENS1_20scan_config_selectorIfEEZZNS1_9scan_implILNS1_25lookback_scan_determinismE0ELb0ELb0ES3_PKfPffZZZN2at6native31launch_logcumsumexp_cuda_kernelERKNSB_10TensorBaseESF_lENKUlvE_clEvENKUlvE0_clEvEUlffE_fEEDaPvRmT3_T4_T5_mT6_P12ihipStream_tbENKUlT_T0_E_clISt17integral_constantIbLb0EESV_IbLb1EEEEDaSR_SS_EUlSR_E_NS1_11comp_targetILNS1_3genE2ELNS1_11target_archE906ELNS1_3gpuE6ELNS1_3repE0EEENS1_30default_config_static_selectorELNS0_4arch9wavefront6targetE1EEEvT1_, .Lfunc_end157-_ZN7rocprim17ROCPRIM_400000_NS6detail17trampoline_kernelINS0_14default_configENS1_20scan_config_selectorIfEEZZNS1_9scan_implILNS1_25lookback_scan_determinismE0ELb0ELb0ES3_PKfPffZZZN2at6native31launch_logcumsumexp_cuda_kernelERKNSB_10TensorBaseESF_lENKUlvE_clEvENKUlvE0_clEvEUlffE_fEEDaPvRmT3_T4_T5_mT6_P12ihipStream_tbENKUlT_T0_E_clISt17integral_constantIbLb0EESV_IbLb1EEEEDaSR_SS_EUlSR_E_NS1_11comp_targetILNS1_3genE2ELNS1_11target_archE906ELNS1_3gpuE6ELNS1_3repE0EEENS1_30default_config_static_selectorELNS0_4arch9wavefront6targetE1EEEvT1_
                                        ; -- End function
	.set _ZN7rocprim17ROCPRIM_400000_NS6detail17trampoline_kernelINS0_14default_configENS1_20scan_config_selectorIfEEZZNS1_9scan_implILNS1_25lookback_scan_determinismE0ELb0ELb0ES3_PKfPffZZZN2at6native31launch_logcumsumexp_cuda_kernelERKNSB_10TensorBaseESF_lENKUlvE_clEvENKUlvE0_clEvEUlffE_fEEDaPvRmT3_T4_T5_mT6_P12ihipStream_tbENKUlT_T0_E_clISt17integral_constantIbLb0EESV_IbLb1EEEEDaSR_SS_EUlSR_E_NS1_11comp_targetILNS1_3genE2ELNS1_11target_archE906ELNS1_3gpuE6ELNS1_3repE0EEENS1_30default_config_static_selectorELNS0_4arch9wavefront6targetE1EEEvT1_.num_vgpr, 0
	.set _ZN7rocprim17ROCPRIM_400000_NS6detail17trampoline_kernelINS0_14default_configENS1_20scan_config_selectorIfEEZZNS1_9scan_implILNS1_25lookback_scan_determinismE0ELb0ELb0ES3_PKfPffZZZN2at6native31launch_logcumsumexp_cuda_kernelERKNSB_10TensorBaseESF_lENKUlvE_clEvENKUlvE0_clEvEUlffE_fEEDaPvRmT3_T4_T5_mT6_P12ihipStream_tbENKUlT_T0_E_clISt17integral_constantIbLb0EESV_IbLb1EEEEDaSR_SS_EUlSR_E_NS1_11comp_targetILNS1_3genE2ELNS1_11target_archE906ELNS1_3gpuE6ELNS1_3repE0EEENS1_30default_config_static_selectorELNS0_4arch9wavefront6targetE1EEEvT1_.num_agpr, 0
	.set _ZN7rocprim17ROCPRIM_400000_NS6detail17trampoline_kernelINS0_14default_configENS1_20scan_config_selectorIfEEZZNS1_9scan_implILNS1_25lookback_scan_determinismE0ELb0ELb0ES3_PKfPffZZZN2at6native31launch_logcumsumexp_cuda_kernelERKNSB_10TensorBaseESF_lENKUlvE_clEvENKUlvE0_clEvEUlffE_fEEDaPvRmT3_T4_T5_mT6_P12ihipStream_tbENKUlT_T0_E_clISt17integral_constantIbLb0EESV_IbLb1EEEEDaSR_SS_EUlSR_E_NS1_11comp_targetILNS1_3genE2ELNS1_11target_archE906ELNS1_3gpuE6ELNS1_3repE0EEENS1_30default_config_static_selectorELNS0_4arch9wavefront6targetE1EEEvT1_.numbered_sgpr, 0
	.set _ZN7rocprim17ROCPRIM_400000_NS6detail17trampoline_kernelINS0_14default_configENS1_20scan_config_selectorIfEEZZNS1_9scan_implILNS1_25lookback_scan_determinismE0ELb0ELb0ES3_PKfPffZZZN2at6native31launch_logcumsumexp_cuda_kernelERKNSB_10TensorBaseESF_lENKUlvE_clEvENKUlvE0_clEvEUlffE_fEEDaPvRmT3_T4_T5_mT6_P12ihipStream_tbENKUlT_T0_E_clISt17integral_constantIbLb0EESV_IbLb1EEEEDaSR_SS_EUlSR_E_NS1_11comp_targetILNS1_3genE2ELNS1_11target_archE906ELNS1_3gpuE6ELNS1_3repE0EEENS1_30default_config_static_selectorELNS0_4arch9wavefront6targetE1EEEvT1_.num_named_barrier, 0
	.set _ZN7rocprim17ROCPRIM_400000_NS6detail17trampoline_kernelINS0_14default_configENS1_20scan_config_selectorIfEEZZNS1_9scan_implILNS1_25lookback_scan_determinismE0ELb0ELb0ES3_PKfPffZZZN2at6native31launch_logcumsumexp_cuda_kernelERKNSB_10TensorBaseESF_lENKUlvE_clEvENKUlvE0_clEvEUlffE_fEEDaPvRmT3_T4_T5_mT6_P12ihipStream_tbENKUlT_T0_E_clISt17integral_constantIbLb0EESV_IbLb1EEEEDaSR_SS_EUlSR_E_NS1_11comp_targetILNS1_3genE2ELNS1_11target_archE906ELNS1_3gpuE6ELNS1_3repE0EEENS1_30default_config_static_selectorELNS0_4arch9wavefront6targetE1EEEvT1_.private_seg_size, 0
	.set _ZN7rocprim17ROCPRIM_400000_NS6detail17trampoline_kernelINS0_14default_configENS1_20scan_config_selectorIfEEZZNS1_9scan_implILNS1_25lookback_scan_determinismE0ELb0ELb0ES3_PKfPffZZZN2at6native31launch_logcumsumexp_cuda_kernelERKNSB_10TensorBaseESF_lENKUlvE_clEvENKUlvE0_clEvEUlffE_fEEDaPvRmT3_T4_T5_mT6_P12ihipStream_tbENKUlT_T0_E_clISt17integral_constantIbLb0EESV_IbLb1EEEEDaSR_SS_EUlSR_E_NS1_11comp_targetILNS1_3genE2ELNS1_11target_archE906ELNS1_3gpuE6ELNS1_3repE0EEENS1_30default_config_static_selectorELNS0_4arch9wavefront6targetE1EEEvT1_.uses_vcc, 0
	.set _ZN7rocprim17ROCPRIM_400000_NS6detail17trampoline_kernelINS0_14default_configENS1_20scan_config_selectorIfEEZZNS1_9scan_implILNS1_25lookback_scan_determinismE0ELb0ELb0ES3_PKfPffZZZN2at6native31launch_logcumsumexp_cuda_kernelERKNSB_10TensorBaseESF_lENKUlvE_clEvENKUlvE0_clEvEUlffE_fEEDaPvRmT3_T4_T5_mT6_P12ihipStream_tbENKUlT_T0_E_clISt17integral_constantIbLb0EESV_IbLb1EEEEDaSR_SS_EUlSR_E_NS1_11comp_targetILNS1_3genE2ELNS1_11target_archE906ELNS1_3gpuE6ELNS1_3repE0EEENS1_30default_config_static_selectorELNS0_4arch9wavefront6targetE1EEEvT1_.uses_flat_scratch, 0
	.set _ZN7rocprim17ROCPRIM_400000_NS6detail17trampoline_kernelINS0_14default_configENS1_20scan_config_selectorIfEEZZNS1_9scan_implILNS1_25lookback_scan_determinismE0ELb0ELb0ES3_PKfPffZZZN2at6native31launch_logcumsumexp_cuda_kernelERKNSB_10TensorBaseESF_lENKUlvE_clEvENKUlvE0_clEvEUlffE_fEEDaPvRmT3_T4_T5_mT6_P12ihipStream_tbENKUlT_T0_E_clISt17integral_constantIbLb0EESV_IbLb1EEEEDaSR_SS_EUlSR_E_NS1_11comp_targetILNS1_3genE2ELNS1_11target_archE906ELNS1_3gpuE6ELNS1_3repE0EEENS1_30default_config_static_selectorELNS0_4arch9wavefront6targetE1EEEvT1_.has_dyn_sized_stack, 0
	.set _ZN7rocprim17ROCPRIM_400000_NS6detail17trampoline_kernelINS0_14default_configENS1_20scan_config_selectorIfEEZZNS1_9scan_implILNS1_25lookback_scan_determinismE0ELb0ELb0ES3_PKfPffZZZN2at6native31launch_logcumsumexp_cuda_kernelERKNSB_10TensorBaseESF_lENKUlvE_clEvENKUlvE0_clEvEUlffE_fEEDaPvRmT3_T4_T5_mT6_P12ihipStream_tbENKUlT_T0_E_clISt17integral_constantIbLb0EESV_IbLb1EEEEDaSR_SS_EUlSR_E_NS1_11comp_targetILNS1_3genE2ELNS1_11target_archE906ELNS1_3gpuE6ELNS1_3repE0EEENS1_30default_config_static_selectorELNS0_4arch9wavefront6targetE1EEEvT1_.has_recursion, 0
	.set _ZN7rocprim17ROCPRIM_400000_NS6detail17trampoline_kernelINS0_14default_configENS1_20scan_config_selectorIfEEZZNS1_9scan_implILNS1_25lookback_scan_determinismE0ELb0ELb0ES3_PKfPffZZZN2at6native31launch_logcumsumexp_cuda_kernelERKNSB_10TensorBaseESF_lENKUlvE_clEvENKUlvE0_clEvEUlffE_fEEDaPvRmT3_T4_T5_mT6_P12ihipStream_tbENKUlT_T0_E_clISt17integral_constantIbLb0EESV_IbLb1EEEEDaSR_SS_EUlSR_E_NS1_11comp_targetILNS1_3genE2ELNS1_11target_archE906ELNS1_3gpuE6ELNS1_3repE0EEENS1_30default_config_static_selectorELNS0_4arch9wavefront6targetE1EEEvT1_.has_indirect_call, 0
	.section	.AMDGPU.csdata,"",@progbits
; Kernel info:
; codeLenInByte = 0
; TotalNumSgprs: 6
; NumVgprs: 0
; NumAgprs: 0
; TotalNumVgprs: 0
; ScratchSize: 0
; MemoryBound: 0
; FloatMode: 240
; IeeeMode: 1
; LDSByteSize: 0 bytes/workgroup (compile time only)
; SGPRBlocks: 0
; VGPRBlocks: 0
; NumSGPRsForWavesPerEU: 6
; NumVGPRsForWavesPerEU: 1
; AccumOffset: 4
; Occupancy: 8
; WaveLimiterHint : 0
; COMPUTE_PGM_RSRC2:SCRATCH_EN: 0
; COMPUTE_PGM_RSRC2:USER_SGPR: 2
; COMPUTE_PGM_RSRC2:TRAP_HANDLER: 0
; COMPUTE_PGM_RSRC2:TGID_X_EN: 1
; COMPUTE_PGM_RSRC2:TGID_Y_EN: 0
; COMPUTE_PGM_RSRC2:TGID_Z_EN: 0
; COMPUTE_PGM_RSRC2:TIDIG_COMP_CNT: 0
; COMPUTE_PGM_RSRC3_GFX90A:ACCUM_OFFSET: 0
; COMPUTE_PGM_RSRC3_GFX90A:TG_SPLIT: 0
	.section	.text._ZN7rocprim17ROCPRIM_400000_NS6detail17trampoline_kernelINS0_14default_configENS1_20scan_config_selectorIfEEZZNS1_9scan_implILNS1_25lookback_scan_determinismE0ELb0ELb0ES3_PKfPffZZZN2at6native31launch_logcumsumexp_cuda_kernelERKNSB_10TensorBaseESF_lENKUlvE_clEvENKUlvE0_clEvEUlffE_fEEDaPvRmT3_T4_T5_mT6_P12ihipStream_tbENKUlT_T0_E_clISt17integral_constantIbLb0EESV_IbLb1EEEEDaSR_SS_EUlSR_E_NS1_11comp_targetILNS1_3genE10ELNS1_11target_archE1201ELNS1_3gpuE5ELNS1_3repE0EEENS1_30default_config_static_selectorELNS0_4arch9wavefront6targetE1EEEvT1_,"axG",@progbits,_ZN7rocprim17ROCPRIM_400000_NS6detail17trampoline_kernelINS0_14default_configENS1_20scan_config_selectorIfEEZZNS1_9scan_implILNS1_25lookback_scan_determinismE0ELb0ELb0ES3_PKfPffZZZN2at6native31launch_logcumsumexp_cuda_kernelERKNSB_10TensorBaseESF_lENKUlvE_clEvENKUlvE0_clEvEUlffE_fEEDaPvRmT3_T4_T5_mT6_P12ihipStream_tbENKUlT_T0_E_clISt17integral_constantIbLb0EESV_IbLb1EEEEDaSR_SS_EUlSR_E_NS1_11comp_targetILNS1_3genE10ELNS1_11target_archE1201ELNS1_3gpuE5ELNS1_3repE0EEENS1_30default_config_static_selectorELNS0_4arch9wavefront6targetE1EEEvT1_,comdat
	.globl	_ZN7rocprim17ROCPRIM_400000_NS6detail17trampoline_kernelINS0_14default_configENS1_20scan_config_selectorIfEEZZNS1_9scan_implILNS1_25lookback_scan_determinismE0ELb0ELb0ES3_PKfPffZZZN2at6native31launch_logcumsumexp_cuda_kernelERKNSB_10TensorBaseESF_lENKUlvE_clEvENKUlvE0_clEvEUlffE_fEEDaPvRmT3_T4_T5_mT6_P12ihipStream_tbENKUlT_T0_E_clISt17integral_constantIbLb0EESV_IbLb1EEEEDaSR_SS_EUlSR_E_NS1_11comp_targetILNS1_3genE10ELNS1_11target_archE1201ELNS1_3gpuE5ELNS1_3repE0EEENS1_30default_config_static_selectorELNS0_4arch9wavefront6targetE1EEEvT1_ ; -- Begin function _ZN7rocprim17ROCPRIM_400000_NS6detail17trampoline_kernelINS0_14default_configENS1_20scan_config_selectorIfEEZZNS1_9scan_implILNS1_25lookback_scan_determinismE0ELb0ELb0ES3_PKfPffZZZN2at6native31launch_logcumsumexp_cuda_kernelERKNSB_10TensorBaseESF_lENKUlvE_clEvENKUlvE0_clEvEUlffE_fEEDaPvRmT3_T4_T5_mT6_P12ihipStream_tbENKUlT_T0_E_clISt17integral_constantIbLb0EESV_IbLb1EEEEDaSR_SS_EUlSR_E_NS1_11comp_targetILNS1_3genE10ELNS1_11target_archE1201ELNS1_3gpuE5ELNS1_3repE0EEENS1_30default_config_static_selectorELNS0_4arch9wavefront6targetE1EEEvT1_
	.p2align	8
	.type	_ZN7rocprim17ROCPRIM_400000_NS6detail17trampoline_kernelINS0_14default_configENS1_20scan_config_selectorIfEEZZNS1_9scan_implILNS1_25lookback_scan_determinismE0ELb0ELb0ES3_PKfPffZZZN2at6native31launch_logcumsumexp_cuda_kernelERKNSB_10TensorBaseESF_lENKUlvE_clEvENKUlvE0_clEvEUlffE_fEEDaPvRmT3_T4_T5_mT6_P12ihipStream_tbENKUlT_T0_E_clISt17integral_constantIbLb0EESV_IbLb1EEEEDaSR_SS_EUlSR_E_NS1_11comp_targetILNS1_3genE10ELNS1_11target_archE1201ELNS1_3gpuE5ELNS1_3repE0EEENS1_30default_config_static_selectorELNS0_4arch9wavefront6targetE1EEEvT1_,@function
_ZN7rocprim17ROCPRIM_400000_NS6detail17trampoline_kernelINS0_14default_configENS1_20scan_config_selectorIfEEZZNS1_9scan_implILNS1_25lookback_scan_determinismE0ELb0ELb0ES3_PKfPffZZZN2at6native31launch_logcumsumexp_cuda_kernelERKNSB_10TensorBaseESF_lENKUlvE_clEvENKUlvE0_clEvEUlffE_fEEDaPvRmT3_T4_T5_mT6_P12ihipStream_tbENKUlT_T0_E_clISt17integral_constantIbLb0EESV_IbLb1EEEEDaSR_SS_EUlSR_E_NS1_11comp_targetILNS1_3genE10ELNS1_11target_archE1201ELNS1_3gpuE5ELNS1_3repE0EEENS1_30default_config_static_selectorELNS0_4arch9wavefront6targetE1EEEvT1_: ; @_ZN7rocprim17ROCPRIM_400000_NS6detail17trampoline_kernelINS0_14default_configENS1_20scan_config_selectorIfEEZZNS1_9scan_implILNS1_25lookback_scan_determinismE0ELb0ELb0ES3_PKfPffZZZN2at6native31launch_logcumsumexp_cuda_kernelERKNSB_10TensorBaseESF_lENKUlvE_clEvENKUlvE0_clEvEUlffE_fEEDaPvRmT3_T4_T5_mT6_P12ihipStream_tbENKUlT_T0_E_clISt17integral_constantIbLb0EESV_IbLb1EEEEDaSR_SS_EUlSR_E_NS1_11comp_targetILNS1_3genE10ELNS1_11target_archE1201ELNS1_3gpuE5ELNS1_3repE0EEENS1_30default_config_static_selectorELNS0_4arch9wavefront6targetE1EEEvT1_
; %bb.0:
	.section	.rodata,"a",@progbits
	.p2align	6, 0x0
	.amdhsa_kernel _ZN7rocprim17ROCPRIM_400000_NS6detail17trampoline_kernelINS0_14default_configENS1_20scan_config_selectorIfEEZZNS1_9scan_implILNS1_25lookback_scan_determinismE0ELb0ELb0ES3_PKfPffZZZN2at6native31launch_logcumsumexp_cuda_kernelERKNSB_10TensorBaseESF_lENKUlvE_clEvENKUlvE0_clEvEUlffE_fEEDaPvRmT3_T4_T5_mT6_P12ihipStream_tbENKUlT_T0_E_clISt17integral_constantIbLb0EESV_IbLb1EEEEDaSR_SS_EUlSR_E_NS1_11comp_targetILNS1_3genE10ELNS1_11target_archE1201ELNS1_3gpuE5ELNS1_3repE0EEENS1_30default_config_static_selectorELNS0_4arch9wavefront6targetE1EEEvT1_
		.amdhsa_group_segment_fixed_size 0
		.amdhsa_private_segment_fixed_size 0
		.amdhsa_kernarg_size 96
		.amdhsa_user_sgpr_count 2
		.amdhsa_user_sgpr_dispatch_ptr 0
		.amdhsa_user_sgpr_queue_ptr 0
		.amdhsa_user_sgpr_kernarg_segment_ptr 1
		.amdhsa_user_sgpr_dispatch_id 0
		.amdhsa_user_sgpr_kernarg_preload_length 0
		.amdhsa_user_sgpr_kernarg_preload_offset 0
		.amdhsa_user_sgpr_private_segment_size 0
		.amdhsa_uses_dynamic_stack 0
		.amdhsa_enable_private_segment 0
		.amdhsa_system_sgpr_workgroup_id_x 1
		.amdhsa_system_sgpr_workgroup_id_y 0
		.amdhsa_system_sgpr_workgroup_id_z 0
		.amdhsa_system_sgpr_workgroup_info 0
		.amdhsa_system_vgpr_workitem_id 0
		.amdhsa_next_free_vgpr 1
		.amdhsa_next_free_sgpr 0
		.amdhsa_accum_offset 4
		.amdhsa_reserve_vcc 0
		.amdhsa_float_round_mode_32 0
		.amdhsa_float_round_mode_16_64 0
		.amdhsa_float_denorm_mode_32 3
		.amdhsa_float_denorm_mode_16_64 3
		.amdhsa_dx10_clamp 1
		.amdhsa_ieee_mode 1
		.amdhsa_fp16_overflow 0
		.amdhsa_tg_split 0
		.amdhsa_exception_fp_ieee_invalid_op 0
		.amdhsa_exception_fp_denorm_src 0
		.amdhsa_exception_fp_ieee_div_zero 0
		.amdhsa_exception_fp_ieee_overflow 0
		.amdhsa_exception_fp_ieee_underflow 0
		.amdhsa_exception_fp_ieee_inexact 0
		.amdhsa_exception_int_div_zero 0
	.end_amdhsa_kernel
	.section	.text._ZN7rocprim17ROCPRIM_400000_NS6detail17trampoline_kernelINS0_14default_configENS1_20scan_config_selectorIfEEZZNS1_9scan_implILNS1_25lookback_scan_determinismE0ELb0ELb0ES3_PKfPffZZZN2at6native31launch_logcumsumexp_cuda_kernelERKNSB_10TensorBaseESF_lENKUlvE_clEvENKUlvE0_clEvEUlffE_fEEDaPvRmT3_T4_T5_mT6_P12ihipStream_tbENKUlT_T0_E_clISt17integral_constantIbLb0EESV_IbLb1EEEEDaSR_SS_EUlSR_E_NS1_11comp_targetILNS1_3genE10ELNS1_11target_archE1201ELNS1_3gpuE5ELNS1_3repE0EEENS1_30default_config_static_selectorELNS0_4arch9wavefront6targetE1EEEvT1_,"axG",@progbits,_ZN7rocprim17ROCPRIM_400000_NS6detail17trampoline_kernelINS0_14default_configENS1_20scan_config_selectorIfEEZZNS1_9scan_implILNS1_25lookback_scan_determinismE0ELb0ELb0ES3_PKfPffZZZN2at6native31launch_logcumsumexp_cuda_kernelERKNSB_10TensorBaseESF_lENKUlvE_clEvENKUlvE0_clEvEUlffE_fEEDaPvRmT3_T4_T5_mT6_P12ihipStream_tbENKUlT_T0_E_clISt17integral_constantIbLb0EESV_IbLb1EEEEDaSR_SS_EUlSR_E_NS1_11comp_targetILNS1_3genE10ELNS1_11target_archE1201ELNS1_3gpuE5ELNS1_3repE0EEENS1_30default_config_static_selectorELNS0_4arch9wavefront6targetE1EEEvT1_,comdat
.Lfunc_end158:
	.size	_ZN7rocprim17ROCPRIM_400000_NS6detail17trampoline_kernelINS0_14default_configENS1_20scan_config_selectorIfEEZZNS1_9scan_implILNS1_25lookback_scan_determinismE0ELb0ELb0ES3_PKfPffZZZN2at6native31launch_logcumsumexp_cuda_kernelERKNSB_10TensorBaseESF_lENKUlvE_clEvENKUlvE0_clEvEUlffE_fEEDaPvRmT3_T4_T5_mT6_P12ihipStream_tbENKUlT_T0_E_clISt17integral_constantIbLb0EESV_IbLb1EEEEDaSR_SS_EUlSR_E_NS1_11comp_targetILNS1_3genE10ELNS1_11target_archE1201ELNS1_3gpuE5ELNS1_3repE0EEENS1_30default_config_static_selectorELNS0_4arch9wavefront6targetE1EEEvT1_, .Lfunc_end158-_ZN7rocprim17ROCPRIM_400000_NS6detail17trampoline_kernelINS0_14default_configENS1_20scan_config_selectorIfEEZZNS1_9scan_implILNS1_25lookback_scan_determinismE0ELb0ELb0ES3_PKfPffZZZN2at6native31launch_logcumsumexp_cuda_kernelERKNSB_10TensorBaseESF_lENKUlvE_clEvENKUlvE0_clEvEUlffE_fEEDaPvRmT3_T4_T5_mT6_P12ihipStream_tbENKUlT_T0_E_clISt17integral_constantIbLb0EESV_IbLb1EEEEDaSR_SS_EUlSR_E_NS1_11comp_targetILNS1_3genE10ELNS1_11target_archE1201ELNS1_3gpuE5ELNS1_3repE0EEENS1_30default_config_static_selectorELNS0_4arch9wavefront6targetE1EEEvT1_
                                        ; -- End function
	.set _ZN7rocprim17ROCPRIM_400000_NS6detail17trampoline_kernelINS0_14default_configENS1_20scan_config_selectorIfEEZZNS1_9scan_implILNS1_25lookback_scan_determinismE0ELb0ELb0ES3_PKfPffZZZN2at6native31launch_logcumsumexp_cuda_kernelERKNSB_10TensorBaseESF_lENKUlvE_clEvENKUlvE0_clEvEUlffE_fEEDaPvRmT3_T4_T5_mT6_P12ihipStream_tbENKUlT_T0_E_clISt17integral_constantIbLb0EESV_IbLb1EEEEDaSR_SS_EUlSR_E_NS1_11comp_targetILNS1_3genE10ELNS1_11target_archE1201ELNS1_3gpuE5ELNS1_3repE0EEENS1_30default_config_static_selectorELNS0_4arch9wavefront6targetE1EEEvT1_.num_vgpr, 0
	.set _ZN7rocprim17ROCPRIM_400000_NS6detail17trampoline_kernelINS0_14default_configENS1_20scan_config_selectorIfEEZZNS1_9scan_implILNS1_25lookback_scan_determinismE0ELb0ELb0ES3_PKfPffZZZN2at6native31launch_logcumsumexp_cuda_kernelERKNSB_10TensorBaseESF_lENKUlvE_clEvENKUlvE0_clEvEUlffE_fEEDaPvRmT3_T4_T5_mT6_P12ihipStream_tbENKUlT_T0_E_clISt17integral_constantIbLb0EESV_IbLb1EEEEDaSR_SS_EUlSR_E_NS1_11comp_targetILNS1_3genE10ELNS1_11target_archE1201ELNS1_3gpuE5ELNS1_3repE0EEENS1_30default_config_static_selectorELNS0_4arch9wavefront6targetE1EEEvT1_.num_agpr, 0
	.set _ZN7rocprim17ROCPRIM_400000_NS6detail17trampoline_kernelINS0_14default_configENS1_20scan_config_selectorIfEEZZNS1_9scan_implILNS1_25lookback_scan_determinismE0ELb0ELb0ES3_PKfPffZZZN2at6native31launch_logcumsumexp_cuda_kernelERKNSB_10TensorBaseESF_lENKUlvE_clEvENKUlvE0_clEvEUlffE_fEEDaPvRmT3_T4_T5_mT6_P12ihipStream_tbENKUlT_T0_E_clISt17integral_constantIbLb0EESV_IbLb1EEEEDaSR_SS_EUlSR_E_NS1_11comp_targetILNS1_3genE10ELNS1_11target_archE1201ELNS1_3gpuE5ELNS1_3repE0EEENS1_30default_config_static_selectorELNS0_4arch9wavefront6targetE1EEEvT1_.numbered_sgpr, 0
	.set _ZN7rocprim17ROCPRIM_400000_NS6detail17trampoline_kernelINS0_14default_configENS1_20scan_config_selectorIfEEZZNS1_9scan_implILNS1_25lookback_scan_determinismE0ELb0ELb0ES3_PKfPffZZZN2at6native31launch_logcumsumexp_cuda_kernelERKNSB_10TensorBaseESF_lENKUlvE_clEvENKUlvE0_clEvEUlffE_fEEDaPvRmT3_T4_T5_mT6_P12ihipStream_tbENKUlT_T0_E_clISt17integral_constantIbLb0EESV_IbLb1EEEEDaSR_SS_EUlSR_E_NS1_11comp_targetILNS1_3genE10ELNS1_11target_archE1201ELNS1_3gpuE5ELNS1_3repE0EEENS1_30default_config_static_selectorELNS0_4arch9wavefront6targetE1EEEvT1_.num_named_barrier, 0
	.set _ZN7rocprim17ROCPRIM_400000_NS6detail17trampoline_kernelINS0_14default_configENS1_20scan_config_selectorIfEEZZNS1_9scan_implILNS1_25lookback_scan_determinismE0ELb0ELb0ES3_PKfPffZZZN2at6native31launch_logcumsumexp_cuda_kernelERKNSB_10TensorBaseESF_lENKUlvE_clEvENKUlvE0_clEvEUlffE_fEEDaPvRmT3_T4_T5_mT6_P12ihipStream_tbENKUlT_T0_E_clISt17integral_constantIbLb0EESV_IbLb1EEEEDaSR_SS_EUlSR_E_NS1_11comp_targetILNS1_3genE10ELNS1_11target_archE1201ELNS1_3gpuE5ELNS1_3repE0EEENS1_30default_config_static_selectorELNS0_4arch9wavefront6targetE1EEEvT1_.private_seg_size, 0
	.set _ZN7rocprim17ROCPRIM_400000_NS6detail17trampoline_kernelINS0_14default_configENS1_20scan_config_selectorIfEEZZNS1_9scan_implILNS1_25lookback_scan_determinismE0ELb0ELb0ES3_PKfPffZZZN2at6native31launch_logcumsumexp_cuda_kernelERKNSB_10TensorBaseESF_lENKUlvE_clEvENKUlvE0_clEvEUlffE_fEEDaPvRmT3_T4_T5_mT6_P12ihipStream_tbENKUlT_T0_E_clISt17integral_constantIbLb0EESV_IbLb1EEEEDaSR_SS_EUlSR_E_NS1_11comp_targetILNS1_3genE10ELNS1_11target_archE1201ELNS1_3gpuE5ELNS1_3repE0EEENS1_30default_config_static_selectorELNS0_4arch9wavefront6targetE1EEEvT1_.uses_vcc, 0
	.set _ZN7rocprim17ROCPRIM_400000_NS6detail17trampoline_kernelINS0_14default_configENS1_20scan_config_selectorIfEEZZNS1_9scan_implILNS1_25lookback_scan_determinismE0ELb0ELb0ES3_PKfPffZZZN2at6native31launch_logcumsumexp_cuda_kernelERKNSB_10TensorBaseESF_lENKUlvE_clEvENKUlvE0_clEvEUlffE_fEEDaPvRmT3_T4_T5_mT6_P12ihipStream_tbENKUlT_T0_E_clISt17integral_constantIbLb0EESV_IbLb1EEEEDaSR_SS_EUlSR_E_NS1_11comp_targetILNS1_3genE10ELNS1_11target_archE1201ELNS1_3gpuE5ELNS1_3repE0EEENS1_30default_config_static_selectorELNS0_4arch9wavefront6targetE1EEEvT1_.uses_flat_scratch, 0
	.set _ZN7rocprim17ROCPRIM_400000_NS6detail17trampoline_kernelINS0_14default_configENS1_20scan_config_selectorIfEEZZNS1_9scan_implILNS1_25lookback_scan_determinismE0ELb0ELb0ES3_PKfPffZZZN2at6native31launch_logcumsumexp_cuda_kernelERKNSB_10TensorBaseESF_lENKUlvE_clEvENKUlvE0_clEvEUlffE_fEEDaPvRmT3_T4_T5_mT6_P12ihipStream_tbENKUlT_T0_E_clISt17integral_constantIbLb0EESV_IbLb1EEEEDaSR_SS_EUlSR_E_NS1_11comp_targetILNS1_3genE10ELNS1_11target_archE1201ELNS1_3gpuE5ELNS1_3repE0EEENS1_30default_config_static_selectorELNS0_4arch9wavefront6targetE1EEEvT1_.has_dyn_sized_stack, 0
	.set _ZN7rocprim17ROCPRIM_400000_NS6detail17trampoline_kernelINS0_14default_configENS1_20scan_config_selectorIfEEZZNS1_9scan_implILNS1_25lookback_scan_determinismE0ELb0ELb0ES3_PKfPffZZZN2at6native31launch_logcumsumexp_cuda_kernelERKNSB_10TensorBaseESF_lENKUlvE_clEvENKUlvE0_clEvEUlffE_fEEDaPvRmT3_T4_T5_mT6_P12ihipStream_tbENKUlT_T0_E_clISt17integral_constantIbLb0EESV_IbLb1EEEEDaSR_SS_EUlSR_E_NS1_11comp_targetILNS1_3genE10ELNS1_11target_archE1201ELNS1_3gpuE5ELNS1_3repE0EEENS1_30default_config_static_selectorELNS0_4arch9wavefront6targetE1EEEvT1_.has_recursion, 0
	.set _ZN7rocprim17ROCPRIM_400000_NS6detail17trampoline_kernelINS0_14default_configENS1_20scan_config_selectorIfEEZZNS1_9scan_implILNS1_25lookback_scan_determinismE0ELb0ELb0ES3_PKfPffZZZN2at6native31launch_logcumsumexp_cuda_kernelERKNSB_10TensorBaseESF_lENKUlvE_clEvENKUlvE0_clEvEUlffE_fEEDaPvRmT3_T4_T5_mT6_P12ihipStream_tbENKUlT_T0_E_clISt17integral_constantIbLb0EESV_IbLb1EEEEDaSR_SS_EUlSR_E_NS1_11comp_targetILNS1_3genE10ELNS1_11target_archE1201ELNS1_3gpuE5ELNS1_3repE0EEENS1_30default_config_static_selectorELNS0_4arch9wavefront6targetE1EEEvT1_.has_indirect_call, 0
	.section	.AMDGPU.csdata,"",@progbits
; Kernel info:
; codeLenInByte = 0
; TotalNumSgprs: 6
; NumVgprs: 0
; NumAgprs: 0
; TotalNumVgprs: 0
; ScratchSize: 0
; MemoryBound: 0
; FloatMode: 240
; IeeeMode: 1
; LDSByteSize: 0 bytes/workgroup (compile time only)
; SGPRBlocks: 0
; VGPRBlocks: 0
; NumSGPRsForWavesPerEU: 6
; NumVGPRsForWavesPerEU: 1
; AccumOffset: 4
; Occupancy: 8
; WaveLimiterHint : 0
; COMPUTE_PGM_RSRC2:SCRATCH_EN: 0
; COMPUTE_PGM_RSRC2:USER_SGPR: 2
; COMPUTE_PGM_RSRC2:TRAP_HANDLER: 0
; COMPUTE_PGM_RSRC2:TGID_X_EN: 1
; COMPUTE_PGM_RSRC2:TGID_Y_EN: 0
; COMPUTE_PGM_RSRC2:TGID_Z_EN: 0
; COMPUTE_PGM_RSRC2:TIDIG_COMP_CNT: 0
; COMPUTE_PGM_RSRC3_GFX90A:ACCUM_OFFSET: 0
; COMPUTE_PGM_RSRC3_GFX90A:TG_SPLIT: 0
	.section	.text._ZN7rocprim17ROCPRIM_400000_NS6detail17trampoline_kernelINS0_14default_configENS1_20scan_config_selectorIfEEZZNS1_9scan_implILNS1_25lookback_scan_determinismE0ELb0ELb0ES3_PKfPffZZZN2at6native31launch_logcumsumexp_cuda_kernelERKNSB_10TensorBaseESF_lENKUlvE_clEvENKUlvE0_clEvEUlffE_fEEDaPvRmT3_T4_T5_mT6_P12ihipStream_tbENKUlT_T0_E_clISt17integral_constantIbLb0EESV_IbLb1EEEEDaSR_SS_EUlSR_E_NS1_11comp_targetILNS1_3genE10ELNS1_11target_archE1200ELNS1_3gpuE4ELNS1_3repE0EEENS1_30default_config_static_selectorELNS0_4arch9wavefront6targetE1EEEvT1_,"axG",@progbits,_ZN7rocprim17ROCPRIM_400000_NS6detail17trampoline_kernelINS0_14default_configENS1_20scan_config_selectorIfEEZZNS1_9scan_implILNS1_25lookback_scan_determinismE0ELb0ELb0ES3_PKfPffZZZN2at6native31launch_logcumsumexp_cuda_kernelERKNSB_10TensorBaseESF_lENKUlvE_clEvENKUlvE0_clEvEUlffE_fEEDaPvRmT3_T4_T5_mT6_P12ihipStream_tbENKUlT_T0_E_clISt17integral_constantIbLb0EESV_IbLb1EEEEDaSR_SS_EUlSR_E_NS1_11comp_targetILNS1_3genE10ELNS1_11target_archE1200ELNS1_3gpuE4ELNS1_3repE0EEENS1_30default_config_static_selectorELNS0_4arch9wavefront6targetE1EEEvT1_,comdat
	.globl	_ZN7rocprim17ROCPRIM_400000_NS6detail17trampoline_kernelINS0_14default_configENS1_20scan_config_selectorIfEEZZNS1_9scan_implILNS1_25lookback_scan_determinismE0ELb0ELb0ES3_PKfPffZZZN2at6native31launch_logcumsumexp_cuda_kernelERKNSB_10TensorBaseESF_lENKUlvE_clEvENKUlvE0_clEvEUlffE_fEEDaPvRmT3_T4_T5_mT6_P12ihipStream_tbENKUlT_T0_E_clISt17integral_constantIbLb0EESV_IbLb1EEEEDaSR_SS_EUlSR_E_NS1_11comp_targetILNS1_3genE10ELNS1_11target_archE1200ELNS1_3gpuE4ELNS1_3repE0EEENS1_30default_config_static_selectorELNS0_4arch9wavefront6targetE1EEEvT1_ ; -- Begin function _ZN7rocprim17ROCPRIM_400000_NS6detail17trampoline_kernelINS0_14default_configENS1_20scan_config_selectorIfEEZZNS1_9scan_implILNS1_25lookback_scan_determinismE0ELb0ELb0ES3_PKfPffZZZN2at6native31launch_logcumsumexp_cuda_kernelERKNSB_10TensorBaseESF_lENKUlvE_clEvENKUlvE0_clEvEUlffE_fEEDaPvRmT3_T4_T5_mT6_P12ihipStream_tbENKUlT_T0_E_clISt17integral_constantIbLb0EESV_IbLb1EEEEDaSR_SS_EUlSR_E_NS1_11comp_targetILNS1_3genE10ELNS1_11target_archE1200ELNS1_3gpuE4ELNS1_3repE0EEENS1_30default_config_static_selectorELNS0_4arch9wavefront6targetE1EEEvT1_
	.p2align	8
	.type	_ZN7rocprim17ROCPRIM_400000_NS6detail17trampoline_kernelINS0_14default_configENS1_20scan_config_selectorIfEEZZNS1_9scan_implILNS1_25lookback_scan_determinismE0ELb0ELb0ES3_PKfPffZZZN2at6native31launch_logcumsumexp_cuda_kernelERKNSB_10TensorBaseESF_lENKUlvE_clEvENKUlvE0_clEvEUlffE_fEEDaPvRmT3_T4_T5_mT6_P12ihipStream_tbENKUlT_T0_E_clISt17integral_constantIbLb0EESV_IbLb1EEEEDaSR_SS_EUlSR_E_NS1_11comp_targetILNS1_3genE10ELNS1_11target_archE1200ELNS1_3gpuE4ELNS1_3repE0EEENS1_30default_config_static_selectorELNS0_4arch9wavefront6targetE1EEEvT1_,@function
_ZN7rocprim17ROCPRIM_400000_NS6detail17trampoline_kernelINS0_14default_configENS1_20scan_config_selectorIfEEZZNS1_9scan_implILNS1_25lookback_scan_determinismE0ELb0ELb0ES3_PKfPffZZZN2at6native31launch_logcumsumexp_cuda_kernelERKNSB_10TensorBaseESF_lENKUlvE_clEvENKUlvE0_clEvEUlffE_fEEDaPvRmT3_T4_T5_mT6_P12ihipStream_tbENKUlT_T0_E_clISt17integral_constantIbLb0EESV_IbLb1EEEEDaSR_SS_EUlSR_E_NS1_11comp_targetILNS1_3genE10ELNS1_11target_archE1200ELNS1_3gpuE4ELNS1_3repE0EEENS1_30default_config_static_selectorELNS0_4arch9wavefront6targetE1EEEvT1_: ; @_ZN7rocprim17ROCPRIM_400000_NS6detail17trampoline_kernelINS0_14default_configENS1_20scan_config_selectorIfEEZZNS1_9scan_implILNS1_25lookback_scan_determinismE0ELb0ELb0ES3_PKfPffZZZN2at6native31launch_logcumsumexp_cuda_kernelERKNSB_10TensorBaseESF_lENKUlvE_clEvENKUlvE0_clEvEUlffE_fEEDaPvRmT3_T4_T5_mT6_P12ihipStream_tbENKUlT_T0_E_clISt17integral_constantIbLb0EESV_IbLb1EEEEDaSR_SS_EUlSR_E_NS1_11comp_targetILNS1_3genE10ELNS1_11target_archE1200ELNS1_3gpuE4ELNS1_3repE0EEENS1_30default_config_static_selectorELNS0_4arch9wavefront6targetE1EEEvT1_
; %bb.0:
	.section	.rodata,"a",@progbits
	.p2align	6, 0x0
	.amdhsa_kernel _ZN7rocprim17ROCPRIM_400000_NS6detail17trampoline_kernelINS0_14default_configENS1_20scan_config_selectorIfEEZZNS1_9scan_implILNS1_25lookback_scan_determinismE0ELb0ELb0ES3_PKfPffZZZN2at6native31launch_logcumsumexp_cuda_kernelERKNSB_10TensorBaseESF_lENKUlvE_clEvENKUlvE0_clEvEUlffE_fEEDaPvRmT3_T4_T5_mT6_P12ihipStream_tbENKUlT_T0_E_clISt17integral_constantIbLb0EESV_IbLb1EEEEDaSR_SS_EUlSR_E_NS1_11comp_targetILNS1_3genE10ELNS1_11target_archE1200ELNS1_3gpuE4ELNS1_3repE0EEENS1_30default_config_static_selectorELNS0_4arch9wavefront6targetE1EEEvT1_
		.amdhsa_group_segment_fixed_size 0
		.amdhsa_private_segment_fixed_size 0
		.amdhsa_kernarg_size 96
		.amdhsa_user_sgpr_count 2
		.amdhsa_user_sgpr_dispatch_ptr 0
		.amdhsa_user_sgpr_queue_ptr 0
		.amdhsa_user_sgpr_kernarg_segment_ptr 1
		.amdhsa_user_sgpr_dispatch_id 0
		.amdhsa_user_sgpr_kernarg_preload_length 0
		.amdhsa_user_sgpr_kernarg_preload_offset 0
		.amdhsa_user_sgpr_private_segment_size 0
		.amdhsa_uses_dynamic_stack 0
		.amdhsa_enable_private_segment 0
		.amdhsa_system_sgpr_workgroup_id_x 1
		.amdhsa_system_sgpr_workgroup_id_y 0
		.amdhsa_system_sgpr_workgroup_id_z 0
		.amdhsa_system_sgpr_workgroup_info 0
		.amdhsa_system_vgpr_workitem_id 0
		.amdhsa_next_free_vgpr 1
		.amdhsa_next_free_sgpr 0
		.amdhsa_accum_offset 4
		.amdhsa_reserve_vcc 0
		.amdhsa_float_round_mode_32 0
		.amdhsa_float_round_mode_16_64 0
		.amdhsa_float_denorm_mode_32 3
		.amdhsa_float_denorm_mode_16_64 3
		.amdhsa_dx10_clamp 1
		.amdhsa_ieee_mode 1
		.amdhsa_fp16_overflow 0
		.amdhsa_tg_split 0
		.amdhsa_exception_fp_ieee_invalid_op 0
		.amdhsa_exception_fp_denorm_src 0
		.amdhsa_exception_fp_ieee_div_zero 0
		.amdhsa_exception_fp_ieee_overflow 0
		.amdhsa_exception_fp_ieee_underflow 0
		.amdhsa_exception_fp_ieee_inexact 0
		.amdhsa_exception_int_div_zero 0
	.end_amdhsa_kernel
	.section	.text._ZN7rocprim17ROCPRIM_400000_NS6detail17trampoline_kernelINS0_14default_configENS1_20scan_config_selectorIfEEZZNS1_9scan_implILNS1_25lookback_scan_determinismE0ELb0ELb0ES3_PKfPffZZZN2at6native31launch_logcumsumexp_cuda_kernelERKNSB_10TensorBaseESF_lENKUlvE_clEvENKUlvE0_clEvEUlffE_fEEDaPvRmT3_T4_T5_mT6_P12ihipStream_tbENKUlT_T0_E_clISt17integral_constantIbLb0EESV_IbLb1EEEEDaSR_SS_EUlSR_E_NS1_11comp_targetILNS1_3genE10ELNS1_11target_archE1200ELNS1_3gpuE4ELNS1_3repE0EEENS1_30default_config_static_selectorELNS0_4arch9wavefront6targetE1EEEvT1_,"axG",@progbits,_ZN7rocprim17ROCPRIM_400000_NS6detail17trampoline_kernelINS0_14default_configENS1_20scan_config_selectorIfEEZZNS1_9scan_implILNS1_25lookback_scan_determinismE0ELb0ELb0ES3_PKfPffZZZN2at6native31launch_logcumsumexp_cuda_kernelERKNSB_10TensorBaseESF_lENKUlvE_clEvENKUlvE0_clEvEUlffE_fEEDaPvRmT3_T4_T5_mT6_P12ihipStream_tbENKUlT_T0_E_clISt17integral_constantIbLb0EESV_IbLb1EEEEDaSR_SS_EUlSR_E_NS1_11comp_targetILNS1_3genE10ELNS1_11target_archE1200ELNS1_3gpuE4ELNS1_3repE0EEENS1_30default_config_static_selectorELNS0_4arch9wavefront6targetE1EEEvT1_,comdat
.Lfunc_end159:
	.size	_ZN7rocprim17ROCPRIM_400000_NS6detail17trampoline_kernelINS0_14default_configENS1_20scan_config_selectorIfEEZZNS1_9scan_implILNS1_25lookback_scan_determinismE0ELb0ELb0ES3_PKfPffZZZN2at6native31launch_logcumsumexp_cuda_kernelERKNSB_10TensorBaseESF_lENKUlvE_clEvENKUlvE0_clEvEUlffE_fEEDaPvRmT3_T4_T5_mT6_P12ihipStream_tbENKUlT_T0_E_clISt17integral_constantIbLb0EESV_IbLb1EEEEDaSR_SS_EUlSR_E_NS1_11comp_targetILNS1_3genE10ELNS1_11target_archE1200ELNS1_3gpuE4ELNS1_3repE0EEENS1_30default_config_static_selectorELNS0_4arch9wavefront6targetE1EEEvT1_, .Lfunc_end159-_ZN7rocprim17ROCPRIM_400000_NS6detail17trampoline_kernelINS0_14default_configENS1_20scan_config_selectorIfEEZZNS1_9scan_implILNS1_25lookback_scan_determinismE0ELb0ELb0ES3_PKfPffZZZN2at6native31launch_logcumsumexp_cuda_kernelERKNSB_10TensorBaseESF_lENKUlvE_clEvENKUlvE0_clEvEUlffE_fEEDaPvRmT3_T4_T5_mT6_P12ihipStream_tbENKUlT_T0_E_clISt17integral_constantIbLb0EESV_IbLb1EEEEDaSR_SS_EUlSR_E_NS1_11comp_targetILNS1_3genE10ELNS1_11target_archE1200ELNS1_3gpuE4ELNS1_3repE0EEENS1_30default_config_static_selectorELNS0_4arch9wavefront6targetE1EEEvT1_
                                        ; -- End function
	.set _ZN7rocprim17ROCPRIM_400000_NS6detail17trampoline_kernelINS0_14default_configENS1_20scan_config_selectorIfEEZZNS1_9scan_implILNS1_25lookback_scan_determinismE0ELb0ELb0ES3_PKfPffZZZN2at6native31launch_logcumsumexp_cuda_kernelERKNSB_10TensorBaseESF_lENKUlvE_clEvENKUlvE0_clEvEUlffE_fEEDaPvRmT3_T4_T5_mT6_P12ihipStream_tbENKUlT_T0_E_clISt17integral_constantIbLb0EESV_IbLb1EEEEDaSR_SS_EUlSR_E_NS1_11comp_targetILNS1_3genE10ELNS1_11target_archE1200ELNS1_3gpuE4ELNS1_3repE0EEENS1_30default_config_static_selectorELNS0_4arch9wavefront6targetE1EEEvT1_.num_vgpr, 0
	.set _ZN7rocprim17ROCPRIM_400000_NS6detail17trampoline_kernelINS0_14default_configENS1_20scan_config_selectorIfEEZZNS1_9scan_implILNS1_25lookback_scan_determinismE0ELb0ELb0ES3_PKfPffZZZN2at6native31launch_logcumsumexp_cuda_kernelERKNSB_10TensorBaseESF_lENKUlvE_clEvENKUlvE0_clEvEUlffE_fEEDaPvRmT3_T4_T5_mT6_P12ihipStream_tbENKUlT_T0_E_clISt17integral_constantIbLb0EESV_IbLb1EEEEDaSR_SS_EUlSR_E_NS1_11comp_targetILNS1_3genE10ELNS1_11target_archE1200ELNS1_3gpuE4ELNS1_3repE0EEENS1_30default_config_static_selectorELNS0_4arch9wavefront6targetE1EEEvT1_.num_agpr, 0
	.set _ZN7rocprim17ROCPRIM_400000_NS6detail17trampoline_kernelINS0_14default_configENS1_20scan_config_selectorIfEEZZNS1_9scan_implILNS1_25lookback_scan_determinismE0ELb0ELb0ES3_PKfPffZZZN2at6native31launch_logcumsumexp_cuda_kernelERKNSB_10TensorBaseESF_lENKUlvE_clEvENKUlvE0_clEvEUlffE_fEEDaPvRmT3_T4_T5_mT6_P12ihipStream_tbENKUlT_T0_E_clISt17integral_constantIbLb0EESV_IbLb1EEEEDaSR_SS_EUlSR_E_NS1_11comp_targetILNS1_3genE10ELNS1_11target_archE1200ELNS1_3gpuE4ELNS1_3repE0EEENS1_30default_config_static_selectorELNS0_4arch9wavefront6targetE1EEEvT1_.numbered_sgpr, 0
	.set _ZN7rocprim17ROCPRIM_400000_NS6detail17trampoline_kernelINS0_14default_configENS1_20scan_config_selectorIfEEZZNS1_9scan_implILNS1_25lookback_scan_determinismE0ELb0ELb0ES3_PKfPffZZZN2at6native31launch_logcumsumexp_cuda_kernelERKNSB_10TensorBaseESF_lENKUlvE_clEvENKUlvE0_clEvEUlffE_fEEDaPvRmT3_T4_T5_mT6_P12ihipStream_tbENKUlT_T0_E_clISt17integral_constantIbLb0EESV_IbLb1EEEEDaSR_SS_EUlSR_E_NS1_11comp_targetILNS1_3genE10ELNS1_11target_archE1200ELNS1_3gpuE4ELNS1_3repE0EEENS1_30default_config_static_selectorELNS0_4arch9wavefront6targetE1EEEvT1_.num_named_barrier, 0
	.set _ZN7rocprim17ROCPRIM_400000_NS6detail17trampoline_kernelINS0_14default_configENS1_20scan_config_selectorIfEEZZNS1_9scan_implILNS1_25lookback_scan_determinismE0ELb0ELb0ES3_PKfPffZZZN2at6native31launch_logcumsumexp_cuda_kernelERKNSB_10TensorBaseESF_lENKUlvE_clEvENKUlvE0_clEvEUlffE_fEEDaPvRmT3_T4_T5_mT6_P12ihipStream_tbENKUlT_T0_E_clISt17integral_constantIbLb0EESV_IbLb1EEEEDaSR_SS_EUlSR_E_NS1_11comp_targetILNS1_3genE10ELNS1_11target_archE1200ELNS1_3gpuE4ELNS1_3repE0EEENS1_30default_config_static_selectorELNS0_4arch9wavefront6targetE1EEEvT1_.private_seg_size, 0
	.set _ZN7rocprim17ROCPRIM_400000_NS6detail17trampoline_kernelINS0_14default_configENS1_20scan_config_selectorIfEEZZNS1_9scan_implILNS1_25lookback_scan_determinismE0ELb0ELb0ES3_PKfPffZZZN2at6native31launch_logcumsumexp_cuda_kernelERKNSB_10TensorBaseESF_lENKUlvE_clEvENKUlvE0_clEvEUlffE_fEEDaPvRmT3_T4_T5_mT6_P12ihipStream_tbENKUlT_T0_E_clISt17integral_constantIbLb0EESV_IbLb1EEEEDaSR_SS_EUlSR_E_NS1_11comp_targetILNS1_3genE10ELNS1_11target_archE1200ELNS1_3gpuE4ELNS1_3repE0EEENS1_30default_config_static_selectorELNS0_4arch9wavefront6targetE1EEEvT1_.uses_vcc, 0
	.set _ZN7rocprim17ROCPRIM_400000_NS6detail17trampoline_kernelINS0_14default_configENS1_20scan_config_selectorIfEEZZNS1_9scan_implILNS1_25lookback_scan_determinismE0ELb0ELb0ES3_PKfPffZZZN2at6native31launch_logcumsumexp_cuda_kernelERKNSB_10TensorBaseESF_lENKUlvE_clEvENKUlvE0_clEvEUlffE_fEEDaPvRmT3_T4_T5_mT6_P12ihipStream_tbENKUlT_T0_E_clISt17integral_constantIbLb0EESV_IbLb1EEEEDaSR_SS_EUlSR_E_NS1_11comp_targetILNS1_3genE10ELNS1_11target_archE1200ELNS1_3gpuE4ELNS1_3repE0EEENS1_30default_config_static_selectorELNS0_4arch9wavefront6targetE1EEEvT1_.uses_flat_scratch, 0
	.set _ZN7rocprim17ROCPRIM_400000_NS6detail17trampoline_kernelINS0_14default_configENS1_20scan_config_selectorIfEEZZNS1_9scan_implILNS1_25lookback_scan_determinismE0ELb0ELb0ES3_PKfPffZZZN2at6native31launch_logcumsumexp_cuda_kernelERKNSB_10TensorBaseESF_lENKUlvE_clEvENKUlvE0_clEvEUlffE_fEEDaPvRmT3_T4_T5_mT6_P12ihipStream_tbENKUlT_T0_E_clISt17integral_constantIbLb0EESV_IbLb1EEEEDaSR_SS_EUlSR_E_NS1_11comp_targetILNS1_3genE10ELNS1_11target_archE1200ELNS1_3gpuE4ELNS1_3repE0EEENS1_30default_config_static_selectorELNS0_4arch9wavefront6targetE1EEEvT1_.has_dyn_sized_stack, 0
	.set _ZN7rocprim17ROCPRIM_400000_NS6detail17trampoline_kernelINS0_14default_configENS1_20scan_config_selectorIfEEZZNS1_9scan_implILNS1_25lookback_scan_determinismE0ELb0ELb0ES3_PKfPffZZZN2at6native31launch_logcumsumexp_cuda_kernelERKNSB_10TensorBaseESF_lENKUlvE_clEvENKUlvE0_clEvEUlffE_fEEDaPvRmT3_T4_T5_mT6_P12ihipStream_tbENKUlT_T0_E_clISt17integral_constantIbLb0EESV_IbLb1EEEEDaSR_SS_EUlSR_E_NS1_11comp_targetILNS1_3genE10ELNS1_11target_archE1200ELNS1_3gpuE4ELNS1_3repE0EEENS1_30default_config_static_selectorELNS0_4arch9wavefront6targetE1EEEvT1_.has_recursion, 0
	.set _ZN7rocprim17ROCPRIM_400000_NS6detail17trampoline_kernelINS0_14default_configENS1_20scan_config_selectorIfEEZZNS1_9scan_implILNS1_25lookback_scan_determinismE0ELb0ELb0ES3_PKfPffZZZN2at6native31launch_logcumsumexp_cuda_kernelERKNSB_10TensorBaseESF_lENKUlvE_clEvENKUlvE0_clEvEUlffE_fEEDaPvRmT3_T4_T5_mT6_P12ihipStream_tbENKUlT_T0_E_clISt17integral_constantIbLb0EESV_IbLb1EEEEDaSR_SS_EUlSR_E_NS1_11comp_targetILNS1_3genE10ELNS1_11target_archE1200ELNS1_3gpuE4ELNS1_3repE0EEENS1_30default_config_static_selectorELNS0_4arch9wavefront6targetE1EEEvT1_.has_indirect_call, 0
	.section	.AMDGPU.csdata,"",@progbits
; Kernel info:
; codeLenInByte = 0
; TotalNumSgprs: 6
; NumVgprs: 0
; NumAgprs: 0
; TotalNumVgprs: 0
; ScratchSize: 0
; MemoryBound: 0
; FloatMode: 240
; IeeeMode: 1
; LDSByteSize: 0 bytes/workgroup (compile time only)
; SGPRBlocks: 0
; VGPRBlocks: 0
; NumSGPRsForWavesPerEU: 6
; NumVGPRsForWavesPerEU: 1
; AccumOffset: 4
; Occupancy: 8
; WaveLimiterHint : 0
; COMPUTE_PGM_RSRC2:SCRATCH_EN: 0
; COMPUTE_PGM_RSRC2:USER_SGPR: 2
; COMPUTE_PGM_RSRC2:TRAP_HANDLER: 0
; COMPUTE_PGM_RSRC2:TGID_X_EN: 1
; COMPUTE_PGM_RSRC2:TGID_Y_EN: 0
; COMPUTE_PGM_RSRC2:TGID_Z_EN: 0
; COMPUTE_PGM_RSRC2:TIDIG_COMP_CNT: 0
; COMPUTE_PGM_RSRC3_GFX90A:ACCUM_OFFSET: 0
; COMPUTE_PGM_RSRC3_GFX90A:TG_SPLIT: 0
	.section	.text._ZN7rocprim17ROCPRIM_400000_NS6detail17trampoline_kernelINS0_14default_configENS1_20scan_config_selectorIfEEZZNS1_9scan_implILNS1_25lookback_scan_determinismE0ELb0ELb0ES3_PKfPffZZZN2at6native31launch_logcumsumexp_cuda_kernelERKNSB_10TensorBaseESF_lENKUlvE_clEvENKUlvE0_clEvEUlffE_fEEDaPvRmT3_T4_T5_mT6_P12ihipStream_tbENKUlT_T0_E_clISt17integral_constantIbLb0EESV_IbLb1EEEEDaSR_SS_EUlSR_E_NS1_11comp_targetILNS1_3genE9ELNS1_11target_archE1100ELNS1_3gpuE3ELNS1_3repE0EEENS1_30default_config_static_selectorELNS0_4arch9wavefront6targetE1EEEvT1_,"axG",@progbits,_ZN7rocprim17ROCPRIM_400000_NS6detail17trampoline_kernelINS0_14default_configENS1_20scan_config_selectorIfEEZZNS1_9scan_implILNS1_25lookback_scan_determinismE0ELb0ELb0ES3_PKfPffZZZN2at6native31launch_logcumsumexp_cuda_kernelERKNSB_10TensorBaseESF_lENKUlvE_clEvENKUlvE0_clEvEUlffE_fEEDaPvRmT3_T4_T5_mT6_P12ihipStream_tbENKUlT_T0_E_clISt17integral_constantIbLb0EESV_IbLb1EEEEDaSR_SS_EUlSR_E_NS1_11comp_targetILNS1_3genE9ELNS1_11target_archE1100ELNS1_3gpuE3ELNS1_3repE0EEENS1_30default_config_static_selectorELNS0_4arch9wavefront6targetE1EEEvT1_,comdat
	.globl	_ZN7rocprim17ROCPRIM_400000_NS6detail17trampoline_kernelINS0_14default_configENS1_20scan_config_selectorIfEEZZNS1_9scan_implILNS1_25lookback_scan_determinismE0ELb0ELb0ES3_PKfPffZZZN2at6native31launch_logcumsumexp_cuda_kernelERKNSB_10TensorBaseESF_lENKUlvE_clEvENKUlvE0_clEvEUlffE_fEEDaPvRmT3_T4_T5_mT6_P12ihipStream_tbENKUlT_T0_E_clISt17integral_constantIbLb0EESV_IbLb1EEEEDaSR_SS_EUlSR_E_NS1_11comp_targetILNS1_3genE9ELNS1_11target_archE1100ELNS1_3gpuE3ELNS1_3repE0EEENS1_30default_config_static_selectorELNS0_4arch9wavefront6targetE1EEEvT1_ ; -- Begin function _ZN7rocprim17ROCPRIM_400000_NS6detail17trampoline_kernelINS0_14default_configENS1_20scan_config_selectorIfEEZZNS1_9scan_implILNS1_25lookback_scan_determinismE0ELb0ELb0ES3_PKfPffZZZN2at6native31launch_logcumsumexp_cuda_kernelERKNSB_10TensorBaseESF_lENKUlvE_clEvENKUlvE0_clEvEUlffE_fEEDaPvRmT3_T4_T5_mT6_P12ihipStream_tbENKUlT_T0_E_clISt17integral_constantIbLb0EESV_IbLb1EEEEDaSR_SS_EUlSR_E_NS1_11comp_targetILNS1_3genE9ELNS1_11target_archE1100ELNS1_3gpuE3ELNS1_3repE0EEENS1_30default_config_static_selectorELNS0_4arch9wavefront6targetE1EEEvT1_
	.p2align	8
	.type	_ZN7rocprim17ROCPRIM_400000_NS6detail17trampoline_kernelINS0_14default_configENS1_20scan_config_selectorIfEEZZNS1_9scan_implILNS1_25lookback_scan_determinismE0ELb0ELb0ES3_PKfPffZZZN2at6native31launch_logcumsumexp_cuda_kernelERKNSB_10TensorBaseESF_lENKUlvE_clEvENKUlvE0_clEvEUlffE_fEEDaPvRmT3_T4_T5_mT6_P12ihipStream_tbENKUlT_T0_E_clISt17integral_constantIbLb0EESV_IbLb1EEEEDaSR_SS_EUlSR_E_NS1_11comp_targetILNS1_3genE9ELNS1_11target_archE1100ELNS1_3gpuE3ELNS1_3repE0EEENS1_30default_config_static_selectorELNS0_4arch9wavefront6targetE1EEEvT1_,@function
_ZN7rocprim17ROCPRIM_400000_NS6detail17trampoline_kernelINS0_14default_configENS1_20scan_config_selectorIfEEZZNS1_9scan_implILNS1_25lookback_scan_determinismE0ELb0ELb0ES3_PKfPffZZZN2at6native31launch_logcumsumexp_cuda_kernelERKNSB_10TensorBaseESF_lENKUlvE_clEvENKUlvE0_clEvEUlffE_fEEDaPvRmT3_T4_T5_mT6_P12ihipStream_tbENKUlT_T0_E_clISt17integral_constantIbLb0EESV_IbLb1EEEEDaSR_SS_EUlSR_E_NS1_11comp_targetILNS1_3genE9ELNS1_11target_archE1100ELNS1_3gpuE3ELNS1_3repE0EEENS1_30default_config_static_selectorELNS0_4arch9wavefront6targetE1EEEvT1_: ; @_ZN7rocprim17ROCPRIM_400000_NS6detail17trampoline_kernelINS0_14default_configENS1_20scan_config_selectorIfEEZZNS1_9scan_implILNS1_25lookback_scan_determinismE0ELb0ELb0ES3_PKfPffZZZN2at6native31launch_logcumsumexp_cuda_kernelERKNSB_10TensorBaseESF_lENKUlvE_clEvENKUlvE0_clEvEUlffE_fEEDaPvRmT3_T4_T5_mT6_P12ihipStream_tbENKUlT_T0_E_clISt17integral_constantIbLb0EESV_IbLb1EEEEDaSR_SS_EUlSR_E_NS1_11comp_targetILNS1_3genE9ELNS1_11target_archE1100ELNS1_3gpuE3ELNS1_3repE0EEENS1_30default_config_static_selectorELNS0_4arch9wavefront6targetE1EEEvT1_
; %bb.0:
	.section	.rodata,"a",@progbits
	.p2align	6, 0x0
	.amdhsa_kernel _ZN7rocprim17ROCPRIM_400000_NS6detail17trampoline_kernelINS0_14default_configENS1_20scan_config_selectorIfEEZZNS1_9scan_implILNS1_25lookback_scan_determinismE0ELb0ELb0ES3_PKfPffZZZN2at6native31launch_logcumsumexp_cuda_kernelERKNSB_10TensorBaseESF_lENKUlvE_clEvENKUlvE0_clEvEUlffE_fEEDaPvRmT3_T4_T5_mT6_P12ihipStream_tbENKUlT_T0_E_clISt17integral_constantIbLb0EESV_IbLb1EEEEDaSR_SS_EUlSR_E_NS1_11comp_targetILNS1_3genE9ELNS1_11target_archE1100ELNS1_3gpuE3ELNS1_3repE0EEENS1_30default_config_static_selectorELNS0_4arch9wavefront6targetE1EEEvT1_
		.amdhsa_group_segment_fixed_size 0
		.amdhsa_private_segment_fixed_size 0
		.amdhsa_kernarg_size 96
		.amdhsa_user_sgpr_count 2
		.amdhsa_user_sgpr_dispatch_ptr 0
		.amdhsa_user_sgpr_queue_ptr 0
		.amdhsa_user_sgpr_kernarg_segment_ptr 1
		.amdhsa_user_sgpr_dispatch_id 0
		.amdhsa_user_sgpr_kernarg_preload_length 0
		.amdhsa_user_sgpr_kernarg_preload_offset 0
		.amdhsa_user_sgpr_private_segment_size 0
		.amdhsa_uses_dynamic_stack 0
		.amdhsa_enable_private_segment 0
		.amdhsa_system_sgpr_workgroup_id_x 1
		.amdhsa_system_sgpr_workgroup_id_y 0
		.amdhsa_system_sgpr_workgroup_id_z 0
		.amdhsa_system_sgpr_workgroup_info 0
		.amdhsa_system_vgpr_workitem_id 0
		.amdhsa_next_free_vgpr 1
		.amdhsa_next_free_sgpr 0
		.amdhsa_accum_offset 4
		.amdhsa_reserve_vcc 0
		.amdhsa_float_round_mode_32 0
		.amdhsa_float_round_mode_16_64 0
		.amdhsa_float_denorm_mode_32 3
		.amdhsa_float_denorm_mode_16_64 3
		.amdhsa_dx10_clamp 1
		.amdhsa_ieee_mode 1
		.amdhsa_fp16_overflow 0
		.amdhsa_tg_split 0
		.amdhsa_exception_fp_ieee_invalid_op 0
		.amdhsa_exception_fp_denorm_src 0
		.amdhsa_exception_fp_ieee_div_zero 0
		.amdhsa_exception_fp_ieee_overflow 0
		.amdhsa_exception_fp_ieee_underflow 0
		.amdhsa_exception_fp_ieee_inexact 0
		.amdhsa_exception_int_div_zero 0
	.end_amdhsa_kernel
	.section	.text._ZN7rocprim17ROCPRIM_400000_NS6detail17trampoline_kernelINS0_14default_configENS1_20scan_config_selectorIfEEZZNS1_9scan_implILNS1_25lookback_scan_determinismE0ELb0ELb0ES3_PKfPffZZZN2at6native31launch_logcumsumexp_cuda_kernelERKNSB_10TensorBaseESF_lENKUlvE_clEvENKUlvE0_clEvEUlffE_fEEDaPvRmT3_T4_T5_mT6_P12ihipStream_tbENKUlT_T0_E_clISt17integral_constantIbLb0EESV_IbLb1EEEEDaSR_SS_EUlSR_E_NS1_11comp_targetILNS1_3genE9ELNS1_11target_archE1100ELNS1_3gpuE3ELNS1_3repE0EEENS1_30default_config_static_selectorELNS0_4arch9wavefront6targetE1EEEvT1_,"axG",@progbits,_ZN7rocprim17ROCPRIM_400000_NS6detail17trampoline_kernelINS0_14default_configENS1_20scan_config_selectorIfEEZZNS1_9scan_implILNS1_25lookback_scan_determinismE0ELb0ELb0ES3_PKfPffZZZN2at6native31launch_logcumsumexp_cuda_kernelERKNSB_10TensorBaseESF_lENKUlvE_clEvENKUlvE0_clEvEUlffE_fEEDaPvRmT3_T4_T5_mT6_P12ihipStream_tbENKUlT_T0_E_clISt17integral_constantIbLb0EESV_IbLb1EEEEDaSR_SS_EUlSR_E_NS1_11comp_targetILNS1_3genE9ELNS1_11target_archE1100ELNS1_3gpuE3ELNS1_3repE0EEENS1_30default_config_static_selectorELNS0_4arch9wavefront6targetE1EEEvT1_,comdat
.Lfunc_end160:
	.size	_ZN7rocprim17ROCPRIM_400000_NS6detail17trampoline_kernelINS0_14default_configENS1_20scan_config_selectorIfEEZZNS1_9scan_implILNS1_25lookback_scan_determinismE0ELb0ELb0ES3_PKfPffZZZN2at6native31launch_logcumsumexp_cuda_kernelERKNSB_10TensorBaseESF_lENKUlvE_clEvENKUlvE0_clEvEUlffE_fEEDaPvRmT3_T4_T5_mT6_P12ihipStream_tbENKUlT_T0_E_clISt17integral_constantIbLb0EESV_IbLb1EEEEDaSR_SS_EUlSR_E_NS1_11comp_targetILNS1_3genE9ELNS1_11target_archE1100ELNS1_3gpuE3ELNS1_3repE0EEENS1_30default_config_static_selectorELNS0_4arch9wavefront6targetE1EEEvT1_, .Lfunc_end160-_ZN7rocprim17ROCPRIM_400000_NS6detail17trampoline_kernelINS0_14default_configENS1_20scan_config_selectorIfEEZZNS1_9scan_implILNS1_25lookback_scan_determinismE0ELb0ELb0ES3_PKfPffZZZN2at6native31launch_logcumsumexp_cuda_kernelERKNSB_10TensorBaseESF_lENKUlvE_clEvENKUlvE0_clEvEUlffE_fEEDaPvRmT3_T4_T5_mT6_P12ihipStream_tbENKUlT_T0_E_clISt17integral_constantIbLb0EESV_IbLb1EEEEDaSR_SS_EUlSR_E_NS1_11comp_targetILNS1_3genE9ELNS1_11target_archE1100ELNS1_3gpuE3ELNS1_3repE0EEENS1_30default_config_static_selectorELNS0_4arch9wavefront6targetE1EEEvT1_
                                        ; -- End function
	.set _ZN7rocprim17ROCPRIM_400000_NS6detail17trampoline_kernelINS0_14default_configENS1_20scan_config_selectorIfEEZZNS1_9scan_implILNS1_25lookback_scan_determinismE0ELb0ELb0ES3_PKfPffZZZN2at6native31launch_logcumsumexp_cuda_kernelERKNSB_10TensorBaseESF_lENKUlvE_clEvENKUlvE0_clEvEUlffE_fEEDaPvRmT3_T4_T5_mT6_P12ihipStream_tbENKUlT_T0_E_clISt17integral_constantIbLb0EESV_IbLb1EEEEDaSR_SS_EUlSR_E_NS1_11comp_targetILNS1_3genE9ELNS1_11target_archE1100ELNS1_3gpuE3ELNS1_3repE0EEENS1_30default_config_static_selectorELNS0_4arch9wavefront6targetE1EEEvT1_.num_vgpr, 0
	.set _ZN7rocprim17ROCPRIM_400000_NS6detail17trampoline_kernelINS0_14default_configENS1_20scan_config_selectorIfEEZZNS1_9scan_implILNS1_25lookback_scan_determinismE0ELb0ELb0ES3_PKfPffZZZN2at6native31launch_logcumsumexp_cuda_kernelERKNSB_10TensorBaseESF_lENKUlvE_clEvENKUlvE0_clEvEUlffE_fEEDaPvRmT3_T4_T5_mT6_P12ihipStream_tbENKUlT_T0_E_clISt17integral_constantIbLb0EESV_IbLb1EEEEDaSR_SS_EUlSR_E_NS1_11comp_targetILNS1_3genE9ELNS1_11target_archE1100ELNS1_3gpuE3ELNS1_3repE0EEENS1_30default_config_static_selectorELNS0_4arch9wavefront6targetE1EEEvT1_.num_agpr, 0
	.set _ZN7rocprim17ROCPRIM_400000_NS6detail17trampoline_kernelINS0_14default_configENS1_20scan_config_selectorIfEEZZNS1_9scan_implILNS1_25lookback_scan_determinismE0ELb0ELb0ES3_PKfPffZZZN2at6native31launch_logcumsumexp_cuda_kernelERKNSB_10TensorBaseESF_lENKUlvE_clEvENKUlvE0_clEvEUlffE_fEEDaPvRmT3_T4_T5_mT6_P12ihipStream_tbENKUlT_T0_E_clISt17integral_constantIbLb0EESV_IbLb1EEEEDaSR_SS_EUlSR_E_NS1_11comp_targetILNS1_3genE9ELNS1_11target_archE1100ELNS1_3gpuE3ELNS1_3repE0EEENS1_30default_config_static_selectorELNS0_4arch9wavefront6targetE1EEEvT1_.numbered_sgpr, 0
	.set _ZN7rocprim17ROCPRIM_400000_NS6detail17trampoline_kernelINS0_14default_configENS1_20scan_config_selectorIfEEZZNS1_9scan_implILNS1_25lookback_scan_determinismE0ELb0ELb0ES3_PKfPffZZZN2at6native31launch_logcumsumexp_cuda_kernelERKNSB_10TensorBaseESF_lENKUlvE_clEvENKUlvE0_clEvEUlffE_fEEDaPvRmT3_T4_T5_mT6_P12ihipStream_tbENKUlT_T0_E_clISt17integral_constantIbLb0EESV_IbLb1EEEEDaSR_SS_EUlSR_E_NS1_11comp_targetILNS1_3genE9ELNS1_11target_archE1100ELNS1_3gpuE3ELNS1_3repE0EEENS1_30default_config_static_selectorELNS0_4arch9wavefront6targetE1EEEvT1_.num_named_barrier, 0
	.set _ZN7rocprim17ROCPRIM_400000_NS6detail17trampoline_kernelINS0_14default_configENS1_20scan_config_selectorIfEEZZNS1_9scan_implILNS1_25lookback_scan_determinismE0ELb0ELb0ES3_PKfPffZZZN2at6native31launch_logcumsumexp_cuda_kernelERKNSB_10TensorBaseESF_lENKUlvE_clEvENKUlvE0_clEvEUlffE_fEEDaPvRmT3_T4_T5_mT6_P12ihipStream_tbENKUlT_T0_E_clISt17integral_constantIbLb0EESV_IbLb1EEEEDaSR_SS_EUlSR_E_NS1_11comp_targetILNS1_3genE9ELNS1_11target_archE1100ELNS1_3gpuE3ELNS1_3repE0EEENS1_30default_config_static_selectorELNS0_4arch9wavefront6targetE1EEEvT1_.private_seg_size, 0
	.set _ZN7rocprim17ROCPRIM_400000_NS6detail17trampoline_kernelINS0_14default_configENS1_20scan_config_selectorIfEEZZNS1_9scan_implILNS1_25lookback_scan_determinismE0ELb0ELb0ES3_PKfPffZZZN2at6native31launch_logcumsumexp_cuda_kernelERKNSB_10TensorBaseESF_lENKUlvE_clEvENKUlvE0_clEvEUlffE_fEEDaPvRmT3_T4_T5_mT6_P12ihipStream_tbENKUlT_T0_E_clISt17integral_constantIbLb0EESV_IbLb1EEEEDaSR_SS_EUlSR_E_NS1_11comp_targetILNS1_3genE9ELNS1_11target_archE1100ELNS1_3gpuE3ELNS1_3repE0EEENS1_30default_config_static_selectorELNS0_4arch9wavefront6targetE1EEEvT1_.uses_vcc, 0
	.set _ZN7rocprim17ROCPRIM_400000_NS6detail17trampoline_kernelINS0_14default_configENS1_20scan_config_selectorIfEEZZNS1_9scan_implILNS1_25lookback_scan_determinismE0ELb0ELb0ES3_PKfPffZZZN2at6native31launch_logcumsumexp_cuda_kernelERKNSB_10TensorBaseESF_lENKUlvE_clEvENKUlvE0_clEvEUlffE_fEEDaPvRmT3_T4_T5_mT6_P12ihipStream_tbENKUlT_T0_E_clISt17integral_constantIbLb0EESV_IbLb1EEEEDaSR_SS_EUlSR_E_NS1_11comp_targetILNS1_3genE9ELNS1_11target_archE1100ELNS1_3gpuE3ELNS1_3repE0EEENS1_30default_config_static_selectorELNS0_4arch9wavefront6targetE1EEEvT1_.uses_flat_scratch, 0
	.set _ZN7rocprim17ROCPRIM_400000_NS6detail17trampoline_kernelINS0_14default_configENS1_20scan_config_selectorIfEEZZNS1_9scan_implILNS1_25lookback_scan_determinismE0ELb0ELb0ES3_PKfPffZZZN2at6native31launch_logcumsumexp_cuda_kernelERKNSB_10TensorBaseESF_lENKUlvE_clEvENKUlvE0_clEvEUlffE_fEEDaPvRmT3_T4_T5_mT6_P12ihipStream_tbENKUlT_T0_E_clISt17integral_constantIbLb0EESV_IbLb1EEEEDaSR_SS_EUlSR_E_NS1_11comp_targetILNS1_3genE9ELNS1_11target_archE1100ELNS1_3gpuE3ELNS1_3repE0EEENS1_30default_config_static_selectorELNS0_4arch9wavefront6targetE1EEEvT1_.has_dyn_sized_stack, 0
	.set _ZN7rocprim17ROCPRIM_400000_NS6detail17trampoline_kernelINS0_14default_configENS1_20scan_config_selectorIfEEZZNS1_9scan_implILNS1_25lookback_scan_determinismE0ELb0ELb0ES3_PKfPffZZZN2at6native31launch_logcumsumexp_cuda_kernelERKNSB_10TensorBaseESF_lENKUlvE_clEvENKUlvE0_clEvEUlffE_fEEDaPvRmT3_T4_T5_mT6_P12ihipStream_tbENKUlT_T0_E_clISt17integral_constantIbLb0EESV_IbLb1EEEEDaSR_SS_EUlSR_E_NS1_11comp_targetILNS1_3genE9ELNS1_11target_archE1100ELNS1_3gpuE3ELNS1_3repE0EEENS1_30default_config_static_selectorELNS0_4arch9wavefront6targetE1EEEvT1_.has_recursion, 0
	.set _ZN7rocprim17ROCPRIM_400000_NS6detail17trampoline_kernelINS0_14default_configENS1_20scan_config_selectorIfEEZZNS1_9scan_implILNS1_25lookback_scan_determinismE0ELb0ELb0ES3_PKfPffZZZN2at6native31launch_logcumsumexp_cuda_kernelERKNSB_10TensorBaseESF_lENKUlvE_clEvENKUlvE0_clEvEUlffE_fEEDaPvRmT3_T4_T5_mT6_P12ihipStream_tbENKUlT_T0_E_clISt17integral_constantIbLb0EESV_IbLb1EEEEDaSR_SS_EUlSR_E_NS1_11comp_targetILNS1_3genE9ELNS1_11target_archE1100ELNS1_3gpuE3ELNS1_3repE0EEENS1_30default_config_static_selectorELNS0_4arch9wavefront6targetE1EEEvT1_.has_indirect_call, 0
	.section	.AMDGPU.csdata,"",@progbits
; Kernel info:
; codeLenInByte = 0
; TotalNumSgprs: 6
; NumVgprs: 0
; NumAgprs: 0
; TotalNumVgprs: 0
; ScratchSize: 0
; MemoryBound: 0
; FloatMode: 240
; IeeeMode: 1
; LDSByteSize: 0 bytes/workgroup (compile time only)
; SGPRBlocks: 0
; VGPRBlocks: 0
; NumSGPRsForWavesPerEU: 6
; NumVGPRsForWavesPerEU: 1
; AccumOffset: 4
; Occupancy: 8
; WaveLimiterHint : 0
; COMPUTE_PGM_RSRC2:SCRATCH_EN: 0
; COMPUTE_PGM_RSRC2:USER_SGPR: 2
; COMPUTE_PGM_RSRC2:TRAP_HANDLER: 0
; COMPUTE_PGM_RSRC2:TGID_X_EN: 1
; COMPUTE_PGM_RSRC2:TGID_Y_EN: 0
; COMPUTE_PGM_RSRC2:TGID_Z_EN: 0
; COMPUTE_PGM_RSRC2:TIDIG_COMP_CNT: 0
; COMPUTE_PGM_RSRC3_GFX90A:ACCUM_OFFSET: 0
; COMPUTE_PGM_RSRC3_GFX90A:TG_SPLIT: 0
	.section	.text._ZN7rocprim17ROCPRIM_400000_NS6detail17trampoline_kernelINS0_14default_configENS1_20scan_config_selectorIfEEZZNS1_9scan_implILNS1_25lookback_scan_determinismE0ELb0ELb0ES3_PKfPffZZZN2at6native31launch_logcumsumexp_cuda_kernelERKNSB_10TensorBaseESF_lENKUlvE_clEvENKUlvE0_clEvEUlffE_fEEDaPvRmT3_T4_T5_mT6_P12ihipStream_tbENKUlT_T0_E_clISt17integral_constantIbLb0EESV_IbLb1EEEEDaSR_SS_EUlSR_E_NS1_11comp_targetILNS1_3genE8ELNS1_11target_archE1030ELNS1_3gpuE2ELNS1_3repE0EEENS1_30default_config_static_selectorELNS0_4arch9wavefront6targetE1EEEvT1_,"axG",@progbits,_ZN7rocprim17ROCPRIM_400000_NS6detail17trampoline_kernelINS0_14default_configENS1_20scan_config_selectorIfEEZZNS1_9scan_implILNS1_25lookback_scan_determinismE0ELb0ELb0ES3_PKfPffZZZN2at6native31launch_logcumsumexp_cuda_kernelERKNSB_10TensorBaseESF_lENKUlvE_clEvENKUlvE0_clEvEUlffE_fEEDaPvRmT3_T4_T5_mT6_P12ihipStream_tbENKUlT_T0_E_clISt17integral_constantIbLb0EESV_IbLb1EEEEDaSR_SS_EUlSR_E_NS1_11comp_targetILNS1_3genE8ELNS1_11target_archE1030ELNS1_3gpuE2ELNS1_3repE0EEENS1_30default_config_static_selectorELNS0_4arch9wavefront6targetE1EEEvT1_,comdat
	.globl	_ZN7rocprim17ROCPRIM_400000_NS6detail17trampoline_kernelINS0_14default_configENS1_20scan_config_selectorIfEEZZNS1_9scan_implILNS1_25lookback_scan_determinismE0ELb0ELb0ES3_PKfPffZZZN2at6native31launch_logcumsumexp_cuda_kernelERKNSB_10TensorBaseESF_lENKUlvE_clEvENKUlvE0_clEvEUlffE_fEEDaPvRmT3_T4_T5_mT6_P12ihipStream_tbENKUlT_T0_E_clISt17integral_constantIbLb0EESV_IbLb1EEEEDaSR_SS_EUlSR_E_NS1_11comp_targetILNS1_3genE8ELNS1_11target_archE1030ELNS1_3gpuE2ELNS1_3repE0EEENS1_30default_config_static_selectorELNS0_4arch9wavefront6targetE1EEEvT1_ ; -- Begin function _ZN7rocprim17ROCPRIM_400000_NS6detail17trampoline_kernelINS0_14default_configENS1_20scan_config_selectorIfEEZZNS1_9scan_implILNS1_25lookback_scan_determinismE0ELb0ELb0ES3_PKfPffZZZN2at6native31launch_logcumsumexp_cuda_kernelERKNSB_10TensorBaseESF_lENKUlvE_clEvENKUlvE0_clEvEUlffE_fEEDaPvRmT3_T4_T5_mT6_P12ihipStream_tbENKUlT_T0_E_clISt17integral_constantIbLb0EESV_IbLb1EEEEDaSR_SS_EUlSR_E_NS1_11comp_targetILNS1_3genE8ELNS1_11target_archE1030ELNS1_3gpuE2ELNS1_3repE0EEENS1_30default_config_static_selectorELNS0_4arch9wavefront6targetE1EEEvT1_
	.p2align	8
	.type	_ZN7rocprim17ROCPRIM_400000_NS6detail17trampoline_kernelINS0_14default_configENS1_20scan_config_selectorIfEEZZNS1_9scan_implILNS1_25lookback_scan_determinismE0ELb0ELb0ES3_PKfPffZZZN2at6native31launch_logcumsumexp_cuda_kernelERKNSB_10TensorBaseESF_lENKUlvE_clEvENKUlvE0_clEvEUlffE_fEEDaPvRmT3_T4_T5_mT6_P12ihipStream_tbENKUlT_T0_E_clISt17integral_constantIbLb0EESV_IbLb1EEEEDaSR_SS_EUlSR_E_NS1_11comp_targetILNS1_3genE8ELNS1_11target_archE1030ELNS1_3gpuE2ELNS1_3repE0EEENS1_30default_config_static_selectorELNS0_4arch9wavefront6targetE1EEEvT1_,@function
_ZN7rocprim17ROCPRIM_400000_NS6detail17trampoline_kernelINS0_14default_configENS1_20scan_config_selectorIfEEZZNS1_9scan_implILNS1_25lookback_scan_determinismE0ELb0ELb0ES3_PKfPffZZZN2at6native31launch_logcumsumexp_cuda_kernelERKNSB_10TensorBaseESF_lENKUlvE_clEvENKUlvE0_clEvEUlffE_fEEDaPvRmT3_T4_T5_mT6_P12ihipStream_tbENKUlT_T0_E_clISt17integral_constantIbLb0EESV_IbLb1EEEEDaSR_SS_EUlSR_E_NS1_11comp_targetILNS1_3genE8ELNS1_11target_archE1030ELNS1_3gpuE2ELNS1_3repE0EEENS1_30default_config_static_selectorELNS0_4arch9wavefront6targetE1EEEvT1_: ; @_ZN7rocprim17ROCPRIM_400000_NS6detail17trampoline_kernelINS0_14default_configENS1_20scan_config_selectorIfEEZZNS1_9scan_implILNS1_25lookback_scan_determinismE0ELb0ELb0ES3_PKfPffZZZN2at6native31launch_logcumsumexp_cuda_kernelERKNSB_10TensorBaseESF_lENKUlvE_clEvENKUlvE0_clEvEUlffE_fEEDaPvRmT3_T4_T5_mT6_P12ihipStream_tbENKUlT_T0_E_clISt17integral_constantIbLb0EESV_IbLb1EEEEDaSR_SS_EUlSR_E_NS1_11comp_targetILNS1_3genE8ELNS1_11target_archE1030ELNS1_3gpuE2ELNS1_3repE0EEENS1_30default_config_static_selectorELNS0_4arch9wavefront6targetE1EEEvT1_
; %bb.0:
	.section	.rodata,"a",@progbits
	.p2align	6, 0x0
	.amdhsa_kernel _ZN7rocprim17ROCPRIM_400000_NS6detail17trampoline_kernelINS0_14default_configENS1_20scan_config_selectorIfEEZZNS1_9scan_implILNS1_25lookback_scan_determinismE0ELb0ELb0ES3_PKfPffZZZN2at6native31launch_logcumsumexp_cuda_kernelERKNSB_10TensorBaseESF_lENKUlvE_clEvENKUlvE0_clEvEUlffE_fEEDaPvRmT3_T4_T5_mT6_P12ihipStream_tbENKUlT_T0_E_clISt17integral_constantIbLb0EESV_IbLb1EEEEDaSR_SS_EUlSR_E_NS1_11comp_targetILNS1_3genE8ELNS1_11target_archE1030ELNS1_3gpuE2ELNS1_3repE0EEENS1_30default_config_static_selectorELNS0_4arch9wavefront6targetE1EEEvT1_
		.amdhsa_group_segment_fixed_size 0
		.amdhsa_private_segment_fixed_size 0
		.amdhsa_kernarg_size 96
		.amdhsa_user_sgpr_count 2
		.amdhsa_user_sgpr_dispatch_ptr 0
		.amdhsa_user_sgpr_queue_ptr 0
		.amdhsa_user_sgpr_kernarg_segment_ptr 1
		.amdhsa_user_sgpr_dispatch_id 0
		.amdhsa_user_sgpr_kernarg_preload_length 0
		.amdhsa_user_sgpr_kernarg_preload_offset 0
		.amdhsa_user_sgpr_private_segment_size 0
		.amdhsa_uses_dynamic_stack 0
		.amdhsa_enable_private_segment 0
		.amdhsa_system_sgpr_workgroup_id_x 1
		.amdhsa_system_sgpr_workgroup_id_y 0
		.amdhsa_system_sgpr_workgroup_id_z 0
		.amdhsa_system_sgpr_workgroup_info 0
		.amdhsa_system_vgpr_workitem_id 0
		.amdhsa_next_free_vgpr 1
		.amdhsa_next_free_sgpr 0
		.amdhsa_accum_offset 4
		.amdhsa_reserve_vcc 0
		.amdhsa_float_round_mode_32 0
		.amdhsa_float_round_mode_16_64 0
		.amdhsa_float_denorm_mode_32 3
		.amdhsa_float_denorm_mode_16_64 3
		.amdhsa_dx10_clamp 1
		.amdhsa_ieee_mode 1
		.amdhsa_fp16_overflow 0
		.amdhsa_tg_split 0
		.amdhsa_exception_fp_ieee_invalid_op 0
		.amdhsa_exception_fp_denorm_src 0
		.amdhsa_exception_fp_ieee_div_zero 0
		.amdhsa_exception_fp_ieee_overflow 0
		.amdhsa_exception_fp_ieee_underflow 0
		.amdhsa_exception_fp_ieee_inexact 0
		.amdhsa_exception_int_div_zero 0
	.end_amdhsa_kernel
	.section	.text._ZN7rocprim17ROCPRIM_400000_NS6detail17trampoline_kernelINS0_14default_configENS1_20scan_config_selectorIfEEZZNS1_9scan_implILNS1_25lookback_scan_determinismE0ELb0ELb0ES3_PKfPffZZZN2at6native31launch_logcumsumexp_cuda_kernelERKNSB_10TensorBaseESF_lENKUlvE_clEvENKUlvE0_clEvEUlffE_fEEDaPvRmT3_T4_T5_mT6_P12ihipStream_tbENKUlT_T0_E_clISt17integral_constantIbLb0EESV_IbLb1EEEEDaSR_SS_EUlSR_E_NS1_11comp_targetILNS1_3genE8ELNS1_11target_archE1030ELNS1_3gpuE2ELNS1_3repE0EEENS1_30default_config_static_selectorELNS0_4arch9wavefront6targetE1EEEvT1_,"axG",@progbits,_ZN7rocprim17ROCPRIM_400000_NS6detail17trampoline_kernelINS0_14default_configENS1_20scan_config_selectorIfEEZZNS1_9scan_implILNS1_25lookback_scan_determinismE0ELb0ELb0ES3_PKfPffZZZN2at6native31launch_logcumsumexp_cuda_kernelERKNSB_10TensorBaseESF_lENKUlvE_clEvENKUlvE0_clEvEUlffE_fEEDaPvRmT3_T4_T5_mT6_P12ihipStream_tbENKUlT_T0_E_clISt17integral_constantIbLb0EESV_IbLb1EEEEDaSR_SS_EUlSR_E_NS1_11comp_targetILNS1_3genE8ELNS1_11target_archE1030ELNS1_3gpuE2ELNS1_3repE0EEENS1_30default_config_static_selectorELNS0_4arch9wavefront6targetE1EEEvT1_,comdat
.Lfunc_end161:
	.size	_ZN7rocprim17ROCPRIM_400000_NS6detail17trampoline_kernelINS0_14default_configENS1_20scan_config_selectorIfEEZZNS1_9scan_implILNS1_25lookback_scan_determinismE0ELb0ELb0ES3_PKfPffZZZN2at6native31launch_logcumsumexp_cuda_kernelERKNSB_10TensorBaseESF_lENKUlvE_clEvENKUlvE0_clEvEUlffE_fEEDaPvRmT3_T4_T5_mT6_P12ihipStream_tbENKUlT_T0_E_clISt17integral_constantIbLb0EESV_IbLb1EEEEDaSR_SS_EUlSR_E_NS1_11comp_targetILNS1_3genE8ELNS1_11target_archE1030ELNS1_3gpuE2ELNS1_3repE0EEENS1_30default_config_static_selectorELNS0_4arch9wavefront6targetE1EEEvT1_, .Lfunc_end161-_ZN7rocprim17ROCPRIM_400000_NS6detail17trampoline_kernelINS0_14default_configENS1_20scan_config_selectorIfEEZZNS1_9scan_implILNS1_25lookback_scan_determinismE0ELb0ELb0ES3_PKfPffZZZN2at6native31launch_logcumsumexp_cuda_kernelERKNSB_10TensorBaseESF_lENKUlvE_clEvENKUlvE0_clEvEUlffE_fEEDaPvRmT3_T4_T5_mT6_P12ihipStream_tbENKUlT_T0_E_clISt17integral_constantIbLb0EESV_IbLb1EEEEDaSR_SS_EUlSR_E_NS1_11comp_targetILNS1_3genE8ELNS1_11target_archE1030ELNS1_3gpuE2ELNS1_3repE0EEENS1_30default_config_static_selectorELNS0_4arch9wavefront6targetE1EEEvT1_
                                        ; -- End function
	.set _ZN7rocprim17ROCPRIM_400000_NS6detail17trampoline_kernelINS0_14default_configENS1_20scan_config_selectorIfEEZZNS1_9scan_implILNS1_25lookback_scan_determinismE0ELb0ELb0ES3_PKfPffZZZN2at6native31launch_logcumsumexp_cuda_kernelERKNSB_10TensorBaseESF_lENKUlvE_clEvENKUlvE0_clEvEUlffE_fEEDaPvRmT3_T4_T5_mT6_P12ihipStream_tbENKUlT_T0_E_clISt17integral_constantIbLb0EESV_IbLb1EEEEDaSR_SS_EUlSR_E_NS1_11comp_targetILNS1_3genE8ELNS1_11target_archE1030ELNS1_3gpuE2ELNS1_3repE0EEENS1_30default_config_static_selectorELNS0_4arch9wavefront6targetE1EEEvT1_.num_vgpr, 0
	.set _ZN7rocprim17ROCPRIM_400000_NS6detail17trampoline_kernelINS0_14default_configENS1_20scan_config_selectorIfEEZZNS1_9scan_implILNS1_25lookback_scan_determinismE0ELb0ELb0ES3_PKfPffZZZN2at6native31launch_logcumsumexp_cuda_kernelERKNSB_10TensorBaseESF_lENKUlvE_clEvENKUlvE0_clEvEUlffE_fEEDaPvRmT3_T4_T5_mT6_P12ihipStream_tbENKUlT_T0_E_clISt17integral_constantIbLb0EESV_IbLb1EEEEDaSR_SS_EUlSR_E_NS1_11comp_targetILNS1_3genE8ELNS1_11target_archE1030ELNS1_3gpuE2ELNS1_3repE0EEENS1_30default_config_static_selectorELNS0_4arch9wavefront6targetE1EEEvT1_.num_agpr, 0
	.set _ZN7rocprim17ROCPRIM_400000_NS6detail17trampoline_kernelINS0_14default_configENS1_20scan_config_selectorIfEEZZNS1_9scan_implILNS1_25lookback_scan_determinismE0ELb0ELb0ES3_PKfPffZZZN2at6native31launch_logcumsumexp_cuda_kernelERKNSB_10TensorBaseESF_lENKUlvE_clEvENKUlvE0_clEvEUlffE_fEEDaPvRmT3_T4_T5_mT6_P12ihipStream_tbENKUlT_T0_E_clISt17integral_constantIbLb0EESV_IbLb1EEEEDaSR_SS_EUlSR_E_NS1_11comp_targetILNS1_3genE8ELNS1_11target_archE1030ELNS1_3gpuE2ELNS1_3repE0EEENS1_30default_config_static_selectorELNS0_4arch9wavefront6targetE1EEEvT1_.numbered_sgpr, 0
	.set _ZN7rocprim17ROCPRIM_400000_NS6detail17trampoline_kernelINS0_14default_configENS1_20scan_config_selectorIfEEZZNS1_9scan_implILNS1_25lookback_scan_determinismE0ELb0ELb0ES3_PKfPffZZZN2at6native31launch_logcumsumexp_cuda_kernelERKNSB_10TensorBaseESF_lENKUlvE_clEvENKUlvE0_clEvEUlffE_fEEDaPvRmT3_T4_T5_mT6_P12ihipStream_tbENKUlT_T0_E_clISt17integral_constantIbLb0EESV_IbLb1EEEEDaSR_SS_EUlSR_E_NS1_11comp_targetILNS1_3genE8ELNS1_11target_archE1030ELNS1_3gpuE2ELNS1_3repE0EEENS1_30default_config_static_selectorELNS0_4arch9wavefront6targetE1EEEvT1_.num_named_barrier, 0
	.set _ZN7rocprim17ROCPRIM_400000_NS6detail17trampoline_kernelINS0_14default_configENS1_20scan_config_selectorIfEEZZNS1_9scan_implILNS1_25lookback_scan_determinismE0ELb0ELb0ES3_PKfPffZZZN2at6native31launch_logcumsumexp_cuda_kernelERKNSB_10TensorBaseESF_lENKUlvE_clEvENKUlvE0_clEvEUlffE_fEEDaPvRmT3_T4_T5_mT6_P12ihipStream_tbENKUlT_T0_E_clISt17integral_constantIbLb0EESV_IbLb1EEEEDaSR_SS_EUlSR_E_NS1_11comp_targetILNS1_3genE8ELNS1_11target_archE1030ELNS1_3gpuE2ELNS1_3repE0EEENS1_30default_config_static_selectorELNS0_4arch9wavefront6targetE1EEEvT1_.private_seg_size, 0
	.set _ZN7rocprim17ROCPRIM_400000_NS6detail17trampoline_kernelINS0_14default_configENS1_20scan_config_selectorIfEEZZNS1_9scan_implILNS1_25lookback_scan_determinismE0ELb0ELb0ES3_PKfPffZZZN2at6native31launch_logcumsumexp_cuda_kernelERKNSB_10TensorBaseESF_lENKUlvE_clEvENKUlvE0_clEvEUlffE_fEEDaPvRmT3_T4_T5_mT6_P12ihipStream_tbENKUlT_T0_E_clISt17integral_constantIbLb0EESV_IbLb1EEEEDaSR_SS_EUlSR_E_NS1_11comp_targetILNS1_3genE8ELNS1_11target_archE1030ELNS1_3gpuE2ELNS1_3repE0EEENS1_30default_config_static_selectorELNS0_4arch9wavefront6targetE1EEEvT1_.uses_vcc, 0
	.set _ZN7rocprim17ROCPRIM_400000_NS6detail17trampoline_kernelINS0_14default_configENS1_20scan_config_selectorIfEEZZNS1_9scan_implILNS1_25lookback_scan_determinismE0ELb0ELb0ES3_PKfPffZZZN2at6native31launch_logcumsumexp_cuda_kernelERKNSB_10TensorBaseESF_lENKUlvE_clEvENKUlvE0_clEvEUlffE_fEEDaPvRmT3_T4_T5_mT6_P12ihipStream_tbENKUlT_T0_E_clISt17integral_constantIbLb0EESV_IbLb1EEEEDaSR_SS_EUlSR_E_NS1_11comp_targetILNS1_3genE8ELNS1_11target_archE1030ELNS1_3gpuE2ELNS1_3repE0EEENS1_30default_config_static_selectorELNS0_4arch9wavefront6targetE1EEEvT1_.uses_flat_scratch, 0
	.set _ZN7rocprim17ROCPRIM_400000_NS6detail17trampoline_kernelINS0_14default_configENS1_20scan_config_selectorIfEEZZNS1_9scan_implILNS1_25lookback_scan_determinismE0ELb0ELb0ES3_PKfPffZZZN2at6native31launch_logcumsumexp_cuda_kernelERKNSB_10TensorBaseESF_lENKUlvE_clEvENKUlvE0_clEvEUlffE_fEEDaPvRmT3_T4_T5_mT6_P12ihipStream_tbENKUlT_T0_E_clISt17integral_constantIbLb0EESV_IbLb1EEEEDaSR_SS_EUlSR_E_NS1_11comp_targetILNS1_3genE8ELNS1_11target_archE1030ELNS1_3gpuE2ELNS1_3repE0EEENS1_30default_config_static_selectorELNS0_4arch9wavefront6targetE1EEEvT1_.has_dyn_sized_stack, 0
	.set _ZN7rocprim17ROCPRIM_400000_NS6detail17trampoline_kernelINS0_14default_configENS1_20scan_config_selectorIfEEZZNS1_9scan_implILNS1_25lookback_scan_determinismE0ELb0ELb0ES3_PKfPffZZZN2at6native31launch_logcumsumexp_cuda_kernelERKNSB_10TensorBaseESF_lENKUlvE_clEvENKUlvE0_clEvEUlffE_fEEDaPvRmT3_T4_T5_mT6_P12ihipStream_tbENKUlT_T0_E_clISt17integral_constantIbLb0EESV_IbLb1EEEEDaSR_SS_EUlSR_E_NS1_11comp_targetILNS1_3genE8ELNS1_11target_archE1030ELNS1_3gpuE2ELNS1_3repE0EEENS1_30default_config_static_selectorELNS0_4arch9wavefront6targetE1EEEvT1_.has_recursion, 0
	.set _ZN7rocprim17ROCPRIM_400000_NS6detail17trampoline_kernelINS0_14default_configENS1_20scan_config_selectorIfEEZZNS1_9scan_implILNS1_25lookback_scan_determinismE0ELb0ELb0ES3_PKfPffZZZN2at6native31launch_logcumsumexp_cuda_kernelERKNSB_10TensorBaseESF_lENKUlvE_clEvENKUlvE0_clEvEUlffE_fEEDaPvRmT3_T4_T5_mT6_P12ihipStream_tbENKUlT_T0_E_clISt17integral_constantIbLb0EESV_IbLb1EEEEDaSR_SS_EUlSR_E_NS1_11comp_targetILNS1_3genE8ELNS1_11target_archE1030ELNS1_3gpuE2ELNS1_3repE0EEENS1_30default_config_static_selectorELNS0_4arch9wavefront6targetE1EEEvT1_.has_indirect_call, 0
	.section	.AMDGPU.csdata,"",@progbits
; Kernel info:
; codeLenInByte = 0
; TotalNumSgprs: 6
; NumVgprs: 0
; NumAgprs: 0
; TotalNumVgprs: 0
; ScratchSize: 0
; MemoryBound: 0
; FloatMode: 240
; IeeeMode: 1
; LDSByteSize: 0 bytes/workgroup (compile time only)
; SGPRBlocks: 0
; VGPRBlocks: 0
; NumSGPRsForWavesPerEU: 6
; NumVGPRsForWavesPerEU: 1
; AccumOffset: 4
; Occupancy: 8
; WaveLimiterHint : 0
; COMPUTE_PGM_RSRC2:SCRATCH_EN: 0
; COMPUTE_PGM_RSRC2:USER_SGPR: 2
; COMPUTE_PGM_RSRC2:TRAP_HANDLER: 0
; COMPUTE_PGM_RSRC2:TGID_X_EN: 1
; COMPUTE_PGM_RSRC2:TGID_Y_EN: 0
; COMPUTE_PGM_RSRC2:TGID_Z_EN: 0
; COMPUTE_PGM_RSRC2:TIDIG_COMP_CNT: 0
; COMPUTE_PGM_RSRC3_GFX90A:ACCUM_OFFSET: 0
; COMPUTE_PGM_RSRC3_GFX90A:TG_SPLIT: 0
	.section	.text._ZN7rocprim17ROCPRIM_400000_NS6detail17trampoline_kernelINS0_14default_configENS1_20scan_config_selectorIfEEZZNS1_9scan_implILNS1_25lookback_scan_determinismE0ELb0ELb0ES3_PKfPffZZZN2at6native31launch_logcumsumexp_cuda_kernelERKNSB_10TensorBaseESF_lENKUlvE_clEvENKUlvE0_clEvEUlffE_fEEDaPvRmT3_T4_T5_mT6_P12ihipStream_tbENKUlT_T0_E_clISt17integral_constantIbLb0EESV_IbLb1EEEEDaSR_SS_EUlSR_E0_NS1_11comp_targetILNS1_3genE0ELNS1_11target_archE4294967295ELNS1_3gpuE0ELNS1_3repE0EEENS1_30default_config_static_selectorELNS0_4arch9wavefront6targetE1EEEvT1_,"axG",@progbits,_ZN7rocprim17ROCPRIM_400000_NS6detail17trampoline_kernelINS0_14default_configENS1_20scan_config_selectorIfEEZZNS1_9scan_implILNS1_25lookback_scan_determinismE0ELb0ELb0ES3_PKfPffZZZN2at6native31launch_logcumsumexp_cuda_kernelERKNSB_10TensorBaseESF_lENKUlvE_clEvENKUlvE0_clEvEUlffE_fEEDaPvRmT3_T4_T5_mT6_P12ihipStream_tbENKUlT_T0_E_clISt17integral_constantIbLb0EESV_IbLb1EEEEDaSR_SS_EUlSR_E0_NS1_11comp_targetILNS1_3genE0ELNS1_11target_archE4294967295ELNS1_3gpuE0ELNS1_3repE0EEENS1_30default_config_static_selectorELNS0_4arch9wavefront6targetE1EEEvT1_,comdat
	.globl	_ZN7rocprim17ROCPRIM_400000_NS6detail17trampoline_kernelINS0_14default_configENS1_20scan_config_selectorIfEEZZNS1_9scan_implILNS1_25lookback_scan_determinismE0ELb0ELb0ES3_PKfPffZZZN2at6native31launch_logcumsumexp_cuda_kernelERKNSB_10TensorBaseESF_lENKUlvE_clEvENKUlvE0_clEvEUlffE_fEEDaPvRmT3_T4_T5_mT6_P12ihipStream_tbENKUlT_T0_E_clISt17integral_constantIbLb0EESV_IbLb1EEEEDaSR_SS_EUlSR_E0_NS1_11comp_targetILNS1_3genE0ELNS1_11target_archE4294967295ELNS1_3gpuE0ELNS1_3repE0EEENS1_30default_config_static_selectorELNS0_4arch9wavefront6targetE1EEEvT1_ ; -- Begin function _ZN7rocprim17ROCPRIM_400000_NS6detail17trampoline_kernelINS0_14default_configENS1_20scan_config_selectorIfEEZZNS1_9scan_implILNS1_25lookback_scan_determinismE0ELb0ELb0ES3_PKfPffZZZN2at6native31launch_logcumsumexp_cuda_kernelERKNSB_10TensorBaseESF_lENKUlvE_clEvENKUlvE0_clEvEUlffE_fEEDaPvRmT3_T4_T5_mT6_P12ihipStream_tbENKUlT_T0_E_clISt17integral_constantIbLb0EESV_IbLb1EEEEDaSR_SS_EUlSR_E0_NS1_11comp_targetILNS1_3genE0ELNS1_11target_archE4294967295ELNS1_3gpuE0ELNS1_3repE0EEENS1_30default_config_static_selectorELNS0_4arch9wavefront6targetE1EEEvT1_
	.p2align	8
	.type	_ZN7rocprim17ROCPRIM_400000_NS6detail17trampoline_kernelINS0_14default_configENS1_20scan_config_selectorIfEEZZNS1_9scan_implILNS1_25lookback_scan_determinismE0ELb0ELb0ES3_PKfPffZZZN2at6native31launch_logcumsumexp_cuda_kernelERKNSB_10TensorBaseESF_lENKUlvE_clEvENKUlvE0_clEvEUlffE_fEEDaPvRmT3_T4_T5_mT6_P12ihipStream_tbENKUlT_T0_E_clISt17integral_constantIbLb0EESV_IbLb1EEEEDaSR_SS_EUlSR_E0_NS1_11comp_targetILNS1_3genE0ELNS1_11target_archE4294967295ELNS1_3gpuE0ELNS1_3repE0EEENS1_30default_config_static_selectorELNS0_4arch9wavefront6targetE1EEEvT1_,@function
_ZN7rocprim17ROCPRIM_400000_NS6detail17trampoline_kernelINS0_14default_configENS1_20scan_config_selectorIfEEZZNS1_9scan_implILNS1_25lookback_scan_determinismE0ELb0ELb0ES3_PKfPffZZZN2at6native31launch_logcumsumexp_cuda_kernelERKNSB_10TensorBaseESF_lENKUlvE_clEvENKUlvE0_clEvEUlffE_fEEDaPvRmT3_T4_T5_mT6_P12ihipStream_tbENKUlT_T0_E_clISt17integral_constantIbLb0EESV_IbLb1EEEEDaSR_SS_EUlSR_E0_NS1_11comp_targetILNS1_3genE0ELNS1_11target_archE4294967295ELNS1_3gpuE0ELNS1_3repE0EEENS1_30default_config_static_selectorELNS0_4arch9wavefront6targetE1EEEvT1_: ; @_ZN7rocprim17ROCPRIM_400000_NS6detail17trampoline_kernelINS0_14default_configENS1_20scan_config_selectorIfEEZZNS1_9scan_implILNS1_25lookback_scan_determinismE0ELb0ELb0ES3_PKfPffZZZN2at6native31launch_logcumsumexp_cuda_kernelERKNSB_10TensorBaseESF_lENKUlvE_clEvENKUlvE0_clEvEUlffE_fEEDaPvRmT3_T4_T5_mT6_P12ihipStream_tbENKUlT_T0_E_clISt17integral_constantIbLb0EESV_IbLb1EEEEDaSR_SS_EUlSR_E0_NS1_11comp_targetILNS1_3genE0ELNS1_11target_archE4294967295ELNS1_3gpuE0ELNS1_3repE0EEENS1_30default_config_static_selectorELNS0_4arch9wavefront6targetE1EEEvT1_
; %bb.0:
	s_load_dwordx4 s[28:31], s[0:1], 0x0
	v_lshlrev_b32_e32 v14, 2, v0
	s_waitcnt lgkmcnt(0)
	s_load_dword s31, s[28:29], 0x0
	v_cmp_gt_u32_e32 vcc, s30, v0
	s_waitcnt lgkmcnt(0)
	v_mov_b32_e32 v1, s31
	s_and_saveexec_b64 s[2:3], vcc
	s_cbranch_execz .LBB162_2
; %bb.1:
	global_load_dword v1, v14, s[28:29]
.LBB162_2:
	s_or_b64 exec, exec, s[2:3]
	v_or_b32_e32 v2, 0x100, v0
	v_cmp_gt_u32_e64 s[26:27], s30, v2
	v_mov_b32_e32 v2, s31
	s_and_saveexec_b64 s[2:3], s[26:27]
	s_cbranch_execz .LBB162_4
; %bb.3:
	global_load_dword v2, v14, s[28:29] offset:1024
.LBB162_4:
	s_or_b64 exec, exec, s[2:3]
	v_or_b32_e32 v3, 0x200, v0
	v_cmp_gt_u32_e64 s[2:3], s30, v3
	v_mov_b32_e32 v3, s31
	s_and_saveexec_b64 s[4:5], s[2:3]
	s_cbranch_execz .LBB162_6
; %bb.5:
	global_load_dword v3, v14, s[28:29] offset:2048
.LBB162_6:
	;; [unrolled: 9-line block ×3, first 2 shown]
	s_or_b64 exec, exec, s[6:7]
	v_or_b32_e32 v6, 0x400, v0
	v_cmp_gt_u32_e64 s[6:7], s30, v6
	v_mov_b32_e32 v5, s31
	s_and_saveexec_b64 s[8:9], s[6:7]
	s_cbranch_execz .LBB162_10
; %bb.9:
	v_lshlrev_b32_e32 v5, 2, v6
	global_load_dword v5, v5, s[28:29]
.LBB162_10:
	s_or_b64 exec, exec, s[8:9]
	v_or_b32_e32 v7, 0x500, v0
	v_cmp_gt_u32_e64 s[8:9], s30, v7
	v_mov_b32_e32 v6, s31
	s_and_saveexec_b64 s[10:11], s[8:9]
	s_cbranch_execz .LBB162_12
; %bb.11:
	v_lshlrev_b32_e32 v6, 2, v7
	global_load_dword v6, v6, s[28:29]
.LBB162_12:
	;; [unrolled: 10-line block ×10, first 2 shown]
	s_or_b64 exec, exec, s[30:31]
	s_waitcnt vmcnt(0)
	ds_write2st64_b32 v14, v1, v2 offset1:4
	ds_write2st64_b32 v14, v3, v4 offset0:8 offset1:12
	ds_write2st64_b32 v14, v5, v6 offset0:16 offset1:20
	;; [unrolled: 1-line block ×6, first 2 shown]
	v_mad_u32_u24 v1, v0, 52, v14
	s_waitcnt lgkmcnt(0)
	s_barrier
	ds_read2_b64 v[2:5], v1 offset1:1
	ds_read2_b64 v[10:13], v1 offset0:2 offset1:3
	ds_read2_b64 v[6:9], v1 offset0:4 offset1:5
	ds_read_b64 v[16:17], v1 offset:48
	s_movk_i32 s33, 0x1f8
	s_waitcnt lgkmcnt(3)
	v_max_f32_e32 v24, v3, v3
	v_max_f32_e32 v32, v2, v2
	v_min_f32_e32 v31, v32, v24
	v_cmp_u_f32_e64 s[56:57], v2, v2
	v_cmp_u_f32_e64 s[28:29], v3, v3
	v_max_f32_e32 v33, v32, v24
	v_cndmask_b32_e64 v1, v31, v2, s[56:57]
	v_cndmask_b32_e64 v15, v1, v3, s[28:29]
	;; [unrolled: 1-line block ×4, first 2 shown]
	v_cmp_neq_f32_e64 s[30:31], v15, v1
	v_cmp_class_f32_e64 s[34:35], v15, s33
	s_or_b64 s[30:31], s[30:31], s[34:35]
	v_mov_b32_e32 v35, v2
	s_waitcnt lgkmcnt(0)
	s_barrier
	s_and_saveexec_b64 s[34:35], s[30:31]
	s_cbranch_execz .LBB162_30
; %bb.29:
	v_sub_f32_e32 v15, v15, v1
	s_mov_b32 s30, 0x3fb8aa3b
	v_mul_f32_e32 v18, 0x3fb8aa3b, v15
	v_fma_f32 v19, v15, s30, -v18
	v_rndne_f32_e32 v20, v18
	v_fmamk_f32 v19, v15, 0x32a5705f, v19
	v_sub_f32_e32 v18, v18, v20
	v_add_f32_e32 v18, v18, v19
	v_exp_f32_e32 v18, v18
	v_cvt_i32_f32_e32 v19, v20
	s_mov_b32 s30, 0xc2ce8ed0
	v_cmp_ngt_f32_e64 s[30:31], s30, v15
	v_mov_b32_e32 v25, 0x7f800000
	v_ldexp_f32 v18, v18, v19
	v_cndmask_b32_e64 v18, 0, v18, s[30:31]
	s_mov_b32 s30, 0x42b17218
	v_cmp_nlt_f32_e64 s[30:31], s30, v15
	s_mov_b32 s36, 0x7f800000
	s_nop 0
	v_cndmask_b32_e64 v15, v25, v18, s[30:31]
	v_add_f32_e32 v20, 1.0, v15
	v_add_f32_e32 v18, -1.0, v20
	v_sub_f32_e32 v19, v18, v20
	v_add_f32_e32 v19, 1.0, v19
	v_sub_f32_e32 v18, v15, v18
	v_add_f32_e32 v21, v18, v19
	v_frexp_mant_f32_e32 v22, v20
	s_mov_b32 s30, 0x3f2aaaab
	v_cvt_f64_f32_e32 v[18:19], v20
	v_frexp_exp_i32_f64_e32 v18, v[18:19]
	v_cmp_gt_f32_e64 s[30:31], s30, v22
	s_nop 1
	v_subbrev_co_u32_e64 v28, s[30:31], 0, v18, s[30:31]
	v_sub_u32_e32 v18, 0, v28
	v_ldexp_f32 v19, v20, v18
	v_add_f32_e32 v20, -1.0, v19
	v_add_f32_e32 v22, 1.0, v19
	v_ldexp_f32 v18, v21, v18
	v_add_f32_e32 v21, 1.0, v20
	v_add_f32_e32 v23, -1.0, v22
	v_sub_f32_e32 v21, v19, v21
	v_sub_f32_e32 v19, v19, v23
	v_add_f32_e32 v21, v18, v21
	v_add_f32_e32 v18, v18, v19
	;; [unrolled: 1-line block ×3, first 2 shown]
	v_rcp_f32_e32 v34, v29
	v_sub_f32_e32 v19, v22, v29
	v_add_f32_e32 v30, v18, v19
	v_add_f32_e32 v19, v20, v21
	v_mul_f32_e32 v36, v19, v34
	v_sub_f32_e32 v18, v20, v19
	v_mul_f32_e32 v20, v29, v36
	v_fma_f32 v22, v36, v29, -v20
	v_fmac_f32_e32 v22, v36, v30
	v_add_f32_e32 v35, v21, v18
	v_add_f32_e32 v18, v20, v22
	v_sub_f32_e32 v21, v19, v18
	v_pk_add_f32 v[26:27], v[18:19], v[20:21] neg_lo:[0,1] neg_hi:[0,1]
	v_mov_b32_e32 v23, v18
	v_pk_add_f32 v[18:19], v[26:27], v[22:23] neg_lo:[0,1] neg_hi:[0,1]
	s_mov_b32 s30, 0x3f317218
	v_add_f32_e32 v19, v35, v19
	v_add_f32_e32 v18, v18, v19
	;; [unrolled: 1-line block ×3, first 2 shown]
	v_mul_f32_e32 v35, v34, v19
	v_mul_f32_e32 v20, v29, v35
	v_fma_f32 v22, v35, v29, -v20
	v_fmac_f32_e32 v22, v35, v30
	v_sub_f32_e32 v21, v21, v19
	v_add_f32_e32 v29, v18, v21
	v_add_f32_e32 v18, v20, v22
	v_sub_f32_e32 v21, v19, v18
	v_pk_add_f32 v[26:27], v[18:19], v[20:21] neg_lo:[0,1] neg_hi:[0,1]
	v_mov_b32_e32 v23, v18
	v_pk_add_f32 v[18:19], v[26:27], v[22:23] neg_lo:[0,1] neg_hi:[0,1]
	v_cvt_f32_i32_e32 v20, v28
	v_add_f32_e32 v19, v29, v19
	v_add_f32_e32 v18, v18, v19
	;; [unrolled: 1-line block ×4, first 2 shown]
	v_sub_f32_e32 v19, v21, v36
	v_mul_f32_e32 v18, v34, v18
	v_sub_f32_e32 v19, v35, v19
	v_add_f32_e32 v18, v19, v18
	v_add_f32_e32 v22, v21, v18
	v_mul_f32_e32 v26, v22, v22
	v_mov_b32_e32 v19, 0x3ecc95a3
	v_sub_f32_e32 v21, v22, v21
	v_fmac_f32_e32 v19, 0x3e9b6dac, v26
	v_sub_f32_e32 v18, v18, v21
	v_fmaak_f32 v19, v26, v19, 0x3f2aaada
	v_ldexp_f32 v27, v18, 1
	v_mul_f32_e32 v21, v22, v26
	v_mov_b32_e32 v18, 0x3f317218
	v_pk_mul_f32 v[18:19], v[20:21], v[18:19]
	v_ldexp_f32 v23, v22, 1
	v_fma_f32 v21, v20, s30, -v18
	v_fmamk_f32 v22, v20, 0xb102e308, v21
	v_pk_add_f32 v[20:21], v[18:19], v[22:23]
	v_mov_b32_e32 v26, v18
	v_sub_f32_e32 v23, v21, v23
	v_sub_f32_e32 v23, v19, v23
	v_add_f32_e32 v27, v27, v23
	v_pk_add_f32 v[18:19], v[20:21], v[18:19] neg_lo:[0,1] neg_hi:[0,1]
	v_pk_add_f32 v[28:29], v[20:21], v[26:27]
	v_mov_b32_e32 v23, v20
	v_mov_b32_e32 v19, v29
	v_pk_add_f32 v[34:35], v[22:23], v[18:19] neg_lo:[0,1] neg_hi:[0,1]
	v_pk_add_f32 v[18:19], v[22:23], v[18:19]
	v_mov_b32_e32 v26, v27
	v_pk_add_f32 v[22:23], v[18:19], v[20:21] op_sel:[1,0] op_sel_hi:[0,1] neg_lo:[0,1] neg_hi:[0,1]
	v_pk_add_f32 v[36:37], v[28:29], v[22:23] op_sel_hi:[1,0] neg_lo:[0,1] neg_hi:[0,1]
	v_mov_b32_e32 v28, v29
	v_mov_b32_e32 v29, v19
	v_pk_mov_b32 v[22:23], v[20:21], v[22:23] op_sel:[1,0]
	v_mov_b32_e32 v27, v20
	v_pk_add_f32 v[22:23], v[28:29], v[22:23] neg_lo:[0,1] neg_hi:[0,1]
	v_mov_b32_e32 v36, v34
	v_pk_add_f32 v[20:21], v[26:27], v[22:23] neg_lo:[0,1] neg_hi:[0,1]
	v_mov_b32_e32 v35, v19
	v_pk_add_f32 v[22:23], v[36:37], v[20:21]
	v_cmp_neq_f32_e64 s[30:31], s36, v15
	v_pk_add_f32 v[26:27], v[22:23], v[22:23] op_sel:[0,1] op_sel_hi:[1,0]
	s_nop 0
	v_pk_add_f32 v[18:19], v[18:19], v[26:27] op_sel:[1,0] op_sel_hi:[0,1]
	v_mov_b32_e32 v23, v18
	v_pk_add_f32 v[28:29], v[22:23], v[34:35] neg_lo:[0,1] neg_hi:[0,1]
	v_mov_b32_e32 v21, v26
	v_sub_f32_e32 v19, v22, v28
	v_pk_add_f32 v[20:21], v[20:21], v[28:29] neg_lo:[0,1] neg_hi:[0,1]
	v_sub_f32_e32 v19, v34, v19
	v_add_f32_e32 v19, v20, v19
	v_add_f32_e32 v19, v19, v21
	;; [unrolled: 1-line block ×3, first 2 shown]
	v_cndmask_b32_e64 v18, v25, v18, s[30:31]
	s_mov_b32 s30, 0x33800000
	v_cmp_lt_f32_e64 s[30:31], |v15|, s30
	s_nop 1
	v_cndmask_b32_e64 v15, v18, v15, s[30:31]
	v_add_f32_e32 v35, v1, v15
.LBB162_30:
	s_or_b64 exec, exec, s[34:35]
	v_max_f32_e32 v15, v35, v35
	v_max_f32_e32 v1, v4, v4
	v_min_f32_e32 v18, v15, v1
	v_cmp_u_f32_e64 s[34:35], v35, v35
	v_max_f32_e32 v15, v15, v1
	v_cmp_u_f32_e64 s[30:31], v4, v4
	v_cndmask_b32_e64 v18, v18, v35, s[34:35]
	v_cndmask_b32_e64 v15, v15, v35, s[34:35]
	;; [unrolled: 1-line block ×4, first 2 shown]
	v_cmp_neq_f32_e64 s[34:35], v18, v15
	v_cmp_class_f32_e64 s[36:37], v18, s33
	s_or_b64 s[34:35], s[34:35], s[36:37]
	s_and_saveexec_b64 s[36:37], s[34:35]
	s_cbranch_execz .LBB162_32
; %bb.31:
	v_sub_f32_e32 v18, v18, v15
	s_mov_b32 s33, 0x3fb8aa3b
	v_mul_f32_e32 v19, 0x3fb8aa3b, v18
	v_fma_f32 v20, v18, s33, -v19
	v_rndne_f32_e32 v21, v19
	v_fmamk_f32 v20, v18, 0x32a5705f, v20
	v_sub_f32_e32 v19, v19, v21
	v_add_f32_e32 v19, v19, v20
	v_exp_f32_e32 v19, v19
	v_cvt_i32_f32_e32 v20, v21
	s_mov_b32 s33, 0xc2ce8ed0
	v_cmp_ngt_f32_e64 s[34:35], s33, v18
	s_mov_b32 s33, 0x42b17218
	v_ldexp_f32 v19, v19, v20
	v_cndmask_b32_e64 v19, 0, v19, s[34:35]
	v_mov_b32_e32 v25, 0x7f800000
	v_cmp_nlt_f32_e64 s[34:35], s33, v18
	s_mov_b32 s33, 0x3f2aaaab
	s_mov_b32 s38, 0x7f800000
	v_cndmask_b32_e64 v30, v25, v19, s[34:35]
	v_add_f32_e32 v20, 1.0, v30
	v_add_f32_e32 v18, -1.0, v20
	v_sub_f32_e32 v19, v18, v20
	v_add_f32_e32 v19, 1.0, v19
	v_sub_f32_e32 v18, v30, v18
	v_add_f32_e32 v21, v18, v19
	v_frexp_mant_f32_e32 v22, v20
	v_cvt_f64_f32_e32 v[18:19], v20
	v_frexp_exp_i32_f64_e32 v18, v[18:19]
	v_cmp_gt_f32_e64 s[34:35], s33, v22
	s_mov_b32 s33, 0x3f317218
	s_nop 0
	v_subbrev_co_u32_e64 v28, s[34:35], 0, v18, s[34:35]
	v_sub_u32_e32 v18, 0, v28
	v_ldexp_f32 v19, v20, v18
	v_add_f32_e32 v20, -1.0, v19
	v_add_f32_e32 v22, 1.0, v19
	v_ldexp_f32 v18, v21, v18
	v_add_f32_e32 v21, 1.0, v20
	v_add_f32_e32 v23, -1.0, v22
	v_sub_f32_e32 v21, v19, v21
	v_sub_f32_e32 v19, v19, v23
	v_add_f32_e32 v21, v18, v21
	v_add_f32_e32 v18, v18, v19
	;; [unrolled: 1-line block ×3, first 2 shown]
	v_rcp_f32_e32 v35, v29
	v_sub_f32_e32 v19, v22, v29
	v_add_f32_e32 v34, v18, v19
	v_add_f32_e32 v19, v20, v21
	v_mul_f32_e32 v37, v19, v35
	v_sub_f32_e32 v18, v20, v19
	v_mul_f32_e32 v20, v29, v37
	v_fma_f32 v22, v37, v29, -v20
	v_fmac_f32_e32 v22, v37, v34
	v_add_f32_e32 v36, v21, v18
	v_add_f32_e32 v18, v20, v22
	v_sub_f32_e32 v21, v19, v18
	v_pk_add_f32 v[26:27], v[18:19], v[20:21] neg_lo:[0,1] neg_hi:[0,1]
	v_mov_b32_e32 v23, v18
	v_pk_add_f32 v[18:19], v[26:27], v[22:23] neg_lo:[0,1] neg_hi:[0,1]
	v_cmp_neq_f32_e64 s[34:35], s38, v30
	v_add_f32_e32 v19, v36, v19
	v_add_f32_e32 v18, v18, v19
	;; [unrolled: 1-line block ×3, first 2 shown]
	v_mul_f32_e32 v36, v35, v19
	v_mul_f32_e32 v20, v29, v36
	v_fma_f32 v22, v36, v29, -v20
	v_fmac_f32_e32 v22, v36, v34
	v_sub_f32_e32 v21, v21, v19
	v_add_f32_e32 v29, v18, v21
	v_add_f32_e32 v18, v20, v22
	v_sub_f32_e32 v21, v19, v18
	v_pk_add_f32 v[26:27], v[18:19], v[20:21] neg_lo:[0,1] neg_hi:[0,1]
	v_mov_b32_e32 v23, v18
	v_pk_add_f32 v[18:19], v[26:27], v[22:23] neg_lo:[0,1] neg_hi:[0,1]
	v_cvt_f32_i32_e32 v20, v28
	v_add_f32_e32 v19, v29, v19
	v_add_f32_e32 v18, v18, v19
	;; [unrolled: 1-line block ×4, first 2 shown]
	v_sub_f32_e32 v19, v21, v37
	v_mul_f32_e32 v18, v35, v18
	v_sub_f32_e32 v19, v36, v19
	v_add_f32_e32 v18, v19, v18
	v_add_f32_e32 v22, v21, v18
	v_mul_f32_e32 v26, v22, v22
	v_mov_b32_e32 v19, 0x3ecc95a3
	v_sub_f32_e32 v21, v22, v21
	v_fmac_f32_e32 v19, 0x3e9b6dac, v26
	v_sub_f32_e32 v18, v18, v21
	v_fmaak_f32 v19, v26, v19, 0x3f2aaada
	v_ldexp_f32 v27, v18, 1
	v_mul_f32_e32 v21, v22, v26
	v_mov_b32_e32 v18, 0x3f317218
	v_pk_mul_f32 v[18:19], v[20:21], v[18:19]
	v_ldexp_f32 v23, v22, 1
	v_fma_f32 v21, v20, s33, -v18
	v_fmamk_f32 v22, v20, 0xb102e308, v21
	v_pk_add_f32 v[20:21], v[18:19], v[22:23]
	v_mov_b32_e32 v26, v18
	v_sub_f32_e32 v23, v21, v23
	v_sub_f32_e32 v23, v19, v23
	v_add_f32_e32 v27, v27, v23
	v_pk_add_f32 v[18:19], v[20:21], v[18:19] neg_lo:[0,1] neg_hi:[0,1]
	v_pk_add_f32 v[28:29], v[20:21], v[26:27]
	v_mov_b32_e32 v23, v20
	v_mov_b32_e32 v19, v29
	v_pk_add_f32 v[34:35], v[22:23], v[18:19] neg_lo:[0,1] neg_hi:[0,1]
	v_pk_add_f32 v[18:19], v[22:23], v[18:19]
	v_mov_b32_e32 v26, v27
	v_pk_add_f32 v[22:23], v[18:19], v[20:21] op_sel:[1,0] op_sel_hi:[0,1] neg_lo:[0,1] neg_hi:[0,1]
	v_pk_add_f32 v[36:37], v[28:29], v[22:23] op_sel_hi:[1,0] neg_lo:[0,1] neg_hi:[0,1]
	v_mov_b32_e32 v28, v29
	v_mov_b32_e32 v29, v19
	v_pk_mov_b32 v[22:23], v[20:21], v[22:23] op_sel:[1,0]
	v_mov_b32_e32 v27, v20
	v_pk_add_f32 v[22:23], v[28:29], v[22:23] neg_lo:[0,1] neg_hi:[0,1]
	v_mov_b32_e32 v36, v34
	v_pk_add_f32 v[20:21], v[26:27], v[22:23] neg_lo:[0,1] neg_hi:[0,1]
	v_mov_b32_e32 v35, v19
	v_pk_add_f32 v[22:23], v[36:37], v[20:21]
	s_mov_b32 s33, 0x33800000
	v_pk_add_f32 v[26:27], v[22:23], v[22:23] op_sel:[0,1] op_sel_hi:[1,0]
	s_nop 0
	v_pk_add_f32 v[18:19], v[18:19], v[26:27] op_sel:[1,0] op_sel_hi:[0,1]
	v_mov_b32_e32 v23, v18
	v_pk_add_f32 v[28:29], v[22:23], v[34:35] neg_lo:[0,1] neg_hi:[0,1]
	v_mov_b32_e32 v21, v26
	v_sub_f32_e32 v19, v22, v28
	v_pk_add_f32 v[20:21], v[20:21], v[28:29] neg_lo:[0,1] neg_hi:[0,1]
	v_sub_f32_e32 v19, v34, v19
	v_add_f32_e32 v19, v20, v19
	v_add_f32_e32 v19, v19, v21
	;; [unrolled: 1-line block ×3, first 2 shown]
	v_cndmask_b32_e64 v18, v25, v18, s[34:35]
	v_cmp_lt_f32_e64 s[34:35], |v30|, s33
	s_nop 1
	v_cndmask_b32_e64 v18, v18, v30, s[34:35]
	v_add_f32_e32 v35, v15, v18
.LBB162_32:
	s_or_b64 exec, exec, s[36:37]
	v_max_f32_e32 v18, v35, v35
	v_max_f32_e32 v15, v5, v5
	v_min_f32_e32 v19, v18, v15
	v_cmp_u_f32_e64 s[36:37], v35, v35
	v_max_f32_e32 v18, v18, v15
	v_cmp_u_f32_e64 s[34:35], v5, v5
	v_cndmask_b32_e64 v19, v19, v35, s[36:37]
	v_cndmask_b32_e64 v18, v18, v35, s[36:37]
	;; [unrolled: 1-line block ×4, first 2 shown]
	s_movk_i32 s33, 0x1f8
	v_cmp_neq_f32_e64 s[36:37], v19, v18
	v_cmp_class_f32_e64 s[38:39], v19, s33
	s_or_b64 s[36:37], s[36:37], s[38:39]
	s_and_saveexec_b64 s[38:39], s[36:37]
	s_cbranch_execz .LBB162_34
; %bb.33:
	v_sub_f32_e32 v19, v19, v18
	s_mov_b32 s36, 0x3fb8aa3b
	v_mul_f32_e32 v20, 0x3fb8aa3b, v19
	v_fma_f32 v21, v19, s36, -v20
	v_rndne_f32_e32 v22, v20
	v_fmamk_f32 v21, v19, 0x32a5705f, v21
	v_sub_f32_e32 v20, v20, v22
	v_add_f32_e32 v20, v20, v21
	v_exp_f32_e32 v20, v20
	v_cvt_i32_f32_e32 v21, v22
	s_mov_b32 s36, 0xc2ce8ed0
	v_cmp_ngt_f32_e64 s[36:37], s36, v19
	v_mov_b32_e32 v25, 0x7f800000
	v_ldexp_f32 v20, v20, v21
	v_cndmask_b32_e64 v20, 0, v20, s[36:37]
	s_mov_b32 s36, 0x42b17218
	v_cmp_nlt_f32_e64 s[36:37], s36, v19
	s_mov_b32 s40, 0x7f800000
	s_nop 0
	v_cndmask_b32_e64 v19, v25, v20, s[36:37]
	v_add_f32_e32 v22, 1.0, v19
	v_add_f32_e32 v20, -1.0, v22
	v_sub_f32_e32 v21, v20, v22
	v_add_f32_e32 v21, 1.0, v21
	v_sub_f32_e32 v20, v19, v20
	v_add_f32_e32 v23, v20, v21
	v_frexp_mant_f32_e32 v26, v22
	s_mov_b32 s36, 0x3f2aaaab
	v_cvt_f64_f32_e32 v[20:21], v22
	v_frexp_exp_i32_f64_e32 v20, v[20:21]
	v_cmp_gt_f32_e64 s[36:37], s36, v26
	s_nop 1
	v_subbrev_co_u32_e64 v30, s[36:37], 0, v20, s[36:37]
	v_sub_u32_e32 v20, 0, v30
	v_ldexp_f32 v21, v22, v20
	v_add_f32_e32 v22, -1.0, v21
	v_add_f32_e32 v26, 1.0, v21
	v_ldexp_f32 v20, v23, v20
	v_add_f32_e32 v23, 1.0, v22
	v_add_f32_e32 v27, -1.0, v26
	v_sub_f32_e32 v23, v21, v23
	v_sub_f32_e32 v21, v21, v27
	v_add_f32_e32 v23, v20, v23
	v_add_f32_e32 v20, v20, v21
	;; [unrolled: 1-line block ×3, first 2 shown]
	v_rcp_f32_e32 v36, v34
	v_sub_f32_e32 v21, v26, v34
	v_add_f32_e32 v35, v20, v21
	v_add_f32_e32 v21, v22, v23
	v_mul_f32_e32 v38, v21, v36
	v_sub_f32_e32 v20, v22, v21
	v_mul_f32_e32 v22, v34, v38
	v_fma_f32 v26, v38, v34, -v22
	v_fmac_f32_e32 v26, v38, v35
	v_add_f32_e32 v37, v23, v20
	v_add_f32_e32 v20, v22, v26
	v_sub_f32_e32 v23, v21, v20
	v_pk_add_f32 v[28:29], v[20:21], v[22:23] neg_lo:[0,1] neg_hi:[0,1]
	v_mov_b32_e32 v27, v20
	v_pk_add_f32 v[20:21], v[28:29], v[26:27] neg_lo:[0,1] neg_hi:[0,1]
	s_mov_b32 s36, 0x3f317218
	v_add_f32_e32 v21, v37, v21
	v_add_f32_e32 v20, v20, v21
	;; [unrolled: 1-line block ×3, first 2 shown]
	v_mul_f32_e32 v37, v36, v21
	v_mul_f32_e32 v22, v34, v37
	v_fma_f32 v26, v37, v34, -v22
	v_fmac_f32_e32 v26, v37, v35
	v_sub_f32_e32 v23, v23, v21
	v_add_f32_e32 v34, v20, v23
	v_add_f32_e32 v20, v22, v26
	v_sub_f32_e32 v23, v21, v20
	v_pk_add_f32 v[28:29], v[20:21], v[22:23] neg_lo:[0,1] neg_hi:[0,1]
	v_mov_b32_e32 v27, v20
	v_pk_add_f32 v[20:21], v[28:29], v[26:27] neg_lo:[0,1] neg_hi:[0,1]
	v_cvt_f32_i32_e32 v22, v30
	v_add_f32_e32 v21, v34, v21
	v_add_f32_e32 v20, v20, v21
	;; [unrolled: 1-line block ×4, first 2 shown]
	v_sub_f32_e32 v21, v23, v38
	v_mul_f32_e32 v20, v36, v20
	v_sub_f32_e32 v21, v37, v21
	v_add_f32_e32 v20, v21, v20
	v_add_f32_e32 v26, v23, v20
	v_mul_f32_e32 v28, v26, v26
	v_mov_b32_e32 v21, 0x3ecc95a3
	v_sub_f32_e32 v23, v26, v23
	v_fmac_f32_e32 v21, 0x3e9b6dac, v28
	v_sub_f32_e32 v20, v20, v23
	v_fmaak_f32 v21, v28, v21, 0x3f2aaada
	v_ldexp_f32 v29, v20, 1
	v_mul_f32_e32 v23, v26, v28
	v_mov_b32_e32 v20, 0x3f317218
	v_pk_mul_f32 v[20:21], v[22:23], v[20:21]
	v_ldexp_f32 v27, v26, 1
	v_fma_f32 v23, v22, s36, -v20
	v_fmamk_f32 v26, v22, 0xb102e308, v23
	v_pk_add_f32 v[22:23], v[20:21], v[26:27]
	v_mov_b32_e32 v28, v20
	v_sub_f32_e32 v27, v23, v27
	v_sub_f32_e32 v27, v21, v27
	v_add_f32_e32 v29, v29, v27
	v_pk_add_f32 v[20:21], v[22:23], v[20:21] neg_lo:[0,1] neg_hi:[0,1]
	v_pk_add_f32 v[34:35], v[22:23], v[28:29]
	v_mov_b32_e32 v27, v22
	v_mov_b32_e32 v21, v35
	v_pk_add_f32 v[36:37], v[26:27], v[20:21] neg_lo:[0,1] neg_hi:[0,1]
	v_pk_add_f32 v[20:21], v[26:27], v[20:21]
	v_mov_b32_e32 v28, v29
	v_pk_add_f32 v[26:27], v[20:21], v[22:23] op_sel:[1,0] op_sel_hi:[0,1] neg_lo:[0,1] neg_hi:[0,1]
	v_pk_add_f32 v[38:39], v[34:35], v[26:27] op_sel_hi:[1,0] neg_lo:[0,1] neg_hi:[0,1]
	v_mov_b32_e32 v34, v35
	v_mov_b32_e32 v35, v21
	v_pk_mov_b32 v[26:27], v[22:23], v[26:27] op_sel:[1,0]
	v_mov_b32_e32 v29, v22
	v_pk_add_f32 v[26:27], v[34:35], v[26:27] neg_lo:[0,1] neg_hi:[0,1]
	v_mov_b32_e32 v38, v36
	v_pk_add_f32 v[22:23], v[28:29], v[26:27] neg_lo:[0,1] neg_hi:[0,1]
	v_mov_b32_e32 v37, v21
	v_pk_add_f32 v[26:27], v[38:39], v[22:23]
	v_cmp_neq_f32_e64 s[36:37], s40, v19
	v_pk_add_f32 v[28:29], v[26:27], v[26:27] op_sel:[0,1] op_sel_hi:[1,0]
	s_nop 0
	v_pk_add_f32 v[20:21], v[20:21], v[28:29] op_sel:[1,0] op_sel_hi:[0,1]
	v_mov_b32_e32 v27, v20
	v_pk_add_f32 v[34:35], v[26:27], v[36:37] neg_lo:[0,1] neg_hi:[0,1]
	v_mov_b32_e32 v23, v28
	v_sub_f32_e32 v21, v26, v34
	v_pk_add_f32 v[22:23], v[22:23], v[34:35] neg_lo:[0,1] neg_hi:[0,1]
	v_sub_f32_e32 v21, v36, v21
	v_add_f32_e32 v21, v22, v21
	v_add_f32_e32 v21, v21, v23
	;; [unrolled: 1-line block ×3, first 2 shown]
	v_cndmask_b32_e64 v20, v25, v20, s[36:37]
	s_mov_b32 s36, 0x33800000
	v_cmp_lt_f32_e64 s[36:37], |v19|, s36
	s_nop 1
	v_cndmask_b32_e64 v19, v20, v19, s[36:37]
	v_add_f32_e32 v35, v18, v19
.LBB162_34:
	s_or_b64 exec, exec, s[38:39]
	v_max_f32_e32 v18, v35, v35
	v_max_f32_e32 v20, v10, v10
	v_min_f32_e32 v19, v18, v20
	v_cmp_u_f32_e64 s[38:39], v35, v35
	v_max_f32_e32 v18, v18, v20
	v_cmp_u_f32_e64 s[36:37], v10, v10
	v_cndmask_b32_e64 v19, v19, v35, s[38:39]
	v_cndmask_b32_e64 v18, v18, v35, s[38:39]
	;; [unrolled: 1-line block ×4, first 2 shown]
	v_cmp_neq_f32_e64 s[38:39], v19, v18
	v_cmp_class_f32_e64 s[40:41], v19, s33
	s_or_b64 s[38:39], s[38:39], s[40:41]
	s_and_saveexec_b64 s[40:41], s[38:39]
	s_cbranch_execz .LBB162_36
; %bb.35:
	v_sub_f32_e32 v19, v19, v18
	s_mov_b32 s33, 0x3fb8aa3b
	v_mul_f32_e32 v21, 0x3fb8aa3b, v19
	v_fma_f32 v22, v19, s33, -v21
	v_rndne_f32_e32 v23, v21
	v_fmamk_f32 v22, v19, 0x32a5705f, v22
	v_sub_f32_e32 v21, v21, v23
	v_add_f32_e32 v21, v21, v22
	v_exp_f32_e32 v21, v21
	v_cvt_i32_f32_e32 v22, v23
	s_mov_b32 s33, 0xc2ce8ed0
	v_cmp_ngt_f32_e64 s[38:39], s33, v19
	s_mov_b32 s33, 0x42b17218
	v_ldexp_f32 v21, v21, v22
	v_cndmask_b32_e64 v21, 0, v21, s[38:39]
	v_mov_b32_e32 v25, 0x7f800000
	v_cmp_nlt_f32_e64 s[38:39], s33, v19
	s_mov_b32 s33, 0x3f2aaaab
	s_mov_b32 s42, 0x7f800000
	v_cndmask_b32_e64 v19, v25, v21, s[38:39]
	v_add_f32_e32 v21, 1.0, v19
	v_add_f32_e32 v22, -1.0, v21
	v_sub_f32_e32 v23, v22, v21
	v_add_f32_e32 v23, 1.0, v23
	v_sub_f32_e32 v22, v19, v22
	v_add_f32_e32 v26, v22, v23
	v_frexp_mant_f32_e32 v27, v21
	v_cvt_f64_f32_e32 v[22:23], v21
	v_frexp_exp_i32_f64_e32 v22, v[22:23]
	v_cmp_gt_f32_e64 s[38:39], s33, v27
	s_mov_b32 s33, 0x3f317218
	s_nop 0
	v_subbrev_co_u32_e64 v30, s[38:39], 0, v22, s[38:39]
	v_sub_u32_e32 v22, 0, v30
	v_ldexp_f32 v21, v21, v22
	v_ldexp_f32 v22, v26, v22
	v_add_f32_e32 v26, -1.0, v21
	v_add_f32_e32 v23, 1.0, v26
	v_sub_f32_e32 v23, v21, v23
	v_add_f32_e32 v27, v22, v23
	v_add_f32_e32 v23, 1.0, v21
	v_add_f32_e32 v28, -1.0, v23
	v_sub_f32_e32 v21, v21, v28
	v_add_f32_e32 v21, v22, v21
	v_add_f32_e32 v36, v23, v21
	v_rcp_f32_e32 v37, v36
	v_sub_f32_e32 v22, v23, v36
	v_add_f32_e32 v23, v26, v27
	v_add_f32_e32 v21, v21, v22
	v_mul_f32_e32 v39, v23, v37
	v_sub_f32_e32 v22, v26, v23
	v_mul_f32_e32 v26, v36, v39
	v_fma_f32 v28, v39, v36, -v26
	v_fmac_f32_e32 v28, v39, v21
	v_add_f32_e32 v38, v27, v22
	v_add_f32_e32 v22, v26, v28
	v_sub_f32_e32 v27, v23, v22
	v_pk_add_f32 v[34:35], v[22:23], v[26:27] neg_lo:[0,1] neg_hi:[0,1]
	v_mov_b32_e32 v29, v22
	v_pk_add_f32 v[22:23], v[34:35], v[28:29] neg_lo:[0,1] neg_hi:[0,1]
	v_cmp_neq_f32_e64 s[38:39], s42, v19
	v_add_f32_e32 v23, v38, v23
	v_add_f32_e32 v22, v22, v23
	;; [unrolled: 1-line block ×3, first 2 shown]
	v_mul_f32_e32 v38, v37, v23
	v_mul_f32_e32 v26, v36, v38
	v_fma_f32 v28, v38, v36, -v26
	v_fmac_f32_e32 v28, v38, v21
	v_sub_f32_e32 v21, v27, v23
	v_add_f32_e32 v21, v22, v21
	v_add_f32_e32 v22, v26, v28
	v_sub_f32_e32 v27, v23, v22
	v_pk_add_f32 v[34:35], v[22:23], v[26:27] neg_lo:[0,1] neg_hi:[0,1]
	v_mov_b32_e32 v29, v22
	v_pk_add_f32 v[22:23], v[34:35], v[28:29] neg_lo:[0,1] neg_hi:[0,1]
	v_cvt_f32_i32_e32 v26, v30
	v_add_f32_e32 v21, v21, v23
	v_add_f32_e32 v21, v22, v21
	;; [unrolled: 1-line block ×4, first 2 shown]
	v_sub_f32_e32 v23, v22, v39
	v_mul_f32_e32 v21, v37, v21
	v_sub_f32_e32 v23, v38, v23
	v_add_f32_e32 v21, v23, v21
	v_add_f32_e32 v27, v22, v21
	v_mul_f32_e32 v28, v27, v27
	v_mov_b32_e32 v23, 0x3ecc95a3
	v_fmac_f32_e32 v23, 0x3e9b6dac, v28
	v_sub_f32_e32 v22, v27, v22
	v_fmaak_f32 v23, v28, v23, 0x3f2aaada
	v_sub_f32_e32 v21, v21, v22
	v_ldexp_f32 v29, v27, 1
	v_mul_f32_e32 v27, v27, v28
	v_mov_b32_e32 v22, 0x3f317218
	v_pk_mul_f32 v[22:23], v[26:27], v[22:23]
	v_ldexp_f32 v21, v21, 1
	v_fma_f32 v27, v26, s33, -v22
	v_fmamk_f32 v28, v26, 0xb102e308, v27
	v_pk_add_f32 v[26:27], v[22:23], v[28:29]
	v_mov_b32_e32 v34, v22
	v_sub_f32_e32 v29, v27, v29
	v_sub_f32_e32 v29, v23, v29
	v_add_f32_e32 v35, v21, v29
	v_pk_add_f32 v[22:23], v[26:27], v[22:23] neg_lo:[0,1] neg_hi:[0,1]
	v_pk_add_f32 v[36:37], v[26:27], v[34:35]
	v_mov_b32_e32 v29, v26
	v_mov_b32_e32 v23, v37
	v_pk_add_f32 v[38:39], v[28:29], v[22:23] neg_lo:[0,1] neg_hi:[0,1]
	v_pk_add_f32 v[22:23], v[28:29], v[22:23]
	v_mov_b32_e32 v34, v35
	v_pk_add_f32 v[28:29], v[22:23], v[26:27] op_sel:[1,0] op_sel_hi:[0,1] neg_lo:[0,1] neg_hi:[0,1]
	v_pk_add_f32 v[40:41], v[36:37], v[28:29] op_sel_hi:[1,0] neg_lo:[0,1] neg_hi:[0,1]
	v_mov_b32_e32 v36, v37
	v_mov_b32_e32 v37, v23
	v_pk_mov_b32 v[28:29], v[26:27], v[28:29] op_sel:[1,0]
	v_mov_b32_e32 v35, v26
	v_pk_add_f32 v[28:29], v[36:37], v[28:29] neg_lo:[0,1] neg_hi:[0,1]
	v_mov_b32_e32 v40, v38
	v_pk_add_f32 v[26:27], v[34:35], v[28:29] neg_lo:[0,1] neg_hi:[0,1]
	v_mov_b32_e32 v39, v23
	v_pk_add_f32 v[28:29], v[40:41], v[26:27]
	s_mov_b32 s33, 0x33800000
	v_pk_add_f32 v[34:35], v[28:29], v[28:29] op_sel:[0,1] op_sel_hi:[1,0]
	s_nop 0
	v_pk_add_f32 v[22:23], v[22:23], v[34:35] op_sel:[1,0] op_sel_hi:[0,1]
	v_mov_b32_e32 v29, v22
	v_pk_add_f32 v[36:37], v[28:29], v[38:39] neg_lo:[0,1] neg_hi:[0,1]
	v_mov_b32_e32 v27, v34
	v_sub_f32_e32 v21, v28, v36
	v_pk_add_f32 v[26:27], v[26:27], v[36:37] neg_lo:[0,1] neg_hi:[0,1]
	v_sub_f32_e32 v21, v38, v21
	v_add_f32_e32 v21, v26, v21
	v_add_f32_e32 v21, v21, v27
	v_add_f32_e32 v21, v22, v21
	v_cndmask_b32_e64 v21, v25, v21, s[38:39]
	v_cmp_lt_f32_e64 s[38:39], |v19|, s33
	s_nop 1
	v_cndmask_b32_e64 v19, v21, v19, s[38:39]
	v_add_f32_e32 v35, v18, v19
.LBB162_36:
	s_or_b64 exec, exec, s[40:41]
	v_max_f32_e32 v18, v35, v35
	v_max_f32_e32 v21, v11, v11
	v_min_f32_e32 v19, v18, v21
	v_cmp_u_f32_e64 s[40:41], v35, v35
	v_max_f32_e32 v18, v18, v21
	v_cmp_u_f32_e64 s[38:39], v11, v11
	v_cndmask_b32_e64 v19, v19, v35, s[40:41]
	v_cndmask_b32_e64 v18, v18, v35, s[40:41]
	;; [unrolled: 1-line block ×4, first 2 shown]
	s_movk_i32 s33, 0x1f8
	v_cmp_neq_f32_e64 s[40:41], v19, v18
	v_cmp_class_f32_e64 s[42:43], v19, s33
	s_or_b64 s[40:41], s[40:41], s[42:43]
	s_and_saveexec_b64 s[42:43], s[40:41]
	s_cbranch_execz .LBB162_38
; %bb.37:
	v_sub_f32_e32 v19, v19, v18
	s_mov_b32 s40, 0x3fb8aa3b
	v_mul_f32_e32 v22, 0x3fb8aa3b, v19
	v_fma_f32 v23, v19, s40, -v22
	v_rndne_f32_e32 v25, v22
	v_fmamk_f32 v23, v19, 0x32a5705f, v23
	v_sub_f32_e32 v22, v22, v25
	v_add_f32_e32 v22, v22, v23
	v_exp_f32_e32 v22, v22
	v_cvt_i32_f32_e32 v23, v25
	s_mov_b32 s40, 0xc2ce8ed0
	v_cmp_ngt_f32_e64 s[40:41], s40, v19
	v_mov_b32_e32 v25, 0x7f800000
	v_ldexp_f32 v22, v22, v23
	v_cndmask_b32_e64 v22, 0, v22, s[40:41]
	s_mov_b32 s40, 0x42b17218
	v_cmp_nlt_f32_e64 s[40:41], s40, v19
	s_mov_b32 s44, 0x7f800000
	s_nop 0
	v_cndmask_b32_e64 v19, v25, v22, s[40:41]
	v_add_f32_e32 v26, 1.0, v19
	v_add_f32_e32 v22, -1.0, v26
	v_sub_f32_e32 v23, v22, v26
	v_add_f32_e32 v23, 1.0, v23
	v_sub_f32_e32 v22, v19, v22
	v_add_f32_e32 v27, v22, v23
	v_frexp_mant_f32_e32 v28, v26
	s_mov_b32 s40, 0x3f2aaaab
	v_cvt_f64_f32_e32 v[22:23], v26
	v_frexp_exp_i32_f64_e32 v22, v[22:23]
	v_cmp_gt_f32_e64 s[40:41], s40, v28
	s_nop 1
	v_subbrev_co_u32_e64 v30, s[40:41], 0, v22, s[40:41]
	v_sub_u32_e32 v22, 0, v30
	v_ldexp_f32 v23, v26, v22
	v_add_f32_e32 v26, -1.0, v23
	v_add_f32_e32 v28, 1.0, v23
	v_ldexp_f32 v22, v27, v22
	v_add_f32_e32 v27, 1.0, v26
	v_add_f32_e32 v29, -1.0, v28
	v_sub_f32_e32 v27, v23, v27
	v_sub_f32_e32 v23, v23, v29
	v_add_f32_e32 v27, v22, v27
	v_add_f32_e32 v22, v22, v23
	;; [unrolled: 1-line block ×3, first 2 shown]
	v_rcp_f32_e32 v38, v36
	v_sub_f32_e32 v23, v28, v36
	v_add_f32_e32 v37, v22, v23
	v_add_f32_e32 v23, v26, v27
	v_mul_f32_e32 v40, v23, v38
	v_sub_f32_e32 v22, v26, v23
	v_mul_f32_e32 v26, v36, v40
	v_fma_f32 v28, v40, v36, -v26
	v_fmac_f32_e32 v28, v40, v37
	v_add_f32_e32 v39, v27, v22
	v_add_f32_e32 v22, v26, v28
	v_sub_f32_e32 v27, v23, v22
	v_pk_add_f32 v[34:35], v[22:23], v[26:27] neg_lo:[0,1] neg_hi:[0,1]
	v_mov_b32_e32 v29, v22
	v_pk_add_f32 v[22:23], v[34:35], v[28:29] neg_lo:[0,1] neg_hi:[0,1]
	s_mov_b32 s40, 0x3f317218
	v_add_f32_e32 v23, v39, v23
	v_add_f32_e32 v22, v22, v23
	;; [unrolled: 1-line block ×3, first 2 shown]
	v_mul_f32_e32 v39, v38, v23
	v_mul_f32_e32 v26, v36, v39
	v_fma_f32 v28, v39, v36, -v26
	v_fmac_f32_e32 v28, v39, v37
	v_sub_f32_e32 v27, v27, v23
	v_add_f32_e32 v36, v22, v27
	v_add_f32_e32 v22, v26, v28
	v_sub_f32_e32 v27, v23, v22
	v_pk_add_f32 v[34:35], v[22:23], v[26:27] neg_lo:[0,1] neg_hi:[0,1]
	v_mov_b32_e32 v29, v22
	v_pk_add_f32 v[22:23], v[34:35], v[28:29] neg_lo:[0,1] neg_hi:[0,1]
	v_cvt_f32_i32_e32 v26, v30
	v_add_f32_e32 v23, v36, v23
	v_add_f32_e32 v22, v22, v23
	v_add_f32_e32 v22, v27, v22
	v_add_f32_e32 v27, v40, v39
	v_sub_f32_e32 v23, v27, v40
	v_mul_f32_e32 v22, v38, v22
	v_sub_f32_e32 v23, v39, v23
	v_add_f32_e32 v22, v23, v22
	v_add_f32_e32 v28, v27, v22
	v_mul_f32_e32 v34, v28, v28
	v_mov_b32_e32 v23, 0x3ecc95a3
	v_sub_f32_e32 v27, v28, v27
	v_fmac_f32_e32 v23, 0x3e9b6dac, v34
	v_sub_f32_e32 v22, v22, v27
	v_fmaak_f32 v23, v34, v23, 0x3f2aaada
	v_ldexp_f32 v30, v22, 1
	v_mul_f32_e32 v27, v28, v34
	v_mov_b32_e32 v22, 0x3f317218
	v_pk_mul_f32 v[22:23], v[26:27], v[22:23]
	v_ldexp_f32 v29, v28, 1
	v_fma_f32 v27, v26, s40, -v22
	v_fmamk_f32 v28, v26, 0xb102e308, v27
	v_pk_add_f32 v[26:27], v[22:23], v[28:29]
	v_mov_b32_e32 v34, v22
	v_sub_f32_e32 v29, v27, v29
	v_sub_f32_e32 v29, v23, v29
	v_add_f32_e32 v35, v30, v29
	v_pk_add_f32 v[22:23], v[26:27], v[22:23] neg_lo:[0,1] neg_hi:[0,1]
	v_pk_add_f32 v[36:37], v[26:27], v[34:35]
	v_mov_b32_e32 v29, v26
	v_mov_b32_e32 v23, v37
	v_pk_add_f32 v[38:39], v[28:29], v[22:23] neg_lo:[0,1] neg_hi:[0,1]
	v_pk_add_f32 v[22:23], v[28:29], v[22:23]
	v_mov_b32_e32 v34, v35
	v_pk_add_f32 v[28:29], v[22:23], v[26:27] op_sel:[1,0] op_sel_hi:[0,1] neg_lo:[0,1] neg_hi:[0,1]
	v_pk_add_f32 v[40:41], v[36:37], v[28:29] op_sel_hi:[1,0] neg_lo:[0,1] neg_hi:[0,1]
	v_mov_b32_e32 v36, v37
	v_mov_b32_e32 v37, v23
	v_pk_mov_b32 v[28:29], v[26:27], v[28:29] op_sel:[1,0]
	v_mov_b32_e32 v35, v26
	v_pk_add_f32 v[28:29], v[36:37], v[28:29] neg_lo:[0,1] neg_hi:[0,1]
	v_mov_b32_e32 v40, v38
	v_pk_add_f32 v[26:27], v[34:35], v[28:29] neg_lo:[0,1] neg_hi:[0,1]
	v_mov_b32_e32 v39, v23
	v_pk_add_f32 v[28:29], v[40:41], v[26:27]
	v_cmp_neq_f32_e64 s[40:41], s44, v19
	v_pk_add_f32 v[34:35], v[28:29], v[28:29] op_sel:[0,1] op_sel_hi:[1,0]
	s_nop 0
	v_pk_add_f32 v[22:23], v[22:23], v[34:35] op_sel:[1,0] op_sel_hi:[0,1]
	v_mov_b32_e32 v29, v22
	v_pk_add_f32 v[36:37], v[28:29], v[38:39] neg_lo:[0,1] neg_hi:[0,1]
	v_mov_b32_e32 v27, v34
	v_sub_f32_e32 v23, v28, v36
	v_pk_add_f32 v[26:27], v[26:27], v[36:37] neg_lo:[0,1] neg_hi:[0,1]
	v_sub_f32_e32 v23, v38, v23
	v_add_f32_e32 v23, v26, v23
	v_add_f32_e32 v23, v23, v27
	;; [unrolled: 1-line block ×3, first 2 shown]
	v_cndmask_b32_e64 v22, v25, v22, s[40:41]
	s_mov_b32 s40, 0x33800000
	v_cmp_lt_f32_e64 s[40:41], |v19|, s40
	s_nop 1
	v_cndmask_b32_e64 v19, v22, v19, s[40:41]
	v_add_f32_e32 v35, v18, v19
.LBB162_38:
	s_or_b64 exec, exec, s[42:43]
	v_max_f32_e32 v18, v35, v35
	v_max_f32_e32 v22, v12, v12
	v_min_f32_e32 v19, v18, v22
	v_cmp_u_f32_e64 s[42:43], v35, v35
	v_max_f32_e32 v18, v18, v22
	v_cmp_u_f32_e64 s[40:41], v12, v12
	v_cndmask_b32_e64 v19, v19, v35, s[42:43]
	v_cndmask_b32_e64 v18, v18, v35, s[42:43]
	v_cndmask_b32_e64 v19, v19, v12, s[40:41]
	v_cndmask_b32_e64 v18, v18, v12, s[40:41]
	v_cmp_neq_f32_e64 s[42:43], v19, v18
	v_cmp_class_f32_e64 s[44:45], v19, s33
	s_or_b64 s[42:43], s[42:43], s[44:45]
	s_and_saveexec_b64 s[44:45], s[42:43]
	s_cbranch_execz .LBB162_40
; %bb.39:
	v_sub_f32_e32 v19, v19, v18
	s_mov_b32 s33, 0x3fb8aa3b
	v_mul_f32_e32 v23, 0x3fb8aa3b, v19
	v_fma_f32 v25, v19, s33, -v23
	v_rndne_f32_e32 v26, v23
	v_fmamk_f32 v25, v19, 0x32a5705f, v25
	v_sub_f32_e32 v23, v23, v26
	v_add_f32_e32 v23, v23, v25
	v_exp_f32_e32 v23, v23
	v_cvt_i32_f32_e32 v25, v26
	s_mov_b32 s33, 0xc2ce8ed0
	v_cmp_ngt_f32_e64 s[42:43], s33, v19
	s_mov_b32 s33, 0x42b17218
	v_ldexp_f32 v23, v23, v25
	v_cndmask_b32_e64 v23, 0, v23, s[42:43]
	v_mov_b32_e32 v25, 0x7f800000
	v_cmp_nlt_f32_e64 s[42:43], s33, v19
	s_mov_b32 s33, 0x3f2aaaab
	s_mov_b32 s46, 0x7f800000
	v_cndmask_b32_e64 v19, v25, v23, s[42:43]
	v_add_f32_e32 v23, 1.0, v19
	v_add_f32_e32 v26, -1.0, v23
	v_sub_f32_e32 v27, v26, v23
	v_add_f32_e32 v27, 1.0, v27
	v_sub_f32_e32 v26, v19, v26
	v_add_f32_e32 v28, v26, v27
	v_frexp_mant_f32_e32 v29, v23
	v_cvt_f64_f32_e32 v[26:27], v23
	v_frexp_exp_i32_f64_e32 v26, v[26:27]
	v_cmp_gt_f32_e64 s[42:43], s33, v29
	s_mov_b32 s33, 0x3f317218
	s_nop 0
	v_subbrev_co_u32_e64 v30, s[42:43], 0, v26, s[42:43]
	v_sub_u32_e32 v26, 0, v30
	v_ldexp_f32 v23, v23, v26
	v_ldexp_f32 v26, v28, v26
	v_add_f32_e32 v28, -1.0, v23
	v_add_f32_e32 v27, 1.0, v28
	v_sub_f32_e32 v27, v23, v27
	v_add_f32_e32 v29, v26, v27
	v_add_f32_e32 v27, 1.0, v23
	v_add_f32_e32 v34, -1.0, v27
	v_sub_f32_e32 v23, v23, v34
	v_add_f32_e32 v23, v26, v23
	v_add_f32_e32 v38, v27, v23
	v_rcp_f32_e32 v39, v38
	v_sub_f32_e32 v26, v27, v38
	v_add_f32_e32 v27, v28, v29
	v_add_f32_e32 v23, v23, v26
	v_mul_f32_e32 v41, v27, v39
	v_sub_f32_e32 v26, v28, v27
	v_mul_f32_e32 v28, v38, v41
	v_fma_f32 v34, v41, v38, -v28
	v_fmac_f32_e32 v34, v41, v23
	v_add_f32_e32 v40, v29, v26
	v_add_f32_e32 v26, v28, v34
	v_sub_f32_e32 v29, v27, v26
	v_pk_add_f32 v[36:37], v[26:27], v[28:29] neg_lo:[0,1] neg_hi:[0,1]
	v_mov_b32_e32 v35, v26
	v_pk_add_f32 v[26:27], v[36:37], v[34:35] neg_lo:[0,1] neg_hi:[0,1]
	v_cmp_neq_f32_e64 s[42:43], s46, v19
	v_add_f32_e32 v27, v40, v27
	v_add_f32_e32 v26, v26, v27
	;; [unrolled: 1-line block ×3, first 2 shown]
	v_mul_f32_e32 v40, v39, v27
	v_mul_f32_e32 v28, v38, v40
	v_fma_f32 v34, v40, v38, -v28
	v_fmac_f32_e32 v34, v40, v23
	v_sub_f32_e32 v23, v29, v27
	v_add_f32_e32 v23, v26, v23
	v_add_f32_e32 v26, v28, v34
	v_sub_f32_e32 v29, v27, v26
	v_pk_add_f32 v[36:37], v[26:27], v[28:29] neg_lo:[0,1] neg_hi:[0,1]
	v_mov_b32_e32 v35, v26
	v_pk_add_f32 v[26:27], v[36:37], v[34:35] neg_lo:[0,1] neg_hi:[0,1]
	v_cvt_f32_i32_e32 v28, v30
	v_add_f32_e32 v23, v23, v27
	v_add_f32_e32 v23, v26, v23
	;; [unrolled: 1-line block ×4, first 2 shown]
	v_sub_f32_e32 v27, v26, v41
	v_mul_f32_e32 v23, v39, v23
	v_sub_f32_e32 v27, v40, v27
	v_add_f32_e32 v23, v27, v23
	v_add_f32_e32 v29, v26, v23
	v_mul_f32_e32 v34, v29, v29
	v_mov_b32_e32 v27, 0x3ecc95a3
	v_fmac_f32_e32 v27, 0x3e9b6dac, v34
	v_sub_f32_e32 v26, v29, v26
	v_fmaak_f32 v27, v34, v27, 0x3f2aaada
	v_sub_f32_e32 v23, v23, v26
	v_ldexp_f32 v35, v29, 1
	v_mul_f32_e32 v29, v29, v34
	v_mov_b32_e32 v26, 0x3f317218
	v_pk_mul_f32 v[26:27], v[28:29], v[26:27]
	v_ldexp_f32 v23, v23, 1
	v_fma_f32 v29, v28, s33, -v26
	v_fmamk_f32 v34, v28, 0xb102e308, v29
	v_pk_add_f32 v[28:29], v[26:27], v[34:35]
	v_mov_b32_e32 v36, v26
	v_sub_f32_e32 v30, v29, v35
	v_sub_f32_e32 v30, v27, v30
	v_add_f32_e32 v37, v23, v30
	v_pk_add_f32 v[26:27], v[28:29], v[26:27] neg_lo:[0,1] neg_hi:[0,1]
	v_pk_add_f32 v[38:39], v[28:29], v[36:37]
	v_mov_b32_e32 v35, v28
	v_mov_b32_e32 v27, v39
	v_pk_add_f32 v[40:41], v[34:35], v[26:27] neg_lo:[0,1] neg_hi:[0,1]
	v_pk_add_f32 v[26:27], v[34:35], v[26:27]
	v_mov_b32_e32 v36, v37
	v_pk_add_f32 v[34:35], v[26:27], v[28:29] op_sel:[1,0] op_sel_hi:[0,1] neg_lo:[0,1] neg_hi:[0,1]
	v_pk_add_f32 v[42:43], v[38:39], v[34:35] op_sel_hi:[1,0] neg_lo:[0,1] neg_hi:[0,1]
	v_mov_b32_e32 v38, v39
	v_mov_b32_e32 v39, v27
	v_pk_mov_b32 v[34:35], v[28:29], v[34:35] op_sel:[1,0]
	v_mov_b32_e32 v37, v28
	v_pk_add_f32 v[34:35], v[38:39], v[34:35] neg_lo:[0,1] neg_hi:[0,1]
	v_mov_b32_e32 v42, v40
	v_pk_add_f32 v[28:29], v[36:37], v[34:35] neg_lo:[0,1] neg_hi:[0,1]
	v_mov_b32_e32 v41, v27
	v_pk_add_f32 v[34:35], v[42:43], v[28:29]
	s_mov_b32 s33, 0x33800000
	v_pk_add_f32 v[36:37], v[34:35], v[34:35] op_sel:[0,1] op_sel_hi:[1,0]
	s_nop 0
	v_pk_add_f32 v[26:27], v[26:27], v[36:37] op_sel:[1,0] op_sel_hi:[0,1]
	v_mov_b32_e32 v35, v26
	v_pk_add_f32 v[38:39], v[34:35], v[40:41] neg_lo:[0,1] neg_hi:[0,1]
	v_mov_b32_e32 v29, v36
	v_sub_f32_e32 v23, v34, v38
	v_pk_add_f32 v[28:29], v[28:29], v[38:39] neg_lo:[0,1] neg_hi:[0,1]
	v_sub_f32_e32 v23, v40, v23
	v_add_f32_e32 v23, v28, v23
	v_add_f32_e32 v23, v23, v29
	;; [unrolled: 1-line block ×3, first 2 shown]
	v_cndmask_b32_e64 v23, v25, v23, s[42:43]
	v_cmp_lt_f32_e64 s[42:43], |v19|, s33
	s_nop 1
	v_cndmask_b32_e64 v19, v23, v19, s[42:43]
	v_add_f32_e32 v35, v18, v19
.LBB162_40:
	s_or_b64 exec, exec, s[44:45]
	v_max_f32_e32 v18, v35, v35
	v_max_f32_e32 v23, v13, v13
	v_min_f32_e32 v19, v18, v23
	v_cmp_u_f32_e64 s[44:45], v35, v35
	v_max_f32_e32 v18, v18, v23
	v_cmp_u_f32_e64 s[42:43], v13, v13
	v_cndmask_b32_e64 v19, v19, v35, s[44:45]
	v_cndmask_b32_e64 v18, v18, v35, s[44:45]
	;; [unrolled: 1-line block ×4, first 2 shown]
	s_movk_i32 s33, 0x1f8
	v_cmp_neq_f32_e64 s[44:45], v19, v18
	v_cmp_class_f32_e64 s[46:47], v19, s33
	s_or_b64 s[44:45], s[44:45], s[46:47]
	s_and_saveexec_b64 s[46:47], s[44:45]
	s_cbranch_execz .LBB162_42
; %bb.41:
	v_sub_f32_e32 v19, v19, v18
	s_mov_b32 s44, 0x3fb8aa3b
	v_mul_f32_e32 v25, 0x3fb8aa3b, v19
	v_fma_f32 v26, v19, s44, -v25
	v_rndne_f32_e32 v27, v25
	v_fmamk_f32 v26, v19, 0x32a5705f, v26
	v_sub_f32_e32 v25, v25, v27
	v_add_f32_e32 v25, v25, v26
	v_exp_f32_e32 v25, v25
	v_cvt_i32_f32_e32 v26, v27
	s_mov_b32 s44, 0xc2ce8ed0
	v_cmp_ngt_f32_e64 s[44:45], s44, v19
	v_mov_b32_e32 v30, 0x7f800000
	v_ldexp_f32 v25, v25, v26
	v_cndmask_b32_e64 v25, 0, v25, s[44:45]
	s_mov_b32 s44, 0x42b17218
	v_cmp_nlt_f32_e64 s[44:45], s44, v19
	s_mov_b32 s48, 0x7f800000
	s_nop 0
	v_cndmask_b32_e64 v19, v30, v25, s[44:45]
	v_add_f32_e32 v25, 1.0, v19
	v_add_f32_e32 v26, -1.0, v25
	v_sub_f32_e32 v27, v26, v25
	v_add_f32_e32 v27, 1.0, v27
	v_sub_f32_e32 v26, v19, v26
	v_add_f32_e32 v28, v26, v27
	v_frexp_mant_f32_e32 v29, v25
	s_mov_b32 s44, 0x3f2aaaab
	v_cvt_f64_f32_e32 v[26:27], v25
	v_frexp_exp_i32_f64_e32 v26, v[26:27]
	v_cmp_gt_f32_e64 s[44:45], s44, v29
	s_nop 1
	v_subbrev_co_u32_e64 v38, s[44:45], 0, v26, s[44:45]
	v_sub_u32_e32 v26, 0, v38
	v_ldexp_f32 v25, v25, v26
	v_ldexp_f32 v26, v28, v26
	v_add_f32_e32 v28, -1.0, v25
	v_add_f32_e32 v27, 1.0, v28
	v_sub_f32_e32 v27, v25, v27
	v_add_f32_e32 v29, v26, v27
	v_add_f32_e32 v27, 1.0, v25
	v_add_f32_e32 v34, -1.0, v27
	v_sub_f32_e32 v25, v25, v34
	v_add_f32_e32 v25, v26, v25
	v_add_f32_e32 v39, v27, v25
	v_rcp_f32_e32 v40, v39
	v_sub_f32_e32 v26, v27, v39
	v_add_f32_e32 v27, v28, v29
	v_add_f32_e32 v25, v25, v26
	v_mul_f32_e32 v42, v27, v40
	v_sub_f32_e32 v26, v28, v27
	v_mul_f32_e32 v28, v39, v42
	v_fma_f32 v34, v42, v39, -v28
	v_fmac_f32_e32 v34, v42, v25
	v_add_f32_e32 v41, v29, v26
	v_add_f32_e32 v26, v28, v34
	v_sub_f32_e32 v29, v27, v26
	v_pk_add_f32 v[36:37], v[26:27], v[28:29] neg_lo:[0,1] neg_hi:[0,1]
	v_mov_b32_e32 v35, v26
	v_pk_add_f32 v[26:27], v[36:37], v[34:35] neg_lo:[0,1] neg_hi:[0,1]
	s_mov_b32 s44, 0x3f317218
	v_add_f32_e32 v27, v41, v27
	v_add_f32_e32 v26, v26, v27
	v_add_f32_e32 v27, v29, v26
	v_mul_f32_e32 v41, v40, v27
	v_mul_f32_e32 v28, v39, v41
	v_fma_f32 v34, v41, v39, -v28
	v_fmac_f32_e32 v34, v41, v25
	v_sub_f32_e32 v25, v29, v27
	v_add_f32_e32 v25, v26, v25
	v_add_f32_e32 v26, v28, v34
	v_sub_f32_e32 v29, v27, v26
	v_pk_add_f32 v[36:37], v[26:27], v[28:29] neg_lo:[0,1] neg_hi:[0,1]
	v_mov_b32_e32 v35, v26
	v_pk_add_f32 v[26:27], v[36:37], v[34:35] neg_lo:[0,1] neg_hi:[0,1]
	v_cvt_f32_i32_e32 v28, v38
	v_add_f32_e32 v25, v25, v27
	v_add_f32_e32 v25, v26, v25
	;; [unrolled: 1-line block ×4, first 2 shown]
	v_sub_f32_e32 v27, v26, v42
	v_mul_f32_e32 v25, v40, v25
	v_sub_f32_e32 v27, v41, v27
	v_add_f32_e32 v25, v27, v25
	v_add_f32_e32 v29, v26, v25
	v_mul_f32_e32 v34, v29, v29
	v_mov_b32_e32 v27, 0x3ecc95a3
	v_fmac_f32_e32 v27, 0x3e9b6dac, v34
	v_sub_f32_e32 v26, v29, v26
	v_fmaak_f32 v27, v34, v27, 0x3f2aaada
	v_sub_f32_e32 v25, v25, v26
	v_ldexp_f32 v35, v29, 1
	v_mul_f32_e32 v29, v29, v34
	v_mov_b32_e32 v26, 0x3f317218
	v_pk_mul_f32 v[26:27], v[28:29], v[26:27]
	v_ldexp_f32 v25, v25, 1
	v_fma_f32 v29, v28, s44, -v26
	v_fmamk_f32 v34, v28, 0xb102e308, v29
	v_pk_add_f32 v[28:29], v[26:27], v[34:35]
	v_mov_b32_e32 v36, v26
	v_sub_f32_e32 v35, v29, v35
	v_sub_f32_e32 v35, v27, v35
	v_add_f32_e32 v37, v25, v35
	v_pk_add_f32 v[26:27], v[28:29], v[26:27] neg_lo:[0,1] neg_hi:[0,1]
	v_pk_add_f32 v[38:39], v[28:29], v[36:37]
	v_mov_b32_e32 v35, v28
	v_mov_b32_e32 v27, v39
	v_pk_add_f32 v[40:41], v[34:35], v[26:27] neg_lo:[0,1] neg_hi:[0,1]
	v_pk_add_f32 v[26:27], v[34:35], v[26:27]
	v_mov_b32_e32 v36, v37
	v_pk_add_f32 v[34:35], v[26:27], v[28:29] op_sel:[1,0] op_sel_hi:[0,1] neg_lo:[0,1] neg_hi:[0,1]
	v_pk_add_f32 v[42:43], v[38:39], v[34:35] op_sel_hi:[1,0] neg_lo:[0,1] neg_hi:[0,1]
	v_mov_b32_e32 v38, v39
	v_mov_b32_e32 v39, v27
	v_pk_mov_b32 v[34:35], v[28:29], v[34:35] op_sel:[1,0]
	v_mov_b32_e32 v37, v28
	v_pk_add_f32 v[34:35], v[38:39], v[34:35] neg_lo:[0,1] neg_hi:[0,1]
	v_mov_b32_e32 v42, v40
	v_pk_add_f32 v[28:29], v[36:37], v[34:35] neg_lo:[0,1] neg_hi:[0,1]
	v_mov_b32_e32 v41, v27
	v_pk_add_f32 v[34:35], v[42:43], v[28:29]
	v_cmp_neq_f32_e64 s[44:45], s48, v19
	v_pk_add_f32 v[36:37], v[34:35], v[34:35] op_sel:[0,1] op_sel_hi:[1,0]
	s_nop 0
	v_pk_add_f32 v[26:27], v[26:27], v[36:37] op_sel:[1,0] op_sel_hi:[0,1]
	v_mov_b32_e32 v35, v26
	v_pk_add_f32 v[38:39], v[34:35], v[40:41] neg_lo:[0,1] neg_hi:[0,1]
	v_mov_b32_e32 v29, v36
	v_sub_f32_e32 v25, v34, v38
	v_pk_add_f32 v[28:29], v[28:29], v[38:39] neg_lo:[0,1] neg_hi:[0,1]
	v_sub_f32_e32 v25, v40, v25
	v_add_f32_e32 v25, v28, v25
	v_add_f32_e32 v25, v25, v29
	;; [unrolled: 1-line block ×3, first 2 shown]
	v_cndmask_b32_e64 v25, v30, v25, s[44:45]
	s_mov_b32 s44, 0x33800000
	v_cmp_lt_f32_e64 s[44:45], |v19|, s44
	s_nop 1
	v_cndmask_b32_e64 v19, v25, v19, s[44:45]
	v_add_f32_e32 v35, v18, v19
.LBB162_42:
	s_or_b64 exec, exec, s[46:47]
	v_max_f32_e32 v18, v35, v35
	v_max_f32_e32 v25, v6, v6
	v_min_f32_e32 v19, v18, v25
	v_cmp_u_f32_e64 s[46:47], v35, v35
	v_max_f32_e32 v18, v18, v25
	v_cmp_u_f32_e64 s[44:45], v6, v6
	v_cndmask_b32_e64 v19, v19, v35, s[46:47]
	v_cndmask_b32_e64 v18, v18, v35, s[46:47]
	;; [unrolled: 1-line block ×4, first 2 shown]
	v_cmp_neq_f32_e64 s[46:47], v19, v18
	v_cmp_class_f32_e64 s[48:49], v19, s33
	s_or_b64 s[46:47], s[46:47], s[48:49]
	s_and_saveexec_b64 s[48:49], s[46:47]
	s_cbranch_execz .LBB162_44
; %bb.43:
	v_sub_f32_e32 v19, v19, v18
	s_mov_b32 s33, 0x3fb8aa3b
	v_mul_f32_e32 v26, 0x3fb8aa3b, v19
	v_fma_f32 v27, v19, s33, -v26
	v_rndne_f32_e32 v28, v26
	v_fmamk_f32 v27, v19, 0x32a5705f, v27
	v_sub_f32_e32 v26, v26, v28
	v_add_f32_e32 v26, v26, v27
	v_exp_f32_e32 v26, v26
	v_cvt_i32_f32_e32 v27, v28
	s_mov_b32 s33, 0xc2ce8ed0
	v_cmp_ngt_f32_e64 s[46:47], s33, v19
	s_mov_b32 s33, 0x42b17218
	v_ldexp_f32 v26, v26, v27
	v_cndmask_b32_e64 v26, 0, v26, s[46:47]
	v_mov_b32_e32 v30, 0x7f800000
	v_cmp_nlt_f32_e64 s[46:47], s33, v19
	s_mov_b32 s33, 0x3f2aaaab
	s_mov_b32 s50, 0x7f800000
	v_cndmask_b32_e64 v19, v30, v26, s[46:47]
	v_add_f32_e32 v28, 1.0, v19
	v_add_f32_e32 v26, -1.0, v28
	v_sub_f32_e32 v27, v26, v28
	v_add_f32_e32 v27, 1.0, v27
	v_sub_f32_e32 v26, v19, v26
	v_add_f32_e32 v29, v26, v27
	v_frexp_mant_f32_e32 v34, v28
	v_cvt_f64_f32_e32 v[26:27], v28
	v_frexp_exp_i32_f64_e32 v26, v[26:27]
	v_cmp_gt_f32_e64 s[46:47], s33, v34
	s_mov_b32 s33, 0x3f317218
	s_nop 0
	v_subbrev_co_u32_e64 v38, s[46:47], 0, v26, s[46:47]
	v_sub_u32_e32 v26, 0, v38
	v_ldexp_f32 v27, v28, v26
	v_add_f32_e32 v28, -1.0, v27
	v_add_f32_e32 v34, 1.0, v27
	v_ldexp_f32 v26, v29, v26
	v_add_f32_e32 v29, 1.0, v28
	v_add_f32_e32 v35, -1.0, v34
	v_sub_f32_e32 v29, v27, v29
	v_sub_f32_e32 v27, v27, v35
	v_add_f32_e32 v29, v26, v29
	v_add_f32_e32 v26, v26, v27
	;; [unrolled: 1-line block ×3, first 2 shown]
	v_rcp_f32_e32 v41, v39
	v_sub_f32_e32 v27, v34, v39
	v_add_f32_e32 v40, v26, v27
	v_add_f32_e32 v27, v28, v29
	v_mul_f32_e32 v43, v27, v41
	v_sub_f32_e32 v26, v28, v27
	v_mul_f32_e32 v28, v39, v43
	v_fma_f32 v34, v43, v39, -v28
	v_fmac_f32_e32 v34, v43, v40
	v_add_f32_e32 v42, v29, v26
	v_add_f32_e32 v26, v28, v34
	v_sub_f32_e32 v29, v27, v26
	v_pk_add_f32 v[36:37], v[26:27], v[28:29] neg_lo:[0,1] neg_hi:[0,1]
	v_mov_b32_e32 v35, v26
	v_pk_add_f32 v[26:27], v[36:37], v[34:35] neg_lo:[0,1] neg_hi:[0,1]
	v_cmp_neq_f32_e64 s[46:47], s50, v19
	v_add_f32_e32 v27, v42, v27
	v_add_f32_e32 v26, v26, v27
	;; [unrolled: 1-line block ×3, first 2 shown]
	v_mul_f32_e32 v42, v41, v27
	v_mul_f32_e32 v28, v39, v42
	v_fma_f32 v34, v42, v39, -v28
	v_fmac_f32_e32 v34, v42, v40
	v_sub_f32_e32 v29, v29, v27
	v_add_f32_e32 v39, v26, v29
	v_add_f32_e32 v26, v28, v34
	v_sub_f32_e32 v29, v27, v26
	v_pk_add_f32 v[36:37], v[26:27], v[28:29] neg_lo:[0,1] neg_hi:[0,1]
	v_mov_b32_e32 v35, v26
	v_pk_add_f32 v[26:27], v[36:37], v[34:35] neg_lo:[0,1] neg_hi:[0,1]
	v_cvt_f32_i32_e32 v28, v38
	v_add_f32_e32 v27, v39, v27
	v_add_f32_e32 v26, v26, v27
	;; [unrolled: 1-line block ×4, first 2 shown]
	v_sub_f32_e32 v27, v29, v43
	v_mul_f32_e32 v26, v41, v26
	v_sub_f32_e32 v27, v42, v27
	v_add_f32_e32 v26, v27, v26
	v_add_f32_e32 v34, v29, v26
	v_mul_f32_e32 v36, v34, v34
	v_mov_b32_e32 v27, 0x3ecc95a3
	v_sub_f32_e32 v29, v34, v29
	v_fmac_f32_e32 v27, 0x3e9b6dac, v36
	v_sub_f32_e32 v26, v26, v29
	v_fmaak_f32 v27, v36, v27, 0x3f2aaada
	v_ldexp_f32 v37, v26, 1
	v_mul_f32_e32 v29, v34, v36
	v_mov_b32_e32 v26, 0x3f317218
	v_pk_mul_f32 v[26:27], v[28:29], v[26:27]
	v_ldexp_f32 v35, v34, 1
	v_fma_f32 v29, v28, s33, -v26
	v_fmamk_f32 v34, v28, 0xb102e308, v29
	v_pk_add_f32 v[28:29], v[26:27], v[34:35]
	v_mov_b32_e32 v36, v26
	v_sub_f32_e32 v35, v29, v35
	v_sub_f32_e32 v35, v27, v35
	v_add_f32_e32 v37, v37, v35
	v_pk_add_f32 v[26:27], v[28:29], v[26:27] neg_lo:[0,1] neg_hi:[0,1]
	v_pk_add_f32 v[38:39], v[28:29], v[36:37]
	v_mov_b32_e32 v35, v28
	v_mov_b32_e32 v27, v39
	v_pk_add_f32 v[40:41], v[34:35], v[26:27] neg_lo:[0,1] neg_hi:[0,1]
	v_pk_add_f32 v[26:27], v[34:35], v[26:27]
	v_mov_b32_e32 v36, v37
	v_pk_add_f32 v[34:35], v[26:27], v[28:29] op_sel:[1,0] op_sel_hi:[0,1] neg_lo:[0,1] neg_hi:[0,1]
	v_pk_add_f32 v[42:43], v[38:39], v[34:35] op_sel_hi:[1,0] neg_lo:[0,1] neg_hi:[0,1]
	v_mov_b32_e32 v38, v39
	v_mov_b32_e32 v39, v27
	v_pk_mov_b32 v[34:35], v[28:29], v[34:35] op_sel:[1,0]
	v_mov_b32_e32 v37, v28
	v_pk_add_f32 v[34:35], v[38:39], v[34:35] neg_lo:[0,1] neg_hi:[0,1]
	v_mov_b32_e32 v42, v40
	v_pk_add_f32 v[28:29], v[36:37], v[34:35] neg_lo:[0,1] neg_hi:[0,1]
	v_mov_b32_e32 v41, v27
	v_pk_add_f32 v[34:35], v[42:43], v[28:29]
	s_mov_b32 s33, 0x33800000
	v_pk_add_f32 v[36:37], v[34:35], v[34:35] op_sel:[0,1] op_sel_hi:[1,0]
	s_nop 0
	v_pk_add_f32 v[26:27], v[26:27], v[36:37] op_sel:[1,0] op_sel_hi:[0,1]
	v_mov_b32_e32 v35, v26
	v_pk_add_f32 v[38:39], v[34:35], v[40:41] neg_lo:[0,1] neg_hi:[0,1]
	v_mov_b32_e32 v29, v36
	v_sub_f32_e32 v27, v34, v38
	v_pk_add_f32 v[28:29], v[28:29], v[38:39] neg_lo:[0,1] neg_hi:[0,1]
	v_sub_f32_e32 v27, v40, v27
	v_add_f32_e32 v27, v28, v27
	v_add_f32_e32 v27, v27, v29
	;; [unrolled: 1-line block ×3, first 2 shown]
	v_cndmask_b32_e64 v26, v30, v26, s[46:47]
	v_cmp_lt_f32_e64 s[46:47], |v19|, s33
	s_nop 1
	v_cndmask_b32_e64 v19, v26, v19, s[46:47]
	v_add_f32_e32 v35, v18, v19
.LBB162_44:
	s_or_b64 exec, exec, s[48:49]
	v_max_f32_e32 v18, v35, v35
	v_max_f32_e32 v26, v7, v7
	v_min_f32_e32 v19, v18, v26
	v_cmp_u_f32_e64 s[48:49], v35, v35
	v_max_f32_e32 v18, v18, v26
	v_cmp_u_f32_e64 s[46:47], v7, v7
	v_cndmask_b32_e64 v19, v19, v35, s[48:49]
	v_cndmask_b32_e64 v18, v18, v35, s[48:49]
	;; [unrolled: 1-line block ×4, first 2 shown]
	s_movk_i32 s33, 0x1f8
	v_cmp_neq_f32_e64 s[48:49], v19, v18
	v_cmp_class_f32_e64 s[50:51], v19, s33
	s_or_b64 s[48:49], s[48:49], s[50:51]
	s_and_saveexec_b64 s[50:51], s[48:49]
	s_cbranch_execz .LBB162_46
; %bb.45:
	v_sub_f32_e32 v19, v19, v18
	s_mov_b32 s48, 0x3fb8aa3b
	v_mul_f32_e32 v27, 0x3fb8aa3b, v19
	v_fma_f32 v28, v19, s48, -v27
	v_rndne_f32_e32 v29, v27
	v_fmamk_f32 v28, v19, 0x32a5705f, v28
	v_sub_f32_e32 v27, v27, v29
	v_add_f32_e32 v27, v27, v28
	v_exp_f32_e32 v27, v27
	v_cvt_i32_f32_e32 v28, v29
	s_mov_b32 s48, 0xc2ce8ed0
	v_cmp_ngt_f32_e64 s[48:49], s48, v19
	v_mov_b32_e32 v30, 0x7f800000
	v_ldexp_f32 v27, v27, v28
	v_cndmask_b32_e64 v27, 0, v27, s[48:49]
	s_mov_b32 s48, 0x42b17218
	v_cmp_nlt_f32_e64 s[48:49], s48, v19
	s_mov_b32 s52, 0x7f800000
	s_nop 0
	v_cndmask_b32_e64 v19, v30, v27, s[48:49]
	v_add_f32_e32 v27, 1.0, v19
	v_add_f32_e32 v28, -1.0, v27
	v_sub_f32_e32 v29, v28, v27
	v_add_f32_e32 v29, 1.0, v29
	v_sub_f32_e32 v28, v19, v28
	v_add_f32_e32 v34, v28, v29
	v_frexp_mant_f32_e32 v35, v27
	s_mov_b32 s48, 0x3f2aaaab
	v_cvt_f64_f32_e32 v[28:29], v27
	v_frexp_exp_i32_f64_e32 v28, v[28:29]
	v_cmp_gt_f32_e64 s[48:49], s48, v35
	s_nop 1
	v_subbrev_co_u32_e64 v40, s[48:49], 0, v28, s[48:49]
	v_sub_u32_e32 v28, 0, v40
	v_ldexp_f32 v27, v27, v28
	v_ldexp_f32 v28, v34, v28
	v_add_f32_e32 v34, -1.0, v27
	v_add_f32_e32 v29, 1.0, v34
	v_sub_f32_e32 v29, v27, v29
	v_add_f32_e32 v35, v28, v29
	v_add_f32_e32 v29, 1.0, v27
	v_add_f32_e32 v36, -1.0, v29
	v_sub_f32_e32 v27, v27, v36
	v_add_f32_e32 v27, v28, v27
	v_add_f32_e32 v41, v29, v27
	v_rcp_f32_e32 v42, v41
	v_sub_f32_e32 v28, v29, v41
	v_add_f32_e32 v29, v34, v35
	v_add_f32_e32 v27, v27, v28
	v_mul_f32_e32 v44, v29, v42
	v_sub_f32_e32 v28, v34, v29
	v_mul_f32_e32 v34, v41, v44
	v_fma_f32 v36, v44, v41, -v34
	v_fmac_f32_e32 v36, v44, v27
	v_add_f32_e32 v43, v35, v28
	v_add_f32_e32 v28, v34, v36
	v_sub_f32_e32 v35, v29, v28
	v_pk_add_f32 v[38:39], v[28:29], v[34:35] neg_lo:[0,1] neg_hi:[0,1]
	v_mov_b32_e32 v37, v28
	v_pk_add_f32 v[28:29], v[38:39], v[36:37] neg_lo:[0,1] neg_hi:[0,1]
	s_mov_b32 s48, 0x3f317218
	v_add_f32_e32 v29, v43, v29
	v_add_f32_e32 v28, v28, v29
	;; [unrolled: 1-line block ×3, first 2 shown]
	v_mul_f32_e32 v43, v42, v29
	v_mul_f32_e32 v34, v41, v43
	v_fma_f32 v36, v43, v41, -v34
	v_fmac_f32_e32 v36, v43, v27
	v_sub_f32_e32 v27, v35, v29
	v_add_f32_e32 v27, v28, v27
	v_add_f32_e32 v28, v34, v36
	v_sub_f32_e32 v35, v29, v28
	v_pk_add_f32 v[38:39], v[28:29], v[34:35] neg_lo:[0,1] neg_hi:[0,1]
	v_mov_b32_e32 v37, v28
	v_pk_add_f32 v[28:29], v[38:39], v[36:37] neg_lo:[0,1] neg_hi:[0,1]
	v_cvt_f32_i32_e32 v34, v40
	v_add_f32_e32 v27, v27, v29
	v_add_f32_e32 v27, v28, v27
	;; [unrolled: 1-line block ×4, first 2 shown]
	v_sub_f32_e32 v29, v28, v44
	v_mul_f32_e32 v27, v42, v27
	v_sub_f32_e32 v29, v43, v29
	v_add_f32_e32 v27, v29, v27
	v_add_f32_e32 v35, v28, v27
	v_mul_f32_e32 v36, v35, v35
	v_mov_b32_e32 v29, 0x3ecc95a3
	v_fmac_f32_e32 v29, 0x3e9b6dac, v36
	v_sub_f32_e32 v28, v35, v28
	v_fmaak_f32 v29, v36, v29, 0x3f2aaada
	v_sub_f32_e32 v27, v27, v28
	v_ldexp_f32 v37, v35, 1
	v_mul_f32_e32 v35, v35, v36
	v_mov_b32_e32 v28, 0x3f317218
	v_pk_mul_f32 v[28:29], v[34:35], v[28:29]
	v_ldexp_f32 v27, v27, 1
	v_fma_f32 v35, v34, s48, -v28
	v_fmamk_f32 v36, v34, 0xb102e308, v35
	v_pk_add_f32 v[34:35], v[28:29], v[36:37]
	v_mov_b32_e32 v38, v28
	v_sub_f32_e32 v37, v35, v37
	v_sub_f32_e32 v37, v29, v37
	v_add_f32_e32 v39, v27, v37
	v_pk_add_f32 v[28:29], v[34:35], v[28:29] neg_lo:[0,1] neg_hi:[0,1]
	v_pk_add_f32 v[40:41], v[34:35], v[38:39]
	v_mov_b32_e32 v37, v34
	v_mov_b32_e32 v29, v41
	v_pk_add_f32 v[42:43], v[36:37], v[28:29] neg_lo:[0,1] neg_hi:[0,1]
	v_pk_add_f32 v[28:29], v[36:37], v[28:29]
	v_mov_b32_e32 v38, v39
	v_pk_add_f32 v[36:37], v[28:29], v[34:35] op_sel:[1,0] op_sel_hi:[0,1] neg_lo:[0,1] neg_hi:[0,1]
	v_pk_add_f32 v[44:45], v[40:41], v[36:37] op_sel_hi:[1,0] neg_lo:[0,1] neg_hi:[0,1]
	v_mov_b32_e32 v40, v41
	v_mov_b32_e32 v41, v29
	v_pk_mov_b32 v[36:37], v[34:35], v[36:37] op_sel:[1,0]
	v_mov_b32_e32 v39, v34
	v_pk_add_f32 v[36:37], v[40:41], v[36:37] neg_lo:[0,1] neg_hi:[0,1]
	v_mov_b32_e32 v44, v42
	v_pk_add_f32 v[34:35], v[38:39], v[36:37] neg_lo:[0,1] neg_hi:[0,1]
	v_mov_b32_e32 v43, v29
	v_pk_add_f32 v[36:37], v[44:45], v[34:35]
	v_cmp_neq_f32_e64 s[48:49], s52, v19
	v_pk_add_f32 v[38:39], v[36:37], v[36:37] op_sel:[0,1] op_sel_hi:[1,0]
	s_nop 0
	v_pk_add_f32 v[28:29], v[28:29], v[38:39] op_sel:[1,0] op_sel_hi:[0,1]
	v_mov_b32_e32 v37, v28
	v_pk_add_f32 v[40:41], v[36:37], v[42:43] neg_lo:[0,1] neg_hi:[0,1]
	v_mov_b32_e32 v35, v38
	v_sub_f32_e32 v27, v36, v40
	v_pk_add_f32 v[34:35], v[34:35], v[40:41] neg_lo:[0,1] neg_hi:[0,1]
	v_sub_f32_e32 v27, v42, v27
	v_add_f32_e32 v27, v34, v27
	v_add_f32_e32 v27, v27, v35
	;; [unrolled: 1-line block ×3, first 2 shown]
	v_cndmask_b32_e64 v27, v30, v27, s[48:49]
	s_mov_b32 s48, 0x33800000
	v_cmp_lt_f32_e64 s[48:49], |v19|, s48
	s_nop 1
	v_cndmask_b32_e64 v19, v27, v19, s[48:49]
	v_add_f32_e32 v35, v18, v19
.LBB162_46:
	s_or_b64 exec, exec, s[50:51]
	v_max_f32_e32 v18, v35, v35
	v_max_f32_e32 v27, v8, v8
	v_min_f32_e32 v19, v18, v27
	v_cmp_u_f32_e64 s[50:51], v35, v35
	v_max_f32_e32 v18, v18, v27
	v_cmp_u_f32_e64 s[48:49], v8, v8
	v_cndmask_b32_e64 v19, v19, v35, s[50:51]
	v_cndmask_b32_e64 v18, v18, v35, s[50:51]
	;; [unrolled: 1-line block ×4, first 2 shown]
	v_cmp_neq_f32_e64 s[50:51], v19, v18
	v_cmp_class_f32_e64 s[52:53], v19, s33
	s_or_b64 s[50:51], s[50:51], s[52:53]
	s_and_saveexec_b64 s[52:53], s[50:51]
	s_cbranch_execz .LBB162_48
; %bb.47:
	v_sub_f32_e32 v19, v19, v18
	s_mov_b32 s33, 0x3fb8aa3b
	v_mul_f32_e32 v28, 0x3fb8aa3b, v19
	v_fma_f32 v29, v19, s33, -v28
	v_rndne_f32_e32 v30, v28
	v_fmamk_f32 v29, v19, 0x32a5705f, v29
	v_sub_f32_e32 v28, v28, v30
	v_add_f32_e32 v28, v28, v29
	v_exp_f32_e32 v28, v28
	v_cvt_i32_f32_e32 v29, v30
	s_mov_b32 s33, 0xc2ce8ed0
	v_cmp_ngt_f32_e64 s[50:51], s33, v19
	s_mov_b32 s33, 0x42b17218
	v_ldexp_f32 v28, v28, v29
	v_cndmask_b32_e64 v28, 0, v28, s[50:51]
	v_mov_b32_e32 v30, 0x7f800000
	v_cmp_nlt_f32_e64 s[50:51], s33, v19
	s_mov_b32 s33, 0x3f2aaaab
	s_mov_b32 s54, 0x7f800000
	v_cndmask_b32_e64 v19, v30, v28, s[50:51]
	v_add_f32_e32 v34, 1.0, v19
	v_add_f32_e32 v28, -1.0, v34
	v_sub_f32_e32 v29, v28, v34
	v_add_f32_e32 v29, 1.0, v29
	v_sub_f32_e32 v28, v19, v28
	v_add_f32_e32 v35, v28, v29
	v_frexp_mant_f32_e32 v36, v34
	v_cvt_f64_f32_e32 v[28:29], v34
	v_frexp_exp_i32_f64_e32 v28, v[28:29]
	v_cmp_gt_f32_e64 s[50:51], s33, v36
	s_mov_b32 s33, 0x3f317218
	s_nop 0
	v_subbrev_co_u32_e64 v40, s[50:51], 0, v28, s[50:51]
	v_sub_u32_e32 v28, 0, v40
	v_ldexp_f32 v29, v34, v28
	v_add_f32_e32 v34, -1.0, v29
	v_add_f32_e32 v36, 1.0, v29
	v_ldexp_f32 v28, v35, v28
	v_add_f32_e32 v35, 1.0, v34
	v_add_f32_e32 v37, -1.0, v36
	v_sub_f32_e32 v35, v29, v35
	v_sub_f32_e32 v29, v29, v37
	v_add_f32_e32 v35, v28, v35
	v_add_f32_e32 v28, v28, v29
	;; [unrolled: 1-line block ×3, first 2 shown]
	v_rcp_f32_e32 v43, v41
	v_sub_f32_e32 v29, v36, v41
	v_add_f32_e32 v42, v28, v29
	v_add_f32_e32 v29, v34, v35
	v_mul_f32_e32 v45, v29, v43
	v_sub_f32_e32 v28, v34, v29
	v_mul_f32_e32 v34, v41, v45
	v_fma_f32 v36, v45, v41, -v34
	v_fmac_f32_e32 v36, v45, v42
	v_add_f32_e32 v44, v35, v28
	v_add_f32_e32 v28, v34, v36
	v_sub_f32_e32 v35, v29, v28
	v_pk_add_f32 v[38:39], v[28:29], v[34:35] neg_lo:[0,1] neg_hi:[0,1]
	v_mov_b32_e32 v37, v28
	v_pk_add_f32 v[28:29], v[38:39], v[36:37] neg_lo:[0,1] neg_hi:[0,1]
	v_cmp_neq_f32_e64 s[50:51], s54, v19
	v_add_f32_e32 v29, v44, v29
	v_add_f32_e32 v28, v28, v29
	;; [unrolled: 1-line block ×3, first 2 shown]
	v_mul_f32_e32 v44, v43, v29
	v_mul_f32_e32 v34, v41, v44
	v_fma_f32 v36, v44, v41, -v34
	v_fmac_f32_e32 v36, v44, v42
	v_sub_f32_e32 v35, v35, v29
	v_add_f32_e32 v41, v28, v35
	v_add_f32_e32 v28, v34, v36
	v_sub_f32_e32 v35, v29, v28
	v_pk_add_f32 v[38:39], v[28:29], v[34:35] neg_lo:[0,1] neg_hi:[0,1]
	v_mov_b32_e32 v37, v28
	v_pk_add_f32 v[28:29], v[38:39], v[36:37] neg_lo:[0,1] neg_hi:[0,1]
	v_cvt_f32_i32_e32 v34, v40
	v_add_f32_e32 v29, v41, v29
	v_add_f32_e32 v28, v28, v29
	;; [unrolled: 1-line block ×4, first 2 shown]
	v_sub_f32_e32 v29, v35, v45
	v_mul_f32_e32 v28, v43, v28
	v_sub_f32_e32 v29, v44, v29
	v_add_f32_e32 v28, v29, v28
	v_add_f32_e32 v36, v35, v28
	v_mul_f32_e32 v38, v36, v36
	v_mov_b32_e32 v29, 0x3ecc95a3
	v_sub_f32_e32 v35, v36, v35
	v_fmac_f32_e32 v29, 0x3e9b6dac, v38
	v_sub_f32_e32 v28, v28, v35
	v_fmaak_f32 v29, v38, v29, 0x3f2aaada
	v_ldexp_f32 v39, v28, 1
	v_mul_f32_e32 v35, v36, v38
	v_mov_b32_e32 v28, 0x3f317218
	v_pk_mul_f32 v[28:29], v[34:35], v[28:29]
	v_ldexp_f32 v37, v36, 1
	v_fma_f32 v35, v34, s33, -v28
	v_fmamk_f32 v36, v34, 0xb102e308, v35
	v_pk_add_f32 v[34:35], v[28:29], v[36:37]
	v_mov_b32_e32 v38, v28
	v_sub_f32_e32 v37, v35, v37
	v_sub_f32_e32 v37, v29, v37
	v_add_f32_e32 v39, v39, v37
	v_pk_add_f32 v[28:29], v[34:35], v[28:29] neg_lo:[0,1] neg_hi:[0,1]
	v_pk_add_f32 v[40:41], v[34:35], v[38:39]
	v_mov_b32_e32 v37, v34
	v_mov_b32_e32 v29, v41
	v_pk_add_f32 v[42:43], v[36:37], v[28:29] neg_lo:[0,1] neg_hi:[0,1]
	v_pk_add_f32 v[28:29], v[36:37], v[28:29]
	v_mov_b32_e32 v38, v39
	v_pk_add_f32 v[36:37], v[28:29], v[34:35] op_sel:[1,0] op_sel_hi:[0,1] neg_lo:[0,1] neg_hi:[0,1]
	v_pk_add_f32 v[44:45], v[40:41], v[36:37] op_sel_hi:[1,0] neg_lo:[0,1] neg_hi:[0,1]
	v_mov_b32_e32 v40, v41
	v_mov_b32_e32 v41, v29
	v_pk_mov_b32 v[36:37], v[34:35], v[36:37] op_sel:[1,0]
	v_mov_b32_e32 v39, v34
	v_pk_add_f32 v[36:37], v[40:41], v[36:37] neg_lo:[0,1] neg_hi:[0,1]
	v_mov_b32_e32 v44, v42
	v_pk_add_f32 v[34:35], v[38:39], v[36:37] neg_lo:[0,1] neg_hi:[0,1]
	v_mov_b32_e32 v43, v29
	v_pk_add_f32 v[36:37], v[44:45], v[34:35]
	s_mov_b32 s33, 0x33800000
	v_pk_add_f32 v[38:39], v[36:37], v[36:37] op_sel:[0,1] op_sel_hi:[1,0]
	s_nop 0
	v_pk_add_f32 v[28:29], v[28:29], v[38:39] op_sel:[1,0] op_sel_hi:[0,1]
	v_mov_b32_e32 v37, v28
	v_pk_add_f32 v[40:41], v[36:37], v[42:43] neg_lo:[0,1] neg_hi:[0,1]
	v_mov_b32_e32 v35, v38
	v_sub_f32_e32 v29, v36, v40
	v_pk_add_f32 v[34:35], v[34:35], v[40:41] neg_lo:[0,1] neg_hi:[0,1]
	v_sub_f32_e32 v29, v42, v29
	v_add_f32_e32 v29, v34, v29
	v_add_f32_e32 v29, v29, v35
	;; [unrolled: 1-line block ×3, first 2 shown]
	v_cndmask_b32_e64 v28, v30, v28, s[50:51]
	v_cmp_lt_f32_e64 s[50:51], |v19|, s33
	s_nop 1
	v_cndmask_b32_e64 v19, v28, v19, s[50:51]
	v_add_f32_e32 v35, v18, v19
.LBB162_48:
	s_or_b64 exec, exec, s[52:53]
	v_max_f32_e32 v18, v35, v35
	v_max_f32_e32 v28, v9, v9
	v_min_f32_e32 v19, v18, v28
	v_cmp_u_f32_e64 s[52:53], v35, v35
	v_max_f32_e32 v18, v18, v28
	v_cmp_u_f32_e64 s[50:51], v9, v9
	v_cndmask_b32_e64 v19, v19, v35, s[52:53]
	v_cndmask_b32_e64 v18, v18, v35, s[52:53]
	;; [unrolled: 1-line block ×4, first 2 shown]
	s_movk_i32 s33, 0x1f8
	v_cmp_neq_f32_e64 s[52:53], v19, v18
	v_cmp_class_f32_e64 s[54:55], v19, s33
	s_or_b64 s[52:53], s[52:53], s[54:55]
	s_and_saveexec_b64 s[54:55], s[52:53]
	s_cbranch_execz .LBB162_50
; %bb.49:
	v_sub_f32_e32 v19, v19, v18
	s_mov_b32 s52, 0x3fb8aa3b
	v_mul_f32_e32 v29, 0x3fb8aa3b, v19
	v_fma_f32 v30, v19, s52, -v29
	v_rndne_f32_e32 v34, v29
	v_fmamk_f32 v30, v19, 0x32a5705f, v30
	v_sub_f32_e32 v29, v29, v34
	v_add_f32_e32 v29, v29, v30
	v_exp_f32_e32 v29, v29
	v_cvt_i32_f32_e32 v30, v34
	s_mov_b32 s52, 0xc2ce8ed0
	v_cmp_ngt_f32_e64 s[52:53], s52, v19
	s_mov_b32 s58, 0x7f800000
	v_ldexp_f32 v29, v29, v30
	v_cndmask_b32_e64 v29, 0, v29, s[52:53]
	s_mov_b32 s52, 0x42b17218
	v_mov_b32_e32 v30, 0x7f800000
	v_cmp_nlt_f32_e64 s[52:53], s52, v19
	s_nop 1
	v_cndmask_b32_e64 v19, v30, v29, s[52:53]
	v_add_f32_e32 v29, 1.0, v19
	v_add_f32_e32 v34, -1.0, v29
	v_sub_f32_e32 v35, v34, v29
	v_add_f32_e32 v35, 1.0, v35
	v_sub_f32_e32 v34, v19, v34
	v_add_f32_e32 v36, v34, v35
	v_frexp_mant_f32_e32 v37, v29
	s_mov_b32 s52, 0x3f2aaaab
	v_cvt_f64_f32_e32 v[34:35], v29
	v_frexp_exp_i32_f64_e32 v34, v[34:35]
	v_cmp_gt_f32_e64 s[52:53], s52, v37
	s_nop 1
	v_subbrev_co_u32_e64 v42, s[52:53], 0, v34, s[52:53]
	v_sub_u32_e32 v34, 0, v42
	v_ldexp_f32 v29, v29, v34
	v_ldexp_f32 v34, v36, v34
	v_add_f32_e32 v36, -1.0, v29
	v_add_f32_e32 v35, 1.0, v36
	v_sub_f32_e32 v35, v29, v35
	v_add_f32_e32 v37, v34, v35
	v_add_f32_e32 v35, 1.0, v29
	v_add_f32_e32 v38, -1.0, v35
	v_sub_f32_e32 v29, v29, v38
	v_add_f32_e32 v29, v34, v29
	v_add_f32_e32 v43, v35, v29
	v_rcp_f32_e32 v44, v43
	v_sub_f32_e32 v34, v35, v43
	v_add_f32_e32 v35, v36, v37
	v_add_f32_e32 v29, v29, v34
	v_mul_f32_e32 v46, v35, v44
	v_sub_f32_e32 v34, v36, v35
	v_mul_f32_e32 v36, v43, v46
	v_fma_f32 v38, v46, v43, -v36
	v_fmac_f32_e32 v38, v46, v29
	v_add_f32_e32 v45, v37, v34
	v_add_f32_e32 v34, v36, v38
	v_sub_f32_e32 v37, v35, v34
	v_pk_add_f32 v[40:41], v[34:35], v[36:37] neg_lo:[0,1] neg_hi:[0,1]
	v_mov_b32_e32 v39, v34
	v_pk_add_f32 v[34:35], v[40:41], v[38:39] neg_lo:[0,1] neg_hi:[0,1]
	s_mov_b32 s52, 0x3f317218
	v_add_f32_e32 v35, v45, v35
	v_add_f32_e32 v34, v34, v35
	;; [unrolled: 1-line block ×3, first 2 shown]
	v_mul_f32_e32 v45, v44, v35
	v_mul_f32_e32 v36, v43, v45
	v_fma_f32 v38, v45, v43, -v36
	v_fmac_f32_e32 v38, v45, v29
	v_sub_f32_e32 v29, v37, v35
	v_add_f32_e32 v29, v34, v29
	v_add_f32_e32 v34, v36, v38
	v_sub_f32_e32 v37, v35, v34
	v_pk_add_f32 v[40:41], v[34:35], v[36:37] neg_lo:[0,1] neg_hi:[0,1]
	v_mov_b32_e32 v39, v34
	v_pk_add_f32 v[34:35], v[40:41], v[38:39] neg_lo:[0,1] neg_hi:[0,1]
	v_cvt_f32_i32_e32 v36, v42
	v_add_f32_e32 v29, v29, v35
	v_add_f32_e32 v29, v34, v29
	;; [unrolled: 1-line block ×4, first 2 shown]
	v_sub_f32_e32 v35, v34, v46
	v_mul_f32_e32 v29, v44, v29
	v_sub_f32_e32 v35, v45, v35
	v_add_f32_e32 v29, v35, v29
	v_add_f32_e32 v37, v34, v29
	v_mul_f32_e32 v38, v37, v37
	v_mov_b32_e32 v35, 0x3ecc95a3
	v_fmac_f32_e32 v35, 0x3e9b6dac, v38
	v_sub_f32_e32 v34, v37, v34
	v_fmaak_f32 v35, v38, v35, 0x3f2aaada
	v_sub_f32_e32 v29, v29, v34
	v_ldexp_f32 v39, v37, 1
	v_mul_f32_e32 v37, v37, v38
	v_mov_b32_e32 v34, 0x3f317218
	v_pk_mul_f32 v[34:35], v[36:37], v[34:35]
	v_ldexp_f32 v29, v29, 1
	v_fma_f32 v37, v36, s52, -v34
	v_fmamk_f32 v38, v36, 0xb102e308, v37
	v_pk_add_f32 v[36:37], v[34:35], v[38:39]
	v_mov_b32_e32 v40, v34
	v_sub_f32_e32 v39, v37, v39
	v_sub_f32_e32 v39, v35, v39
	v_add_f32_e32 v41, v29, v39
	v_pk_add_f32 v[34:35], v[36:37], v[34:35] neg_lo:[0,1] neg_hi:[0,1]
	v_pk_add_f32 v[42:43], v[36:37], v[40:41]
	v_mov_b32_e32 v39, v36
	v_mov_b32_e32 v35, v43
	v_pk_add_f32 v[44:45], v[38:39], v[34:35] neg_lo:[0,1] neg_hi:[0,1]
	v_pk_add_f32 v[34:35], v[38:39], v[34:35]
	v_mov_b32_e32 v40, v41
	v_pk_add_f32 v[38:39], v[34:35], v[36:37] op_sel:[1,0] op_sel_hi:[0,1] neg_lo:[0,1] neg_hi:[0,1]
	v_pk_add_f32 v[46:47], v[42:43], v[38:39] op_sel_hi:[1,0] neg_lo:[0,1] neg_hi:[0,1]
	v_mov_b32_e32 v42, v43
	v_mov_b32_e32 v43, v35
	v_pk_mov_b32 v[38:39], v[36:37], v[38:39] op_sel:[1,0]
	v_mov_b32_e32 v41, v36
	v_pk_add_f32 v[38:39], v[42:43], v[38:39] neg_lo:[0,1] neg_hi:[0,1]
	v_mov_b32_e32 v46, v44
	v_pk_add_f32 v[36:37], v[40:41], v[38:39] neg_lo:[0,1] neg_hi:[0,1]
	v_mov_b32_e32 v45, v35
	v_pk_add_f32 v[38:39], v[46:47], v[36:37]
	v_cmp_neq_f32_e64 s[52:53], s58, v19
	v_pk_add_f32 v[40:41], v[38:39], v[38:39] op_sel:[0,1] op_sel_hi:[1,0]
	s_nop 0
	v_pk_add_f32 v[34:35], v[34:35], v[40:41] op_sel:[1,0] op_sel_hi:[0,1]
	v_mov_b32_e32 v39, v34
	v_pk_add_f32 v[42:43], v[38:39], v[44:45] neg_lo:[0,1] neg_hi:[0,1]
	v_mov_b32_e32 v37, v40
	v_sub_f32_e32 v29, v38, v42
	v_pk_add_f32 v[36:37], v[36:37], v[42:43] neg_lo:[0,1] neg_hi:[0,1]
	v_sub_f32_e32 v29, v44, v29
	v_add_f32_e32 v29, v36, v29
	v_add_f32_e32 v29, v29, v37
	;; [unrolled: 1-line block ×3, first 2 shown]
	v_cndmask_b32_e64 v29, v30, v29, s[52:53]
	s_mov_b32 s52, 0x33800000
	v_cmp_lt_f32_e64 s[52:53], |v19|, s52
	s_nop 1
	v_cndmask_b32_e64 v19, v29, v19, s[52:53]
	v_add_f32_e32 v35, v18, v19
.LBB162_50:
	s_or_b64 exec, exec, s[54:55]
	v_max_f32_e32 v18, v35, v35
	v_max_f32_e32 v29, v16, v16
	v_min_f32_e32 v19, v18, v29
	v_cmp_u_f32_e64 s[54:55], v35, v35
	v_max_f32_e32 v18, v18, v29
	v_cmp_u_f32_e64 s[52:53], v16, v16
	v_cndmask_b32_e64 v19, v19, v35, s[54:55]
	v_cndmask_b32_e64 v18, v18, v35, s[54:55]
	;; [unrolled: 1-line block ×4, first 2 shown]
	v_cmp_neq_f32_e64 s[54:55], v19, v18
	v_cmp_class_f32_e64 s[58:59], v19, s33
	s_or_b64 s[54:55], s[54:55], s[58:59]
	s_and_saveexec_b64 s[58:59], s[54:55]
	s_cbranch_execz .LBB162_52
; %bb.51:
	v_sub_f32_e32 v19, v19, v18
	s_mov_b32 s33, 0x3fb8aa3b
	v_mul_f32_e32 v30, 0x3fb8aa3b, v19
	v_fma_f32 v34, v19, s33, -v30
	v_rndne_f32_e32 v35, v30
	v_fmamk_f32 v34, v19, 0x32a5705f, v34
	v_sub_f32_e32 v30, v30, v35
	v_add_f32_e32 v30, v30, v34
	v_exp_f32_e32 v30, v30
	v_cvt_i32_f32_e32 v34, v35
	s_mov_b32 s33, 0xc2ce8ed0
	v_cmp_ngt_f32_e64 s[54:55], s33, v19
	s_mov_b32 s33, 0x42b17218
	v_ldexp_f32 v30, v30, v34
	v_cndmask_b32_e64 v30, 0, v30, s[54:55]
	v_mov_b32_e32 v48, 0x7f800000
	v_cmp_nlt_f32_e64 s[54:55], s33, v19
	s_mov_b32 s33, 0x3f2aaaab
	s_mov_b32 s60, 0x7f800000
	v_cndmask_b32_e64 v19, v48, v30, s[54:55]
	v_add_f32_e32 v30, 1.0, v19
	v_add_f32_e32 v34, -1.0, v30
	v_sub_f32_e32 v35, v34, v30
	v_add_f32_e32 v35, 1.0, v35
	v_sub_f32_e32 v34, v19, v34
	v_add_f32_e32 v36, v34, v35
	v_frexp_mant_f32_e32 v37, v30
	v_cvt_f64_f32_e32 v[34:35], v30
	v_frexp_exp_i32_f64_e32 v34, v[34:35]
	v_cmp_gt_f32_e64 s[54:55], s33, v37
	s_mov_b32 s33, 0x3f317218
	s_nop 0
	v_subbrev_co_u32_e64 v42, s[54:55], 0, v34, s[54:55]
	v_sub_u32_e32 v34, 0, v42
	v_ldexp_f32 v30, v30, v34
	v_ldexp_f32 v34, v36, v34
	v_add_f32_e32 v36, -1.0, v30
	v_add_f32_e32 v35, 1.0, v36
	v_sub_f32_e32 v35, v30, v35
	v_add_f32_e32 v37, v34, v35
	v_add_f32_e32 v35, 1.0, v30
	v_add_f32_e32 v38, -1.0, v35
	v_sub_f32_e32 v30, v30, v38
	v_add_f32_e32 v30, v34, v30
	v_add_f32_e32 v43, v35, v30
	v_rcp_f32_e32 v44, v43
	v_sub_f32_e32 v34, v35, v43
	v_add_f32_e32 v35, v36, v37
	v_add_f32_e32 v30, v30, v34
	v_mul_f32_e32 v46, v35, v44
	v_sub_f32_e32 v34, v36, v35
	v_mul_f32_e32 v36, v43, v46
	v_fma_f32 v38, v46, v43, -v36
	v_fmac_f32_e32 v38, v46, v30
	v_add_f32_e32 v45, v37, v34
	v_add_f32_e32 v34, v36, v38
	v_sub_f32_e32 v37, v35, v34
	v_pk_add_f32 v[40:41], v[34:35], v[36:37] neg_lo:[0,1] neg_hi:[0,1]
	v_mov_b32_e32 v39, v34
	v_pk_add_f32 v[34:35], v[40:41], v[38:39] neg_lo:[0,1] neg_hi:[0,1]
	v_cmp_neq_f32_e64 s[54:55], s60, v19
	v_add_f32_e32 v35, v45, v35
	v_add_f32_e32 v34, v34, v35
	;; [unrolled: 1-line block ×3, first 2 shown]
	v_mul_f32_e32 v45, v44, v35
	v_mul_f32_e32 v36, v43, v45
	v_fma_f32 v38, v45, v43, -v36
	v_fmac_f32_e32 v38, v45, v30
	v_sub_f32_e32 v30, v37, v35
	v_add_f32_e32 v30, v34, v30
	v_add_f32_e32 v34, v36, v38
	v_sub_f32_e32 v37, v35, v34
	v_pk_add_f32 v[40:41], v[34:35], v[36:37] neg_lo:[0,1] neg_hi:[0,1]
	v_mov_b32_e32 v39, v34
	v_pk_add_f32 v[34:35], v[40:41], v[38:39] neg_lo:[0,1] neg_hi:[0,1]
	v_cvt_f32_i32_e32 v36, v42
	v_add_f32_e32 v30, v30, v35
	v_add_f32_e32 v30, v34, v30
	;; [unrolled: 1-line block ×4, first 2 shown]
	v_sub_f32_e32 v35, v34, v46
	v_mul_f32_e32 v30, v44, v30
	v_sub_f32_e32 v35, v45, v35
	v_add_f32_e32 v30, v35, v30
	v_add_f32_e32 v37, v34, v30
	v_mul_f32_e32 v38, v37, v37
	v_mov_b32_e32 v35, 0x3ecc95a3
	v_fmac_f32_e32 v35, 0x3e9b6dac, v38
	v_sub_f32_e32 v34, v37, v34
	v_fmaak_f32 v35, v38, v35, 0x3f2aaada
	v_sub_f32_e32 v30, v30, v34
	v_ldexp_f32 v39, v37, 1
	v_mul_f32_e32 v37, v37, v38
	v_mov_b32_e32 v34, 0x3f317218
	v_pk_mul_f32 v[34:35], v[36:37], v[34:35]
	v_ldexp_f32 v30, v30, 1
	v_fma_f32 v37, v36, s33, -v34
	v_fmamk_f32 v38, v36, 0xb102e308, v37
	v_pk_add_f32 v[36:37], v[34:35], v[38:39]
	v_mov_b32_e32 v40, v34
	v_sub_f32_e32 v39, v37, v39
	v_sub_f32_e32 v39, v35, v39
	v_add_f32_e32 v41, v30, v39
	v_pk_add_f32 v[34:35], v[36:37], v[34:35] neg_lo:[0,1] neg_hi:[0,1]
	v_pk_add_f32 v[42:43], v[36:37], v[40:41]
	v_mov_b32_e32 v39, v36
	v_mov_b32_e32 v35, v43
	v_pk_add_f32 v[44:45], v[38:39], v[34:35] neg_lo:[0,1] neg_hi:[0,1]
	v_pk_add_f32 v[34:35], v[38:39], v[34:35]
	v_mov_b32_e32 v40, v41
	v_pk_add_f32 v[38:39], v[34:35], v[36:37] op_sel:[1,0] op_sel_hi:[0,1] neg_lo:[0,1] neg_hi:[0,1]
	v_pk_add_f32 v[46:47], v[42:43], v[38:39] op_sel_hi:[1,0] neg_lo:[0,1] neg_hi:[0,1]
	v_mov_b32_e32 v42, v43
	v_mov_b32_e32 v43, v35
	v_pk_mov_b32 v[38:39], v[36:37], v[38:39] op_sel:[1,0]
	v_mov_b32_e32 v41, v36
	v_pk_add_f32 v[38:39], v[42:43], v[38:39] neg_lo:[0,1] neg_hi:[0,1]
	v_mov_b32_e32 v46, v44
	v_pk_add_f32 v[36:37], v[40:41], v[38:39] neg_lo:[0,1] neg_hi:[0,1]
	v_mov_b32_e32 v45, v35
	v_pk_add_f32 v[38:39], v[46:47], v[36:37]
	s_mov_b32 s33, 0x33800000
	v_pk_add_f32 v[40:41], v[38:39], v[38:39] op_sel:[0,1] op_sel_hi:[1,0]
	s_nop 0
	v_pk_add_f32 v[34:35], v[34:35], v[40:41] op_sel:[1,0] op_sel_hi:[0,1]
	v_mov_b32_e32 v39, v34
	v_pk_add_f32 v[42:43], v[38:39], v[44:45] neg_lo:[0,1] neg_hi:[0,1]
	v_mov_b32_e32 v37, v40
	v_sub_f32_e32 v30, v38, v42
	v_pk_add_f32 v[36:37], v[36:37], v[42:43] neg_lo:[0,1] neg_hi:[0,1]
	v_sub_f32_e32 v30, v44, v30
	v_add_f32_e32 v30, v36, v30
	v_add_f32_e32 v30, v30, v37
	;; [unrolled: 1-line block ×3, first 2 shown]
	v_cndmask_b32_e64 v30, v48, v30, s[54:55]
	v_cmp_lt_f32_e64 s[54:55], |v19|, s33
	s_nop 1
	v_cndmask_b32_e64 v19, v30, v19, s[54:55]
	v_add_f32_e32 v35, v18, v19
.LBB162_52:
	s_or_b64 exec, exec, s[58:59]
	v_max_f32_e32 v18, v35, v35
	v_max_f32_e32 v30, v17, v17
	v_min_f32_e32 v19, v18, v30
	v_cmp_u_f32_e64 s[58:59], v35, v35
	v_max_f32_e32 v18, v18, v30
	v_cmp_u_f32_e64 s[54:55], v17, v17
	v_cndmask_b32_e64 v19, v19, v35, s[58:59]
	v_cndmask_b32_e64 v18, v18, v35, s[58:59]
	;; [unrolled: 1-line block ×4, first 2 shown]
	s_movk_i32 s33, 0x1f8
	v_cmp_neq_f32_e64 s[58:59], v19, v18
	v_cmp_class_f32_e64 s[60:61], v19, s33
	s_or_b64 s[58:59], s[58:59], s[60:61]
	s_and_saveexec_b64 s[60:61], s[58:59]
	s_cbranch_execz .LBB162_54
; %bb.53:
	v_sub_f32_e32 v19, v19, v18
	s_mov_b32 s33, 0x3fb8aa3b
	v_mul_f32_e32 v34, 0x3fb8aa3b, v19
	v_fma_f32 v35, v19, s33, -v34
	v_rndne_f32_e32 v36, v34
	v_fmamk_f32 v35, v19, 0x32a5705f, v35
	v_sub_f32_e32 v34, v34, v36
	v_add_f32_e32 v34, v34, v35
	v_exp_f32_e32 v34, v34
	v_cvt_i32_f32_e32 v35, v36
	s_mov_b32 s33, 0xc2ce8ed0
	v_cmp_ngt_f32_e64 s[58:59], s33, v19
	s_mov_b32 s33, 0x42b17218
	v_ldexp_f32 v34, v34, v35
	v_cndmask_b32_e64 v34, 0, v34, s[58:59]
	v_mov_b32_e32 v48, 0x7f800000
	v_cmp_nlt_f32_e64 s[58:59], s33, v19
	s_mov_b32 s33, 0x3f2aaaab
	s_mov_b32 s62, 0x7f800000
	v_cndmask_b32_e64 v19, v48, v34, s[58:59]
	v_add_f32_e32 v36, 1.0, v19
	v_add_f32_e32 v34, -1.0, v36
	v_sub_f32_e32 v35, v34, v36
	v_add_f32_e32 v35, 1.0, v35
	v_sub_f32_e32 v34, v19, v34
	v_add_f32_e32 v37, v34, v35
	v_frexp_mant_f32_e32 v38, v36
	v_cvt_f64_f32_e32 v[34:35], v36
	v_frexp_exp_i32_f64_e32 v34, v[34:35]
	v_cmp_gt_f32_e64 s[58:59], s33, v38
	s_mov_b32 s33, 0x3f317218
	s_nop 0
	v_subbrev_co_u32_e64 v42, s[58:59], 0, v34, s[58:59]
	v_sub_u32_e32 v34, 0, v42
	v_ldexp_f32 v35, v36, v34
	v_add_f32_e32 v36, -1.0, v35
	v_add_f32_e32 v38, 1.0, v35
	v_ldexp_f32 v34, v37, v34
	v_add_f32_e32 v37, 1.0, v36
	v_add_f32_e32 v39, -1.0, v38
	v_sub_f32_e32 v37, v35, v37
	v_sub_f32_e32 v35, v35, v39
	v_add_f32_e32 v37, v34, v37
	v_add_f32_e32 v34, v34, v35
	v_add_f32_e32 v43, v38, v34
	v_rcp_f32_e32 v45, v43
	v_sub_f32_e32 v35, v38, v43
	v_add_f32_e32 v44, v34, v35
	v_add_f32_e32 v35, v36, v37
	v_mul_f32_e32 v47, v35, v45
	v_sub_f32_e32 v34, v36, v35
	v_mul_f32_e32 v36, v43, v47
	v_fma_f32 v38, v47, v43, -v36
	v_fmac_f32_e32 v38, v47, v44
	v_add_f32_e32 v46, v37, v34
	v_add_f32_e32 v34, v36, v38
	v_sub_f32_e32 v37, v35, v34
	v_pk_add_f32 v[40:41], v[34:35], v[36:37] neg_lo:[0,1] neg_hi:[0,1]
	v_mov_b32_e32 v39, v34
	v_pk_add_f32 v[34:35], v[40:41], v[38:39] neg_lo:[0,1] neg_hi:[0,1]
	v_cmp_neq_f32_e64 s[58:59], s62, v19
	v_add_f32_e32 v35, v46, v35
	v_add_f32_e32 v34, v34, v35
	;; [unrolled: 1-line block ×3, first 2 shown]
	v_mul_f32_e32 v46, v45, v35
	v_mul_f32_e32 v36, v43, v46
	v_fma_f32 v38, v46, v43, -v36
	v_fmac_f32_e32 v38, v46, v44
	v_sub_f32_e32 v37, v37, v35
	v_add_f32_e32 v43, v34, v37
	v_add_f32_e32 v34, v36, v38
	v_sub_f32_e32 v37, v35, v34
	v_pk_add_f32 v[40:41], v[34:35], v[36:37] neg_lo:[0,1] neg_hi:[0,1]
	v_mov_b32_e32 v39, v34
	v_pk_add_f32 v[34:35], v[40:41], v[38:39] neg_lo:[0,1] neg_hi:[0,1]
	v_cvt_f32_i32_e32 v36, v42
	v_add_f32_e32 v35, v43, v35
	v_add_f32_e32 v34, v34, v35
	;; [unrolled: 1-line block ×4, first 2 shown]
	v_sub_f32_e32 v35, v37, v47
	v_mul_f32_e32 v34, v45, v34
	v_sub_f32_e32 v35, v46, v35
	v_add_f32_e32 v34, v35, v34
	v_add_f32_e32 v38, v37, v34
	v_mul_f32_e32 v40, v38, v38
	v_mov_b32_e32 v35, 0x3ecc95a3
	v_sub_f32_e32 v37, v38, v37
	v_fmac_f32_e32 v35, 0x3e9b6dac, v40
	v_sub_f32_e32 v34, v34, v37
	v_fmaak_f32 v35, v40, v35, 0x3f2aaada
	v_ldexp_f32 v41, v34, 1
	v_mul_f32_e32 v37, v38, v40
	v_mov_b32_e32 v34, 0x3f317218
	v_pk_mul_f32 v[34:35], v[36:37], v[34:35]
	v_ldexp_f32 v39, v38, 1
	v_fma_f32 v37, v36, s33, -v34
	v_fmamk_f32 v38, v36, 0xb102e308, v37
	v_pk_add_f32 v[36:37], v[34:35], v[38:39]
	v_mov_b32_e32 v40, v34
	v_sub_f32_e32 v39, v37, v39
	v_sub_f32_e32 v39, v35, v39
	v_add_f32_e32 v41, v41, v39
	v_pk_add_f32 v[34:35], v[36:37], v[34:35] neg_lo:[0,1] neg_hi:[0,1]
	v_pk_add_f32 v[42:43], v[36:37], v[40:41]
	v_mov_b32_e32 v39, v36
	v_mov_b32_e32 v35, v43
	v_pk_add_f32 v[44:45], v[38:39], v[34:35] neg_lo:[0,1] neg_hi:[0,1]
	v_pk_add_f32 v[34:35], v[38:39], v[34:35]
	v_mov_b32_e32 v40, v41
	v_pk_add_f32 v[38:39], v[34:35], v[36:37] op_sel:[1,0] op_sel_hi:[0,1] neg_lo:[0,1] neg_hi:[0,1]
	v_pk_add_f32 v[46:47], v[42:43], v[38:39] op_sel_hi:[1,0] neg_lo:[0,1] neg_hi:[0,1]
	v_mov_b32_e32 v42, v43
	v_mov_b32_e32 v43, v35
	v_pk_mov_b32 v[38:39], v[36:37], v[38:39] op_sel:[1,0]
	v_mov_b32_e32 v41, v36
	v_pk_add_f32 v[38:39], v[42:43], v[38:39] neg_lo:[0,1] neg_hi:[0,1]
	v_mov_b32_e32 v46, v44
	v_pk_add_f32 v[36:37], v[40:41], v[38:39] neg_lo:[0,1] neg_hi:[0,1]
	v_mov_b32_e32 v45, v35
	v_pk_add_f32 v[38:39], v[46:47], v[36:37]
	s_mov_b32 s33, 0x33800000
	v_pk_add_f32 v[40:41], v[38:39], v[38:39] op_sel:[0,1] op_sel_hi:[1,0]
	s_nop 0
	v_pk_add_f32 v[34:35], v[34:35], v[40:41] op_sel:[1,0] op_sel_hi:[0,1]
	v_mov_b32_e32 v39, v34
	v_pk_add_f32 v[42:43], v[38:39], v[44:45] neg_lo:[0,1] neg_hi:[0,1]
	v_mov_b32_e32 v37, v40
	v_sub_f32_e32 v35, v38, v42
	v_pk_add_f32 v[36:37], v[36:37], v[42:43] neg_lo:[0,1] neg_hi:[0,1]
	v_sub_f32_e32 v35, v44, v35
	v_add_f32_e32 v35, v36, v35
	v_add_f32_e32 v35, v35, v37
	;; [unrolled: 1-line block ×3, first 2 shown]
	v_cndmask_b32_e64 v34, v48, v34, s[58:59]
	v_cmp_lt_f32_e64 s[58:59], |v19|, s33
	s_nop 1
	v_cndmask_b32_e64 v19, v34, v19, s[58:59]
	v_add_f32_e32 v35, v18, v19
.LBB162_54:
	s_or_b64 exec, exec, s[60:61]
	v_lshrrev_b32_e32 v18, 3, v0
	v_and_b32_e32 v18, 28, v18
	v_lshl_add_u32 v18, v0, 2, v18
	v_cmp_gt_u32_e64 s[58:59], 64, v0
	ds_write_b32 v18, v35
	s_waitcnt lgkmcnt(0)
	s_barrier
	s_and_saveexec_b64 s[64:65], s[58:59]
	s_cbranch_execz .LBB162_94
; %bb.55:
	v_lshrrev_b32_e32 v18, 1, v0
	v_and_b32_e32 v18, 0x7c, v18
	v_lshlrev_b32_e32 v19, 4, v0
	v_add_u32_e32 v34, v18, v19
	ds_read2_b32 v[18:19], v34 offset1:1
	s_movk_i32 s33, 0x1f8
	s_waitcnt lgkmcnt(0)
	v_max_f32_e32 v38, v19, v19
	v_max_f32_e32 v36, v18, v18
	v_min_f32_e32 v37, v36, v38
	v_cmp_u_f32_e64 s[58:59], v18, v18
	v_max_f32_e32 v38, v36, v38
	v_cmp_u_f32_e64 s[60:61], v19, v19
	v_cndmask_b32_e64 v37, v37, v18, s[58:59]
	v_cndmask_b32_e64 v38, v38, v18, s[58:59]
	;; [unrolled: 1-line block ×4, first 2 shown]
	v_cmp_neq_f32_e64 s[60:61], v37, v19
	v_cmp_class_f32_e64 s[62:63], v37, s33
	s_or_b64 s[60:61], s[60:61], s[62:63]
	v_mov_b32_e32 v38, v18
	s_and_saveexec_b64 s[62:63], s[60:61]
	s_cbranch_execz .LBB162_57
; %bb.56:
	v_sub_f32_e32 v37, v37, v19
	s_mov_b32 s60, 0x3fb8aa3b
	v_mul_f32_e32 v38, 0x3fb8aa3b, v37
	v_fma_f32 v39, v37, s60, -v38
	v_rndne_f32_e32 v40, v38
	v_fmamk_f32 v39, v37, 0x32a5705f, v39
	v_sub_f32_e32 v38, v38, v40
	v_add_f32_e32 v38, v38, v39
	v_exp_f32_e32 v38, v38
	v_cvt_i32_f32_e32 v39, v40
	s_mov_b32 s60, 0xc2ce8ed0
	v_cmp_ngt_f32_e64 s[60:61], s60, v37
	v_mov_b32_e32 v52, 0x7f800000
	v_ldexp_f32 v38, v38, v39
	v_cndmask_b32_e64 v38, 0, v38, s[60:61]
	s_mov_b32 s60, 0x42b17218
	v_cmp_nlt_f32_e64 s[60:61], s60, v37
	s_mov_b32 s66, 0x7f800000
	s_nop 0
	v_cndmask_b32_e64 v37, v52, v38, s[60:61]
	v_add_f32_e32 v40, 1.0, v37
	v_add_f32_e32 v38, -1.0, v40
	v_sub_f32_e32 v39, v38, v40
	v_add_f32_e32 v39, 1.0, v39
	v_sub_f32_e32 v38, v37, v38
	v_add_f32_e32 v41, v38, v39
	v_frexp_mant_f32_e32 v42, v40
	s_mov_b32 s60, 0x3f2aaaab
	v_cvt_f64_f32_e32 v[38:39], v40
	v_frexp_exp_i32_f64_e32 v38, v[38:39]
	v_cmp_gt_f32_e64 s[60:61], s60, v42
	s_nop 1
	v_subbrev_co_u32_e64 v46, s[60:61], 0, v38, s[60:61]
	v_sub_u32_e32 v38, 0, v46
	v_ldexp_f32 v39, v40, v38
	v_add_f32_e32 v40, -1.0, v39
	v_add_f32_e32 v42, 1.0, v39
	v_ldexp_f32 v38, v41, v38
	v_add_f32_e32 v41, 1.0, v40
	v_add_f32_e32 v43, -1.0, v42
	v_sub_f32_e32 v41, v39, v41
	v_sub_f32_e32 v39, v39, v43
	v_add_f32_e32 v41, v38, v41
	v_add_f32_e32 v38, v38, v39
	;; [unrolled: 1-line block ×3, first 2 shown]
	v_rcp_f32_e32 v49, v47
	v_sub_f32_e32 v39, v42, v47
	v_add_f32_e32 v48, v38, v39
	v_add_f32_e32 v39, v40, v41
	v_mul_f32_e32 v51, v39, v49
	v_sub_f32_e32 v38, v40, v39
	v_mul_f32_e32 v40, v47, v51
	v_fma_f32 v42, v51, v47, -v40
	v_fmac_f32_e32 v42, v51, v48
	v_add_f32_e32 v50, v41, v38
	v_add_f32_e32 v38, v40, v42
	v_sub_f32_e32 v41, v39, v38
	v_pk_add_f32 v[44:45], v[38:39], v[40:41] neg_lo:[0,1] neg_hi:[0,1]
	v_mov_b32_e32 v43, v38
	v_pk_add_f32 v[38:39], v[44:45], v[42:43] neg_lo:[0,1] neg_hi:[0,1]
	s_mov_b32 s60, 0x3f317218
	v_add_f32_e32 v39, v50, v39
	v_add_f32_e32 v38, v38, v39
	;; [unrolled: 1-line block ×3, first 2 shown]
	v_mul_f32_e32 v50, v49, v39
	v_mul_f32_e32 v40, v47, v50
	v_fma_f32 v42, v50, v47, -v40
	v_fmac_f32_e32 v42, v50, v48
	v_sub_f32_e32 v41, v41, v39
	v_add_f32_e32 v47, v38, v41
	v_add_f32_e32 v38, v40, v42
	v_sub_f32_e32 v41, v39, v38
	v_pk_add_f32 v[44:45], v[38:39], v[40:41] neg_lo:[0,1] neg_hi:[0,1]
	v_mov_b32_e32 v43, v38
	v_pk_add_f32 v[38:39], v[44:45], v[42:43] neg_lo:[0,1] neg_hi:[0,1]
	v_cvt_f32_i32_e32 v40, v46
	v_add_f32_e32 v39, v47, v39
	v_add_f32_e32 v38, v38, v39
	;; [unrolled: 1-line block ×4, first 2 shown]
	v_sub_f32_e32 v39, v41, v51
	v_mul_f32_e32 v38, v49, v38
	v_sub_f32_e32 v39, v50, v39
	v_add_f32_e32 v38, v39, v38
	v_add_f32_e32 v42, v41, v38
	v_mul_f32_e32 v44, v42, v42
	v_mov_b32_e32 v39, 0x3ecc95a3
	v_sub_f32_e32 v41, v42, v41
	v_fmac_f32_e32 v39, 0x3e9b6dac, v44
	v_sub_f32_e32 v38, v38, v41
	v_fmaak_f32 v39, v44, v39, 0x3f2aaada
	v_ldexp_f32 v45, v38, 1
	v_mul_f32_e32 v41, v42, v44
	v_mov_b32_e32 v38, 0x3f317218
	v_pk_mul_f32 v[38:39], v[40:41], v[38:39]
	v_ldexp_f32 v43, v42, 1
	v_fma_f32 v41, v40, s60, -v38
	v_fmamk_f32 v42, v40, 0xb102e308, v41
	v_pk_add_f32 v[40:41], v[38:39], v[42:43]
	v_mov_b32_e32 v44, v38
	v_sub_f32_e32 v43, v41, v43
	v_sub_f32_e32 v43, v39, v43
	v_add_f32_e32 v45, v45, v43
	v_pk_add_f32 v[38:39], v[40:41], v[38:39] neg_lo:[0,1] neg_hi:[0,1]
	v_pk_add_f32 v[46:47], v[40:41], v[44:45]
	v_mov_b32_e32 v43, v40
	v_mov_b32_e32 v39, v47
	v_pk_add_f32 v[48:49], v[42:43], v[38:39] neg_lo:[0,1] neg_hi:[0,1]
	v_pk_add_f32 v[38:39], v[42:43], v[38:39]
	v_mov_b32_e32 v44, v45
	v_pk_add_f32 v[42:43], v[38:39], v[40:41] op_sel:[1,0] op_sel_hi:[0,1] neg_lo:[0,1] neg_hi:[0,1]
	v_pk_add_f32 v[50:51], v[46:47], v[42:43] op_sel_hi:[1,0] neg_lo:[0,1] neg_hi:[0,1]
	v_mov_b32_e32 v46, v47
	v_mov_b32_e32 v47, v39
	v_pk_mov_b32 v[42:43], v[40:41], v[42:43] op_sel:[1,0]
	v_mov_b32_e32 v45, v40
	v_pk_add_f32 v[42:43], v[46:47], v[42:43] neg_lo:[0,1] neg_hi:[0,1]
	v_mov_b32_e32 v50, v48
	v_pk_add_f32 v[40:41], v[44:45], v[42:43] neg_lo:[0,1] neg_hi:[0,1]
	v_mov_b32_e32 v49, v39
	v_pk_add_f32 v[42:43], v[50:51], v[40:41]
	v_cmp_neq_f32_e64 s[60:61], s66, v37
	v_pk_add_f32 v[44:45], v[42:43], v[42:43] op_sel:[0,1] op_sel_hi:[1,0]
	s_nop 0
	v_pk_add_f32 v[38:39], v[38:39], v[44:45] op_sel:[1,0] op_sel_hi:[0,1]
	v_mov_b32_e32 v43, v38
	v_pk_add_f32 v[46:47], v[42:43], v[48:49] neg_lo:[0,1] neg_hi:[0,1]
	v_mov_b32_e32 v41, v44
	v_sub_f32_e32 v39, v42, v46
	v_pk_add_f32 v[40:41], v[40:41], v[46:47] neg_lo:[0,1] neg_hi:[0,1]
	v_sub_f32_e32 v39, v48, v39
	v_add_f32_e32 v39, v40, v39
	v_add_f32_e32 v39, v39, v41
	v_add_f32_e32 v38, v38, v39
	v_cndmask_b32_e64 v38, v52, v38, s[60:61]
	s_mov_b32 s60, 0x33800000
	v_cmp_lt_f32_e64 s[60:61], |v37|, s60
	s_nop 1
	v_cndmask_b32_e64 v37, v38, v37, s[60:61]
	v_add_f32_e32 v38, v19, v37
.LBB162_57:
	s_or_b64 exec, exec, s[62:63]
	ds_read_b32 v19, v34 offset:8
	v_max_f32_e32 v37, v38, v38
	v_cmp_u_f32_e64 s[60:61], v38, v38
	s_waitcnt lgkmcnt(0)
	v_max_f32_e32 v39, v19, v19
	v_min_f32_e32 v40, v37, v39
	v_max_f32_e32 v39, v37, v39
	v_cndmask_b32_e64 v37, v40, v38, s[60:61]
	v_cmp_u_f32_e64 s[62:63], v19, v19
	v_cndmask_b32_e64 v39, v39, v38, s[60:61]
	s_nop 0
	v_cndmask_b32_e64 v37, v37, v19, s[62:63]
	v_cndmask_b32_e64 v19, v39, v19, s[62:63]
	v_cmp_neq_f32_e64 s[60:61], v37, v19
	v_cmp_class_f32_e64 s[62:63], v37, s33
	s_or_b64 s[60:61], s[60:61], s[62:63]
	s_and_saveexec_b64 s[62:63], s[60:61]
	s_cbranch_execz .LBB162_59
; %bb.58:
	v_sub_f32_e32 v37, v37, v19
	s_mov_b32 s33, 0x3fb8aa3b
	v_mul_f32_e32 v38, 0x3fb8aa3b, v37
	v_fma_f32 v39, v37, s33, -v38
	v_rndne_f32_e32 v40, v38
	v_fmamk_f32 v39, v37, 0x32a5705f, v39
	v_sub_f32_e32 v38, v38, v40
	v_add_f32_e32 v38, v38, v39
	v_exp_f32_e32 v38, v38
	v_cvt_i32_f32_e32 v39, v40
	s_mov_b32 s33, 0xc2ce8ed0
	v_cmp_ngt_f32_e64 s[60:61], s33, v37
	s_mov_b32 s33, 0x42b17218
	v_ldexp_f32 v38, v38, v39
	v_cndmask_b32_e64 v38, 0, v38, s[60:61]
	v_mov_b32_e32 v52, 0x7f800000
	v_cmp_nlt_f32_e64 s[60:61], s33, v37
	s_mov_b32 s33, 0x3f2aaaab
	s_mov_b32 s66, 0x7f800000
	v_cndmask_b32_e64 v37, v52, v38, s[60:61]
	v_add_f32_e32 v40, 1.0, v37
	v_add_f32_e32 v38, -1.0, v40
	v_sub_f32_e32 v39, v38, v40
	v_add_f32_e32 v39, 1.0, v39
	v_sub_f32_e32 v38, v37, v38
	v_add_f32_e32 v41, v38, v39
	v_frexp_mant_f32_e32 v42, v40
	v_cvt_f64_f32_e32 v[38:39], v40
	v_frexp_exp_i32_f64_e32 v38, v[38:39]
	v_cmp_gt_f32_e64 s[60:61], s33, v42
	s_mov_b32 s33, 0x3f317218
	s_nop 0
	v_subbrev_co_u32_e64 v46, s[60:61], 0, v38, s[60:61]
	v_sub_u32_e32 v38, 0, v46
	v_ldexp_f32 v39, v40, v38
	v_add_f32_e32 v40, -1.0, v39
	v_add_f32_e32 v42, 1.0, v39
	v_ldexp_f32 v38, v41, v38
	v_add_f32_e32 v41, 1.0, v40
	v_add_f32_e32 v43, -1.0, v42
	v_sub_f32_e32 v41, v39, v41
	v_sub_f32_e32 v39, v39, v43
	v_add_f32_e32 v41, v38, v41
	v_add_f32_e32 v38, v38, v39
	;; [unrolled: 1-line block ×3, first 2 shown]
	v_rcp_f32_e32 v49, v47
	v_sub_f32_e32 v39, v42, v47
	v_add_f32_e32 v48, v38, v39
	v_add_f32_e32 v39, v40, v41
	v_mul_f32_e32 v51, v39, v49
	v_sub_f32_e32 v38, v40, v39
	v_mul_f32_e32 v40, v47, v51
	v_fma_f32 v42, v51, v47, -v40
	v_fmac_f32_e32 v42, v51, v48
	v_add_f32_e32 v50, v41, v38
	v_add_f32_e32 v38, v40, v42
	v_sub_f32_e32 v41, v39, v38
	v_pk_add_f32 v[44:45], v[38:39], v[40:41] neg_lo:[0,1] neg_hi:[0,1]
	v_mov_b32_e32 v43, v38
	v_pk_add_f32 v[38:39], v[44:45], v[42:43] neg_lo:[0,1] neg_hi:[0,1]
	v_cmp_neq_f32_e64 s[60:61], s66, v37
	v_add_f32_e32 v39, v50, v39
	v_add_f32_e32 v38, v38, v39
	;; [unrolled: 1-line block ×3, first 2 shown]
	v_mul_f32_e32 v50, v49, v39
	v_mul_f32_e32 v40, v47, v50
	v_fma_f32 v42, v50, v47, -v40
	v_fmac_f32_e32 v42, v50, v48
	v_sub_f32_e32 v41, v41, v39
	v_add_f32_e32 v47, v38, v41
	v_add_f32_e32 v38, v40, v42
	v_sub_f32_e32 v41, v39, v38
	v_pk_add_f32 v[44:45], v[38:39], v[40:41] neg_lo:[0,1] neg_hi:[0,1]
	v_mov_b32_e32 v43, v38
	v_pk_add_f32 v[38:39], v[44:45], v[42:43] neg_lo:[0,1] neg_hi:[0,1]
	v_cvt_f32_i32_e32 v40, v46
	v_add_f32_e32 v39, v47, v39
	v_add_f32_e32 v38, v38, v39
	;; [unrolled: 1-line block ×4, first 2 shown]
	v_sub_f32_e32 v39, v41, v51
	v_mul_f32_e32 v38, v49, v38
	v_sub_f32_e32 v39, v50, v39
	v_add_f32_e32 v38, v39, v38
	v_add_f32_e32 v42, v41, v38
	v_mul_f32_e32 v44, v42, v42
	v_mov_b32_e32 v39, 0x3ecc95a3
	v_sub_f32_e32 v41, v42, v41
	v_fmac_f32_e32 v39, 0x3e9b6dac, v44
	v_sub_f32_e32 v38, v38, v41
	v_fmaak_f32 v39, v44, v39, 0x3f2aaada
	v_ldexp_f32 v45, v38, 1
	v_mul_f32_e32 v41, v42, v44
	v_mov_b32_e32 v38, 0x3f317218
	v_pk_mul_f32 v[38:39], v[40:41], v[38:39]
	v_ldexp_f32 v43, v42, 1
	v_fma_f32 v41, v40, s33, -v38
	v_fmamk_f32 v42, v40, 0xb102e308, v41
	v_pk_add_f32 v[40:41], v[38:39], v[42:43]
	v_mov_b32_e32 v44, v38
	v_sub_f32_e32 v43, v41, v43
	v_sub_f32_e32 v43, v39, v43
	v_add_f32_e32 v45, v45, v43
	v_pk_add_f32 v[38:39], v[40:41], v[38:39] neg_lo:[0,1] neg_hi:[0,1]
	v_pk_add_f32 v[46:47], v[40:41], v[44:45]
	v_mov_b32_e32 v43, v40
	v_mov_b32_e32 v39, v47
	v_pk_add_f32 v[48:49], v[42:43], v[38:39] neg_lo:[0,1] neg_hi:[0,1]
	v_pk_add_f32 v[38:39], v[42:43], v[38:39]
	v_mov_b32_e32 v44, v45
	v_pk_add_f32 v[42:43], v[38:39], v[40:41] op_sel:[1,0] op_sel_hi:[0,1] neg_lo:[0,1] neg_hi:[0,1]
	v_pk_add_f32 v[50:51], v[46:47], v[42:43] op_sel_hi:[1,0] neg_lo:[0,1] neg_hi:[0,1]
	v_mov_b32_e32 v46, v47
	v_mov_b32_e32 v47, v39
	v_pk_mov_b32 v[42:43], v[40:41], v[42:43] op_sel:[1,0]
	v_mov_b32_e32 v45, v40
	v_pk_add_f32 v[42:43], v[46:47], v[42:43] neg_lo:[0,1] neg_hi:[0,1]
	v_mov_b32_e32 v50, v48
	v_pk_add_f32 v[40:41], v[44:45], v[42:43] neg_lo:[0,1] neg_hi:[0,1]
	v_mov_b32_e32 v49, v39
	v_pk_add_f32 v[42:43], v[50:51], v[40:41]
	s_mov_b32 s33, 0x33800000
	v_pk_add_f32 v[44:45], v[42:43], v[42:43] op_sel:[0,1] op_sel_hi:[1,0]
	s_nop 0
	v_pk_add_f32 v[38:39], v[38:39], v[44:45] op_sel:[1,0] op_sel_hi:[0,1]
	v_mov_b32_e32 v43, v38
	v_pk_add_f32 v[46:47], v[42:43], v[48:49] neg_lo:[0,1] neg_hi:[0,1]
	v_mov_b32_e32 v41, v44
	v_sub_f32_e32 v39, v42, v46
	v_pk_add_f32 v[40:41], v[40:41], v[46:47] neg_lo:[0,1] neg_hi:[0,1]
	v_sub_f32_e32 v39, v48, v39
	v_add_f32_e32 v39, v40, v39
	v_add_f32_e32 v39, v39, v41
	;; [unrolled: 1-line block ×3, first 2 shown]
	v_cndmask_b32_e64 v38, v52, v38, s[60:61]
	v_cmp_lt_f32_e64 s[60:61], |v37|, s33
	s_nop 1
	v_cndmask_b32_e64 v37, v38, v37, s[60:61]
	v_add_f32_e32 v38, v19, v37
.LBB162_59:
	s_or_b64 exec, exec, s[62:63]
	ds_read_b32 v19, v34 offset:12
	v_max_f32_e32 v37, v38, v38
	v_cmp_u_f32_e64 s[60:61], v38, v38
	s_movk_i32 s33, 0x1f8
	s_waitcnt lgkmcnt(0)
	v_max_f32_e32 v39, v19, v19
	v_min_f32_e32 v40, v37, v39
	v_max_f32_e32 v39, v37, v39
	v_cndmask_b32_e64 v37, v40, v38, s[60:61]
	v_cmp_u_f32_e64 s[62:63], v19, v19
	v_cndmask_b32_e64 v39, v39, v38, s[60:61]
	s_nop 0
	v_cndmask_b32_e64 v37, v37, v19, s[62:63]
	v_cndmask_b32_e64 v19, v39, v19, s[62:63]
	v_cmp_neq_f32_e64 s[60:61], v37, v19
	v_cmp_class_f32_e64 s[62:63], v37, s33
	s_or_b64 s[60:61], s[60:61], s[62:63]
	s_and_saveexec_b64 s[62:63], s[60:61]
	s_cbranch_execz .LBB162_61
; %bb.60:
	v_sub_f32_e32 v37, v37, v19
	s_mov_b32 s33, 0x3fb8aa3b
	v_mul_f32_e32 v38, 0x3fb8aa3b, v37
	v_fma_f32 v39, v37, s33, -v38
	v_rndne_f32_e32 v40, v38
	v_fmamk_f32 v39, v37, 0x32a5705f, v39
	v_sub_f32_e32 v38, v38, v40
	v_add_f32_e32 v38, v38, v39
	v_exp_f32_e32 v38, v38
	v_cvt_i32_f32_e32 v39, v40
	s_mov_b32 s33, 0xc2ce8ed0
	v_cmp_ngt_f32_e64 s[60:61], s33, v37
	s_mov_b32 s33, 0x42b17218
	v_ldexp_f32 v38, v38, v39
	v_cndmask_b32_e64 v38, 0, v38, s[60:61]
	v_mov_b32_e32 v52, 0x7f800000
	v_cmp_nlt_f32_e64 s[60:61], s33, v37
	s_mov_b32 s33, 0x3f2aaaab
	s_mov_b32 s66, 0x7f800000
	v_cndmask_b32_e64 v37, v52, v38, s[60:61]
	v_add_f32_e32 v40, 1.0, v37
	v_add_f32_e32 v38, -1.0, v40
	v_sub_f32_e32 v39, v38, v40
	v_add_f32_e32 v39, 1.0, v39
	v_sub_f32_e32 v38, v37, v38
	v_add_f32_e32 v41, v38, v39
	v_frexp_mant_f32_e32 v42, v40
	v_cvt_f64_f32_e32 v[38:39], v40
	v_frexp_exp_i32_f64_e32 v38, v[38:39]
	v_cmp_gt_f32_e64 s[60:61], s33, v42
	s_mov_b32 s33, 0x3f317218
	s_nop 0
	v_subbrev_co_u32_e64 v46, s[60:61], 0, v38, s[60:61]
	v_sub_u32_e32 v38, 0, v46
	v_ldexp_f32 v39, v40, v38
	v_add_f32_e32 v40, -1.0, v39
	v_add_f32_e32 v42, 1.0, v39
	v_ldexp_f32 v38, v41, v38
	v_add_f32_e32 v41, 1.0, v40
	v_add_f32_e32 v43, -1.0, v42
	v_sub_f32_e32 v41, v39, v41
	v_sub_f32_e32 v39, v39, v43
	v_add_f32_e32 v41, v38, v41
	v_add_f32_e32 v38, v38, v39
	;; [unrolled: 1-line block ×3, first 2 shown]
	v_rcp_f32_e32 v49, v47
	v_sub_f32_e32 v39, v42, v47
	v_add_f32_e32 v48, v38, v39
	v_add_f32_e32 v39, v40, v41
	v_mul_f32_e32 v51, v39, v49
	v_sub_f32_e32 v38, v40, v39
	v_mul_f32_e32 v40, v47, v51
	v_fma_f32 v42, v51, v47, -v40
	v_fmac_f32_e32 v42, v51, v48
	v_add_f32_e32 v50, v41, v38
	v_add_f32_e32 v38, v40, v42
	v_sub_f32_e32 v41, v39, v38
	v_pk_add_f32 v[44:45], v[38:39], v[40:41] neg_lo:[0,1] neg_hi:[0,1]
	v_mov_b32_e32 v43, v38
	v_pk_add_f32 v[38:39], v[44:45], v[42:43] neg_lo:[0,1] neg_hi:[0,1]
	v_cmp_neq_f32_e64 s[60:61], s66, v37
	v_add_f32_e32 v39, v50, v39
	v_add_f32_e32 v38, v38, v39
	;; [unrolled: 1-line block ×3, first 2 shown]
	v_mul_f32_e32 v50, v49, v39
	v_mul_f32_e32 v40, v47, v50
	v_fma_f32 v42, v50, v47, -v40
	v_fmac_f32_e32 v42, v50, v48
	v_sub_f32_e32 v41, v41, v39
	v_add_f32_e32 v47, v38, v41
	v_add_f32_e32 v38, v40, v42
	v_sub_f32_e32 v41, v39, v38
	v_pk_add_f32 v[44:45], v[38:39], v[40:41] neg_lo:[0,1] neg_hi:[0,1]
	v_mov_b32_e32 v43, v38
	v_pk_add_f32 v[38:39], v[44:45], v[42:43] neg_lo:[0,1] neg_hi:[0,1]
	v_cvt_f32_i32_e32 v40, v46
	v_add_f32_e32 v39, v47, v39
	v_add_f32_e32 v38, v38, v39
	;; [unrolled: 1-line block ×4, first 2 shown]
	v_sub_f32_e32 v39, v41, v51
	v_mul_f32_e32 v38, v49, v38
	v_sub_f32_e32 v39, v50, v39
	v_add_f32_e32 v38, v39, v38
	v_add_f32_e32 v42, v41, v38
	v_mul_f32_e32 v44, v42, v42
	v_mov_b32_e32 v39, 0x3ecc95a3
	v_sub_f32_e32 v41, v42, v41
	v_fmac_f32_e32 v39, 0x3e9b6dac, v44
	v_sub_f32_e32 v38, v38, v41
	v_fmaak_f32 v39, v44, v39, 0x3f2aaada
	v_ldexp_f32 v45, v38, 1
	v_mul_f32_e32 v41, v42, v44
	v_mov_b32_e32 v38, 0x3f317218
	v_pk_mul_f32 v[38:39], v[40:41], v[38:39]
	v_ldexp_f32 v43, v42, 1
	v_fma_f32 v41, v40, s33, -v38
	v_fmamk_f32 v42, v40, 0xb102e308, v41
	v_pk_add_f32 v[40:41], v[38:39], v[42:43]
	v_mov_b32_e32 v44, v38
	v_sub_f32_e32 v43, v41, v43
	v_sub_f32_e32 v43, v39, v43
	v_add_f32_e32 v45, v45, v43
	v_pk_add_f32 v[38:39], v[40:41], v[38:39] neg_lo:[0,1] neg_hi:[0,1]
	v_pk_add_f32 v[46:47], v[40:41], v[44:45]
	v_mov_b32_e32 v43, v40
	v_mov_b32_e32 v39, v47
	v_pk_add_f32 v[48:49], v[42:43], v[38:39] neg_lo:[0,1] neg_hi:[0,1]
	v_pk_add_f32 v[38:39], v[42:43], v[38:39]
	v_mov_b32_e32 v44, v45
	v_pk_add_f32 v[42:43], v[38:39], v[40:41] op_sel:[1,0] op_sel_hi:[0,1] neg_lo:[0,1] neg_hi:[0,1]
	v_pk_add_f32 v[50:51], v[46:47], v[42:43] op_sel_hi:[1,0] neg_lo:[0,1] neg_hi:[0,1]
	v_mov_b32_e32 v46, v47
	v_mov_b32_e32 v47, v39
	v_pk_mov_b32 v[42:43], v[40:41], v[42:43] op_sel:[1,0]
	v_mov_b32_e32 v45, v40
	v_pk_add_f32 v[42:43], v[46:47], v[42:43] neg_lo:[0,1] neg_hi:[0,1]
	v_mov_b32_e32 v50, v48
	v_pk_add_f32 v[40:41], v[44:45], v[42:43] neg_lo:[0,1] neg_hi:[0,1]
	v_mov_b32_e32 v49, v39
	v_pk_add_f32 v[42:43], v[50:51], v[40:41]
	s_mov_b32 s33, 0x33800000
	v_pk_add_f32 v[44:45], v[42:43], v[42:43] op_sel:[0,1] op_sel_hi:[1,0]
	s_nop 0
	v_pk_add_f32 v[38:39], v[38:39], v[44:45] op_sel:[1,0] op_sel_hi:[0,1]
	v_mov_b32_e32 v43, v38
	v_pk_add_f32 v[46:47], v[42:43], v[48:49] neg_lo:[0,1] neg_hi:[0,1]
	v_mov_b32_e32 v41, v44
	v_sub_f32_e32 v39, v42, v46
	v_pk_add_f32 v[40:41], v[40:41], v[46:47] neg_lo:[0,1] neg_hi:[0,1]
	v_sub_f32_e32 v39, v48, v39
	v_add_f32_e32 v39, v40, v39
	v_add_f32_e32 v39, v39, v41
	;; [unrolled: 1-line block ×3, first 2 shown]
	v_cndmask_b32_e64 v38, v52, v38, s[60:61]
	v_cmp_lt_f32_e64 s[60:61], |v37|, s33
	s_nop 1
	v_cndmask_b32_e64 v37, v38, v37, s[60:61]
	v_add_f32_e32 v38, v19, v37
.LBB162_61:
	s_or_b64 exec, exec, s[62:63]
	v_mbcnt_lo_u32_b32 v19, -1, 0
	v_mbcnt_hi_u32_b32 v19, -1, v19
	v_and_b32_e32 v37, 15, v19
	v_mov_b32_dpp v39, v38 row_shr:1 row_mask:0xf bank_mask:0xf
	v_cmp_ne_u32_e64 s[60:61], 0, v37
	s_and_saveexec_b64 s[62:63], s[60:61]
	s_xor_b64 s[66:67], exec, s[62:63]
	s_cbranch_execz .LBB162_65
; %bb.62:
	v_max_f32_e32 v41, v38, v38
	v_max_f32_e32 v42, v39, v39
	v_min_f32_e32 v40, v42, v41
	v_cmp_u_f32_e64 s[60:61], v39, v39
	v_max_f32_e32 v41, v42, v41
	v_cmp_u_f32_e64 s[62:63], v38, v38
	v_cndmask_b32_e64 v40, v40, v39, s[60:61]
	v_cndmask_b32_e64 v41, v41, v39, s[60:61]
	;; [unrolled: 1-line block ×4, first 2 shown]
	s_movk_i32 s33, 0x1f8
	v_cmp_neq_f32_e64 s[60:61], v40, v38
	v_cmp_class_f32_e64 s[62:63], v40, s33
	s_or_b64 s[60:61], s[60:61], s[62:63]
	s_and_saveexec_b64 s[62:63], s[60:61]
	s_cbranch_execz .LBB162_64
; %bb.63:
	v_sub_f32_e32 v39, v40, v38
	s_mov_b32 s33, 0x3fb8aa3b
	v_mul_f32_e32 v40, 0x3fb8aa3b, v39
	v_fma_f32 v41, v39, s33, -v40
	v_rndne_f32_e32 v42, v40
	v_fmamk_f32 v41, v39, 0x32a5705f, v41
	v_sub_f32_e32 v40, v40, v42
	v_add_f32_e32 v40, v40, v41
	v_exp_f32_e32 v40, v40
	v_cvt_i32_f32_e32 v41, v42
	s_mov_b32 s33, 0xc2ce8ed0
	v_cmp_ngt_f32_e64 s[60:61], s33, v39
	s_mov_b32 s33, 0x42b17218
	v_ldexp_f32 v40, v40, v41
	v_cndmask_b32_e64 v40, 0, v40, s[60:61]
	v_mov_b32_e32 v54, 0x7f800000
	v_cmp_nlt_f32_e64 s[60:61], s33, v39
	s_mov_b32 s33, 0x3f2aaaab
	s_mov_b32 s68, 0x7f800000
	v_cndmask_b32_e64 v39, v54, v40, s[60:61]
	v_add_f32_e32 v42, 1.0, v39
	v_add_f32_e32 v40, -1.0, v42
	v_sub_f32_e32 v41, v40, v42
	v_add_f32_e32 v41, 1.0, v41
	v_sub_f32_e32 v40, v39, v40
	v_add_f32_e32 v43, v40, v41
	v_frexp_mant_f32_e32 v44, v42
	v_cvt_f64_f32_e32 v[40:41], v42
	v_frexp_exp_i32_f64_e32 v40, v[40:41]
	v_cmp_gt_f32_e64 s[60:61], s33, v44
	s_mov_b32 s33, 0x3f317218
	s_nop 0
	v_subbrev_co_u32_e64 v48, s[60:61], 0, v40, s[60:61]
	v_sub_u32_e32 v40, 0, v48
	v_ldexp_f32 v41, v42, v40
	v_add_f32_e32 v42, -1.0, v41
	v_add_f32_e32 v44, 1.0, v41
	v_ldexp_f32 v40, v43, v40
	v_add_f32_e32 v43, 1.0, v42
	v_add_f32_e32 v45, -1.0, v44
	v_sub_f32_e32 v43, v41, v43
	v_sub_f32_e32 v41, v41, v45
	v_add_f32_e32 v43, v40, v43
	v_add_f32_e32 v40, v40, v41
	;; [unrolled: 1-line block ×3, first 2 shown]
	v_rcp_f32_e32 v51, v49
	v_sub_f32_e32 v41, v44, v49
	v_add_f32_e32 v50, v40, v41
	v_add_f32_e32 v41, v42, v43
	v_mul_f32_e32 v53, v41, v51
	v_sub_f32_e32 v40, v42, v41
	v_mul_f32_e32 v42, v49, v53
	v_fma_f32 v44, v53, v49, -v42
	v_fmac_f32_e32 v44, v53, v50
	v_add_f32_e32 v52, v43, v40
	v_add_f32_e32 v40, v42, v44
	v_sub_f32_e32 v43, v41, v40
	v_pk_add_f32 v[46:47], v[40:41], v[42:43] neg_lo:[0,1] neg_hi:[0,1]
	v_mov_b32_e32 v45, v40
	v_pk_add_f32 v[40:41], v[46:47], v[44:45] neg_lo:[0,1] neg_hi:[0,1]
	v_cmp_neq_f32_e64 s[60:61], s68, v39
	v_add_f32_e32 v41, v52, v41
	v_add_f32_e32 v40, v40, v41
	;; [unrolled: 1-line block ×3, first 2 shown]
	v_mul_f32_e32 v52, v51, v41
	v_mul_f32_e32 v42, v49, v52
	v_fma_f32 v44, v52, v49, -v42
	v_fmac_f32_e32 v44, v52, v50
	v_sub_f32_e32 v43, v43, v41
	v_add_f32_e32 v49, v40, v43
	v_add_f32_e32 v40, v42, v44
	v_sub_f32_e32 v43, v41, v40
	v_pk_add_f32 v[46:47], v[40:41], v[42:43] neg_lo:[0,1] neg_hi:[0,1]
	v_mov_b32_e32 v45, v40
	v_pk_add_f32 v[40:41], v[46:47], v[44:45] neg_lo:[0,1] neg_hi:[0,1]
	v_cvt_f32_i32_e32 v42, v48
	v_add_f32_e32 v41, v49, v41
	v_add_f32_e32 v40, v40, v41
	;; [unrolled: 1-line block ×4, first 2 shown]
	v_sub_f32_e32 v41, v43, v53
	v_mul_f32_e32 v40, v51, v40
	v_sub_f32_e32 v41, v52, v41
	v_add_f32_e32 v40, v41, v40
	v_add_f32_e32 v44, v43, v40
	v_mul_f32_e32 v46, v44, v44
	v_mov_b32_e32 v41, 0x3ecc95a3
	v_sub_f32_e32 v43, v44, v43
	v_fmac_f32_e32 v41, 0x3e9b6dac, v46
	v_sub_f32_e32 v40, v40, v43
	v_fmaak_f32 v41, v46, v41, 0x3f2aaada
	v_ldexp_f32 v47, v40, 1
	v_mul_f32_e32 v43, v44, v46
	v_mov_b32_e32 v40, 0x3f317218
	v_pk_mul_f32 v[40:41], v[42:43], v[40:41]
	v_ldexp_f32 v45, v44, 1
	v_fma_f32 v43, v42, s33, -v40
	v_fmamk_f32 v44, v42, 0xb102e308, v43
	v_pk_add_f32 v[42:43], v[40:41], v[44:45]
	v_mov_b32_e32 v46, v40
	v_sub_f32_e32 v45, v43, v45
	v_sub_f32_e32 v45, v41, v45
	v_add_f32_e32 v47, v47, v45
	v_pk_add_f32 v[40:41], v[42:43], v[40:41] neg_lo:[0,1] neg_hi:[0,1]
	v_pk_add_f32 v[48:49], v[42:43], v[46:47]
	v_mov_b32_e32 v45, v42
	v_mov_b32_e32 v41, v49
	v_pk_add_f32 v[50:51], v[44:45], v[40:41] neg_lo:[0,1] neg_hi:[0,1]
	v_pk_add_f32 v[40:41], v[44:45], v[40:41]
	v_mov_b32_e32 v46, v47
	v_pk_add_f32 v[44:45], v[40:41], v[42:43] op_sel:[1,0] op_sel_hi:[0,1] neg_lo:[0,1] neg_hi:[0,1]
	v_pk_add_f32 v[52:53], v[48:49], v[44:45] op_sel_hi:[1,0] neg_lo:[0,1] neg_hi:[0,1]
	v_mov_b32_e32 v48, v49
	v_mov_b32_e32 v49, v41
	v_pk_mov_b32 v[44:45], v[42:43], v[44:45] op_sel:[1,0]
	v_mov_b32_e32 v47, v42
	v_pk_add_f32 v[44:45], v[48:49], v[44:45] neg_lo:[0,1] neg_hi:[0,1]
	v_mov_b32_e32 v52, v50
	v_pk_add_f32 v[42:43], v[46:47], v[44:45] neg_lo:[0,1] neg_hi:[0,1]
	v_mov_b32_e32 v51, v41
	v_pk_add_f32 v[44:45], v[52:53], v[42:43]
	s_mov_b32 s33, 0x33800000
	v_pk_add_f32 v[46:47], v[44:45], v[44:45] op_sel:[0,1] op_sel_hi:[1,0]
	s_nop 0
	v_pk_add_f32 v[40:41], v[40:41], v[46:47] op_sel:[1,0] op_sel_hi:[0,1]
	v_mov_b32_e32 v45, v40
	v_pk_add_f32 v[48:49], v[44:45], v[50:51] neg_lo:[0,1] neg_hi:[0,1]
	v_mov_b32_e32 v43, v46
	v_sub_f32_e32 v41, v44, v48
	v_pk_add_f32 v[42:43], v[42:43], v[48:49] neg_lo:[0,1] neg_hi:[0,1]
	v_sub_f32_e32 v41, v50, v41
	v_add_f32_e32 v41, v42, v41
	v_add_f32_e32 v41, v41, v43
	;; [unrolled: 1-line block ×3, first 2 shown]
	v_cndmask_b32_e64 v40, v54, v40, s[60:61]
	v_cmp_lt_f32_e64 s[60:61], |v39|, s33
	s_nop 1
	v_cndmask_b32_e64 v39, v40, v39, s[60:61]
	v_add_f32_e32 v39, v38, v39
.LBB162_64:
	s_or_b64 exec, exec, s[62:63]
	v_mov_b32_e32 v38, v39
.LBB162_65:
	s_or_b64 exec, exec, s[66:67]
	s_nop 0
	v_mov_b32_dpp v39, v38 row_shr:2 row_mask:0xf bank_mask:0xf
	v_cmp_lt_u32_e64 s[60:61], 1, v37
	s_and_saveexec_b64 s[66:67], s[60:61]
	s_cbranch_execz .LBB162_69
; %bb.66:
	v_max_f32_e32 v41, v38, v38
	v_max_f32_e32 v42, v39, v39
	v_min_f32_e32 v40, v42, v41
	v_cmp_u_f32_e64 s[60:61], v39, v39
	v_max_f32_e32 v41, v42, v41
	v_cmp_u_f32_e64 s[62:63], v38, v38
	v_cndmask_b32_e64 v40, v40, v39, s[60:61]
	v_cndmask_b32_e64 v41, v41, v39, s[60:61]
	v_cndmask_b32_e64 v40, v40, v38, s[62:63]
	v_cndmask_b32_e64 v38, v41, v38, s[62:63]
	s_movk_i32 s33, 0x1f8
	v_cmp_neq_f32_e64 s[60:61], v40, v38
	v_cmp_class_f32_e64 s[62:63], v40, s33
	s_or_b64 s[60:61], s[60:61], s[62:63]
	s_and_saveexec_b64 s[62:63], s[60:61]
	s_cbranch_execz .LBB162_68
; %bb.67:
	v_sub_f32_e32 v39, v40, v38
	s_mov_b32 s33, 0x3fb8aa3b
	v_mul_f32_e32 v40, 0x3fb8aa3b, v39
	v_fma_f32 v41, v39, s33, -v40
	v_rndne_f32_e32 v42, v40
	v_fmamk_f32 v41, v39, 0x32a5705f, v41
	v_sub_f32_e32 v40, v40, v42
	v_add_f32_e32 v40, v40, v41
	v_exp_f32_e32 v40, v40
	v_cvt_i32_f32_e32 v41, v42
	s_mov_b32 s33, 0xc2ce8ed0
	v_cmp_ngt_f32_e64 s[60:61], s33, v39
	s_mov_b32 s33, 0x42b17218
	v_ldexp_f32 v40, v40, v41
	v_cndmask_b32_e64 v40, 0, v40, s[60:61]
	v_mov_b32_e32 v54, 0x7f800000
	v_cmp_nlt_f32_e64 s[60:61], s33, v39
	s_mov_b32 s33, 0x3f2aaaab
	s_mov_b32 s68, 0x7f800000
	v_cndmask_b32_e64 v39, v54, v40, s[60:61]
	v_add_f32_e32 v42, 1.0, v39
	v_add_f32_e32 v40, -1.0, v42
	v_sub_f32_e32 v41, v40, v42
	v_add_f32_e32 v41, 1.0, v41
	v_sub_f32_e32 v40, v39, v40
	v_add_f32_e32 v43, v40, v41
	v_frexp_mant_f32_e32 v44, v42
	v_cvt_f64_f32_e32 v[40:41], v42
	v_frexp_exp_i32_f64_e32 v40, v[40:41]
	v_cmp_gt_f32_e64 s[60:61], s33, v44
	s_mov_b32 s33, 0x3f317218
	s_nop 0
	v_subbrev_co_u32_e64 v48, s[60:61], 0, v40, s[60:61]
	v_sub_u32_e32 v40, 0, v48
	v_ldexp_f32 v41, v42, v40
	v_add_f32_e32 v42, -1.0, v41
	v_add_f32_e32 v44, 1.0, v41
	v_ldexp_f32 v40, v43, v40
	v_add_f32_e32 v43, 1.0, v42
	v_add_f32_e32 v45, -1.0, v44
	v_sub_f32_e32 v43, v41, v43
	v_sub_f32_e32 v41, v41, v45
	v_add_f32_e32 v43, v40, v43
	v_add_f32_e32 v40, v40, v41
	;; [unrolled: 1-line block ×3, first 2 shown]
	v_rcp_f32_e32 v51, v49
	v_sub_f32_e32 v41, v44, v49
	v_add_f32_e32 v50, v40, v41
	v_add_f32_e32 v41, v42, v43
	v_mul_f32_e32 v53, v41, v51
	v_sub_f32_e32 v40, v42, v41
	v_mul_f32_e32 v42, v49, v53
	v_fma_f32 v44, v53, v49, -v42
	v_fmac_f32_e32 v44, v53, v50
	v_add_f32_e32 v52, v43, v40
	v_add_f32_e32 v40, v42, v44
	v_sub_f32_e32 v43, v41, v40
	v_pk_add_f32 v[46:47], v[40:41], v[42:43] neg_lo:[0,1] neg_hi:[0,1]
	v_mov_b32_e32 v45, v40
	v_pk_add_f32 v[40:41], v[46:47], v[44:45] neg_lo:[0,1] neg_hi:[0,1]
	v_cmp_neq_f32_e64 s[60:61], s68, v39
	v_add_f32_e32 v41, v52, v41
	v_add_f32_e32 v40, v40, v41
	;; [unrolled: 1-line block ×3, first 2 shown]
	v_mul_f32_e32 v52, v51, v41
	v_mul_f32_e32 v42, v49, v52
	v_fma_f32 v44, v52, v49, -v42
	v_fmac_f32_e32 v44, v52, v50
	v_sub_f32_e32 v43, v43, v41
	v_add_f32_e32 v49, v40, v43
	v_add_f32_e32 v40, v42, v44
	v_sub_f32_e32 v43, v41, v40
	v_pk_add_f32 v[46:47], v[40:41], v[42:43] neg_lo:[0,1] neg_hi:[0,1]
	v_mov_b32_e32 v45, v40
	v_pk_add_f32 v[40:41], v[46:47], v[44:45] neg_lo:[0,1] neg_hi:[0,1]
	v_cvt_f32_i32_e32 v42, v48
	v_add_f32_e32 v41, v49, v41
	v_add_f32_e32 v40, v40, v41
	;; [unrolled: 1-line block ×4, first 2 shown]
	v_sub_f32_e32 v41, v43, v53
	v_mul_f32_e32 v40, v51, v40
	v_sub_f32_e32 v41, v52, v41
	v_add_f32_e32 v40, v41, v40
	v_add_f32_e32 v44, v43, v40
	v_mul_f32_e32 v46, v44, v44
	v_mov_b32_e32 v41, 0x3ecc95a3
	v_sub_f32_e32 v43, v44, v43
	v_fmac_f32_e32 v41, 0x3e9b6dac, v46
	v_sub_f32_e32 v40, v40, v43
	v_fmaak_f32 v41, v46, v41, 0x3f2aaada
	v_ldexp_f32 v47, v40, 1
	v_mul_f32_e32 v43, v44, v46
	v_mov_b32_e32 v40, 0x3f317218
	v_pk_mul_f32 v[40:41], v[42:43], v[40:41]
	v_ldexp_f32 v45, v44, 1
	v_fma_f32 v43, v42, s33, -v40
	v_fmamk_f32 v44, v42, 0xb102e308, v43
	v_pk_add_f32 v[42:43], v[40:41], v[44:45]
	v_mov_b32_e32 v46, v40
	v_sub_f32_e32 v45, v43, v45
	v_sub_f32_e32 v45, v41, v45
	v_add_f32_e32 v47, v47, v45
	v_pk_add_f32 v[40:41], v[42:43], v[40:41] neg_lo:[0,1] neg_hi:[0,1]
	v_pk_add_f32 v[48:49], v[42:43], v[46:47]
	v_mov_b32_e32 v45, v42
	v_mov_b32_e32 v41, v49
	v_pk_add_f32 v[50:51], v[44:45], v[40:41] neg_lo:[0,1] neg_hi:[0,1]
	v_pk_add_f32 v[40:41], v[44:45], v[40:41]
	v_mov_b32_e32 v46, v47
	v_pk_add_f32 v[44:45], v[40:41], v[42:43] op_sel:[1,0] op_sel_hi:[0,1] neg_lo:[0,1] neg_hi:[0,1]
	v_pk_add_f32 v[52:53], v[48:49], v[44:45] op_sel_hi:[1,0] neg_lo:[0,1] neg_hi:[0,1]
	v_mov_b32_e32 v48, v49
	v_mov_b32_e32 v49, v41
	v_pk_mov_b32 v[44:45], v[42:43], v[44:45] op_sel:[1,0]
	v_mov_b32_e32 v47, v42
	v_pk_add_f32 v[44:45], v[48:49], v[44:45] neg_lo:[0,1] neg_hi:[0,1]
	v_mov_b32_e32 v52, v50
	v_pk_add_f32 v[42:43], v[46:47], v[44:45] neg_lo:[0,1] neg_hi:[0,1]
	v_mov_b32_e32 v51, v41
	v_pk_add_f32 v[44:45], v[52:53], v[42:43]
	s_mov_b32 s33, 0x33800000
	v_pk_add_f32 v[46:47], v[44:45], v[44:45] op_sel:[0,1] op_sel_hi:[1,0]
	s_nop 0
	v_pk_add_f32 v[40:41], v[40:41], v[46:47] op_sel:[1,0] op_sel_hi:[0,1]
	v_mov_b32_e32 v45, v40
	v_pk_add_f32 v[48:49], v[44:45], v[50:51] neg_lo:[0,1] neg_hi:[0,1]
	v_mov_b32_e32 v43, v46
	v_sub_f32_e32 v41, v44, v48
	v_pk_add_f32 v[42:43], v[42:43], v[48:49] neg_lo:[0,1] neg_hi:[0,1]
	v_sub_f32_e32 v41, v50, v41
	v_add_f32_e32 v41, v42, v41
	v_add_f32_e32 v41, v41, v43
	;; [unrolled: 1-line block ×3, first 2 shown]
	v_cndmask_b32_e64 v40, v54, v40, s[60:61]
	v_cmp_lt_f32_e64 s[60:61], |v39|, s33
	s_nop 1
	v_cndmask_b32_e64 v39, v40, v39, s[60:61]
	v_add_f32_e32 v39, v38, v39
.LBB162_68:
	s_or_b64 exec, exec, s[62:63]
	v_mov_b32_e32 v38, v39
.LBB162_69:
	s_or_b64 exec, exec, s[66:67]
	s_nop 0
	v_mov_b32_dpp v39, v38 row_shr:4 row_mask:0xf bank_mask:0xf
	v_cmp_lt_u32_e64 s[60:61], 3, v37
	s_and_saveexec_b64 s[66:67], s[60:61]
	s_cbranch_execz .LBB162_73
; %bb.70:
	v_max_f32_e32 v41, v38, v38
	v_max_f32_e32 v42, v39, v39
	v_min_f32_e32 v40, v42, v41
	v_cmp_u_f32_e64 s[60:61], v39, v39
	v_max_f32_e32 v41, v42, v41
	v_cmp_u_f32_e64 s[62:63], v38, v38
	v_cndmask_b32_e64 v40, v40, v39, s[60:61]
	v_cndmask_b32_e64 v41, v41, v39, s[60:61]
	;; [unrolled: 1-line block ×4, first 2 shown]
	s_movk_i32 s33, 0x1f8
	v_cmp_neq_f32_e64 s[60:61], v40, v38
	v_cmp_class_f32_e64 s[62:63], v40, s33
	s_or_b64 s[60:61], s[60:61], s[62:63]
	s_and_saveexec_b64 s[62:63], s[60:61]
	s_cbranch_execz .LBB162_72
; %bb.71:
	v_sub_f32_e32 v39, v40, v38
	s_mov_b32 s33, 0x3fb8aa3b
	v_mul_f32_e32 v40, 0x3fb8aa3b, v39
	v_fma_f32 v41, v39, s33, -v40
	v_rndne_f32_e32 v42, v40
	v_fmamk_f32 v41, v39, 0x32a5705f, v41
	v_sub_f32_e32 v40, v40, v42
	v_add_f32_e32 v40, v40, v41
	v_exp_f32_e32 v40, v40
	v_cvt_i32_f32_e32 v41, v42
	s_mov_b32 s33, 0xc2ce8ed0
	v_cmp_ngt_f32_e64 s[60:61], s33, v39
	s_mov_b32 s33, 0x42b17218
	v_ldexp_f32 v40, v40, v41
	v_cndmask_b32_e64 v40, 0, v40, s[60:61]
	v_mov_b32_e32 v54, 0x7f800000
	v_cmp_nlt_f32_e64 s[60:61], s33, v39
	s_mov_b32 s33, 0x3f2aaaab
	s_mov_b32 s68, 0x7f800000
	v_cndmask_b32_e64 v39, v54, v40, s[60:61]
	v_add_f32_e32 v42, 1.0, v39
	v_add_f32_e32 v40, -1.0, v42
	v_sub_f32_e32 v41, v40, v42
	v_add_f32_e32 v41, 1.0, v41
	v_sub_f32_e32 v40, v39, v40
	v_add_f32_e32 v43, v40, v41
	v_frexp_mant_f32_e32 v44, v42
	v_cvt_f64_f32_e32 v[40:41], v42
	v_frexp_exp_i32_f64_e32 v40, v[40:41]
	v_cmp_gt_f32_e64 s[60:61], s33, v44
	s_mov_b32 s33, 0x3f317218
	s_nop 0
	v_subbrev_co_u32_e64 v48, s[60:61], 0, v40, s[60:61]
	v_sub_u32_e32 v40, 0, v48
	v_ldexp_f32 v41, v42, v40
	v_add_f32_e32 v42, -1.0, v41
	v_add_f32_e32 v44, 1.0, v41
	v_ldexp_f32 v40, v43, v40
	v_add_f32_e32 v43, 1.0, v42
	v_add_f32_e32 v45, -1.0, v44
	v_sub_f32_e32 v43, v41, v43
	v_sub_f32_e32 v41, v41, v45
	v_add_f32_e32 v43, v40, v43
	v_add_f32_e32 v40, v40, v41
	;; [unrolled: 1-line block ×3, first 2 shown]
	v_rcp_f32_e32 v51, v49
	v_sub_f32_e32 v41, v44, v49
	v_add_f32_e32 v50, v40, v41
	v_add_f32_e32 v41, v42, v43
	v_mul_f32_e32 v53, v41, v51
	v_sub_f32_e32 v40, v42, v41
	v_mul_f32_e32 v42, v49, v53
	v_fma_f32 v44, v53, v49, -v42
	v_fmac_f32_e32 v44, v53, v50
	v_add_f32_e32 v52, v43, v40
	v_add_f32_e32 v40, v42, v44
	v_sub_f32_e32 v43, v41, v40
	v_pk_add_f32 v[46:47], v[40:41], v[42:43] neg_lo:[0,1] neg_hi:[0,1]
	v_mov_b32_e32 v45, v40
	v_pk_add_f32 v[40:41], v[46:47], v[44:45] neg_lo:[0,1] neg_hi:[0,1]
	v_cmp_neq_f32_e64 s[60:61], s68, v39
	v_add_f32_e32 v41, v52, v41
	v_add_f32_e32 v40, v40, v41
	;; [unrolled: 1-line block ×3, first 2 shown]
	v_mul_f32_e32 v52, v51, v41
	v_mul_f32_e32 v42, v49, v52
	v_fma_f32 v44, v52, v49, -v42
	v_fmac_f32_e32 v44, v52, v50
	v_sub_f32_e32 v43, v43, v41
	v_add_f32_e32 v49, v40, v43
	v_add_f32_e32 v40, v42, v44
	v_sub_f32_e32 v43, v41, v40
	v_pk_add_f32 v[46:47], v[40:41], v[42:43] neg_lo:[0,1] neg_hi:[0,1]
	v_mov_b32_e32 v45, v40
	v_pk_add_f32 v[40:41], v[46:47], v[44:45] neg_lo:[0,1] neg_hi:[0,1]
	v_cvt_f32_i32_e32 v42, v48
	v_add_f32_e32 v41, v49, v41
	v_add_f32_e32 v40, v40, v41
	;; [unrolled: 1-line block ×4, first 2 shown]
	v_sub_f32_e32 v41, v43, v53
	v_mul_f32_e32 v40, v51, v40
	v_sub_f32_e32 v41, v52, v41
	v_add_f32_e32 v40, v41, v40
	v_add_f32_e32 v44, v43, v40
	v_mul_f32_e32 v46, v44, v44
	v_mov_b32_e32 v41, 0x3ecc95a3
	v_sub_f32_e32 v43, v44, v43
	v_fmac_f32_e32 v41, 0x3e9b6dac, v46
	v_sub_f32_e32 v40, v40, v43
	v_fmaak_f32 v41, v46, v41, 0x3f2aaada
	v_ldexp_f32 v47, v40, 1
	v_mul_f32_e32 v43, v44, v46
	v_mov_b32_e32 v40, 0x3f317218
	v_pk_mul_f32 v[40:41], v[42:43], v[40:41]
	v_ldexp_f32 v45, v44, 1
	v_fma_f32 v43, v42, s33, -v40
	v_fmamk_f32 v44, v42, 0xb102e308, v43
	v_pk_add_f32 v[42:43], v[40:41], v[44:45]
	v_mov_b32_e32 v46, v40
	v_sub_f32_e32 v45, v43, v45
	v_sub_f32_e32 v45, v41, v45
	v_add_f32_e32 v47, v47, v45
	v_pk_add_f32 v[40:41], v[42:43], v[40:41] neg_lo:[0,1] neg_hi:[0,1]
	v_pk_add_f32 v[48:49], v[42:43], v[46:47]
	v_mov_b32_e32 v45, v42
	v_mov_b32_e32 v41, v49
	v_pk_add_f32 v[50:51], v[44:45], v[40:41] neg_lo:[0,1] neg_hi:[0,1]
	v_pk_add_f32 v[40:41], v[44:45], v[40:41]
	v_mov_b32_e32 v46, v47
	v_pk_add_f32 v[44:45], v[40:41], v[42:43] op_sel:[1,0] op_sel_hi:[0,1] neg_lo:[0,1] neg_hi:[0,1]
	v_pk_add_f32 v[52:53], v[48:49], v[44:45] op_sel_hi:[1,0] neg_lo:[0,1] neg_hi:[0,1]
	v_mov_b32_e32 v48, v49
	v_mov_b32_e32 v49, v41
	v_pk_mov_b32 v[44:45], v[42:43], v[44:45] op_sel:[1,0]
	v_mov_b32_e32 v47, v42
	v_pk_add_f32 v[44:45], v[48:49], v[44:45] neg_lo:[0,1] neg_hi:[0,1]
	v_mov_b32_e32 v52, v50
	v_pk_add_f32 v[42:43], v[46:47], v[44:45] neg_lo:[0,1] neg_hi:[0,1]
	v_mov_b32_e32 v51, v41
	v_pk_add_f32 v[44:45], v[52:53], v[42:43]
	s_mov_b32 s33, 0x33800000
	v_pk_add_f32 v[46:47], v[44:45], v[44:45] op_sel:[0,1] op_sel_hi:[1,0]
	s_nop 0
	v_pk_add_f32 v[40:41], v[40:41], v[46:47] op_sel:[1,0] op_sel_hi:[0,1]
	v_mov_b32_e32 v45, v40
	v_pk_add_f32 v[48:49], v[44:45], v[50:51] neg_lo:[0,1] neg_hi:[0,1]
	v_mov_b32_e32 v43, v46
	v_sub_f32_e32 v41, v44, v48
	v_pk_add_f32 v[42:43], v[42:43], v[48:49] neg_lo:[0,1] neg_hi:[0,1]
	v_sub_f32_e32 v41, v50, v41
	v_add_f32_e32 v41, v42, v41
	v_add_f32_e32 v41, v41, v43
	v_add_f32_e32 v40, v40, v41
	v_cndmask_b32_e64 v40, v54, v40, s[60:61]
	v_cmp_lt_f32_e64 s[60:61], |v39|, s33
	s_nop 1
	v_cndmask_b32_e64 v39, v40, v39, s[60:61]
	v_add_f32_e32 v39, v38, v39
.LBB162_72:
	s_or_b64 exec, exec, s[62:63]
	v_mov_b32_e32 v38, v39
.LBB162_73:
	s_or_b64 exec, exec, s[66:67]
	s_nop 0
	v_mov_b32_dpp v39, v38 row_shr:8 row_mask:0xf bank_mask:0xf
	v_cmp_lt_u32_e64 s[60:61], 7, v37
	s_and_saveexec_b64 s[66:67], s[60:61]
	s_cbranch_execz .LBB162_77
; %bb.74:
	v_max_f32_e32 v37, v38, v38
	v_max_f32_e32 v41, v39, v39
	v_min_f32_e32 v40, v41, v37
	v_cmp_u_f32_e64 s[60:61], v39, v39
	v_max_f32_e32 v37, v41, v37
	v_cmp_u_f32_e64 s[62:63], v38, v38
	v_cndmask_b32_e64 v40, v40, v39, s[60:61]
	v_cndmask_b32_e64 v37, v37, v39, s[60:61]
	;; [unrolled: 1-line block ×4, first 2 shown]
	s_movk_i32 s33, 0x1f8
	v_cmp_neq_f32_e64 s[60:61], v40, v37
	v_cmp_class_f32_e64 s[62:63], v40, s33
	s_or_b64 s[60:61], s[60:61], s[62:63]
	s_and_saveexec_b64 s[62:63], s[60:61]
	s_cbranch_execz .LBB162_76
; %bb.75:
	v_sub_f32_e32 v38, v40, v37
	s_mov_b32 s33, 0x3fb8aa3b
	v_mul_f32_e32 v39, 0x3fb8aa3b, v38
	v_fma_f32 v40, v38, s33, -v39
	v_rndne_f32_e32 v41, v39
	v_fmamk_f32 v40, v38, 0x32a5705f, v40
	v_sub_f32_e32 v39, v39, v41
	v_add_f32_e32 v39, v39, v40
	v_exp_f32_e32 v39, v39
	v_cvt_i32_f32_e32 v40, v41
	s_mov_b32 s33, 0xc2ce8ed0
	v_cmp_ngt_f32_e64 s[60:61], s33, v38
	s_mov_b32 s33, 0x42b17218
	v_ldexp_f32 v39, v39, v40
	v_cndmask_b32_e64 v39, 0, v39, s[60:61]
	v_mov_b32_e32 v52, 0x7f800000
	v_cmp_nlt_f32_e64 s[60:61], s33, v38
	s_mov_b32 s33, 0x3f2aaaab
	s_mov_b32 s68, 0x7f800000
	v_cndmask_b32_e64 v53, v52, v39, s[60:61]
	v_add_f32_e32 v40, 1.0, v53
	v_add_f32_e32 v38, -1.0, v40
	v_sub_f32_e32 v39, v38, v40
	v_add_f32_e32 v39, 1.0, v39
	v_sub_f32_e32 v38, v53, v38
	v_add_f32_e32 v41, v38, v39
	v_frexp_mant_f32_e32 v42, v40
	v_cvt_f64_f32_e32 v[38:39], v40
	v_frexp_exp_i32_f64_e32 v38, v[38:39]
	v_cmp_gt_f32_e64 s[60:61], s33, v42
	s_mov_b32 s33, 0x3f317218
	s_nop 0
	v_subbrev_co_u32_e64 v46, s[60:61], 0, v38, s[60:61]
	v_sub_u32_e32 v38, 0, v46
	v_ldexp_f32 v39, v40, v38
	v_add_f32_e32 v40, -1.0, v39
	v_add_f32_e32 v42, 1.0, v39
	v_ldexp_f32 v38, v41, v38
	v_add_f32_e32 v41, 1.0, v40
	v_add_f32_e32 v43, -1.0, v42
	v_sub_f32_e32 v41, v39, v41
	v_sub_f32_e32 v39, v39, v43
	v_add_f32_e32 v41, v38, v41
	v_add_f32_e32 v38, v38, v39
	;; [unrolled: 1-line block ×3, first 2 shown]
	v_rcp_f32_e32 v49, v47
	v_sub_f32_e32 v39, v42, v47
	v_add_f32_e32 v48, v38, v39
	v_add_f32_e32 v39, v40, v41
	v_mul_f32_e32 v51, v39, v49
	v_sub_f32_e32 v38, v40, v39
	v_mul_f32_e32 v40, v47, v51
	v_fma_f32 v42, v51, v47, -v40
	v_fmac_f32_e32 v42, v51, v48
	v_add_f32_e32 v50, v41, v38
	v_add_f32_e32 v38, v40, v42
	v_sub_f32_e32 v41, v39, v38
	v_pk_add_f32 v[44:45], v[38:39], v[40:41] neg_lo:[0,1] neg_hi:[0,1]
	v_mov_b32_e32 v43, v38
	v_pk_add_f32 v[38:39], v[44:45], v[42:43] neg_lo:[0,1] neg_hi:[0,1]
	v_cmp_neq_f32_e64 s[60:61], s68, v53
	v_add_f32_e32 v39, v50, v39
	v_add_f32_e32 v38, v38, v39
	;; [unrolled: 1-line block ×3, first 2 shown]
	v_mul_f32_e32 v50, v49, v39
	v_mul_f32_e32 v40, v47, v50
	v_fma_f32 v42, v50, v47, -v40
	v_fmac_f32_e32 v42, v50, v48
	v_sub_f32_e32 v41, v41, v39
	v_add_f32_e32 v47, v38, v41
	v_add_f32_e32 v38, v40, v42
	v_sub_f32_e32 v41, v39, v38
	v_pk_add_f32 v[44:45], v[38:39], v[40:41] neg_lo:[0,1] neg_hi:[0,1]
	v_mov_b32_e32 v43, v38
	v_pk_add_f32 v[38:39], v[44:45], v[42:43] neg_lo:[0,1] neg_hi:[0,1]
	v_cvt_f32_i32_e32 v40, v46
	v_add_f32_e32 v39, v47, v39
	v_add_f32_e32 v38, v38, v39
	;; [unrolled: 1-line block ×4, first 2 shown]
	v_sub_f32_e32 v39, v41, v51
	v_mul_f32_e32 v38, v49, v38
	v_sub_f32_e32 v39, v50, v39
	v_add_f32_e32 v38, v39, v38
	v_add_f32_e32 v42, v41, v38
	v_mul_f32_e32 v44, v42, v42
	v_mov_b32_e32 v39, 0x3ecc95a3
	v_sub_f32_e32 v41, v42, v41
	v_fmac_f32_e32 v39, 0x3e9b6dac, v44
	v_sub_f32_e32 v38, v38, v41
	v_fmaak_f32 v39, v44, v39, 0x3f2aaada
	v_ldexp_f32 v45, v38, 1
	v_mul_f32_e32 v41, v42, v44
	v_mov_b32_e32 v38, 0x3f317218
	v_pk_mul_f32 v[38:39], v[40:41], v[38:39]
	v_ldexp_f32 v43, v42, 1
	v_fma_f32 v41, v40, s33, -v38
	v_fmamk_f32 v42, v40, 0xb102e308, v41
	v_pk_add_f32 v[40:41], v[38:39], v[42:43]
	v_mov_b32_e32 v44, v38
	v_sub_f32_e32 v43, v41, v43
	v_sub_f32_e32 v43, v39, v43
	v_add_f32_e32 v45, v45, v43
	v_pk_add_f32 v[38:39], v[40:41], v[38:39] neg_lo:[0,1] neg_hi:[0,1]
	v_pk_add_f32 v[46:47], v[40:41], v[44:45]
	v_mov_b32_e32 v43, v40
	v_mov_b32_e32 v39, v47
	v_pk_add_f32 v[48:49], v[42:43], v[38:39] neg_lo:[0,1] neg_hi:[0,1]
	v_pk_add_f32 v[38:39], v[42:43], v[38:39]
	v_mov_b32_e32 v44, v45
	v_pk_add_f32 v[42:43], v[38:39], v[40:41] op_sel:[1,0] op_sel_hi:[0,1] neg_lo:[0,1] neg_hi:[0,1]
	v_pk_add_f32 v[50:51], v[46:47], v[42:43] op_sel_hi:[1,0] neg_lo:[0,1] neg_hi:[0,1]
	v_mov_b32_e32 v46, v47
	v_mov_b32_e32 v47, v39
	v_pk_mov_b32 v[42:43], v[40:41], v[42:43] op_sel:[1,0]
	v_mov_b32_e32 v45, v40
	v_pk_add_f32 v[42:43], v[46:47], v[42:43] neg_lo:[0,1] neg_hi:[0,1]
	v_mov_b32_e32 v50, v48
	v_pk_add_f32 v[40:41], v[44:45], v[42:43] neg_lo:[0,1] neg_hi:[0,1]
	v_mov_b32_e32 v49, v39
	v_pk_add_f32 v[42:43], v[50:51], v[40:41]
	s_mov_b32 s33, 0x33800000
	v_pk_add_f32 v[44:45], v[42:43], v[42:43] op_sel:[0,1] op_sel_hi:[1,0]
	s_nop 0
	v_pk_add_f32 v[38:39], v[38:39], v[44:45] op_sel:[1,0] op_sel_hi:[0,1]
	v_mov_b32_e32 v43, v38
	v_pk_add_f32 v[46:47], v[42:43], v[48:49] neg_lo:[0,1] neg_hi:[0,1]
	v_mov_b32_e32 v41, v44
	v_sub_f32_e32 v39, v42, v46
	v_pk_add_f32 v[40:41], v[40:41], v[46:47] neg_lo:[0,1] neg_hi:[0,1]
	v_sub_f32_e32 v39, v48, v39
	v_add_f32_e32 v39, v40, v39
	v_add_f32_e32 v39, v39, v41
	;; [unrolled: 1-line block ×3, first 2 shown]
	v_cndmask_b32_e64 v38, v52, v38, s[60:61]
	v_cmp_lt_f32_e64 s[60:61], |v53|, s33
	s_nop 1
	v_cndmask_b32_e64 v38, v38, v53, s[60:61]
	v_add_f32_e32 v39, v37, v38
.LBB162_76:
	s_or_b64 exec, exec, s[62:63]
	v_mov_b32_e32 v38, v39
.LBB162_77:
	s_or_b64 exec, exec, s[66:67]
	v_and_b32_e32 v37, 16, v19
	v_mov_b32_dpp v39, v38 row_bcast:15 row_mask:0xf bank_mask:0xf
	v_cmp_ne_u32_e64 s[60:61], 0, v37
	s_and_saveexec_b64 s[66:67], s[60:61]
	s_cbranch_execz .LBB162_81
; %bb.78:
	v_max_f32_e32 v37, v38, v38
	v_max_f32_e32 v41, v39, v39
	v_min_f32_e32 v40, v41, v37
	v_cmp_u_f32_e64 s[60:61], v39, v39
	v_max_f32_e32 v37, v41, v37
	v_cmp_u_f32_e64 s[62:63], v38, v38
	v_cndmask_b32_e64 v40, v40, v39, s[60:61]
	v_cndmask_b32_e64 v37, v37, v39, s[60:61]
	;; [unrolled: 1-line block ×4, first 2 shown]
	s_movk_i32 s33, 0x1f8
	v_cmp_neq_f32_e64 s[60:61], v40, v37
	v_cmp_class_f32_e64 s[62:63], v40, s33
	s_or_b64 s[60:61], s[60:61], s[62:63]
	s_and_saveexec_b64 s[62:63], s[60:61]
	s_cbranch_execz .LBB162_80
; %bb.79:
	v_sub_f32_e32 v38, v40, v37
	s_mov_b32 s33, 0x3fb8aa3b
	v_mul_f32_e32 v39, 0x3fb8aa3b, v38
	v_fma_f32 v40, v38, s33, -v39
	v_rndne_f32_e32 v41, v39
	v_fmamk_f32 v40, v38, 0x32a5705f, v40
	v_sub_f32_e32 v39, v39, v41
	v_add_f32_e32 v39, v39, v40
	v_exp_f32_e32 v39, v39
	v_cvt_i32_f32_e32 v40, v41
	s_mov_b32 s33, 0xc2ce8ed0
	v_cmp_ngt_f32_e64 s[60:61], s33, v38
	s_mov_b32 s33, 0x42b17218
	v_ldexp_f32 v39, v39, v40
	v_cndmask_b32_e64 v39, 0, v39, s[60:61]
	v_mov_b32_e32 v52, 0x7f800000
	v_cmp_nlt_f32_e64 s[60:61], s33, v38
	s_mov_b32 s33, 0x3f2aaaab
	s_mov_b32 s68, 0x7f800000
	v_cndmask_b32_e64 v53, v52, v39, s[60:61]
	v_add_f32_e32 v40, 1.0, v53
	v_add_f32_e32 v38, -1.0, v40
	v_sub_f32_e32 v39, v38, v40
	v_add_f32_e32 v39, 1.0, v39
	v_sub_f32_e32 v38, v53, v38
	v_add_f32_e32 v41, v38, v39
	v_frexp_mant_f32_e32 v42, v40
	v_cvt_f64_f32_e32 v[38:39], v40
	v_frexp_exp_i32_f64_e32 v38, v[38:39]
	v_cmp_gt_f32_e64 s[60:61], s33, v42
	s_mov_b32 s33, 0x3f317218
	s_nop 0
	v_subbrev_co_u32_e64 v46, s[60:61], 0, v38, s[60:61]
	v_sub_u32_e32 v38, 0, v46
	v_ldexp_f32 v39, v40, v38
	v_add_f32_e32 v40, -1.0, v39
	v_add_f32_e32 v42, 1.0, v39
	v_ldexp_f32 v38, v41, v38
	v_add_f32_e32 v41, 1.0, v40
	v_add_f32_e32 v43, -1.0, v42
	v_sub_f32_e32 v41, v39, v41
	v_sub_f32_e32 v39, v39, v43
	v_add_f32_e32 v41, v38, v41
	v_add_f32_e32 v38, v38, v39
	v_add_f32_e32 v47, v42, v38
	v_rcp_f32_e32 v49, v47
	v_sub_f32_e32 v39, v42, v47
	v_add_f32_e32 v48, v38, v39
	v_add_f32_e32 v39, v40, v41
	v_mul_f32_e32 v51, v39, v49
	v_sub_f32_e32 v38, v40, v39
	v_mul_f32_e32 v40, v47, v51
	v_fma_f32 v42, v51, v47, -v40
	v_fmac_f32_e32 v42, v51, v48
	v_add_f32_e32 v50, v41, v38
	v_add_f32_e32 v38, v40, v42
	v_sub_f32_e32 v41, v39, v38
	v_pk_add_f32 v[44:45], v[38:39], v[40:41] neg_lo:[0,1] neg_hi:[0,1]
	v_mov_b32_e32 v43, v38
	v_pk_add_f32 v[38:39], v[44:45], v[42:43] neg_lo:[0,1] neg_hi:[0,1]
	v_cmp_neq_f32_e64 s[60:61], s68, v53
	v_add_f32_e32 v39, v50, v39
	v_add_f32_e32 v38, v38, v39
	;; [unrolled: 1-line block ×3, first 2 shown]
	v_mul_f32_e32 v50, v49, v39
	v_mul_f32_e32 v40, v47, v50
	v_fma_f32 v42, v50, v47, -v40
	v_fmac_f32_e32 v42, v50, v48
	v_sub_f32_e32 v41, v41, v39
	v_add_f32_e32 v47, v38, v41
	v_add_f32_e32 v38, v40, v42
	v_sub_f32_e32 v41, v39, v38
	v_pk_add_f32 v[44:45], v[38:39], v[40:41] neg_lo:[0,1] neg_hi:[0,1]
	v_mov_b32_e32 v43, v38
	v_pk_add_f32 v[38:39], v[44:45], v[42:43] neg_lo:[0,1] neg_hi:[0,1]
	v_cvt_f32_i32_e32 v40, v46
	v_add_f32_e32 v39, v47, v39
	v_add_f32_e32 v38, v38, v39
	;; [unrolled: 1-line block ×4, first 2 shown]
	v_sub_f32_e32 v39, v41, v51
	v_mul_f32_e32 v38, v49, v38
	v_sub_f32_e32 v39, v50, v39
	v_add_f32_e32 v38, v39, v38
	v_add_f32_e32 v42, v41, v38
	v_mul_f32_e32 v44, v42, v42
	v_mov_b32_e32 v39, 0x3ecc95a3
	v_sub_f32_e32 v41, v42, v41
	v_fmac_f32_e32 v39, 0x3e9b6dac, v44
	v_sub_f32_e32 v38, v38, v41
	v_fmaak_f32 v39, v44, v39, 0x3f2aaada
	v_ldexp_f32 v45, v38, 1
	v_mul_f32_e32 v41, v42, v44
	v_mov_b32_e32 v38, 0x3f317218
	v_pk_mul_f32 v[38:39], v[40:41], v[38:39]
	v_ldexp_f32 v43, v42, 1
	v_fma_f32 v41, v40, s33, -v38
	v_fmamk_f32 v42, v40, 0xb102e308, v41
	v_pk_add_f32 v[40:41], v[38:39], v[42:43]
	v_mov_b32_e32 v44, v38
	v_sub_f32_e32 v43, v41, v43
	v_sub_f32_e32 v43, v39, v43
	v_add_f32_e32 v45, v45, v43
	v_pk_add_f32 v[38:39], v[40:41], v[38:39] neg_lo:[0,1] neg_hi:[0,1]
	v_pk_add_f32 v[46:47], v[40:41], v[44:45]
	v_mov_b32_e32 v43, v40
	v_mov_b32_e32 v39, v47
	v_pk_add_f32 v[48:49], v[42:43], v[38:39] neg_lo:[0,1] neg_hi:[0,1]
	v_pk_add_f32 v[38:39], v[42:43], v[38:39]
	v_mov_b32_e32 v44, v45
	v_pk_add_f32 v[42:43], v[38:39], v[40:41] op_sel:[1,0] op_sel_hi:[0,1] neg_lo:[0,1] neg_hi:[0,1]
	v_pk_add_f32 v[50:51], v[46:47], v[42:43] op_sel_hi:[1,0] neg_lo:[0,1] neg_hi:[0,1]
	v_mov_b32_e32 v46, v47
	v_mov_b32_e32 v47, v39
	v_pk_mov_b32 v[42:43], v[40:41], v[42:43] op_sel:[1,0]
	v_mov_b32_e32 v45, v40
	v_pk_add_f32 v[42:43], v[46:47], v[42:43] neg_lo:[0,1] neg_hi:[0,1]
	v_mov_b32_e32 v50, v48
	v_pk_add_f32 v[40:41], v[44:45], v[42:43] neg_lo:[0,1] neg_hi:[0,1]
	v_mov_b32_e32 v49, v39
	v_pk_add_f32 v[42:43], v[50:51], v[40:41]
	s_mov_b32 s33, 0x33800000
	v_pk_add_f32 v[44:45], v[42:43], v[42:43] op_sel:[0,1] op_sel_hi:[1,0]
	s_nop 0
	v_pk_add_f32 v[38:39], v[38:39], v[44:45] op_sel:[1,0] op_sel_hi:[0,1]
	v_mov_b32_e32 v43, v38
	v_pk_add_f32 v[46:47], v[42:43], v[48:49] neg_lo:[0,1] neg_hi:[0,1]
	v_mov_b32_e32 v41, v44
	v_sub_f32_e32 v39, v42, v46
	v_pk_add_f32 v[40:41], v[40:41], v[46:47] neg_lo:[0,1] neg_hi:[0,1]
	v_sub_f32_e32 v39, v48, v39
	v_add_f32_e32 v39, v40, v39
	v_add_f32_e32 v39, v39, v41
	v_add_f32_e32 v38, v38, v39
	v_cndmask_b32_e64 v38, v52, v38, s[60:61]
	v_cmp_lt_f32_e64 s[60:61], |v53|, s33
	s_nop 1
	v_cndmask_b32_e64 v38, v38, v53, s[60:61]
	v_add_f32_e32 v39, v37, v38
.LBB162_80:
	s_or_b64 exec, exec, s[62:63]
	v_mov_b32_e32 v38, v39
.LBB162_81:
	s_or_b64 exec, exec, s[66:67]
	s_nop 0
	v_mov_b32_dpp v39, v38 row_bcast:31 row_mask:0xf bank_mask:0xf
	v_cmp_lt_u32_e64 s[60:61], 31, v19
	s_and_saveexec_b64 s[66:67], s[60:61]
	s_cbranch_execz .LBB162_85
; %bb.82:
	v_max_f32_e32 v37, v38, v38
	v_max_f32_e32 v41, v39, v39
	v_min_f32_e32 v40, v41, v37
	v_cmp_u_f32_e64 s[60:61], v39, v39
	v_max_f32_e32 v37, v41, v37
	v_cmp_u_f32_e64 s[62:63], v38, v38
	v_cndmask_b32_e64 v40, v40, v39, s[60:61]
	v_cndmask_b32_e64 v37, v37, v39, s[60:61]
	;; [unrolled: 1-line block ×4, first 2 shown]
	s_movk_i32 s33, 0x1f8
	v_cmp_neq_f32_e64 s[60:61], v40, v37
	v_cmp_class_f32_e64 s[62:63], v40, s33
	s_or_b64 s[60:61], s[60:61], s[62:63]
	s_and_saveexec_b64 s[62:63], s[60:61]
	s_cbranch_execz .LBB162_84
; %bb.83:
	v_sub_f32_e32 v38, v40, v37
	s_mov_b32 s33, 0x3fb8aa3b
	v_mul_f32_e32 v39, 0x3fb8aa3b, v38
	v_fma_f32 v40, v38, s33, -v39
	v_rndne_f32_e32 v41, v39
	v_fmamk_f32 v40, v38, 0x32a5705f, v40
	v_sub_f32_e32 v39, v39, v41
	v_add_f32_e32 v39, v39, v40
	v_exp_f32_e32 v39, v39
	v_cvt_i32_f32_e32 v40, v41
	s_mov_b32 s33, 0xc2ce8ed0
	v_cmp_ngt_f32_e64 s[60:61], s33, v38
	s_mov_b32 s33, 0x42b17218
	v_ldexp_f32 v39, v39, v40
	v_cndmask_b32_e64 v39, 0, v39, s[60:61]
	v_mov_b32_e32 v52, 0x7f800000
	v_cmp_nlt_f32_e64 s[60:61], s33, v38
	s_mov_b32 s33, 0x3f2aaaab
	s_mov_b32 s68, 0x7f800000
	v_cndmask_b32_e64 v53, v52, v39, s[60:61]
	v_add_f32_e32 v40, 1.0, v53
	v_add_f32_e32 v38, -1.0, v40
	v_sub_f32_e32 v39, v38, v40
	v_add_f32_e32 v39, 1.0, v39
	v_sub_f32_e32 v38, v53, v38
	v_add_f32_e32 v41, v38, v39
	v_frexp_mant_f32_e32 v42, v40
	v_cvt_f64_f32_e32 v[38:39], v40
	v_frexp_exp_i32_f64_e32 v38, v[38:39]
	v_cmp_gt_f32_e64 s[60:61], s33, v42
	s_mov_b32 s33, 0x3f317218
	s_nop 0
	v_subbrev_co_u32_e64 v46, s[60:61], 0, v38, s[60:61]
	v_sub_u32_e32 v38, 0, v46
	v_ldexp_f32 v39, v40, v38
	v_add_f32_e32 v40, -1.0, v39
	v_add_f32_e32 v42, 1.0, v39
	v_ldexp_f32 v38, v41, v38
	v_add_f32_e32 v41, 1.0, v40
	v_add_f32_e32 v43, -1.0, v42
	v_sub_f32_e32 v41, v39, v41
	v_sub_f32_e32 v39, v39, v43
	v_add_f32_e32 v41, v38, v41
	v_add_f32_e32 v38, v38, v39
	;; [unrolled: 1-line block ×3, first 2 shown]
	v_rcp_f32_e32 v49, v47
	v_sub_f32_e32 v39, v42, v47
	v_add_f32_e32 v48, v38, v39
	v_add_f32_e32 v39, v40, v41
	v_mul_f32_e32 v51, v39, v49
	v_sub_f32_e32 v38, v40, v39
	v_mul_f32_e32 v40, v47, v51
	v_fma_f32 v42, v51, v47, -v40
	v_fmac_f32_e32 v42, v51, v48
	v_add_f32_e32 v50, v41, v38
	v_add_f32_e32 v38, v40, v42
	v_sub_f32_e32 v41, v39, v38
	v_pk_add_f32 v[44:45], v[38:39], v[40:41] neg_lo:[0,1] neg_hi:[0,1]
	v_mov_b32_e32 v43, v38
	v_pk_add_f32 v[38:39], v[44:45], v[42:43] neg_lo:[0,1] neg_hi:[0,1]
	v_cmp_neq_f32_e64 s[60:61], s68, v53
	v_add_f32_e32 v39, v50, v39
	v_add_f32_e32 v38, v38, v39
	;; [unrolled: 1-line block ×3, first 2 shown]
	v_mul_f32_e32 v50, v49, v39
	v_mul_f32_e32 v40, v47, v50
	v_fma_f32 v42, v50, v47, -v40
	v_fmac_f32_e32 v42, v50, v48
	v_sub_f32_e32 v41, v41, v39
	v_add_f32_e32 v47, v38, v41
	v_add_f32_e32 v38, v40, v42
	v_sub_f32_e32 v41, v39, v38
	v_pk_add_f32 v[44:45], v[38:39], v[40:41] neg_lo:[0,1] neg_hi:[0,1]
	v_mov_b32_e32 v43, v38
	v_pk_add_f32 v[38:39], v[44:45], v[42:43] neg_lo:[0,1] neg_hi:[0,1]
	v_cvt_f32_i32_e32 v40, v46
	v_add_f32_e32 v39, v47, v39
	v_add_f32_e32 v38, v38, v39
	;; [unrolled: 1-line block ×4, first 2 shown]
	v_sub_f32_e32 v39, v41, v51
	v_mul_f32_e32 v38, v49, v38
	v_sub_f32_e32 v39, v50, v39
	v_add_f32_e32 v38, v39, v38
	v_add_f32_e32 v42, v41, v38
	v_mul_f32_e32 v44, v42, v42
	v_mov_b32_e32 v39, 0x3ecc95a3
	v_sub_f32_e32 v41, v42, v41
	v_fmac_f32_e32 v39, 0x3e9b6dac, v44
	v_sub_f32_e32 v38, v38, v41
	v_fmaak_f32 v39, v44, v39, 0x3f2aaada
	v_ldexp_f32 v45, v38, 1
	v_mul_f32_e32 v41, v42, v44
	v_mov_b32_e32 v38, 0x3f317218
	v_pk_mul_f32 v[38:39], v[40:41], v[38:39]
	v_ldexp_f32 v43, v42, 1
	v_fma_f32 v41, v40, s33, -v38
	v_fmamk_f32 v42, v40, 0xb102e308, v41
	v_pk_add_f32 v[40:41], v[38:39], v[42:43]
	v_mov_b32_e32 v44, v38
	v_sub_f32_e32 v43, v41, v43
	v_sub_f32_e32 v43, v39, v43
	v_add_f32_e32 v45, v45, v43
	v_pk_add_f32 v[38:39], v[40:41], v[38:39] neg_lo:[0,1] neg_hi:[0,1]
	v_pk_add_f32 v[46:47], v[40:41], v[44:45]
	v_mov_b32_e32 v43, v40
	v_mov_b32_e32 v39, v47
	v_pk_add_f32 v[48:49], v[42:43], v[38:39] neg_lo:[0,1] neg_hi:[0,1]
	v_pk_add_f32 v[38:39], v[42:43], v[38:39]
	v_mov_b32_e32 v44, v45
	v_pk_add_f32 v[42:43], v[38:39], v[40:41] op_sel:[1,0] op_sel_hi:[0,1] neg_lo:[0,1] neg_hi:[0,1]
	v_pk_add_f32 v[50:51], v[46:47], v[42:43] op_sel_hi:[1,0] neg_lo:[0,1] neg_hi:[0,1]
	v_mov_b32_e32 v46, v47
	v_mov_b32_e32 v47, v39
	v_pk_mov_b32 v[42:43], v[40:41], v[42:43] op_sel:[1,0]
	v_mov_b32_e32 v45, v40
	v_pk_add_f32 v[42:43], v[46:47], v[42:43] neg_lo:[0,1] neg_hi:[0,1]
	v_mov_b32_e32 v50, v48
	v_pk_add_f32 v[40:41], v[44:45], v[42:43] neg_lo:[0,1] neg_hi:[0,1]
	v_mov_b32_e32 v49, v39
	v_pk_add_f32 v[42:43], v[50:51], v[40:41]
	s_mov_b32 s33, 0x33800000
	v_pk_add_f32 v[44:45], v[42:43], v[42:43] op_sel:[0,1] op_sel_hi:[1,0]
	s_nop 0
	v_pk_add_f32 v[38:39], v[38:39], v[44:45] op_sel:[1,0] op_sel_hi:[0,1]
	v_mov_b32_e32 v43, v38
	v_pk_add_f32 v[46:47], v[42:43], v[48:49] neg_lo:[0,1] neg_hi:[0,1]
	v_mov_b32_e32 v41, v44
	v_sub_f32_e32 v39, v42, v46
	v_pk_add_f32 v[40:41], v[40:41], v[46:47] neg_lo:[0,1] neg_hi:[0,1]
	v_sub_f32_e32 v39, v48, v39
	v_add_f32_e32 v39, v40, v39
	v_add_f32_e32 v39, v39, v41
	;; [unrolled: 1-line block ×3, first 2 shown]
	v_cndmask_b32_e64 v38, v52, v38, s[60:61]
	v_cmp_lt_f32_e64 s[60:61], |v53|, s33
	s_nop 1
	v_cndmask_b32_e64 v38, v38, v53, s[60:61]
	v_add_f32_e32 v39, v37, v38
.LBB162_84:
	s_or_b64 exec, exec, s[62:63]
	v_mov_b32_e32 v38, v39
.LBB162_85:
	s_or_b64 exec, exec, s[66:67]
	v_add_u32_e32 v37, -1, v19
	v_and_b32_e32 v39, 64, v19
	v_cmp_lt_i32_e64 s[60:61], v37, v39
	s_movk_i32 s33, 0x1f8
	s_nop 0
	v_cndmask_b32_e64 v19, v37, v19, s[60:61]
	v_lshlrev_b32_e32 v19, 2, v19
	ds_bpermute_b32 v19, v19, v38
	s_waitcnt lgkmcnt(0)
	v_max_f32_e32 v37, v19, v19
	v_min_f32_e32 v38, v37, v36
	v_max_f32_e32 v37, v37, v36
	v_cmp_u_f32_e64 s[60:61], v19, v19
	s_nop 1
	v_cndmask_b32_e64 v36, v38, v19, s[60:61]
	v_cndmask_b32_e64 v37, v37, v19, s[60:61]
	;; [unrolled: 1-line block ×4, first 2 shown]
	v_cmp_neq_f32_e64 s[58:59], v36, v18
	v_cmp_class_f32_e64 s[60:61], v36, s33
	s_or_b64 s[58:59], s[58:59], s[60:61]
	s_and_saveexec_b64 s[60:61], s[58:59]
	s_cbranch_execz .LBB162_87
; %bb.86:
	v_sub_f32_e32 v19, v36, v18
	s_mov_b32 s58, 0x3fb8aa3b
	v_mul_f32_e32 v36, 0x3fb8aa3b, v19
	v_fma_f32 v37, v19, s58, -v36
	v_rndne_f32_e32 v38, v36
	v_fmamk_f32 v37, v19, 0x32a5705f, v37
	v_sub_f32_e32 v36, v36, v38
	v_add_f32_e32 v36, v36, v37
	v_exp_f32_e32 v36, v36
	v_cvt_i32_f32_e32 v37, v38
	s_mov_b32 s58, 0xc2ce8ed0
	v_cmp_ngt_f32_e64 s[58:59], s58, v19
	v_mov_b32_e32 v50, 0x7f800000
	v_ldexp_f32 v36, v36, v37
	v_cndmask_b32_e64 v36, 0, v36, s[58:59]
	s_mov_b32 s58, 0x42b17218
	v_cmp_nlt_f32_e64 s[58:59], s58, v19
	s_mov_b32 s62, 0x7f800000
	s_nop 0
	v_cndmask_b32_e64 v19, v50, v36, s[58:59]
	v_add_f32_e32 v38, 1.0, v19
	v_add_f32_e32 v36, -1.0, v38
	v_sub_f32_e32 v37, v36, v38
	v_add_f32_e32 v37, 1.0, v37
	v_sub_f32_e32 v36, v19, v36
	v_add_f32_e32 v39, v36, v37
	v_frexp_mant_f32_e32 v40, v38
	s_mov_b32 s58, 0x3f2aaaab
	v_cvt_f64_f32_e32 v[36:37], v38
	v_frexp_exp_i32_f64_e32 v36, v[36:37]
	v_cmp_gt_f32_e64 s[58:59], s58, v40
	s_nop 1
	v_subbrev_co_u32_e64 v44, s[58:59], 0, v36, s[58:59]
	v_sub_u32_e32 v36, 0, v44
	v_ldexp_f32 v37, v38, v36
	v_add_f32_e32 v38, -1.0, v37
	v_add_f32_e32 v40, 1.0, v37
	v_ldexp_f32 v36, v39, v36
	v_add_f32_e32 v39, 1.0, v38
	v_add_f32_e32 v41, -1.0, v40
	v_sub_f32_e32 v39, v37, v39
	v_sub_f32_e32 v37, v37, v41
	v_add_f32_e32 v39, v36, v39
	v_add_f32_e32 v36, v36, v37
	;; [unrolled: 1-line block ×3, first 2 shown]
	v_rcp_f32_e32 v47, v45
	v_sub_f32_e32 v37, v40, v45
	v_add_f32_e32 v46, v36, v37
	v_add_f32_e32 v37, v38, v39
	v_mul_f32_e32 v49, v37, v47
	v_sub_f32_e32 v36, v38, v37
	v_mul_f32_e32 v38, v45, v49
	v_fma_f32 v40, v49, v45, -v38
	v_fmac_f32_e32 v40, v49, v46
	v_add_f32_e32 v48, v39, v36
	v_add_f32_e32 v36, v38, v40
	v_sub_f32_e32 v39, v37, v36
	v_pk_add_f32 v[42:43], v[36:37], v[38:39] neg_lo:[0,1] neg_hi:[0,1]
	v_mov_b32_e32 v41, v36
	v_pk_add_f32 v[36:37], v[42:43], v[40:41] neg_lo:[0,1] neg_hi:[0,1]
	s_mov_b32 s58, 0x3f317218
	v_add_f32_e32 v37, v48, v37
	v_add_f32_e32 v36, v36, v37
	;; [unrolled: 1-line block ×3, first 2 shown]
	v_mul_f32_e32 v48, v47, v37
	v_mul_f32_e32 v38, v45, v48
	v_fma_f32 v40, v48, v45, -v38
	v_fmac_f32_e32 v40, v48, v46
	v_sub_f32_e32 v39, v39, v37
	v_add_f32_e32 v45, v36, v39
	v_add_f32_e32 v36, v38, v40
	v_sub_f32_e32 v39, v37, v36
	v_pk_add_f32 v[42:43], v[36:37], v[38:39] neg_lo:[0,1] neg_hi:[0,1]
	v_mov_b32_e32 v41, v36
	v_pk_add_f32 v[36:37], v[42:43], v[40:41] neg_lo:[0,1] neg_hi:[0,1]
	v_cvt_f32_i32_e32 v38, v44
	v_add_f32_e32 v37, v45, v37
	v_add_f32_e32 v36, v36, v37
	;; [unrolled: 1-line block ×4, first 2 shown]
	v_sub_f32_e32 v37, v39, v49
	v_mul_f32_e32 v36, v47, v36
	v_sub_f32_e32 v37, v48, v37
	v_add_f32_e32 v36, v37, v36
	v_add_f32_e32 v40, v39, v36
	v_mul_f32_e32 v42, v40, v40
	v_mov_b32_e32 v37, 0x3ecc95a3
	v_sub_f32_e32 v39, v40, v39
	v_fmac_f32_e32 v37, 0x3e9b6dac, v42
	v_sub_f32_e32 v36, v36, v39
	v_fmaak_f32 v37, v42, v37, 0x3f2aaada
	v_ldexp_f32 v43, v36, 1
	v_mul_f32_e32 v39, v40, v42
	v_mov_b32_e32 v36, 0x3f317218
	v_pk_mul_f32 v[36:37], v[38:39], v[36:37]
	v_ldexp_f32 v41, v40, 1
	v_fma_f32 v39, v38, s58, -v36
	v_fmamk_f32 v40, v38, 0xb102e308, v39
	v_pk_add_f32 v[38:39], v[36:37], v[40:41]
	v_mov_b32_e32 v42, v36
	v_sub_f32_e32 v41, v39, v41
	v_sub_f32_e32 v41, v37, v41
	v_add_f32_e32 v43, v43, v41
	v_pk_add_f32 v[36:37], v[38:39], v[36:37] neg_lo:[0,1] neg_hi:[0,1]
	v_pk_add_f32 v[44:45], v[38:39], v[42:43]
	v_mov_b32_e32 v41, v38
	v_mov_b32_e32 v37, v45
	v_pk_add_f32 v[46:47], v[40:41], v[36:37] neg_lo:[0,1] neg_hi:[0,1]
	v_pk_add_f32 v[36:37], v[40:41], v[36:37]
	v_mov_b32_e32 v42, v43
	v_pk_add_f32 v[40:41], v[36:37], v[38:39] op_sel:[1,0] op_sel_hi:[0,1] neg_lo:[0,1] neg_hi:[0,1]
	v_pk_add_f32 v[48:49], v[44:45], v[40:41] op_sel_hi:[1,0] neg_lo:[0,1] neg_hi:[0,1]
	v_mov_b32_e32 v44, v45
	v_mov_b32_e32 v45, v37
	v_pk_mov_b32 v[40:41], v[38:39], v[40:41] op_sel:[1,0]
	v_mov_b32_e32 v43, v38
	v_pk_add_f32 v[40:41], v[44:45], v[40:41] neg_lo:[0,1] neg_hi:[0,1]
	v_mov_b32_e32 v48, v46
	v_pk_add_f32 v[38:39], v[42:43], v[40:41] neg_lo:[0,1] neg_hi:[0,1]
	v_mov_b32_e32 v47, v37
	v_pk_add_f32 v[40:41], v[48:49], v[38:39]
	v_cmp_neq_f32_e64 s[58:59], s62, v19
	v_pk_add_f32 v[42:43], v[40:41], v[40:41] op_sel:[0,1] op_sel_hi:[1,0]
	s_nop 0
	v_pk_add_f32 v[36:37], v[36:37], v[42:43] op_sel:[1,0] op_sel_hi:[0,1]
	v_mov_b32_e32 v41, v36
	v_pk_add_f32 v[44:45], v[40:41], v[46:47] neg_lo:[0,1] neg_hi:[0,1]
	v_mov_b32_e32 v39, v42
	v_sub_f32_e32 v37, v40, v44
	v_pk_add_f32 v[38:39], v[38:39], v[44:45] neg_lo:[0,1] neg_hi:[0,1]
	v_sub_f32_e32 v37, v46, v37
	v_add_f32_e32 v37, v38, v37
	v_add_f32_e32 v37, v37, v39
	;; [unrolled: 1-line block ×3, first 2 shown]
	v_cndmask_b32_e64 v36, v50, v36, s[58:59]
	s_mov_b32 s58, 0x33800000
	v_cmp_lt_f32_e64 s[58:59], |v19|, s58
	s_nop 1
	v_cndmask_b32_e64 v19, v36, v19, s[58:59]
	v_add_f32_e32 v19, v18, v19
.LBB162_87:
	s_or_b64 exec, exec, s[60:61]
	v_cmp_eq_u32_e64 s[58:59], 0, v0
	; wave barrier
	s_nop 1
	v_cndmask_b32_e64 v19, v19, v35, s[58:59]
	ds_write_b32 v34, v19
	; wave barrier
	ds_read_b32 v18, v34 offset:4
	v_max_f32_e32 v36, v19, v19
	v_cmp_u_f32_e64 s[58:59], v19, v19
	s_waitcnt lgkmcnt(0)
	v_max_f32_e32 v37, v18, v18
	v_min_f32_e32 v35, v36, v37
	v_max_f32_e32 v36, v36, v37
	v_cndmask_b32_e64 v35, v35, v19, s[58:59]
	v_cmp_u_f32_e64 s[60:61], v18, v18
	v_cndmask_b32_e64 v36, v36, v19, s[58:59]
	s_nop 0
	v_cndmask_b32_e64 v35, v35, v18, s[60:61]
	v_cndmask_b32_e64 v18, v36, v18, s[60:61]
	v_cmp_neq_f32_e64 s[58:59], v35, v18
	v_cmp_class_f32_e64 s[60:61], v35, s33
	s_or_b64 s[58:59], s[58:59], s[60:61]
	s_and_saveexec_b64 s[60:61], s[58:59]
	s_cbranch_execz .LBB162_89
; %bb.88:
	v_sub_f32_e32 v19, v35, v18
	s_mov_b32 s33, 0x3fb8aa3b
	v_mul_f32_e32 v35, 0x3fb8aa3b, v19
	v_fma_f32 v36, v19, s33, -v35
	v_rndne_f32_e32 v37, v35
	v_fmamk_f32 v36, v19, 0x32a5705f, v36
	v_sub_f32_e32 v35, v35, v37
	v_add_f32_e32 v35, v35, v36
	v_exp_f32_e32 v35, v35
	v_cvt_i32_f32_e32 v36, v37
	s_mov_b32 s33, 0xc2ce8ed0
	v_cmp_ngt_f32_e64 s[58:59], s33, v19
	s_mov_b32 s33, 0x42b17218
	v_ldexp_f32 v35, v35, v36
	v_cndmask_b32_e64 v35, 0, v35, s[58:59]
	v_mov_b32_e32 v50, 0x7f800000
	v_cmp_nlt_f32_e64 s[58:59], s33, v19
	s_mov_b32 s33, 0x3f2aaaab
	s_mov_b32 s62, 0x7f800000
	v_cndmask_b32_e64 v19, v50, v35, s[58:59]
	v_add_f32_e32 v35, 1.0, v19
	v_add_f32_e32 v36, -1.0, v35
	v_sub_f32_e32 v37, v36, v35
	v_add_f32_e32 v37, 1.0, v37
	v_sub_f32_e32 v36, v19, v36
	v_add_f32_e32 v38, v36, v37
	v_frexp_mant_f32_e32 v39, v35
	v_cvt_f64_f32_e32 v[36:37], v35
	v_frexp_exp_i32_f64_e32 v36, v[36:37]
	v_cmp_gt_f32_e64 s[58:59], s33, v39
	s_mov_b32 s33, 0x3f317218
	s_nop 0
	v_subbrev_co_u32_e64 v44, s[58:59], 0, v36, s[58:59]
	v_sub_u32_e32 v36, 0, v44
	v_ldexp_f32 v35, v35, v36
	v_ldexp_f32 v36, v38, v36
	v_add_f32_e32 v38, -1.0, v35
	v_add_f32_e32 v37, 1.0, v38
	v_sub_f32_e32 v37, v35, v37
	v_add_f32_e32 v39, v36, v37
	v_add_f32_e32 v37, 1.0, v35
	v_add_f32_e32 v40, -1.0, v37
	v_sub_f32_e32 v35, v35, v40
	v_add_f32_e32 v35, v36, v35
	v_add_f32_e32 v45, v37, v35
	v_rcp_f32_e32 v46, v45
	v_sub_f32_e32 v36, v37, v45
	v_add_f32_e32 v37, v38, v39
	v_add_f32_e32 v35, v35, v36
	v_mul_f32_e32 v48, v37, v46
	v_sub_f32_e32 v36, v38, v37
	v_mul_f32_e32 v38, v45, v48
	v_fma_f32 v40, v48, v45, -v38
	v_fmac_f32_e32 v40, v48, v35
	v_add_f32_e32 v47, v39, v36
	v_add_f32_e32 v36, v38, v40
	v_sub_f32_e32 v39, v37, v36
	v_pk_add_f32 v[42:43], v[36:37], v[38:39] neg_lo:[0,1] neg_hi:[0,1]
	v_mov_b32_e32 v41, v36
	v_pk_add_f32 v[36:37], v[42:43], v[40:41] neg_lo:[0,1] neg_hi:[0,1]
	v_cmp_neq_f32_e64 s[58:59], s62, v19
	v_add_f32_e32 v37, v47, v37
	v_add_f32_e32 v36, v36, v37
	;; [unrolled: 1-line block ×3, first 2 shown]
	v_mul_f32_e32 v47, v46, v37
	v_mul_f32_e32 v38, v45, v47
	v_fma_f32 v40, v47, v45, -v38
	v_fmac_f32_e32 v40, v47, v35
	v_sub_f32_e32 v35, v39, v37
	v_add_f32_e32 v35, v36, v35
	v_add_f32_e32 v36, v38, v40
	v_sub_f32_e32 v39, v37, v36
	v_pk_add_f32 v[42:43], v[36:37], v[38:39] neg_lo:[0,1] neg_hi:[0,1]
	v_mov_b32_e32 v41, v36
	v_pk_add_f32 v[36:37], v[42:43], v[40:41] neg_lo:[0,1] neg_hi:[0,1]
	v_cvt_f32_i32_e32 v38, v44
	v_add_f32_e32 v35, v35, v37
	v_add_f32_e32 v35, v36, v35
	;; [unrolled: 1-line block ×4, first 2 shown]
	v_sub_f32_e32 v37, v36, v48
	v_mul_f32_e32 v35, v46, v35
	v_sub_f32_e32 v37, v47, v37
	v_add_f32_e32 v35, v37, v35
	v_add_f32_e32 v39, v36, v35
	v_mul_f32_e32 v40, v39, v39
	v_mov_b32_e32 v37, 0x3ecc95a3
	v_fmac_f32_e32 v37, 0x3e9b6dac, v40
	v_sub_f32_e32 v36, v39, v36
	v_fmaak_f32 v37, v40, v37, 0x3f2aaada
	v_sub_f32_e32 v35, v35, v36
	v_ldexp_f32 v41, v39, 1
	v_mul_f32_e32 v39, v39, v40
	v_mov_b32_e32 v36, 0x3f317218
	v_pk_mul_f32 v[36:37], v[38:39], v[36:37]
	v_ldexp_f32 v35, v35, 1
	v_fma_f32 v39, v38, s33, -v36
	v_fmamk_f32 v40, v38, 0xb102e308, v39
	v_pk_add_f32 v[38:39], v[36:37], v[40:41]
	v_mov_b32_e32 v42, v36
	v_sub_f32_e32 v41, v39, v41
	v_sub_f32_e32 v41, v37, v41
	v_add_f32_e32 v43, v35, v41
	v_pk_add_f32 v[36:37], v[38:39], v[36:37] neg_lo:[0,1] neg_hi:[0,1]
	v_pk_add_f32 v[44:45], v[38:39], v[42:43]
	v_mov_b32_e32 v41, v38
	v_mov_b32_e32 v37, v45
	v_pk_add_f32 v[46:47], v[40:41], v[36:37] neg_lo:[0,1] neg_hi:[0,1]
	v_pk_add_f32 v[36:37], v[40:41], v[36:37]
	v_mov_b32_e32 v42, v43
	v_pk_add_f32 v[40:41], v[36:37], v[38:39] op_sel:[1,0] op_sel_hi:[0,1] neg_lo:[0,1] neg_hi:[0,1]
	v_pk_add_f32 v[48:49], v[44:45], v[40:41] op_sel_hi:[1,0] neg_lo:[0,1] neg_hi:[0,1]
	v_mov_b32_e32 v44, v45
	v_mov_b32_e32 v45, v37
	v_pk_mov_b32 v[40:41], v[38:39], v[40:41] op_sel:[1,0]
	v_mov_b32_e32 v43, v38
	v_pk_add_f32 v[40:41], v[44:45], v[40:41] neg_lo:[0,1] neg_hi:[0,1]
	v_mov_b32_e32 v48, v46
	v_pk_add_f32 v[38:39], v[42:43], v[40:41] neg_lo:[0,1] neg_hi:[0,1]
	v_mov_b32_e32 v47, v37
	v_pk_add_f32 v[40:41], v[48:49], v[38:39]
	s_mov_b32 s33, 0x33800000
	v_pk_add_f32 v[42:43], v[40:41], v[40:41] op_sel:[0,1] op_sel_hi:[1,0]
	s_nop 0
	v_pk_add_f32 v[36:37], v[36:37], v[42:43] op_sel:[1,0] op_sel_hi:[0,1]
	v_mov_b32_e32 v41, v36
	v_pk_add_f32 v[44:45], v[40:41], v[46:47] neg_lo:[0,1] neg_hi:[0,1]
	v_mov_b32_e32 v39, v42
	v_sub_f32_e32 v35, v40, v44
	v_pk_add_f32 v[38:39], v[38:39], v[44:45] neg_lo:[0,1] neg_hi:[0,1]
	v_sub_f32_e32 v35, v46, v35
	v_add_f32_e32 v35, v38, v35
	v_add_f32_e32 v35, v35, v39
	;; [unrolled: 1-line block ×3, first 2 shown]
	v_cndmask_b32_e64 v35, v50, v35, s[58:59]
	v_cmp_lt_f32_e64 s[58:59], |v19|, s33
	s_nop 1
	v_cndmask_b32_e64 v19, v35, v19, s[58:59]
	v_add_f32_e32 v19, v18, v19
.LBB162_89:
	s_or_b64 exec, exec, s[60:61]
	ds_read_b32 v18, v34 offset:8
	v_max_f32_e32 v36, v19, v19
	v_cmp_u_f32_e64 s[58:59], v19, v19
	s_movk_i32 s33, 0x1f8
	ds_write_b32 v34, v19 offset:4
	s_waitcnt lgkmcnt(1)
	v_max_f32_e32 v37, v18, v18
	v_min_f32_e32 v35, v36, v37
	v_max_f32_e32 v36, v36, v37
	v_cndmask_b32_e64 v35, v35, v19, s[58:59]
	v_cmp_u_f32_e64 s[60:61], v18, v18
	v_cndmask_b32_e64 v36, v36, v19, s[58:59]
	s_nop 0
	v_cndmask_b32_e64 v35, v35, v18, s[60:61]
	v_cndmask_b32_e64 v18, v36, v18, s[60:61]
	v_cmp_neq_f32_e64 s[58:59], v35, v18
	v_cmp_class_f32_e64 s[60:61], v35, s33
	s_or_b64 s[58:59], s[58:59], s[60:61]
	s_and_saveexec_b64 s[60:61], s[58:59]
	s_cbranch_execz .LBB162_91
; %bb.90:
	v_sub_f32_e32 v19, v35, v18
	s_mov_b32 s58, 0x3fb8aa3b
	v_mul_f32_e32 v35, 0x3fb8aa3b, v19
	v_fma_f32 v36, v19, s58, -v35
	v_rndne_f32_e32 v37, v35
	v_fmamk_f32 v36, v19, 0x32a5705f, v36
	v_sub_f32_e32 v35, v35, v37
	v_add_f32_e32 v35, v35, v36
	v_exp_f32_e32 v35, v35
	v_cvt_i32_f32_e32 v36, v37
	s_mov_b32 s58, 0xc2ce8ed0
	v_cmp_ngt_f32_e64 s[58:59], s58, v19
	v_mov_b32_e32 v50, 0x7f800000
	v_ldexp_f32 v35, v35, v36
	v_cndmask_b32_e64 v35, 0, v35, s[58:59]
	s_mov_b32 s58, 0x42b17218
	v_cmp_nlt_f32_e64 s[58:59], s58, v19
	s_mov_b32 s62, 0x7f800000
	s_nop 0
	v_cndmask_b32_e64 v19, v50, v35, s[58:59]
	v_add_f32_e32 v35, 1.0, v19
	v_add_f32_e32 v36, -1.0, v35
	v_sub_f32_e32 v37, v36, v35
	v_add_f32_e32 v37, 1.0, v37
	v_sub_f32_e32 v36, v19, v36
	v_add_f32_e32 v38, v36, v37
	v_frexp_mant_f32_e32 v39, v35
	s_mov_b32 s58, 0x3f2aaaab
	v_cvt_f64_f32_e32 v[36:37], v35
	v_frexp_exp_i32_f64_e32 v36, v[36:37]
	v_cmp_gt_f32_e64 s[58:59], s58, v39
	s_nop 1
	v_subbrev_co_u32_e64 v44, s[58:59], 0, v36, s[58:59]
	v_sub_u32_e32 v36, 0, v44
	v_ldexp_f32 v35, v35, v36
	v_ldexp_f32 v36, v38, v36
	v_add_f32_e32 v38, -1.0, v35
	v_add_f32_e32 v37, 1.0, v38
	v_sub_f32_e32 v37, v35, v37
	v_add_f32_e32 v39, v36, v37
	v_add_f32_e32 v37, 1.0, v35
	v_add_f32_e32 v40, -1.0, v37
	v_sub_f32_e32 v35, v35, v40
	v_add_f32_e32 v35, v36, v35
	v_add_f32_e32 v45, v37, v35
	v_rcp_f32_e32 v46, v45
	v_sub_f32_e32 v36, v37, v45
	v_add_f32_e32 v37, v38, v39
	v_add_f32_e32 v35, v35, v36
	v_mul_f32_e32 v48, v37, v46
	v_sub_f32_e32 v36, v38, v37
	v_mul_f32_e32 v38, v45, v48
	v_fma_f32 v40, v48, v45, -v38
	v_fmac_f32_e32 v40, v48, v35
	v_add_f32_e32 v47, v39, v36
	v_add_f32_e32 v36, v38, v40
	v_sub_f32_e32 v39, v37, v36
	v_pk_add_f32 v[42:43], v[36:37], v[38:39] neg_lo:[0,1] neg_hi:[0,1]
	v_mov_b32_e32 v41, v36
	v_pk_add_f32 v[36:37], v[42:43], v[40:41] neg_lo:[0,1] neg_hi:[0,1]
	s_mov_b32 s58, 0x3f317218
	v_add_f32_e32 v37, v47, v37
	v_add_f32_e32 v36, v36, v37
	;; [unrolled: 1-line block ×3, first 2 shown]
	v_mul_f32_e32 v47, v46, v37
	v_mul_f32_e32 v38, v45, v47
	v_fma_f32 v40, v47, v45, -v38
	v_fmac_f32_e32 v40, v47, v35
	v_sub_f32_e32 v35, v39, v37
	v_add_f32_e32 v35, v36, v35
	v_add_f32_e32 v36, v38, v40
	v_sub_f32_e32 v39, v37, v36
	v_pk_add_f32 v[42:43], v[36:37], v[38:39] neg_lo:[0,1] neg_hi:[0,1]
	v_mov_b32_e32 v41, v36
	v_pk_add_f32 v[36:37], v[42:43], v[40:41] neg_lo:[0,1] neg_hi:[0,1]
	v_cvt_f32_i32_e32 v38, v44
	v_add_f32_e32 v35, v35, v37
	v_add_f32_e32 v35, v36, v35
	;; [unrolled: 1-line block ×4, first 2 shown]
	v_sub_f32_e32 v37, v36, v48
	v_mul_f32_e32 v35, v46, v35
	v_sub_f32_e32 v37, v47, v37
	v_add_f32_e32 v35, v37, v35
	v_add_f32_e32 v39, v36, v35
	v_mul_f32_e32 v40, v39, v39
	v_mov_b32_e32 v37, 0x3ecc95a3
	v_fmac_f32_e32 v37, 0x3e9b6dac, v40
	v_sub_f32_e32 v36, v39, v36
	v_fmaak_f32 v37, v40, v37, 0x3f2aaada
	v_sub_f32_e32 v35, v35, v36
	v_ldexp_f32 v41, v39, 1
	v_mul_f32_e32 v39, v39, v40
	v_mov_b32_e32 v36, 0x3f317218
	v_pk_mul_f32 v[36:37], v[38:39], v[36:37]
	v_ldexp_f32 v35, v35, 1
	v_fma_f32 v39, v38, s58, -v36
	v_fmamk_f32 v40, v38, 0xb102e308, v39
	v_pk_add_f32 v[38:39], v[36:37], v[40:41]
	v_mov_b32_e32 v42, v36
	v_sub_f32_e32 v41, v39, v41
	v_sub_f32_e32 v41, v37, v41
	v_add_f32_e32 v43, v35, v41
	v_pk_add_f32 v[36:37], v[38:39], v[36:37] neg_lo:[0,1] neg_hi:[0,1]
	v_pk_add_f32 v[44:45], v[38:39], v[42:43]
	v_mov_b32_e32 v41, v38
	v_mov_b32_e32 v37, v45
	v_pk_add_f32 v[46:47], v[40:41], v[36:37] neg_lo:[0,1] neg_hi:[0,1]
	v_pk_add_f32 v[36:37], v[40:41], v[36:37]
	v_mov_b32_e32 v42, v43
	v_pk_add_f32 v[40:41], v[36:37], v[38:39] op_sel:[1,0] op_sel_hi:[0,1] neg_lo:[0,1] neg_hi:[0,1]
	v_pk_add_f32 v[48:49], v[44:45], v[40:41] op_sel_hi:[1,0] neg_lo:[0,1] neg_hi:[0,1]
	v_mov_b32_e32 v44, v45
	v_mov_b32_e32 v45, v37
	v_pk_mov_b32 v[40:41], v[38:39], v[40:41] op_sel:[1,0]
	v_mov_b32_e32 v43, v38
	v_pk_add_f32 v[40:41], v[44:45], v[40:41] neg_lo:[0,1] neg_hi:[0,1]
	v_mov_b32_e32 v48, v46
	v_pk_add_f32 v[38:39], v[42:43], v[40:41] neg_lo:[0,1] neg_hi:[0,1]
	v_mov_b32_e32 v47, v37
	v_pk_add_f32 v[40:41], v[48:49], v[38:39]
	v_cmp_neq_f32_e64 s[58:59], s62, v19
	v_pk_add_f32 v[42:43], v[40:41], v[40:41] op_sel:[0,1] op_sel_hi:[1,0]
	s_nop 0
	v_pk_add_f32 v[36:37], v[36:37], v[42:43] op_sel:[1,0] op_sel_hi:[0,1]
	v_mov_b32_e32 v41, v36
	v_pk_add_f32 v[44:45], v[40:41], v[46:47] neg_lo:[0,1] neg_hi:[0,1]
	v_mov_b32_e32 v39, v42
	v_sub_f32_e32 v35, v40, v44
	v_pk_add_f32 v[38:39], v[38:39], v[44:45] neg_lo:[0,1] neg_hi:[0,1]
	v_sub_f32_e32 v35, v46, v35
	v_add_f32_e32 v35, v38, v35
	v_add_f32_e32 v35, v35, v39
	;; [unrolled: 1-line block ×3, first 2 shown]
	v_cndmask_b32_e64 v35, v50, v35, s[58:59]
	s_mov_b32 s58, 0x33800000
	v_cmp_lt_f32_e64 s[58:59], |v19|, s58
	s_nop 1
	v_cndmask_b32_e64 v19, v35, v19, s[58:59]
	v_add_f32_e32 v19, v18, v19
.LBB162_91:
	s_or_b64 exec, exec, s[60:61]
	ds_read_b32 v18, v34 offset:12
	v_max_f32_e32 v36, v19, v19
	v_cmp_u_f32_e64 s[58:59], v19, v19
	ds_write_b32 v34, v19 offset:8
	s_waitcnt lgkmcnt(1)
	v_max_f32_e32 v37, v18, v18
	v_min_f32_e32 v35, v36, v37
	v_max_f32_e32 v36, v36, v37
	v_cndmask_b32_e64 v35, v35, v19, s[58:59]
	v_cmp_u_f32_e64 s[60:61], v18, v18
	v_cndmask_b32_e64 v36, v36, v19, s[58:59]
	s_nop 0
	v_cndmask_b32_e64 v35, v35, v18, s[60:61]
	v_cndmask_b32_e64 v18, v36, v18, s[60:61]
	v_cmp_neq_f32_e64 s[58:59], v35, v18
	v_cmp_class_f32_e64 s[60:61], v35, s33
	s_or_b64 s[58:59], s[58:59], s[60:61]
	s_and_saveexec_b64 s[60:61], s[58:59]
	s_cbranch_execz .LBB162_93
; %bb.92:
	v_sub_f32_e32 v19, v35, v18
	s_mov_b32 s33, 0x3fb8aa3b
	v_mul_f32_e32 v35, 0x3fb8aa3b, v19
	v_fma_f32 v36, v19, s33, -v35
	v_rndne_f32_e32 v37, v35
	v_fmamk_f32 v36, v19, 0x32a5705f, v36
	v_sub_f32_e32 v35, v35, v37
	v_add_f32_e32 v35, v35, v36
	v_exp_f32_e32 v35, v35
	v_cvt_i32_f32_e32 v36, v37
	s_mov_b32 s33, 0xc2ce8ed0
	v_cmp_ngt_f32_e64 s[58:59], s33, v19
	s_mov_b32 s33, 0x42b17218
	v_ldexp_f32 v35, v35, v36
	v_cndmask_b32_e64 v35, 0, v35, s[58:59]
	v_mov_b32_e32 v50, 0x7f800000
	v_cmp_nlt_f32_e64 s[58:59], s33, v19
	s_mov_b32 s33, 0x3f2aaaab
	s_mov_b32 s62, 0x7f800000
	v_cndmask_b32_e64 v19, v50, v35, s[58:59]
	v_add_f32_e32 v35, 1.0, v19
	v_add_f32_e32 v36, -1.0, v35
	v_sub_f32_e32 v37, v36, v35
	v_add_f32_e32 v37, 1.0, v37
	v_sub_f32_e32 v36, v19, v36
	v_add_f32_e32 v38, v36, v37
	v_frexp_mant_f32_e32 v39, v35
	v_cvt_f64_f32_e32 v[36:37], v35
	v_frexp_exp_i32_f64_e32 v36, v[36:37]
	v_cmp_gt_f32_e64 s[58:59], s33, v39
	s_mov_b32 s33, 0x3f317218
	s_nop 0
	v_subbrev_co_u32_e64 v44, s[58:59], 0, v36, s[58:59]
	v_sub_u32_e32 v36, 0, v44
	v_ldexp_f32 v35, v35, v36
	v_ldexp_f32 v36, v38, v36
	v_add_f32_e32 v38, -1.0, v35
	v_add_f32_e32 v37, 1.0, v38
	v_sub_f32_e32 v37, v35, v37
	v_add_f32_e32 v39, v36, v37
	v_add_f32_e32 v37, 1.0, v35
	v_add_f32_e32 v40, -1.0, v37
	v_sub_f32_e32 v35, v35, v40
	v_add_f32_e32 v35, v36, v35
	v_add_f32_e32 v45, v37, v35
	v_rcp_f32_e32 v46, v45
	v_sub_f32_e32 v36, v37, v45
	v_add_f32_e32 v37, v38, v39
	v_add_f32_e32 v35, v35, v36
	v_mul_f32_e32 v48, v37, v46
	v_sub_f32_e32 v36, v38, v37
	v_mul_f32_e32 v38, v45, v48
	v_fma_f32 v40, v48, v45, -v38
	v_fmac_f32_e32 v40, v48, v35
	v_add_f32_e32 v47, v39, v36
	v_add_f32_e32 v36, v38, v40
	v_sub_f32_e32 v39, v37, v36
	v_pk_add_f32 v[42:43], v[36:37], v[38:39] neg_lo:[0,1] neg_hi:[0,1]
	v_mov_b32_e32 v41, v36
	v_pk_add_f32 v[36:37], v[42:43], v[40:41] neg_lo:[0,1] neg_hi:[0,1]
	v_cmp_neq_f32_e64 s[58:59], s62, v19
	v_add_f32_e32 v37, v47, v37
	v_add_f32_e32 v36, v36, v37
	;; [unrolled: 1-line block ×3, first 2 shown]
	v_mul_f32_e32 v47, v46, v37
	v_mul_f32_e32 v38, v45, v47
	v_fma_f32 v40, v47, v45, -v38
	v_fmac_f32_e32 v40, v47, v35
	v_sub_f32_e32 v35, v39, v37
	v_add_f32_e32 v35, v36, v35
	v_add_f32_e32 v36, v38, v40
	v_sub_f32_e32 v39, v37, v36
	v_pk_add_f32 v[42:43], v[36:37], v[38:39] neg_lo:[0,1] neg_hi:[0,1]
	v_mov_b32_e32 v41, v36
	v_pk_add_f32 v[36:37], v[42:43], v[40:41] neg_lo:[0,1] neg_hi:[0,1]
	v_cvt_f32_i32_e32 v38, v44
	v_add_f32_e32 v35, v35, v37
	v_add_f32_e32 v35, v36, v35
	;; [unrolled: 1-line block ×4, first 2 shown]
	v_sub_f32_e32 v37, v36, v48
	v_mul_f32_e32 v35, v46, v35
	v_sub_f32_e32 v37, v47, v37
	v_add_f32_e32 v35, v37, v35
	v_add_f32_e32 v39, v36, v35
	v_mul_f32_e32 v40, v39, v39
	v_mov_b32_e32 v37, 0x3ecc95a3
	v_fmac_f32_e32 v37, 0x3e9b6dac, v40
	v_sub_f32_e32 v36, v39, v36
	v_fmaak_f32 v37, v40, v37, 0x3f2aaada
	v_sub_f32_e32 v35, v35, v36
	v_ldexp_f32 v41, v39, 1
	v_mul_f32_e32 v39, v39, v40
	v_mov_b32_e32 v36, 0x3f317218
	v_pk_mul_f32 v[36:37], v[38:39], v[36:37]
	v_ldexp_f32 v35, v35, 1
	v_fma_f32 v39, v38, s33, -v36
	v_fmamk_f32 v40, v38, 0xb102e308, v39
	v_pk_add_f32 v[38:39], v[36:37], v[40:41]
	v_mov_b32_e32 v42, v36
	v_sub_f32_e32 v41, v39, v41
	v_sub_f32_e32 v41, v37, v41
	v_add_f32_e32 v43, v35, v41
	v_pk_add_f32 v[36:37], v[38:39], v[36:37] neg_lo:[0,1] neg_hi:[0,1]
	v_pk_add_f32 v[44:45], v[38:39], v[42:43]
	v_mov_b32_e32 v41, v38
	v_mov_b32_e32 v37, v45
	v_pk_add_f32 v[46:47], v[40:41], v[36:37] neg_lo:[0,1] neg_hi:[0,1]
	v_pk_add_f32 v[36:37], v[40:41], v[36:37]
	v_mov_b32_e32 v42, v43
	v_pk_add_f32 v[40:41], v[36:37], v[38:39] op_sel:[1,0] op_sel_hi:[0,1] neg_lo:[0,1] neg_hi:[0,1]
	v_pk_add_f32 v[48:49], v[44:45], v[40:41] op_sel_hi:[1,0] neg_lo:[0,1] neg_hi:[0,1]
	v_mov_b32_e32 v44, v45
	v_mov_b32_e32 v45, v37
	v_pk_mov_b32 v[40:41], v[38:39], v[40:41] op_sel:[1,0]
	v_mov_b32_e32 v43, v38
	v_pk_add_f32 v[40:41], v[44:45], v[40:41] neg_lo:[0,1] neg_hi:[0,1]
	v_mov_b32_e32 v48, v46
	v_pk_add_f32 v[38:39], v[42:43], v[40:41] neg_lo:[0,1] neg_hi:[0,1]
	v_mov_b32_e32 v47, v37
	v_pk_add_f32 v[40:41], v[48:49], v[38:39]
	s_mov_b32 s33, 0x33800000
	v_pk_add_f32 v[42:43], v[40:41], v[40:41] op_sel:[0,1] op_sel_hi:[1,0]
	s_nop 0
	v_pk_add_f32 v[36:37], v[36:37], v[42:43] op_sel:[1,0] op_sel_hi:[0,1]
	v_mov_b32_e32 v41, v36
	v_pk_add_f32 v[44:45], v[40:41], v[46:47] neg_lo:[0,1] neg_hi:[0,1]
	v_mov_b32_e32 v39, v42
	v_sub_f32_e32 v35, v40, v44
	v_pk_add_f32 v[38:39], v[38:39], v[44:45] neg_lo:[0,1] neg_hi:[0,1]
	v_sub_f32_e32 v35, v46, v35
	v_add_f32_e32 v35, v38, v35
	v_add_f32_e32 v35, v35, v39
	;; [unrolled: 1-line block ×3, first 2 shown]
	v_cndmask_b32_e64 v35, v50, v35, s[58:59]
	v_cmp_lt_f32_e64 s[58:59], |v19|, s33
	s_nop 1
	v_cndmask_b32_e64 v19, v35, v19, s[58:59]
	v_add_f32_e32 v19, v18, v19
.LBB162_93:
	s_or_b64 exec, exec, s[60:61]
	ds_write_b32 v34, v19 offset:12
.LBB162_94:
	s_or_b64 exec, exec, s[64:65]
	s_load_dwordx2 s[58:59], s[0:1], 0x18
	v_mul_u32_u24_e32 v18, 52, v0
	v_cmp_ne_u32_e64 s[0:1], 0, v0
	s_waitcnt lgkmcnt(0)
	s_barrier
	s_and_saveexec_b64 s[60:61], s[0:1]
	s_cbranch_execz .LBB162_98
; %bb.95:
	v_add_u32_e32 v0, -1, v0
	v_lshrrev_b32_e32 v19, 3, v0
	v_and_b32_e32 v19, 0x1ffffffc, v19
	v_lshl_add_u32 v0, v0, 2, v19
	ds_read_b32 v19, v0
	s_movk_i32 s33, 0x1f8
	s_waitcnt lgkmcnt(0)
	v_max_f32_e32 v0, v19, v19
	v_min_f32_e32 v31, v0, v32
	v_max_f32_e32 v0, v0, v32
	v_cmp_u_f32_e64 s[0:1], v19, v19
	s_nop 1
	v_cndmask_b32_e64 v31, v31, v19, s[0:1]
	v_cndmask_b32_e64 v0, v0, v19, s[0:1]
	;; [unrolled: 1-line block ×4, first 2 shown]
	v_cmp_neq_f32_e64 s[0:1], v31, v0
	v_cmp_class_f32_e64 s[56:57], v31, s33
	s_or_b64 s[0:1], s[0:1], s[56:57]
	s_and_saveexec_b64 s[56:57], s[0:1]
	s_cbranch_execz .LBB162_97
; %bb.96:
	v_sub_f32_e32 v2, v31, v0
	s_mov_b32 s0, 0x3fb8aa3b
	v_mul_f32_e32 v19, 0x3fb8aa3b, v2
	v_fma_f32 v31, v2, s0, -v19
	v_rndne_f32_e32 v32, v19
	v_fmamk_f32 v31, v2, 0x32a5705f, v31
	v_sub_f32_e32 v19, v19, v32
	v_add_f32_e32 v19, v19, v31
	v_exp_f32_e32 v19, v19
	v_cvt_i32_f32_e32 v31, v32
	s_mov_b32 s0, 0xc2ce8ed0
	v_cmp_ngt_f32_e64 s[0:1], s0, v2
	s_mov_b32 s33, 0x7f800000
	v_ldexp_f32 v19, v19, v31
	v_cndmask_b32_e64 v19, 0, v19, s[0:1]
	s_mov_b32 s0, 0x42b17218
	v_mov_b32_e32 v31, 0x7f800000
	v_cmp_nlt_f32_e64 s[0:1], s0, v2
	s_nop 1
	v_cndmask_b32_e64 v2, v31, v19, s[0:1]
	v_add_f32_e32 v19, 1.0, v2
	v_add_f32_e32 v32, -1.0, v19
	v_sub_f32_e32 v33, v32, v19
	v_add_f32_e32 v33, 1.0, v33
	v_sub_f32_e32 v32, v2, v32
	v_add_f32_e32 v34, v32, v33
	v_frexp_mant_f32_e32 v35, v19
	s_mov_b32 s0, 0x3f2aaaab
	v_cvt_f64_f32_e32 v[32:33], v19
	v_frexp_exp_i32_f64_e32 v32, v[32:33]
	v_cmp_gt_f32_e64 s[0:1], s0, v35
	s_nop 1
	v_subbrev_co_u32_e64 v40, s[0:1], 0, v32, s[0:1]
	v_sub_u32_e32 v32, 0, v40
	v_ldexp_f32 v19, v19, v32
	v_ldexp_f32 v32, v34, v32
	v_add_f32_e32 v34, -1.0, v19
	v_add_f32_e32 v33, 1.0, v34
	v_sub_f32_e32 v33, v19, v33
	v_add_f32_e32 v35, v32, v33
	v_add_f32_e32 v33, 1.0, v19
	v_add_f32_e32 v36, -1.0, v33
	v_sub_f32_e32 v19, v19, v36
	v_add_f32_e32 v19, v32, v19
	v_add_f32_e32 v41, v33, v19
	v_rcp_f32_e32 v42, v41
	v_sub_f32_e32 v32, v33, v41
	v_add_f32_e32 v33, v34, v35
	v_add_f32_e32 v19, v19, v32
	v_mul_f32_e32 v44, v33, v42
	v_sub_f32_e32 v32, v34, v33
	v_mul_f32_e32 v34, v41, v44
	v_fma_f32 v36, v44, v41, -v34
	v_fmac_f32_e32 v36, v44, v19
	v_add_f32_e32 v43, v35, v32
	v_add_f32_e32 v32, v34, v36
	v_sub_f32_e32 v35, v33, v32
	v_pk_add_f32 v[38:39], v[32:33], v[34:35] neg_lo:[0,1] neg_hi:[0,1]
	v_mov_b32_e32 v37, v32
	v_pk_add_f32 v[32:33], v[38:39], v[36:37] neg_lo:[0,1] neg_hi:[0,1]
	s_mov_b32 s0, 0x3f317218
	v_add_f32_e32 v33, v43, v33
	v_add_f32_e32 v32, v32, v33
	;; [unrolled: 1-line block ×3, first 2 shown]
	v_mul_f32_e32 v43, v42, v33
	v_mul_f32_e32 v34, v41, v43
	v_fma_f32 v36, v43, v41, -v34
	v_fmac_f32_e32 v36, v43, v19
	v_sub_f32_e32 v19, v35, v33
	v_add_f32_e32 v19, v32, v19
	v_add_f32_e32 v32, v34, v36
	v_sub_f32_e32 v35, v33, v32
	v_pk_add_f32 v[38:39], v[32:33], v[34:35] neg_lo:[0,1] neg_hi:[0,1]
	v_mov_b32_e32 v37, v32
	v_pk_add_f32 v[32:33], v[38:39], v[36:37] neg_lo:[0,1] neg_hi:[0,1]
	v_cvt_f32_i32_e32 v34, v40
	v_add_f32_e32 v19, v19, v33
	v_add_f32_e32 v19, v32, v19
	;; [unrolled: 1-line block ×4, first 2 shown]
	v_sub_f32_e32 v33, v32, v44
	v_mul_f32_e32 v19, v42, v19
	v_sub_f32_e32 v33, v43, v33
	v_add_f32_e32 v19, v33, v19
	v_add_f32_e32 v35, v32, v19
	v_mul_f32_e32 v36, v35, v35
	v_mov_b32_e32 v33, 0x3ecc95a3
	v_fmac_f32_e32 v33, 0x3e9b6dac, v36
	v_sub_f32_e32 v32, v35, v32
	v_fmaak_f32 v33, v36, v33, 0x3f2aaada
	v_sub_f32_e32 v19, v19, v32
	v_ldexp_f32 v37, v35, 1
	v_mul_f32_e32 v35, v35, v36
	v_mov_b32_e32 v32, 0x3f317218
	v_pk_mul_f32 v[32:33], v[34:35], v[32:33]
	v_ldexp_f32 v19, v19, 1
	v_fma_f32 v35, v34, s0, -v32
	v_fmamk_f32 v36, v34, 0xb102e308, v35
	v_pk_add_f32 v[34:35], v[32:33], v[36:37]
	v_mov_b32_e32 v38, v32
	v_sub_f32_e32 v37, v35, v37
	v_sub_f32_e32 v37, v33, v37
	v_add_f32_e32 v39, v19, v37
	v_pk_add_f32 v[32:33], v[34:35], v[32:33] neg_lo:[0,1] neg_hi:[0,1]
	v_pk_add_f32 v[40:41], v[34:35], v[38:39]
	v_mov_b32_e32 v37, v34
	v_mov_b32_e32 v33, v41
	v_pk_add_f32 v[42:43], v[36:37], v[32:33] neg_lo:[0,1] neg_hi:[0,1]
	v_pk_add_f32 v[32:33], v[36:37], v[32:33]
	v_mov_b32_e32 v38, v39
	v_pk_add_f32 v[36:37], v[32:33], v[34:35] op_sel:[1,0] op_sel_hi:[0,1] neg_lo:[0,1] neg_hi:[0,1]
	v_pk_add_f32 v[44:45], v[40:41], v[36:37] op_sel_hi:[1,0] neg_lo:[0,1] neg_hi:[0,1]
	v_mov_b32_e32 v40, v41
	v_mov_b32_e32 v41, v33
	v_pk_mov_b32 v[36:37], v[34:35], v[36:37] op_sel:[1,0]
	v_mov_b32_e32 v39, v34
	v_pk_add_f32 v[36:37], v[40:41], v[36:37] neg_lo:[0,1] neg_hi:[0,1]
	v_mov_b32_e32 v44, v42
	v_pk_add_f32 v[34:35], v[38:39], v[36:37] neg_lo:[0,1] neg_hi:[0,1]
	v_mov_b32_e32 v43, v33
	v_pk_add_f32 v[36:37], v[44:45], v[34:35]
	v_cmp_neq_f32_e64 s[0:1], s33, v2
	v_pk_add_f32 v[38:39], v[36:37], v[36:37] op_sel:[0,1] op_sel_hi:[1,0]
	s_nop 0
	v_pk_add_f32 v[32:33], v[32:33], v[38:39] op_sel:[1,0] op_sel_hi:[0,1]
	v_mov_b32_e32 v37, v32
	v_pk_add_f32 v[40:41], v[36:37], v[42:43] neg_lo:[0,1] neg_hi:[0,1]
	v_mov_b32_e32 v35, v38
	v_sub_f32_e32 v19, v36, v40
	v_pk_add_f32 v[34:35], v[34:35], v[40:41] neg_lo:[0,1] neg_hi:[0,1]
	v_sub_f32_e32 v19, v42, v19
	v_add_f32_e32 v19, v34, v19
	v_add_f32_e32 v19, v19, v35
	;; [unrolled: 1-line block ×3, first 2 shown]
	v_cndmask_b32_e64 v19, v31, v19, s[0:1]
	s_mov_b32 s0, 0x33800000
	v_cmp_lt_f32_e64 s[0:1], |v2|, s0
	s_nop 1
	v_cndmask_b32_e64 v2, v19, v2, s[0:1]
	v_add_f32_e32 v19, v0, v2
.LBB162_97:
	s_or_b64 exec, exec, s[56:57]
	v_max_f32_e32 v0, v19, v19
	v_min_f32_e32 v31, v0, v24
	v_max_f32_e32 v33, v0, v24
	v_mov_b32_e32 v2, v19
	;;#ASMSTART
	;;#ASMEND
.LBB162_98:
	s_or_b64 exec, exec, s[60:61]
	v_cmp_u_f32_e64 s[0:1], v2, v2
	s_movk_i32 s33, 0x1f8
	s_nop 0
	v_cndmask_b32_e64 v0, v31, v2, s[0:1]
	v_cndmask_b32_e64 v19, v0, v3, s[28:29]
	;; [unrolled: 1-line block ×4, first 2 shown]
	v_cmp_neq_f32_e64 s[0:1], v19, v0
	v_cmp_class_f32_e64 s[28:29], v19, s33
	s_or_b64 s[0:1], s[0:1], s[28:29]
	v_mov_b32_e32 v3, v2
	s_and_saveexec_b64 s[28:29], s[0:1]
	s_cbranch_execz .LBB162_100
; %bb.99:
	v_sub_f32_e32 v3, v19, v0
	s_mov_b32 s0, 0x3fb8aa3b
	v_mul_f32_e32 v19, 0x3fb8aa3b, v3
	v_fma_f32 v24, v3, s0, -v19
	v_rndne_f32_e32 v31, v19
	v_fmamk_f32 v24, v3, 0x32a5705f, v24
	v_sub_f32_e32 v19, v19, v31
	v_add_f32_e32 v19, v19, v24
	v_exp_f32_e32 v19, v19
	v_cvt_i32_f32_e32 v24, v31
	s_mov_b32 s0, 0xc2ce8ed0
	v_cmp_ngt_f32_e64 s[0:1], s0, v3
	s_mov_b32 s56, 0x7f800000
	v_ldexp_f32 v19, v19, v24
	v_cndmask_b32_e64 v19, 0, v19, s[0:1]
	s_mov_b32 s0, 0x42b17218
	v_mov_b32_e32 v24, 0x7f800000
	v_cmp_nlt_f32_e64 s[0:1], s0, v3
	s_nop 1
	v_cndmask_b32_e64 v3, v24, v19, s[0:1]
	v_add_f32_e32 v19, 1.0, v3
	v_add_f32_e32 v31, -1.0, v19
	v_sub_f32_e32 v32, v31, v19
	v_add_f32_e32 v32, 1.0, v32
	v_sub_f32_e32 v31, v3, v31
	v_add_f32_e32 v31, v31, v32
	v_frexp_mant_f32_e32 v34, v19
	s_mov_b32 s0, 0x3f2aaaab
	v_cvt_f64_f32_e32 v[32:33], v19
	v_frexp_exp_i32_f64_e32 v32, v[32:33]
	v_cmp_gt_f32_e64 s[0:1], s0, v34
	s_nop 1
	v_subbrev_co_u32_e64 v40, s[0:1], 0, v32, s[0:1]
	v_sub_u32_e32 v32, 0, v40
	v_ldexp_f32 v19, v19, v32
	v_ldexp_f32 v31, v31, v32
	v_add_f32_e32 v32, -1.0, v19
	v_add_f32_e32 v33, 1.0, v32
	v_sub_f32_e32 v33, v19, v33
	v_add_f32_e32 v34, v31, v33
	v_add_f32_e32 v33, 1.0, v19
	v_add_f32_e32 v35, -1.0, v33
	v_sub_f32_e32 v19, v19, v35
	v_add_f32_e32 v19, v31, v19
	v_add_f32_e32 v31, v33, v19
	v_rcp_f32_e32 v41, v31
	v_sub_f32_e32 v33, v33, v31
	v_add_f32_e32 v19, v19, v33
	v_add_f32_e32 v33, v32, v34
	v_sub_f32_e32 v32, v32, v33
	v_mul_f32_e32 v43, v33, v41
	v_add_f32_e32 v42, v34, v32
	v_mul_f32_e32 v34, v31, v43
	v_fma_f32 v36, v43, v31, -v34
	v_fmac_f32_e32 v36, v43, v19
	v_add_f32_e32 v32, v34, v36
	v_sub_f32_e32 v35, v33, v32
	v_pk_add_f32 v[38:39], v[32:33], v[34:35] neg_lo:[0,1] neg_hi:[0,1]
	v_mov_b32_e32 v37, v32
	v_pk_add_f32 v[32:33], v[38:39], v[36:37] neg_lo:[0,1] neg_hi:[0,1]
	s_mov_b32 s0, 0x3f317218
	v_add_f32_e32 v33, v42, v33
	v_add_f32_e32 v32, v32, v33
	;; [unrolled: 1-line block ×3, first 2 shown]
	v_mul_f32_e32 v42, v41, v33
	v_mul_f32_e32 v34, v31, v42
	v_fma_f32 v36, v42, v31, -v34
	v_fmac_f32_e32 v36, v42, v19
	v_sub_f32_e32 v19, v35, v33
	v_add_f32_e32 v19, v32, v19
	v_add_f32_e32 v32, v34, v36
	v_sub_f32_e32 v35, v33, v32
	v_pk_add_f32 v[38:39], v[32:33], v[34:35] neg_lo:[0,1] neg_hi:[0,1]
	v_mov_b32_e32 v37, v32
	v_pk_add_f32 v[32:33], v[38:39], v[36:37] neg_lo:[0,1] neg_hi:[0,1]
	v_add_f32_e32 v31, v43, v42
	v_add_f32_e32 v19, v19, v33
	;; [unrolled: 1-line block ×4, first 2 shown]
	v_sub_f32_e32 v32, v31, v43
	v_mul_f32_e32 v19, v41, v19
	v_sub_f32_e32 v32, v42, v32
	v_add_f32_e32 v19, v32, v19
	v_add_f32_e32 v32, v31, v19
	v_cvt_f32_i32_e32 v34, v40
	v_mul_f32_e32 v35, v32, v32
	v_mov_b32_e32 v33, 0x3ecc95a3
	v_fmac_f32_e32 v33, 0x3e9b6dac, v35
	v_fmaak_f32 v33, v35, v33, 0x3f2aaada
	v_sub_f32_e32 v31, v32, v31
	v_ldexp_f32 v37, v32, 1
	v_mul_f32_e32 v35, v32, v35
	v_mov_b32_e32 v32, 0x3f317218
	v_pk_mul_f32 v[32:33], v[34:35], v[32:33]
	v_sub_f32_e32 v19, v19, v31
	v_fma_f32 v31, v34, s0, -v32
	v_fmamk_f32 v36, v34, 0xb102e308, v31
	v_pk_add_f32 v[34:35], v[32:33], v[36:37]
	v_ldexp_f32 v19, v19, 1
	v_sub_f32_e32 v31, v35, v37
	v_sub_f32_e32 v31, v33, v31
	v_add_f32_e32 v39, v19, v31
	v_mov_b32_e32 v38, v32
	v_pk_add_f32 v[32:33], v[34:35], v[32:33] neg_lo:[0,1] neg_hi:[0,1]
	v_pk_add_f32 v[40:41], v[34:35], v[38:39]
	v_mov_b32_e32 v37, v34
	v_mov_b32_e32 v33, v41
	v_pk_add_f32 v[42:43], v[36:37], v[32:33] neg_lo:[0,1] neg_hi:[0,1]
	v_pk_add_f32 v[32:33], v[36:37], v[32:33]
	v_mov_b32_e32 v38, v39
	v_pk_add_f32 v[36:37], v[32:33], v[34:35] op_sel:[1,0] op_sel_hi:[0,1] neg_lo:[0,1] neg_hi:[0,1]
	v_pk_add_f32 v[44:45], v[40:41], v[36:37] op_sel_hi:[1,0] neg_lo:[0,1] neg_hi:[0,1]
	v_mov_b32_e32 v40, v41
	v_mov_b32_e32 v41, v33
	v_pk_mov_b32 v[36:37], v[34:35], v[36:37] op_sel:[1,0]
	v_mov_b32_e32 v39, v34
	v_pk_add_f32 v[36:37], v[40:41], v[36:37] neg_lo:[0,1] neg_hi:[0,1]
	v_mov_b32_e32 v44, v42
	v_pk_add_f32 v[34:35], v[38:39], v[36:37] neg_lo:[0,1] neg_hi:[0,1]
	v_mov_b32_e32 v43, v33
	v_pk_add_f32 v[36:37], v[44:45], v[34:35]
	v_cmp_neq_f32_e64 s[0:1], s56, v3
	v_pk_add_f32 v[38:39], v[36:37], v[36:37] op_sel:[0,1] op_sel_hi:[1,0]
	s_nop 0
	v_pk_add_f32 v[32:33], v[32:33], v[38:39] op_sel:[1,0] op_sel_hi:[0,1]
	v_mov_b32_e32 v37, v32
	v_pk_add_f32 v[40:41], v[36:37], v[42:43] neg_lo:[0,1] neg_hi:[0,1]
	v_mov_b32_e32 v35, v38
	v_sub_f32_e32 v19, v36, v40
	v_pk_add_f32 v[34:35], v[34:35], v[40:41] neg_lo:[0,1] neg_hi:[0,1]
	v_sub_f32_e32 v19, v42, v19
	v_add_f32_e32 v19, v34, v19
	v_add_f32_e32 v19, v19, v35
	;; [unrolled: 1-line block ×3, first 2 shown]
	v_cndmask_b32_e64 v19, v24, v19, s[0:1]
	s_mov_b32 s0, 0x33800000
	v_cmp_lt_f32_e64 s[0:1], |v3|, s0
	s_nop 1
	v_cndmask_b32_e64 v3, v19, v3, s[0:1]
	v_add_f32_e32 v3, v0, v3
.LBB162_100:
	s_or_b64 exec, exec, s[28:29]
	v_max_f32_e32 v0, v3, v3
	v_min_f32_e32 v19, v0, v1
	v_cmp_u_f32_e64 s[0:1], v3, v3
	v_max_f32_e32 v0, v0, v1
	s_nop 0
	v_cndmask_b32_e64 v19, v19, v3, s[0:1]
	v_cndmask_b32_e64 v0, v0, v3, s[0:1]
	;; [unrolled: 1-line block ×4, first 2 shown]
	v_cmp_neq_f32_e64 s[0:1], v19, v1
	v_cmp_class_f32_e64 s[28:29], v19, s33
	s_or_b64 s[0:1], s[0:1], s[28:29]
	v_mov_b32_e32 v0, v3
	s_and_saveexec_b64 s[28:29], s[0:1]
	s_cbranch_execz .LBB162_102
; %bb.101:
	v_sub_f32_e32 v0, v19, v1
	s_mov_b32 s0, 0x3fb8aa3b
	v_mul_f32_e32 v4, 0x3fb8aa3b, v0
	v_fma_f32 v19, v0, s0, -v4
	v_rndne_f32_e32 v24, v4
	v_fmamk_f32 v19, v0, 0x32a5705f, v19
	v_sub_f32_e32 v4, v4, v24
	v_add_f32_e32 v4, v4, v19
	v_exp_f32_e32 v4, v4
	v_cvt_i32_f32_e32 v19, v24
	s_mov_b32 s0, 0xc2ce8ed0
	v_cmp_ngt_f32_e64 s[0:1], s0, v0
	s_mov_b32 s30, 0x7f800000
	v_ldexp_f32 v4, v4, v19
	v_cndmask_b32_e64 v4, 0, v4, s[0:1]
	s_mov_b32 s0, 0x42b17218
	v_mov_b32_e32 v19, 0x7f800000
	v_cmp_nlt_f32_e64 s[0:1], s0, v0
	s_nop 1
	v_cndmask_b32_e64 v0, v19, v4, s[0:1]
	v_add_f32_e32 v4, 1.0, v0
	v_add_f32_e32 v24, -1.0, v4
	v_sub_f32_e32 v31, v24, v4
	v_add_f32_e32 v31, 1.0, v31
	v_sub_f32_e32 v24, v0, v24
	v_add_f32_e32 v24, v24, v31
	v_frexp_mant_f32_e32 v31, v4
	s_mov_b32 s0, 0x3f2aaaab
	v_cvt_f64_f32_e32 v[32:33], v4
	v_frexp_exp_i32_f64_e32 v32, v[32:33]
	v_cmp_gt_f32_e64 s[0:1], s0, v31
	s_nop 1
	v_subbrev_co_u32_e64 v31, s[0:1], 0, v32, s[0:1]
	v_sub_u32_e32 v32, 0, v31
	v_ldexp_f32 v4, v4, v32
	v_ldexp_f32 v24, v24, v32
	v_add_f32_e32 v32, -1.0, v4
	v_add_f32_e32 v33, 1.0, v32
	v_sub_f32_e32 v33, v4, v33
	v_add_f32_e32 v34, v24, v33
	v_add_f32_e32 v33, 1.0, v4
	v_add_f32_e32 v35, -1.0, v33
	v_sub_f32_e32 v4, v4, v35
	v_add_f32_e32 v4, v24, v4
	v_add_f32_e32 v24, v33, v4
	v_rcp_f32_e32 v40, v24
	v_sub_f32_e32 v33, v33, v24
	v_add_f32_e32 v4, v4, v33
	v_add_f32_e32 v33, v32, v34
	v_sub_f32_e32 v32, v32, v33
	v_mul_f32_e32 v42, v33, v40
	v_add_f32_e32 v41, v34, v32
	v_mul_f32_e32 v34, v24, v42
	v_fma_f32 v36, v42, v24, -v34
	v_fmac_f32_e32 v36, v42, v4
	v_add_f32_e32 v32, v34, v36
	v_sub_f32_e32 v35, v33, v32
	v_pk_add_f32 v[38:39], v[32:33], v[34:35] neg_lo:[0,1] neg_hi:[0,1]
	v_mov_b32_e32 v37, v32
	v_pk_add_f32 v[32:33], v[38:39], v[36:37] neg_lo:[0,1] neg_hi:[0,1]
	s_mov_b32 s0, 0x3f317218
	v_add_f32_e32 v33, v41, v33
	v_add_f32_e32 v32, v32, v33
	;; [unrolled: 1-line block ×3, first 2 shown]
	v_mul_f32_e32 v41, v40, v33
	v_mul_f32_e32 v34, v24, v41
	v_fma_f32 v36, v41, v24, -v34
	v_fmac_f32_e32 v36, v41, v4
	v_sub_f32_e32 v4, v35, v33
	v_add_f32_e32 v4, v32, v4
	v_add_f32_e32 v32, v34, v36
	v_sub_f32_e32 v35, v33, v32
	v_pk_add_f32 v[38:39], v[32:33], v[34:35] neg_lo:[0,1] neg_hi:[0,1]
	v_mov_b32_e32 v37, v32
	v_pk_add_f32 v[32:33], v[38:39], v[36:37] neg_lo:[0,1] neg_hi:[0,1]
	v_add_f32_e32 v24, v42, v41
	v_add_f32_e32 v4, v4, v33
	;; [unrolled: 1-line block ×4, first 2 shown]
	v_sub_f32_e32 v32, v24, v42
	v_mul_f32_e32 v4, v40, v4
	v_sub_f32_e32 v32, v41, v32
	v_add_f32_e32 v4, v32, v4
	v_add_f32_e32 v32, v24, v4
	v_cvt_f32_i32_e32 v34, v31
	v_mul_f32_e32 v35, v32, v32
	v_mov_b32_e32 v33, 0x3ecc95a3
	v_fmac_f32_e32 v33, 0x3e9b6dac, v35
	v_fmaak_f32 v33, v35, v33, 0x3f2aaada
	v_sub_f32_e32 v24, v32, v24
	v_ldexp_f32 v37, v32, 1
	v_mul_f32_e32 v35, v32, v35
	v_mov_b32_e32 v32, 0x3f317218
	v_pk_mul_f32 v[32:33], v[34:35], v[32:33]
	v_sub_f32_e32 v4, v4, v24
	v_fma_f32 v24, v34, s0, -v32
	v_fmamk_f32 v36, v34, 0xb102e308, v24
	v_pk_add_f32 v[34:35], v[32:33], v[36:37]
	v_ldexp_f32 v4, v4, 1
	v_sub_f32_e32 v24, v35, v37
	v_sub_f32_e32 v24, v33, v24
	v_add_f32_e32 v39, v4, v24
	v_mov_b32_e32 v38, v32
	v_pk_add_f32 v[32:33], v[34:35], v[32:33] neg_lo:[0,1] neg_hi:[0,1]
	v_pk_add_f32 v[40:41], v[34:35], v[38:39]
	v_mov_b32_e32 v37, v34
	v_mov_b32_e32 v33, v41
	v_pk_add_f32 v[42:43], v[36:37], v[32:33] neg_lo:[0,1] neg_hi:[0,1]
	v_pk_add_f32 v[32:33], v[36:37], v[32:33]
	v_mov_b32_e32 v38, v39
	v_pk_add_f32 v[36:37], v[32:33], v[34:35] op_sel:[1,0] op_sel_hi:[0,1] neg_lo:[0,1] neg_hi:[0,1]
	v_pk_add_f32 v[44:45], v[40:41], v[36:37] op_sel_hi:[1,0] neg_lo:[0,1] neg_hi:[0,1]
	v_mov_b32_e32 v40, v41
	v_mov_b32_e32 v41, v33
	v_pk_mov_b32 v[36:37], v[34:35], v[36:37] op_sel:[1,0]
	v_mov_b32_e32 v39, v34
	v_pk_add_f32 v[36:37], v[40:41], v[36:37] neg_lo:[0,1] neg_hi:[0,1]
	v_mov_b32_e32 v44, v42
	v_pk_add_f32 v[34:35], v[38:39], v[36:37] neg_lo:[0,1] neg_hi:[0,1]
	v_mov_b32_e32 v43, v33
	v_pk_add_f32 v[36:37], v[44:45], v[34:35]
	v_cmp_neq_f32_e64 s[0:1], s30, v0
	v_pk_add_f32 v[38:39], v[36:37], v[36:37] op_sel:[0,1] op_sel_hi:[1,0]
	s_nop 0
	v_pk_add_f32 v[32:33], v[32:33], v[38:39] op_sel:[1,0] op_sel_hi:[0,1]
	v_mov_b32_e32 v37, v32
	v_pk_add_f32 v[40:41], v[36:37], v[42:43] neg_lo:[0,1] neg_hi:[0,1]
	v_mov_b32_e32 v35, v38
	v_sub_f32_e32 v4, v36, v40
	v_pk_add_f32 v[34:35], v[34:35], v[40:41] neg_lo:[0,1] neg_hi:[0,1]
	v_sub_f32_e32 v4, v42, v4
	v_add_f32_e32 v4, v34, v4
	v_add_f32_e32 v4, v4, v35
	v_add_f32_e32 v4, v32, v4
	v_cndmask_b32_e64 v4, v19, v4, s[0:1]
	s_mov_b32 s0, 0x33800000
	v_cmp_lt_f32_e64 s[0:1], |v0|, s0
	s_nop 1
	v_cndmask_b32_e64 v0, v4, v0, s[0:1]
	v_add_f32_e32 v0, v1, v0
.LBB162_102:
	s_or_b64 exec, exec, s[28:29]
	v_max_f32_e32 v1, v0, v0
	v_min_f32_e32 v4, v1, v15
	v_cmp_u_f32_e64 s[0:1], v0, v0
	v_max_f32_e32 v1, v1, v15
	s_movk_i32 s30, 0x1f8
	v_cndmask_b32_e64 v4, v4, v0, s[0:1]
	v_cndmask_b32_e64 v1, v1, v0, s[0:1]
	v_cndmask_b32_e64 v19, v4, v5, s[34:35]
	v_cndmask_b32_e64 v4, v1, v5, s[34:35]
	v_cmp_neq_f32_e64 s[0:1], v19, v4
	v_cmp_class_f32_e64 s[28:29], v19, s30
	s_or_b64 s[0:1], s[0:1], s[28:29]
	v_mov_b32_e32 v1, v0
	s_and_saveexec_b64 s[28:29], s[0:1]
	s_cbranch_execz .LBB162_104
; %bb.103:
	v_sub_f32_e32 v1, v19, v4
	s_mov_b32 s0, 0x3fb8aa3b
	v_mul_f32_e32 v5, 0x3fb8aa3b, v1
	v_fma_f32 v15, v1, s0, -v5
	v_rndne_f32_e32 v19, v5
	v_fmamk_f32 v15, v1, 0x32a5705f, v15
	v_sub_f32_e32 v5, v5, v19
	v_add_f32_e32 v5, v5, v15
	v_exp_f32_e32 v5, v5
	v_cvt_i32_f32_e32 v15, v19
	s_mov_b32 s0, 0xc2ce8ed0
	v_cmp_ngt_f32_e64 s[0:1], s0, v1
	s_mov_b32 s31, 0x7f800000
	v_ldexp_f32 v5, v5, v15
	v_cndmask_b32_e64 v5, 0, v5, s[0:1]
	s_mov_b32 s0, 0x42b17218
	v_mov_b32_e32 v15, 0x7f800000
	v_cmp_nlt_f32_e64 s[0:1], s0, v1
	s_nop 1
	v_cndmask_b32_e64 v1, v15, v5, s[0:1]
	v_add_f32_e32 v5, 1.0, v1
	v_add_f32_e32 v19, -1.0, v5
	v_sub_f32_e32 v24, v19, v5
	v_add_f32_e32 v24, 1.0, v24
	v_sub_f32_e32 v19, v1, v19
	v_add_f32_e32 v19, v19, v24
	v_frexp_mant_f32_e32 v24, v5
	s_mov_b32 s0, 0x3f2aaaab
	v_cvt_f64_f32_e32 v[32:33], v5
	v_frexp_exp_i32_f64_e32 v31, v[32:33]
	v_cmp_gt_f32_e64 s[0:1], s0, v24
	s_nop 1
	v_subbrev_co_u32_e64 v24, s[0:1], 0, v31, s[0:1]
	v_sub_u32_e32 v31, 0, v24
	v_ldexp_f32 v5, v5, v31
	v_ldexp_f32 v19, v19, v31
	v_add_f32_e32 v31, -1.0, v5
	v_add_f32_e32 v33, 1.0, v5
	v_add_f32_e32 v32, 1.0, v31
	v_add_f32_e32 v34, -1.0, v33
	v_sub_f32_e32 v32, v5, v32
	v_sub_f32_e32 v5, v5, v34
	v_add_f32_e32 v5, v19, v5
	v_add_f32_e32 v32, v19, v32
	;; [unrolled: 1-line block ×3, first 2 shown]
	v_rcp_f32_e32 v40, v19
	v_sub_f32_e32 v33, v33, v19
	v_add_f32_e32 v5, v5, v33
	v_add_f32_e32 v33, v31, v32
	v_mul_f32_e32 v41, v33, v40
	v_mul_f32_e32 v34, v19, v41
	v_fma_f32 v36, v41, v19, -v34
	v_sub_f32_e32 v31, v31, v33
	v_fmac_f32_e32 v36, v41, v5
	v_add_f32_e32 v31, v32, v31
	v_add_f32_e32 v32, v34, v36
	v_sub_f32_e32 v35, v33, v32
	v_pk_add_f32 v[38:39], v[32:33], v[34:35] neg_lo:[0,1] neg_hi:[0,1]
	v_mov_b32_e32 v37, v32
	v_pk_add_f32 v[32:33], v[38:39], v[36:37] neg_lo:[0,1] neg_hi:[0,1]
	s_mov_b32 s0, 0x3f317218
	v_add_f32_e32 v31, v31, v33
	v_add_f32_e32 v31, v32, v31
	;; [unrolled: 1-line block ×3, first 2 shown]
	v_mul_f32_e32 v42, v40, v33
	v_mul_f32_e32 v34, v19, v42
	v_fma_f32 v36, v42, v19, -v34
	v_fmac_f32_e32 v36, v42, v5
	v_add_f32_e32 v32, v34, v36
	v_sub_f32_e32 v5, v35, v33
	v_sub_f32_e32 v35, v33, v32
	v_pk_add_f32 v[38:39], v[32:33], v[34:35] neg_lo:[0,1] neg_hi:[0,1]
	v_mov_b32_e32 v37, v32
	v_add_f32_e32 v5, v31, v5
	v_pk_add_f32 v[32:33], v[38:39], v[36:37] neg_lo:[0,1] neg_hi:[0,1]
	v_add_f32_e32 v19, v41, v42
	v_add_f32_e32 v5, v5, v33
	;; [unrolled: 1-line block ×4, first 2 shown]
	v_sub_f32_e32 v31, v19, v41
	v_mul_f32_e32 v5, v40, v5
	v_sub_f32_e32 v31, v42, v31
	v_add_f32_e32 v5, v31, v5
	v_add_f32_e32 v31, v19, v5
	v_cvt_f32_i32_e32 v34, v24
	v_mul_f32_e32 v32, v31, v31
	v_mov_b32_e32 v33, 0x3ecc95a3
	v_fmac_f32_e32 v33, 0x3e9b6dac, v32
	v_fmaak_f32 v33, v32, v33, 0x3f2aaada
	v_mul_f32_e32 v35, v31, v32
	v_mov_b32_e32 v32, 0x3f317218
	v_sub_f32_e32 v19, v31, v19
	v_pk_mul_f32 v[32:33], v[34:35], v[32:33]
	v_sub_f32_e32 v5, v5, v19
	v_fma_f32 v19, v34, s0, -v32
	v_ldexp_f32 v37, v31, 1
	v_fmamk_f32 v36, v34, 0xb102e308, v19
	v_pk_add_f32 v[34:35], v[32:33], v[36:37]
	v_ldexp_f32 v5, v5, 1
	v_sub_f32_e32 v19, v35, v37
	v_sub_f32_e32 v19, v33, v19
	v_add_f32_e32 v39, v5, v19
	v_mov_b32_e32 v38, v32
	v_pk_add_f32 v[32:33], v[34:35], v[32:33] neg_lo:[0,1] neg_hi:[0,1]
	v_pk_add_f32 v[40:41], v[34:35], v[38:39]
	v_mov_b32_e32 v37, v34
	v_mov_b32_e32 v33, v41
	v_pk_add_f32 v[42:43], v[36:37], v[32:33] neg_lo:[0,1] neg_hi:[0,1]
	v_pk_add_f32 v[32:33], v[36:37], v[32:33]
	v_mov_b32_e32 v38, v39
	v_pk_add_f32 v[36:37], v[32:33], v[34:35] op_sel:[1,0] op_sel_hi:[0,1] neg_lo:[0,1] neg_hi:[0,1]
	v_pk_add_f32 v[44:45], v[40:41], v[36:37] op_sel_hi:[1,0] neg_lo:[0,1] neg_hi:[0,1]
	v_mov_b32_e32 v40, v41
	v_mov_b32_e32 v41, v33
	v_pk_mov_b32 v[36:37], v[34:35], v[36:37] op_sel:[1,0]
	v_mov_b32_e32 v39, v34
	v_pk_add_f32 v[36:37], v[40:41], v[36:37] neg_lo:[0,1] neg_hi:[0,1]
	v_mov_b32_e32 v44, v42
	v_pk_add_f32 v[34:35], v[38:39], v[36:37] neg_lo:[0,1] neg_hi:[0,1]
	v_mov_b32_e32 v43, v33
	v_pk_add_f32 v[36:37], v[44:45], v[34:35]
	v_cmp_neq_f32_e64 s[0:1], s31, v1
	v_pk_add_f32 v[38:39], v[36:37], v[36:37] op_sel:[0,1] op_sel_hi:[1,0]
	s_nop 0
	v_pk_add_f32 v[32:33], v[32:33], v[38:39] op_sel:[1,0] op_sel_hi:[0,1]
	v_mov_b32_e32 v37, v32
	v_pk_add_f32 v[40:41], v[36:37], v[42:43] neg_lo:[0,1] neg_hi:[0,1]
	v_mov_b32_e32 v35, v38
	v_sub_f32_e32 v5, v36, v40
	v_pk_add_f32 v[34:35], v[34:35], v[40:41] neg_lo:[0,1] neg_hi:[0,1]
	v_sub_f32_e32 v5, v42, v5
	v_add_f32_e32 v5, v34, v5
	v_add_f32_e32 v5, v5, v35
	;; [unrolled: 1-line block ×3, first 2 shown]
	v_cndmask_b32_e64 v5, v15, v5, s[0:1]
	s_mov_b32 s0, 0x33800000
	v_cmp_lt_f32_e64 s[0:1], |v1|, s0
	s_nop 1
	v_cndmask_b32_e64 v1, v5, v1, s[0:1]
	v_add_f32_e32 v1, v4, v1
.LBB162_104:
	s_or_b64 exec, exec, s[28:29]
	v_max_f32_e32 v4, v1, v1
	v_min_f32_e32 v5, v4, v20
	v_cmp_u_f32_e64 s[0:1], v1, v1
	v_max_f32_e32 v4, v4, v20
	s_nop 0
	v_cndmask_b32_e64 v5, v5, v1, s[0:1]
	v_cndmask_b32_e64 v4, v4, v1, s[0:1]
	v_cndmask_b32_e64 v15, v5, v10, s[36:37]
	v_cndmask_b32_e64 v5, v4, v10, s[36:37]
	v_cmp_neq_f32_e64 s[0:1], v15, v5
	v_cmp_class_f32_e64 s[28:29], v15, s30
	s_or_b64 s[0:1], s[0:1], s[28:29]
	v_mov_b32_e32 v4, v1
	s_and_saveexec_b64 s[28:29], s[0:1]
	s_cbranch_execz .LBB162_106
; %bb.105:
	v_sub_f32_e32 v4, v15, v5
	s_mov_b32 s0, 0x3fb8aa3b
	v_mul_f32_e32 v10, 0x3fb8aa3b, v4
	v_fma_f32 v15, v4, s0, -v10
	v_rndne_f32_e32 v19, v10
	v_fmamk_f32 v15, v4, 0x32a5705f, v15
	v_sub_f32_e32 v10, v10, v19
	v_add_f32_e32 v10, v10, v15
	v_exp_f32_e32 v10, v10
	v_cvt_i32_f32_e32 v15, v19
	s_mov_b32 s0, 0xc2ce8ed0
	v_cmp_ngt_f32_e64 s[0:1], s0, v4
	s_mov_b32 s30, 0x7f800000
	v_ldexp_f32 v10, v10, v15
	v_cndmask_b32_e64 v10, 0, v10, s[0:1]
	s_mov_b32 s0, 0x42b17218
	v_mov_b32_e32 v15, 0x7f800000
	v_cmp_nlt_f32_e64 s[0:1], s0, v4
	s_nop 1
	v_cndmask_b32_e64 v4, v15, v10, s[0:1]
	v_add_f32_e32 v10, 1.0, v4
	v_add_f32_e32 v19, -1.0, v10
	v_sub_f32_e32 v20, v19, v10
	v_add_f32_e32 v20, 1.0, v20
	v_sub_f32_e32 v19, v4, v19
	v_add_f32_e32 v19, v19, v20
	v_frexp_mant_f32_e32 v20, v10
	s_mov_b32 s0, 0x3f2aaaab
	v_cvt_f64_f32_e32 v[32:33], v10
	v_frexp_exp_i32_f64_e32 v24, v[32:33]
	v_cmp_gt_f32_e64 s[0:1], s0, v20
	s_nop 1
	v_subbrev_co_u32_e64 v20, s[0:1], 0, v24, s[0:1]
	v_sub_u32_e32 v24, 0, v20
	v_ldexp_f32 v10, v10, v24
	v_ldexp_f32 v19, v19, v24
	v_add_f32_e32 v24, -1.0, v10
	v_add_f32_e32 v32, 1.0, v10
	v_add_f32_e32 v31, 1.0, v24
	v_add_f32_e32 v33, -1.0, v32
	v_sub_f32_e32 v31, v10, v31
	v_sub_f32_e32 v10, v10, v33
	v_add_f32_e32 v10, v19, v10
	v_add_f32_e32 v31, v19, v31
	;; [unrolled: 1-line block ×3, first 2 shown]
	v_rcp_f32_e32 v40, v19
	v_add_f32_e32 v33, v24, v31
	v_sub_f32_e32 v24, v24, v33
	v_add_f32_e32 v24, v31, v24
	v_mul_f32_e32 v31, v33, v40
	v_sub_f32_e32 v32, v32, v19
	v_mul_f32_e32 v34, v19, v31
	v_add_f32_e32 v10, v10, v32
	v_fma_f32 v36, v31, v19, -v34
	v_fmac_f32_e32 v36, v31, v10
	v_add_f32_e32 v32, v34, v36
	v_sub_f32_e32 v35, v33, v32
	v_pk_add_f32 v[38:39], v[32:33], v[34:35] neg_lo:[0,1] neg_hi:[0,1]
	v_mov_b32_e32 v37, v32
	v_pk_add_f32 v[32:33], v[38:39], v[36:37] neg_lo:[0,1] neg_hi:[0,1]
	s_mov_b32 s0, 0x3f317218
	v_add_f32_e32 v24, v24, v33
	v_add_f32_e32 v24, v32, v24
	;; [unrolled: 1-line block ×3, first 2 shown]
	v_mul_f32_e32 v41, v40, v33
	v_mul_f32_e32 v34, v19, v41
	v_fma_f32 v36, v41, v19, -v34
	v_fmac_f32_e32 v36, v41, v10
	v_add_f32_e32 v32, v34, v36
	v_sub_f32_e32 v10, v35, v33
	v_sub_f32_e32 v35, v33, v32
	v_pk_add_f32 v[38:39], v[32:33], v[34:35] neg_lo:[0,1] neg_hi:[0,1]
	v_mov_b32_e32 v37, v32
	v_add_f32_e32 v10, v24, v10
	v_pk_add_f32 v[32:33], v[38:39], v[36:37] neg_lo:[0,1] neg_hi:[0,1]
	v_add_f32_e32 v19, v31, v41
	v_add_f32_e32 v10, v10, v33
	v_add_f32_e32 v10, v32, v10
	v_add_f32_e32 v10, v35, v10
	v_sub_f32_e32 v24, v19, v31
	v_mul_f32_e32 v10, v40, v10
	v_sub_f32_e32 v24, v41, v24
	v_add_f32_e32 v10, v24, v10
	v_add_f32_e32 v24, v19, v10
	v_cvt_f32_i32_e32 v34, v20
	v_mul_f32_e32 v31, v24, v24
	v_mov_b32_e32 v32, 0x3ecc95a3
	v_fmac_f32_e32 v32, 0x3e9b6dac, v31
	v_fmaak_f32 v33, v31, v32, 0x3f2aaada
	v_mul_f32_e32 v35, v24, v31
	v_mov_b32_e32 v32, 0x3f317218
	v_sub_f32_e32 v19, v24, v19
	v_pk_mul_f32 v[32:33], v[34:35], v[32:33]
	v_sub_f32_e32 v10, v10, v19
	v_fma_f32 v19, v34, s0, -v32
	v_ldexp_f32 v37, v24, 1
	v_fmamk_f32 v36, v34, 0xb102e308, v19
	v_pk_add_f32 v[34:35], v[32:33], v[36:37]
	v_ldexp_f32 v10, v10, 1
	v_sub_f32_e32 v19, v35, v37
	v_sub_f32_e32 v19, v33, v19
	v_add_f32_e32 v39, v10, v19
	v_mov_b32_e32 v38, v32
	v_pk_add_f32 v[32:33], v[34:35], v[32:33] neg_lo:[0,1] neg_hi:[0,1]
	v_pk_add_f32 v[40:41], v[34:35], v[38:39]
	v_mov_b32_e32 v37, v34
	v_mov_b32_e32 v33, v41
	v_pk_add_f32 v[42:43], v[36:37], v[32:33] neg_lo:[0,1] neg_hi:[0,1]
	v_pk_add_f32 v[32:33], v[36:37], v[32:33]
	v_mov_b32_e32 v38, v39
	v_pk_add_f32 v[36:37], v[32:33], v[34:35] op_sel:[1,0] op_sel_hi:[0,1] neg_lo:[0,1] neg_hi:[0,1]
	v_pk_add_f32 v[44:45], v[40:41], v[36:37] op_sel_hi:[1,0] neg_lo:[0,1] neg_hi:[0,1]
	v_mov_b32_e32 v40, v41
	v_mov_b32_e32 v41, v33
	v_pk_mov_b32 v[36:37], v[34:35], v[36:37] op_sel:[1,0]
	v_mov_b32_e32 v39, v34
	v_pk_add_f32 v[36:37], v[40:41], v[36:37] neg_lo:[0,1] neg_hi:[0,1]
	v_mov_b32_e32 v44, v42
	v_pk_add_f32 v[34:35], v[38:39], v[36:37] neg_lo:[0,1] neg_hi:[0,1]
	v_mov_b32_e32 v43, v33
	v_pk_add_f32 v[36:37], v[44:45], v[34:35]
	v_cmp_neq_f32_e64 s[0:1], s30, v4
	v_pk_add_f32 v[38:39], v[36:37], v[36:37] op_sel:[0,1] op_sel_hi:[1,0]
	s_nop 0
	v_pk_add_f32 v[32:33], v[32:33], v[38:39] op_sel:[1,0] op_sel_hi:[0,1]
	v_mov_b32_e32 v37, v32
	v_pk_add_f32 v[40:41], v[36:37], v[42:43] neg_lo:[0,1] neg_hi:[0,1]
	v_mov_b32_e32 v35, v38
	v_sub_f32_e32 v10, v36, v40
	v_pk_add_f32 v[34:35], v[34:35], v[40:41] neg_lo:[0,1] neg_hi:[0,1]
	v_sub_f32_e32 v10, v42, v10
	v_add_f32_e32 v10, v34, v10
	v_add_f32_e32 v10, v10, v35
	;; [unrolled: 1-line block ×3, first 2 shown]
	v_cndmask_b32_e64 v10, v15, v10, s[0:1]
	s_mov_b32 s0, 0x33800000
	v_cmp_lt_f32_e64 s[0:1], |v4|, s0
	s_nop 1
	v_cndmask_b32_e64 v4, v10, v4, s[0:1]
	v_add_f32_e32 v4, v5, v4
.LBB162_106:
	s_or_b64 exec, exec, s[28:29]
	v_max_f32_e32 v5, v4, v4
	v_min_f32_e32 v10, v5, v21
	v_cmp_u_f32_e64 s[0:1], v4, v4
	v_max_f32_e32 v5, v5, v21
	s_movk_i32 s30, 0x1f8
	v_cndmask_b32_e64 v10, v10, v4, s[0:1]
	v_cndmask_b32_e64 v5, v5, v4, s[0:1]
	;; [unrolled: 1-line block ×4, first 2 shown]
	v_cmp_neq_f32_e64 s[0:1], v15, v10
	v_cmp_class_f32_e64 s[28:29], v15, s30
	s_or_b64 s[0:1], s[0:1], s[28:29]
	v_mov_b32_e32 v5, v4
	s_and_saveexec_b64 s[28:29], s[0:1]
	s_cbranch_execz .LBB162_108
; %bb.107:
	v_sub_f32_e32 v5, v15, v10
	s_mov_b32 s0, 0x3fb8aa3b
	v_mul_f32_e32 v11, 0x3fb8aa3b, v5
	v_fma_f32 v15, v5, s0, -v11
	v_rndne_f32_e32 v19, v11
	v_fmamk_f32 v15, v5, 0x32a5705f, v15
	v_sub_f32_e32 v11, v11, v19
	v_add_f32_e32 v11, v11, v15
	v_exp_f32_e32 v11, v11
	v_cvt_i32_f32_e32 v15, v19
	s_mov_b32 s0, 0xc2ce8ed0
	v_cmp_ngt_f32_e64 s[0:1], s0, v5
	s_mov_b32 s31, 0x7f800000
	v_ldexp_f32 v11, v11, v15
	v_cndmask_b32_e64 v11, 0, v11, s[0:1]
	s_mov_b32 s0, 0x42b17218
	v_mov_b32_e32 v15, 0x7f800000
	v_cmp_nlt_f32_e64 s[0:1], s0, v5
	s_nop 1
	v_cndmask_b32_e64 v5, v15, v11, s[0:1]
	v_add_f32_e32 v11, 1.0, v5
	v_add_f32_e32 v19, -1.0, v11
	v_sub_f32_e32 v20, v19, v11
	v_add_f32_e32 v20, 1.0, v20
	v_sub_f32_e32 v19, v5, v19
	v_add_f32_e32 v19, v19, v20
	v_frexp_mant_f32_e32 v24, v11
	s_mov_b32 s0, 0x3f2aaaab
	v_cvt_f64_f32_e32 v[20:21], v11
	v_frexp_exp_i32_f64_e32 v20, v[20:21]
	v_cmp_gt_f32_e64 s[0:1], s0, v24
	s_nop 1
	v_subbrev_co_u32_e64 v24, s[0:1], 0, v20, s[0:1]
	v_sub_u32_e32 v20, 0, v24
	v_ldexp_f32 v11, v11, v20
	v_ldexp_f32 v19, v19, v20
	v_add_f32_e32 v20, -1.0, v11
	v_add_f32_e32 v21, 1.0, v20
	v_sub_f32_e32 v21, v11, v21
	v_add_f32_e32 v31, v19, v21
	v_add_f32_e32 v21, 1.0, v11
	v_add_f32_e32 v32, -1.0, v21
	v_sub_f32_e32 v11, v11, v32
	v_add_f32_e32 v11, v19, v11
	v_add_f32_e32 v19, v21, v11
	v_rcp_f32_e32 v38, v19
	v_sub_f32_e32 v21, v21, v19
	v_add_f32_e32 v11, v11, v21
	v_add_f32_e32 v21, v20, v31
	v_mul_f32_e32 v39, v21, v38
	v_mul_f32_e32 v32, v19, v39
	v_fma_f32 v34, v39, v19, -v32
	v_sub_f32_e32 v20, v20, v21
	v_fmac_f32_e32 v34, v39, v11
	v_add_f32_e32 v31, v31, v20
	v_add_f32_e32 v20, v32, v34
	v_sub_f32_e32 v33, v21, v20
	v_pk_add_f32 v[36:37], v[20:21], v[32:33] neg_lo:[0,1] neg_hi:[0,1]
	v_mov_b32_e32 v35, v20
	v_pk_add_f32 v[20:21], v[36:37], v[34:35] neg_lo:[0,1] neg_hi:[0,1]
	s_mov_b32 s0, 0x3f317218
	v_add_f32_e32 v21, v31, v21
	v_add_f32_e32 v20, v20, v21
	;; [unrolled: 1-line block ×3, first 2 shown]
	v_mul_f32_e32 v31, v38, v21
	v_mul_f32_e32 v32, v19, v31
	v_fma_f32 v34, v31, v19, -v32
	v_fmac_f32_e32 v34, v31, v11
	v_sub_f32_e32 v11, v33, v21
	v_add_f32_e32 v11, v20, v11
	v_add_f32_e32 v20, v32, v34
	v_sub_f32_e32 v33, v21, v20
	v_pk_add_f32 v[36:37], v[20:21], v[32:33] neg_lo:[0,1] neg_hi:[0,1]
	v_mov_b32_e32 v35, v20
	v_pk_add_f32 v[20:21], v[36:37], v[34:35] neg_lo:[0,1] neg_hi:[0,1]
	v_add_f32_e32 v19, v39, v31
	v_add_f32_e32 v11, v11, v21
	;; [unrolled: 1-line block ×4, first 2 shown]
	v_sub_f32_e32 v20, v19, v39
	v_mul_f32_e32 v11, v38, v11
	v_sub_f32_e32 v20, v31, v20
	v_add_f32_e32 v11, v20, v11
	v_add_f32_e32 v20, v19, v11
	v_cvt_f32_i32_e32 v32, v24
	v_mul_f32_e32 v31, v20, v20
	v_mov_b32_e32 v21, 0x3ecc95a3
	v_fmac_f32_e32 v21, 0x3e9b6dac, v31
	v_fmaak_f32 v21, v31, v21, 0x3f2aaada
	v_sub_f32_e32 v19, v20, v19
	v_ldexp_f32 v35, v20, 1
	v_mul_f32_e32 v33, v20, v31
	v_mov_b32_e32 v20, 0x3f317218
	v_pk_mul_f32 v[20:21], v[32:33], v[20:21]
	v_sub_f32_e32 v11, v11, v19
	v_fma_f32 v19, v32, s0, -v20
	v_fmamk_f32 v34, v32, 0xb102e308, v19
	v_pk_add_f32 v[32:33], v[20:21], v[34:35]
	v_ldexp_f32 v11, v11, 1
	v_sub_f32_e32 v19, v33, v35
	v_sub_f32_e32 v19, v21, v19
	v_add_f32_e32 v37, v11, v19
	v_mov_b32_e32 v36, v20
	v_pk_add_f32 v[20:21], v[32:33], v[20:21] neg_lo:[0,1] neg_hi:[0,1]
	v_pk_add_f32 v[38:39], v[32:33], v[36:37]
	v_mov_b32_e32 v35, v32
	v_mov_b32_e32 v21, v39
	v_pk_add_f32 v[40:41], v[34:35], v[20:21] neg_lo:[0,1] neg_hi:[0,1]
	v_pk_add_f32 v[20:21], v[34:35], v[20:21]
	v_mov_b32_e32 v36, v37
	v_pk_add_f32 v[34:35], v[20:21], v[32:33] op_sel:[1,0] op_sel_hi:[0,1] neg_lo:[0,1] neg_hi:[0,1]
	v_pk_add_f32 v[42:43], v[38:39], v[34:35] op_sel_hi:[1,0] neg_lo:[0,1] neg_hi:[0,1]
	v_mov_b32_e32 v38, v39
	v_mov_b32_e32 v39, v21
	v_pk_mov_b32 v[34:35], v[32:33], v[34:35] op_sel:[1,0]
	v_mov_b32_e32 v37, v32
	v_pk_add_f32 v[34:35], v[38:39], v[34:35] neg_lo:[0,1] neg_hi:[0,1]
	v_mov_b32_e32 v42, v40
	v_pk_add_f32 v[32:33], v[36:37], v[34:35] neg_lo:[0,1] neg_hi:[0,1]
	v_mov_b32_e32 v41, v21
	v_pk_add_f32 v[34:35], v[42:43], v[32:33]
	v_cmp_neq_f32_e64 s[0:1], s31, v5
	v_pk_add_f32 v[36:37], v[34:35], v[34:35] op_sel:[0,1] op_sel_hi:[1,0]
	s_nop 0
	v_pk_add_f32 v[20:21], v[20:21], v[36:37] op_sel:[1,0] op_sel_hi:[0,1]
	v_mov_b32_e32 v35, v20
	v_pk_add_f32 v[38:39], v[34:35], v[40:41] neg_lo:[0,1] neg_hi:[0,1]
	v_mov_b32_e32 v33, v36
	v_sub_f32_e32 v11, v34, v38
	v_pk_add_f32 v[32:33], v[32:33], v[38:39] neg_lo:[0,1] neg_hi:[0,1]
	v_sub_f32_e32 v11, v40, v11
	v_add_f32_e32 v11, v32, v11
	v_add_f32_e32 v11, v11, v33
	v_add_f32_e32 v11, v20, v11
	v_cndmask_b32_e64 v11, v15, v11, s[0:1]
	s_mov_b32 s0, 0x33800000
	v_cmp_lt_f32_e64 s[0:1], |v5|, s0
	s_nop 1
	v_cndmask_b32_e64 v5, v11, v5, s[0:1]
	v_add_f32_e32 v5, v10, v5
.LBB162_108:
	s_or_b64 exec, exec, s[28:29]
	v_max_f32_e32 v10, v5, v5
	v_min_f32_e32 v11, v10, v22
	v_cmp_u_f32_e64 s[0:1], v5, v5
	v_max_f32_e32 v10, v10, v22
	s_nop 0
	v_cndmask_b32_e64 v11, v11, v5, s[0:1]
	v_cndmask_b32_e64 v10, v10, v5, s[0:1]
	;; [unrolled: 1-line block ×4, first 2 shown]
	v_cmp_neq_f32_e64 s[0:1], v15, v11
	v_cmp_class_f32_e64 s[28:29], v15, s30
	s_or_b64 s[0:1], s[0:1], s[28:29]
	v_mov_b32_e32 v10, v5
	s_and_saveexec_b64 s[28:29], s[0:1]
	s_cbranch_execz .LBB162_110
; %bb.109:
	v_sub_f32_e32 v10, v15, v11
	s_mov_b32 s0, 0x3fb8aa3b
	v_mul_f32_e32 v12, 0x3fb8aa3b, v10
	v_fma_f32 v15, v10, s0, -v12
	v_rndne_f32_e32 v19, v12
	v_fmamk_f32 v15, v10, 0x32a5705f, v15
	v_sub_f32_e32 v12, v12, v19
	v_add_f32_e32 v12, v12, v15
	v_exp_f32_e32 v12, v12
	v_cvt_i32_f32_e32 v15, v19
	s_mov_b32 s0, 0xc2ce8ed0
	v_cmp_ngt_f32_e64 s[0:1], s0, v10
	s_mov_b32 s30, 0x7f800000
	v_ldexp_f32 v12, v12, v15
	v_cndmask_b32_e64 v12, 0, v12, s[0:1]
	s_mov_b32 s0, 0x42b17218
	v_mov_b32_e32 v15, 0x7f800000
	v_cmp_nlt_f32_e64 s[0:1], s0, v10
	s_nop 1
	v_cndmask_b32_e64 v10, v15, v12, s[0:1]
	v_add_f32_e32 v12, 1.0, v10
	v_add_f32_e32 v19, -1.0, v12
	v_sub_f32_e32 v20, v19, v12
	v_add_f32_e32 v20, 1.0, v20
	v_sub_f32_e32 v19, v10, v19
	v_add_f32_e32 v19, v19, v20
	v_frexp_mant_f32_e32 v22, v12
	s_mov_b32 s0, 0x3f2aaaab
	v_cvt_f64_f32_e32 v[20:21], v12
	v_frexp_exp_i32_f64_e32 v20, v[20:21]
	v_cmp_gt_f32_e64 s[0:1], s0, v22
	s_nop 1
	v_subbrev_co_u32_e64 v22, s[0:1], 0, v20, s[0:1]
	v_sub_u32_e32 v20, 0, v22
	v_ldexp_f32 v12, v12, v20
	v_ldexp_f32 v19, v19, v20
	v_add_f32_e32 v20, -1.0, v12
	v_add_f32_e32 v21, 1.0, v20
	v_sub_f32_e32 v21, v12, v21
	v_add_f32_e32 v24, v19, v21
	v_add_f32_e32 v21, 1.0, v12
	v_add_f32_e32 v31, -1.0, v21
	v_sub_f32_e32 v12, v12, v31
	v_add_f32_e32 v12, v19, v12
	v_add_f32_e32 v19, v21, v12
	v_rcp_f32_e32 v31, v19
	v_sub_f32_e32 v21, v21, v19
	v_add_f32_e32 v12, v12, v21
	v_add_f32_e32 v21, v20, v24
	v_mul_f32_e32 v38, v21, v31
	v_mul_f32_e32 v32, v19, v38
	v_fma_f32 v34, v38, v19, -v32
	v_sub_f32_e32 v20, v20, v21
	v_fmac_f32_e32 v34, v38, v12
	v_add_f32_e32 v24, v24, v20
	v_add_f32_e32 v20, v32, v34
	v_sub_f32_e32 v33, v21, v20
	v_pk_add_f32 v[36:37], v[20:21], v[32:33] neg_lo:[0,1] neg_hi:[0,1]
	v_mov_b32_e32 v35, v20
	v_pk_add_f32 v[20:21], v[36:37], v[34:35] neg_lo:[0,1] neg_hi:[0,1]
	s_mov_b32 s0, 0x3f317218
	v_add_f32_e32 v21, v24, v21
	v_add_f32_e32 v20, v20, v21
	;; [unrolled: 1-line block ×3, first 2 shown]
	v_mul_f32_e32 v24, v31, v21
	v_mul_f32_e32 v32, v19, v24
	v_fma_f32 v34, v24, v19, -v32
	v_fmac_f32_e32 v34, v24, v12
	v_sub_f32_e32 v12, v33, v21
	v_add_f32_e32 v12, v20, v12
	v_add_f32_e32 v20, v32, v34
	v_sub_f32_e32 v33, v21, v20
	v_pk_add_f32 v[36:37], v[20:21], v[32:33] neg_lo:[0,1] neg_hi:[0,1]
	v_mov_b32_e32 v35, v20
	v_pk_add_f32 v[20:21], v[36:37], v[34:35] neg_lo:[0,1] neg_hi:[0,1]
	v_add_f32_e32 v19, v38, v24
	v_add_f32_e32 v12, v12, v21
	;; [unrolled: 1-line block ×4, first 2 shown]
	v_sub_f32_e32 v20, v19, v38
	v_mul_f32_e32 v12, v31, v12
	v_sub_f32_e32 v20, v24, v20
	v_add_f32_e32 v12, v20, v12
	v_add_f32_e32 v20, v19, v12
	v_cvt_f32_i32_e32 v32, v22
	v_mul_f32_e32 v24, v20, v20
	v_mov_b32_e32 v21, 0x3ecc95a3
	v_fmac_f32_e32 v21, 0x3e9b6dac, v24
	v_fmaak_f32 v21, v24, v21, 0x3f2aaada
	v_sub_f32_e32 v19, v20, v19
	v_ldexp_f32 v35, v20, 1
	v_mul_f32_e32 v33, v20, v24
	v_mov_b32_e32 v20, 0x3f317218
	v_pk_mul_f32 v[20:21], v[32:33], v[20:21]
	v_sub_f32_e32 v12, v12, v19
	v_fma_f32 v19, v32, s0, -v20
	v_fmamk_f32 v34, v32, 0xb102e308, v19
	v_pk_add_f32 v[32:33], v[20:21], v[34:35]
	v_ldexp_f32 v12, v12, 1
	v_sub_f32_e32 v19, v33, v35
	v_sub_f32_e32 v19, v21, v19
	v_add_f32_e32 v37, v12, v19
	v_mov_b32_e32 v36, v20
	v_pk_add_f32 v[20:21], v[32:33], v[20:21] neg_lo:[0,1] neg_hi:[0,1]
	v_pk_add_f32 v[38:39], v[32:33], v[36:37]
	v_mov_b32_e32 v35, v32
	v_mov_b32_e32 v21, v39
	v_pk_add_f32 v[40:41], v[34:35], v[20:21] neg_lo:[0,1] neg_hi:[0,1]
	v_pk_add_f32 v[20:21], v[34:35], v[20:21]
	v_mov_b32_e32 v36, v37
	v_pk_add_f32 v[34:35], v[20:21], v[32:33] op_sel:[1,0] op_sel_hi:[0,1] neg_lo:[0,1] neg_hi:[0,1]
	v_pk_add_f32 v[42:43], v[38:39], v[34:35] op_sel_hi:[1,0] neg_lo:[0,1] neg_hi:[0,1]
	v_mov_b32_e32 v38, v39
	v_mov_b32_e32 v39, v21
	v_pk_mov_b32 v[34:35], v[32:33], v[34:35] op_sel:[1,0]
	v_mov_b32_e32 v37, v32
	v_pk_add_f32 v[34:35], v[38:39], v[34:35] neg_lo:[0,1] neg_hi:[0,1]
	v_mov_b32_e32 v42, v40
	v_pk_add_f32 v[32:33], v[36:37], v[34:35] neg_lo:[0,1] neg_hi:[0,1]
	v_mov_b32_e32 v41, v21
	v_pk_add_f32 v[34:35], v[42:43], v[32:33]
	v_cmp_neq_f32_e64 s[0:1], s30, v10
	v_pk_add_f32 v[36:37], v[34:35], v[34:35] op_sel:[0,1] op_sel_hi:[1,0]
	s_nop 0
	v_pk_add_f32 v[20:21], v[20:21], v[36:37] op_sel:[1,0] op_sel_hi:[0,1]
	v_mov_b32_e32 v35, v20
	v_pk_add_f32 v[38:39], v[34:35], v[40:41] neg_lo:[0,1] neg_hi:[0,1]
	v_mov_b32_e32 v33, v36
	v_sub_f32_e32 v12, v34, v38
	v_pk_add_f32 v[32:33], v[32:33], v[38:39] neg_lo:[0,1] neg_hi:[0,1]
	v_sub_f32_e32 v12, v40, v12
	v_add_f32_e32 v12, v32, v12
	v_add_f32_e32 v12, v12, v33
	;; [unrolled: 1-line block ×3, first 2 shown]
	v_cndmask_b32_e64 v12, v15, v12, s[0:1]
	s_mov_b32 s0, 0x33800000
	v_cmp_lt_f32_e64 s[0:1], |v10|, s0
	s_nop 1
	v_cndmask_b32_e64 v10, v12, v10, s[0:1]
	v_add_f32_e32 v10, v11, v10
.LBB162_110:
	s_or_b64 exec, exec, s[28:29]
	v_max_f32_e32 v11, v10, v10
	v_min_f32_e32 v12, v11, v23
	v_cmp_u_f32_e64 s[0:1], v10, v10
	v_max_f32_e32 v11, v11, v23
	s_movk_i32 s30, 0x1f8
	v_cndmask_b32_e64 v12, v12, v10, s[0:1]
	v_cndmask_b32_e64 v11, v11, v10, s[0:1]
	;; [unrolled: 1-line block ×4, first 2 shown]
	v_cmp_neq_f32_e64 s[0:1], v15, v12
	v_cmp_class_f32_e64 s[28:29], v15, s30
	s_or_b64 s[0:1], s[0:1], s[28:29]
	v_mov_b32_e32 v11, v10
	s_and_saveexec_b64 s[28:29], s[0:1]
	s_cbranch_execz .LBB162_112
; %bb.111:
	v_sub_f32_e32 v11, v15, v12
	s_mov_b32 s0, 0x3fb8aa3b
	v_mul_f32_e32 v13, 0x3fb8aa3b, v11
	v_fma_f32 v15, v11, s0, -v13
	v_rndne_f32_e32 v19, v13
	v_fmamk_f32 v15, v11, 0x32a5705f, v15
	v_sub_f32_e32 v13, v13, v19
	v_add_f32_e32 v13, v13, v15
	v_exp_f32_e32 v13, v13
	v_cvt_i32_f32_e32 v15, v19
	s_mov_b32 s0, 0xc2ce8ed0
	v_cmp_ngt_f32_e64 s[0:1], s0, v11
	s_mov_b32 s31, 0x7f800000
	v_ldexp_f32 v13, v13, v15
	v_cndmask_b32_e64 v13, 0, v13, s[0:1]
	s_mov_b32 s0, 0x42b17218
	v_mov_b32_e32 v15, 0x7f800000
	v_cmp_nlt_f32_e64 s[0:1], s0, v11
	s_nop 1
	v_cndmask_b32_e64 v11, v15, v13, s[0:1]
	v_add_f32_e32 v13, 1.0, v11
	v_add_f32_e32 v19, -1.0, v13
	v_sub_f32_e32 v20, v19, v13
	v_add_f32_e32 v20, 1.0, v20
	v_sub_f32_e32 v19, v11, v19
	v_add_f32_e32 v19, v19, v20
	v_frexp_mant_f32_e32 v22, v13
	s_mov_b32 s0, 0x3f2aaaab
	v_cvt_f64_f32_e32 v[20:21], v13
	v_frexp_exp_i32_f64_e32 v20, v[20:21]
	v_cmp_gt_f32_e64 s[0:1], s0, v22
	s_nop 1
	v_subbrev_co_u32_e64 v24, s[0:1], 0, v20, s[0:1]
	v_sub_u32_e32 v20, 0, v24
	v_ldexp_f32 v13, v13, v20
	v_ldexp_f32 v19, v19, v20
	v_add_f32_e32 v20, -1.0, v13
	v_add_f32_e32 v21, 1.0, v20
	v_sub_f32_e32 v21, v13, v21
	v_add_f32_e32 v22, v19, v21
	v_add_f32_e32 v21, 1.0, v13
	v_add_f32_e32 v23, -1.0, v21
	v_sub_f32_e32 v13, v13, v23
	v_add_f32_e32 v13, v19, v13
	v_add_f32_e32 v19, v21, v13
	v_rcp_f32_e32 v31, v19
	v_sub_f32_e32 v21, v21, v19
	v_add_f32_e32 v13, v13, v21
	v_add_f32_e32 v21, v20, v22
	v_sub_f32_e32 v20, v20, v21
	v_mul_f32_e32 v37, v21, v31
	v_add_f32_e32 v36, v22, v20
	v_mul_f32_e32 v22, v19, v37
	v_fma_f32 v32, v37, v19, -v22
	v_fmac_f32_e32 v32, v37, v13
	v_add_f32_e32 v20, v22, v32
	v_sub_f32_e32 v23, v21, v20
	v_pk_add_f32 v[34:35], v[20:21], v[22:23] neg_lo:[0,1] neg_hi:[0,1]
	v_mov_b32_e32 v33, v20
	v_pk_add_f32 v[20:21], v[34:35], v[32:33] neg_lo:[0,1] neg_hi:[0,1]
	s_mov_b32 s0, 0x3f317218
	v_add_f32_e32 v21, v36, v21
	v_add_f32_e32 v20, v20, v21
	;; [unrolled: 1-line block ×3, first 2 shown]
	v_mul_f32_e32 v36, v31, v21
	v_mul_f32_e32 v22, v19, v36
	v_fma_f32 v32, v36, v19, -v22
	v_fmac_f32_e32 v32, v36, v13
	v_sub_f32_e32 v13, v23, v21
	v_add_f32_e32 v13, v20, v13
	v_add_f32_e32 v20, v22, v32
	v_sub_f32_e32 v23, v21, v20
	v_pk_add_f32 v[34:35], v[20:21], v[22:23] neg_lo:[0,1] neg_hi:[0,1]
	v_mov_b32_e32 v33, v20
	v_pk_add_f32 v[20:21], v[34:35], v[32:33] neg_lo:[0,1] neg_hi:[0,1]
	v_add_f32_e32 v19, v37, v36
	v_add_f32_e32 v13, v13, v21
	;; [unrolled: 1-line block ×4, first 2 shown]
	v_sub_f32_e32 v20, v19, v37
	v_mul_f32_e32 v13, v31, v13
	v_sub_f32_e32 v20, v36, v20
	v_add_f32_e32 v13, v20, v13
	v_add_f32_e32 v20, v19, v13
	v_cvt_f32_i32_e32 v22, v24
	v_mul_f32_e32 v23, v20, v20
	v_mov_b32_e32 v21, 0x3ecc95a3
	v_fmac_f32_e32 v21, 0x3e9b6dac, v23
	v_fmaak_f32 v21, v23, v21, 0x3f2aaada
	v_sub_f32_e32 v19, v20, v19
	v_ldexp_f32 v33, v20, 1
	v_mul_f32_e32 v23, v20, v23
	v_mov_b32_e32 v20, 0x3f317218
	v_pk_mul_f32 v[20:21], v[22:23], v[20:21]
	v_sub_f32_e32 v13, v13, v19
	v_fma_f32 v19, v22, s0, -v20
	v_fmamk_f32 v32, v22, 0xb102e308, v19
	v_pk_add_f32 v[22:23], v[20:21], v[32:33]
	v_ldexp_f32 v13, v13, 1
	v_sub_f32_e32 v19, v23, v33
	v_sub_f32_e32 v19, v21, v19
	v_add_f32_e32 v35, v13, v19
	v_mov_b32_e32 v34, v20
	v_pk_add_f32 v[20:21], v[22:23], v[20:21] neg_lo:[0,1] neg_hi:[0,1]
	v_pk_add_f32 v[36:37], v[22:23], v[34:35]
	v_mov_b32_e32 v33, v22
	v_mov_b32_e32 v21, v37
	v_pk_add_f32 v[38:39], v[32:33], v[20:21] neg_lo:[0,1] neg_hi:[0,1]
	v_pk_add_f32 v[20:21], v[32:33], v[20:21]
	v_mov_b32_e32 v34, v35
	v_pk_add_f32 v[32:33], v[20:21], v[22:23] op_sel:[1,0] op_sel_hi:[0,1] neg_lo:[0,1] neg_hi:[0,1]
	v_pk_add_f32 v[40:41], v[36:37], v[32:33] op_sel_hi:[1,0] neg_lo:[0,1] neg_hi:[0,1]
	v_mov_b32_e32 v36, v37
	v_mov_b32_e32 v37, v21
	v_pk_mov_b32 v[32:33], v[22:23], v[32:33] op_sel:[1,0]
	v_mov_b32_e32 v35, v22
	v_pk_add_f32 v[32:33], v[36:37], v[32:33] neg_lo:[0,1] neg_hi:[0,1]
	v_mov_b32_e32 v40, v38
	v_pk_add_f32 v[22:23], v[34:35], v[32:33] neg_lo:[0,1] neg_hi:[0,1]
	v_mov_b32_e32 v39, v21
	v_pk_add_f32 v[32:33], v[40:41], v[22:23]
	v_cmp_neq_f32_e64 s[0:1], s31, v11
	v_pk_add_f32 v[34:35], v[32:33], v[32:33] op_sel:[0,1] op_sel_hi:[1,0]
	s_nop 0
	v_pk_add_f32 v[20:21], v[20:21], v[34:35] op_sel:[1,0] op_sel_hi:[0,1]
	v_mov_b32_e32 v33, v20
	v_pk_add_f32 v[36:37], v[32:33], v[38:39] neg_lo:[0,1] neg_hi:[0,1]
	v_mov_b32_e32 v23, v34
	v_sub_f32_e32 v13, v32, v36
	v_pk_add_f32 v[22:23], v[22:23], v[36:37] neg_lo:[0,1] neg_hi:[0,1]
	v_sub_f32_e32 v13, v38, v13
	v_add_f32_e32 v13, v22, v13
	v_add_f32_e32 v13, v13, v23
	v_add_f32_e32 v13, v20, v13
	v_cndmask_b32_e64 v13, v15, v13, s[0:1]
	s_mov_b32 s0, 0x33800000
	v_cmp_lt_f32_e64 s[0:1], |v11|, s0
	s_nop 1
	v_cndmask_b32_e64 v11, v13, v11, s[0:1]
	v_add_f32_e32 v11, v12, v11
.LBB162_112:
	s_or_b64 exec, exec, s[28:29]
	v_max_f32_e32 v12, v11, v11
	v_min_f32_e32 v13, v12, v25
	v_cmp_u_f32_e64 s[0:1], v11, v11
	v_max_f32_e32 v12, v12, v25
	s_nop 0
	v_cndmask_b32_e64 v13, v13, v11, s[0:1]
	v_cndmask_b32_e64 v12, v12, v11, s[0:1]
	;; [unrolled: 1-line block ×4, first 2 shown]
	v_cmp_neq_f32_e64 s[0:1], v13, v12
	v_cmp_class_f32_e64 s[28:29], v13, s30
	s_or_b64 s[0:1], s[0:1], s[28:29]
	v_mov_b32_e32 v6, v11
	s_and_saveexec_b64 s[28:29], s[0:1]
	s_cbranch_execz .LBB162_114
; %bb.113:
	v_sub_f32_e32 v6, v13, v12
	s_mov_b32 s0, 0x3fb8aa3b
	v_mul_f32_e32 v13, 0x3fb8aa3b, v6
	v_fma_f32 v15, v6, s0, -v13
	v_rndne_f32_e32 v19, v13
	v_fmamk_f32 v15, v6, 0x32a5705f, v15
	v_sub_f32_e32 v13, v13, v19
	v_add_f32_e32 v13, v13, v15
	v_exp_f32_e32 v13, v13
	v_cvt_i32_f32_e32 v15, v19
	s_mov_b32 s0, 0xc2ce8ed0
	v_cmp_ngt_f32_e64 s[0:1], s0, v6
	s_mov_b32 s30, 0x7f800000
	v_ldexp_f32 v13, v13, v15
	v_cndmask_b32_e64 v13, 0, v13, s[0:1]
	s_mov_b32 s0, 0x42b17218
	v_mov_b32_e32 v15, 0x7f800000
	v_cmp_nlt_f32_e64 s[0:1], s0, v6
	s_nop 1
	v_cndmask_b32_e64 v6, v15, v13, s[0:1]
	v_add_f32_e32 v13, 1.0, v6
	v_add_f32_e32 v19, -1.0, v13
	v_sub_f32_e32 v20, v19, v13
	v_add_f32_e32 v20, 1.0, v20
	v_sub_f32_e32 v19, v6, v19
	v_add_f32_e32 v19, v19, v20
	v_frexp_mant_f32_e32 v22, v13
	s_mov_b32 s0, 0x3f2aaaab
	v_cvt_f64_f32_e32 v[20:21], v13
	v_frexp_exp_i32_f64_e32 v20, v[20:21]
	v_cmp_gt_f32_e64 s[0:1], s0, v22
	s_nop 1
	v_subbrev_co_u32_e64 v31, s[0:1], 0, v20, s[0:1]
	v_sub_u32_e32 v20, 0, v31
	v_ldexp_f32 v13, v13, v20
	v_ldexp_f32 v19, v19, v20
	v_add_f32_e32 v20, -1.0, v13
	v_add_f32_e32 v21, 1.0, v20
	v_sub_f32_e32 v21, v13, v21
	v_add_f32_e32 v22, v19, v21
	v_add_f32_e32 v21, 1.0, v13
	v_add_f32_e32 v23, -1.0, v21
	v_sub_f32_e32 v13, v13, v23
	v_add_f32_e32 v13, v19, v13
	v_add_f32_e32 v19, v21, v13
	v_rcp_f32_e32 v34, v19
	v_sub_f32_e32 v21, v21, v19
	v_add_f32_e32 v13, v13, v21
	v_add_f32_e32 v21, v20, v22
	v_sub_f32_e32 v20, v20, v21
	v_mul_f32_e32 v36, v21, v34
	v_add_f32_e32 v35, v22, v20
	v_mul_f32_e32 v22, v19, v36
	v_fma_f32 v24, v36, v19, -v22
	v_fmac_f32_e32 v24, v36, v13
	v_add_f32_e32 v20, v22, v24
	v_sub_f32_e32 v23, v21, v20
	v_pk_add_f32 v[32:33], v[20:21], v[22:23] neg_lo:[0,1] neg_hi:[0,1]
	v_mov_b32_e32 v25, v20
	v_pk_add_f32 v[20:21], v[32:33], v[24:25] neg_lo:[0,1] neg_hi:[0,1]
	s_mov_b32 s0, 0x3f317218
	v_add_f32_e32 v21, v35, v21
	v_add_f32_e32 v20, v20, v21
	;; [unrolled: 1-line block ×3, first 2 shown]
	v_mul_f32_e32 v35, v34, v21
	v_mul_f32_e32 v22, v19, v35
	v_fma_f32 v24, v35, v19, -v22
	v_fmac_f32_e32 v24, v35, v13
	v_sub_f32_e32 v13, v23, v21
	v_add_f32_e32 v13, v20, v13
	v_add_f32_e32 v20, v22, v24
	v_sub_f32_e32 v23, v21, v20
	v_pk_add_f32 v[32:33], v[20:21], v[22:23] neg_lo:[0,1] neg_hi:[0,1]
	v_mov_b32_e32 v25, v20
	v_pk_add_f32 v[20:21], v[32:33], v[24:25] neg_lo:[0,1] neg_hi:[0,1]
	v_add_f32_e32 v19, v36, v35
	v_add_f32_e32 v13, v13, v21
	;; [unrolled: 1-line block ×4, first 2 shown]
	v_sub_f32_e32 v20, v19, v36
	v_mul_f32_e32 v13, v34, v13
	v_sub_f32_e32 v20, v35, v20
	v_add_f32_e32 v13, v20, v13
	v_add_f32_e32 v20, v19, v13
	v_cvt_f32_i32_e32 v22, v31
	v_mul_f32_e32 v23, v20, v20
	v_mov_b32_e32 v21, 0x3ecc95a3
	v_fmac_f32_e32 v21, 0x3e9b6dac, v23
	v_fmaak_f32 v21, v23, v21, 0x3f2aaada
	v_sub_f32_e32 v19, v20, v19
	v_ldexp_f32 v25, v20, 1
	v_mul_f32_e32 v23, v20, v23
	v_mov_b32_e32 v20, 0x3f317218
	v_pk_mul_f32 v[20:21], v[22:23], v[20:21]
	v_sub_f32_e32 v13, v13, v19
	v_fma_f32 v19, v22, s0, -v20
	v_fmamk_f32 v24, v22, 0xb102e308, v19
	v_pk_add_f32 v[22:23], v[20:21], v[24:25]
	v_ldexp_f32 v13, v13, 1
	v_sub_f32_e32 v19, v23, v25
	v_sub_f32_e32 v19, v21, v19
	v_add_f32_e32 v33, v13, v19
	v_mov_b32_e32 v32, v20
	v_pk_add_f32 v[20:21], v[22:23], v[20:21] neg_lo:[0,1] neg_hi:[0,1]
	v_pk_add_f32 v[34:35], v[22:23], v[32:33]
	v_mov_b32_e32 v25, v22
	v_mov_b32_e32 v21, v35
	v_pk_add_f32 v[36:37], v[24:25], v[20:21] neg_lo:[0,1] neg_hi:[0,1]
	v_pk_add_f32 v[20:21], v[24:25], v[20:21]
	v_mov_b32_e32 v32, v33
	v_pk_add_f32 v[24:25], v[20:21], v[22:23] op_sel:[1,0] op_sel_hi:[0,1] neg_lo:[0,1] neg_hi:[0,1]
	v_pk_add_f32 v[38:39], v[34:35], v[24:25] op_sel_hi:[1,0] neg_lo:[0,1] neg_hi:[0,1]
	v_mov_b32_e32 v34, v35
	v_mov_b32_e32 v35, v21
	v_pk_mov_b32 v[24:25], v[22:23], v[24:25] op_sel:[1,0]
	v_mov_b32_e32 v33, v22
	v_pk_add_f32 v[24:25], v[34:35], v[24:25] neg_lo:[0,1] neg_hi:[0,1]
	v_mov_b32_e32 v38, v36
	v_pk_add_f32 v[22:23], v[32:33], v[24:25] neg_lo:[0,1] neg_hi:[0,1]
	v_mov_b32_e32 v37, v21
	v_pk_add_f32 v[24:25], v[38:39], v[22:23]
	v_cmp_neq_f32_e64 s[0:1], s30, v6
	v_pk_add_f32 v[32:33], v[24:25], v[24:25] op_sel:[0,1] op_sel_hi:[1,0]
	s_nop 0
	v_pk_add_f32 v[20:21], v[20:21], v[32:33] op_sel:[1,0] op_sel_hi:[0,1]
	v_mov_b32_e32 v25, v20
	v_pk_add_f32 v[34:35], v[24:25], v[36:37] neg_lo:[0,1] neg_hi:[0,1]
	v_mov_b32_e32 v23, v32
	v_sub_f32_e32 v13, v24, v34
	v_pk_add_f32 v[22:23], v[22:23], v[34:35] neg_lo:[0,1] neg_hi:[0,1]
	v_sub_f32_e32 v13, v36, v13
	v_add_f32_e32 v13, v22, v13
	v_add_f32_e32 v13, v13, v23
	;; [unrolled: 1-line block ×3, first 2 shown]
	v_cndmask_b32_e64 v13, v15, v13, s[0:1]
	s_mov_b32 s0, 0x33800000
	v_cmp_lt_f32_e64 s[0:1], |v6|, s0
	s_nop 1
	v_cndmask_b32_e64 v6, v13, v6, s[0:1]
	v_add_f32_e32 v6, v12, v6
.LBB162_114:
	s_or_b64 exec, exec, s[28:29]
	v_max_f32_e32 v12, v6, v6
	v_min_f32_e32 v13, v12, v26
	v_cmp_u_f32_e64 s[0:1], v6, v6
	v_max_f32_e32 v12, v12, v26
	s_movk_i32 s30, 0x1f8
	v_cndmask_b32_e64 v13, v13, v6, s[0:1]
	v_cndmask_b32_e64 v12, v12, v6, s[0:1]
	;; [unrolled: 1-line block ×4, first 2 shown]
	v_cmp_neq_f32_e64 s[0:1], v13, v12
	v_cmp_class_f32_e64 s[28:29], v13, s30
	s_or_b64 s[0:1], s[0:1], s[28:29]
	v_mov_b32_e32 v7, v6
	s_and_saveexec_b64 s[28:29], s[0:1]
	s_cbranch_execz .LBB162_116
; %bb.115:
	v_sub_f32_e32 v7, v13, v12
	s_mov_b32 s0, 0x3fb8aa3b
	v_mul_f32_e32 v13, 0x3fb8aa3b, v7
	v_fma_f32 v15, v7, s0, -v13
	v_rndne_f32_e32 v19, v13
	v_fmamk_f32 v15, v7, 0x32a5705f, v15
	v_sub_f32_e32 v13, v13, v19
	v_add_f32_e32 v13, v13, v15
	v_exp_f32_e32 v13, v13
	v_cvt_i32_f32_e32 v15, v19
	s_mov_b32 s0, 0xc2ce8ed0
	v_cmp_ngt_f32_e64 s[0:1], s0, v7
	s_mov_b32 s31, 0x7f800000
	v_ldexp_f32 v13, v13, v15
	v_cndmask_b32_e64 v13, 0, v13, s[0:1]
	s_mov_b32 s0, 0x42b17218
	v_mov_b32_e32 v15, 0x7f800000
	v_cmp_nlt_f32_e64 s[0:1], s0, v7
	s_nop 1
	v_cndmask_b32_e64 v7, v15, v13, s[0:1]
	v_add_f32_e32 v13, 1.0, v7
	v_add_f32_e32 v19, -1.0, v13
	v_sub_f32_e32 v20, v19, v13
	v_add_f32_e32 v20, 1.0, v20
	v_sub_f32_e32 v19, v7, v19
	v_add_f32_e32 v19, v19, v20
	v_frexp_mant_f32_e32 v22, v13
	s_mov_b32 s0, 0x3f2aaaab
	v_cvt_f64_f32_e32 v[20:21], v13
	v_frexp_exp_i32_f64_e32 v20, v[20:21]
	v_cmp_gt_f32_e64 s[0:1], s0, v22
	s_nop 1
	v_subbrev_co_u32_e64 v26, s[0:1], 0, v20, s[0:1]
	v_sub_u32_e32 v20, 0, v26
	v_ldexp_f32 v13, v13, v20
	v_ldexp_f32 v19, v19, v20
	v_add_f32_e32 v20, -1.0, v13
	v_add_f32_e32 v21, 1.0, v20
	v_sub_f32_e32 v21, v13, v21
	v_add_f32_e32 v22, v19, v21
	v_add_f32_e32 v21, 1.0, v13
	v_add_f32_e32 v23, -1.0, v21
	v_sub_f32_e32 v13, v13, v23
	v_add_f32_e32 v13, v19, v13
	v_add_f32_e32 v19, v21, v13
	v_rcp_f32_e32 v31, v19
	v_sub_f32_e32 v21, v21, v19
	v_add_f32_e32 v13, v13, v21
	v_add_f32_e32 v21, v20, v22
	v_sub_f32_e32 v20, v20, v21
	v_mul_f32_e32 v35, v21, v31
	v_add_f32_e32 v34, v22, v20
	v_mul_f32_e32 v22, v19, v35
	v_fma_f32 v24, v35, v19, -v22
	v_fmac_f32_e32 v24, v35, v13
	v_add_f32_e32 v20, v22, v24
	v_sub_f32_e32 v23, v21, v20
	v_pk_add_f32 v[32:33], v[20:21], v[22:23] neg_lo:[0,1] neg_hi:[0,1]
	v_mov_b32_e32 v25, v20
	v_pk_add_f32 v[20:21], v[32:33], v[24:25] neg_lo:[0,1] neg_hi:[0,1]
	s_mov_b32 s0, 0x3f317218
	v_add_f32_e32 v21, v34, v21
	v_add_f32_e32 v20, v20, v21
	;; [unrolled: 1-line block ×3, first 2 shown]
	v_mul_f32_e32 v34, v31, v21
	v_mul_f32_e32 v22, v19, v34
	v_fma_f32 v24, v34, v19, -v22
	v_fmac_f32_e32 v24, v34, v13
	v_sub_f32_e32 v13, v23, v21
	v_add_f32_e32 v13, v20, v13
	v_add_f32_e32 v20, v22, v24
	v_sub_f32_e32 v23, v21, v20
	v_pk_add_f32 v[32:33], v[20:21], v[22:23] neg_lo:[0,1] neg_hi:[0,1]
	v_mov_b32_e32 v25, v20
	v_pk_add_f32 v[20:21], v[32:33], v[24:25] neg_lo:[0,1] neg_hi:[0,1]
	v_add_f32_e32 v19, v35, v34
	v_add_f32_e32 v13, v13, v21
	;; [unrolled: 1-line block ×4, first 2 shown]
	v_sub_f32_e32 v20, v19, v35
	v_mul_f32_e32 v13, v31, v13
	v_sub_f32_e32 v20, v34, v20
	v_add_f32_e32 v13, v20, v13
	v_add_f32_e32 v20, v19, v13
	v_cvt_f32_i32_e32 v22, v26
	v_mul_f32_e32 v23, v20, v20
	v_mov_b32_e32 v21, 0x3ecc95a3
	v_fmac_f32_e32 v21, 0x3e9b6dac, v23
	v_fmaak_f32 v21, v23, v21, 0x3f2aaada
	v_sub_f32_e32 v19, v20, v19
	v_ldexp_f32 v25, v20, 1
	v_mul_f32_e32 v23, v20, v23
	v_mov_b32_e32 v20, 0x3f317218
	v_pk_mul_f32 v[20:21], v[22:23], v[20:21]
	v_sub_f32_e32 v13, v13, v19
	v_fma_f32 v19, v22, s0, -v20
	v_fmamk_f32 v24, v22, 0xb102e308, v19
	v_pk_add_f32 v[22:23], v[20:21], v[24:25]
	v_ldexp_f32 v13, v13, 1
	v_sub_f32_e32 v19, v23, v25
	v_sub_f32_e32 v19, v21, v19
	v_add_f32_e32 v33, v13, v19
	v_mov_b32_e32 v32, v20
	v_pk_add_f32 v[20:21], v[22:23], v[20:21] neg_lo:[0,1] neg_hi:[0,1]
	v_pk_add_f32 v[34:35], v[22:23], v[32:33]
	v_mov_b32_e32 v25, v22
	v_mov_b32_e32 v21, v35
	v_pk_add_f32 v[36:37], v[24:25], v[20:21] neg_lo:[0,1] neg_hi:[0,1]
	v_pk_add_f32 v[20:21], v[24:25], v[20:21]
	v_mov_b32_e32 v32, v33
	v_pk_add_f32 v[24:25], v[20:21], v[22:23] op_sel:[1,0] op_sel_hi:[0,1] neg_lo:[0,1] neg_hi:[0,1]
	v_pk_add_f32 v[38:39], v[34:35], v[24:25] op_sel_hi:[1,0] neg_lo:[0,1] neg_hi:[0,1]
	v_mov_b32_e32 v34, v35
	v_mov_b32_e32 v35, v21
	v_pk_mov_b32 v[24:25], v[22:23], v[24:25] op_sel:[1,0]
	v_mov_b32_e32 v33, v22
	v_pk_add_f32 v[24:25], v[34:35], v[24:25] neg_lo:[0,1] neg_hi:[0,1]
	v_mov_b32_e32 v38, v36
	v_pk_add_f32 v[22:23], v[32:33], v[24:25] neg_lo:[0,1] neg_hi:[0,1]
	v_mov_b32_e32 v37, v21
	v_pk_add_f32 v[24:25], v[38:39], v[22:23]
	v_cmp_neq_f32_e64 s[0:1], s31, v7
	v_pk_add_f32 v[32:33], v[24:25], v[24:25] op_sel:[0,1] op_sel_hi:[1,0]
	s_nop 0
	v_pk_add_f32 v[20:21], v[20:21], v[32:33] op_sel:[1,0] op_sel_hi:[0,1]
	v_mov_b32_e32 v25, v20
	v_pk_add_f32 v[34:35], v[24:25], v[36:37] neg_lo:[0,1] neg_hi:[0,1]
	v_mov_b32_e32 v23, v32
	v_sub_f32_e32 v13, v24, v34
	v_pk_add_f32 v[22:23], v[22:23], v[34:35] neg_lo:[0,1] neg_hi:[0,1]
	v_sub_f32_e32 v13, v36, v13
	v_add_f32_e32 v13, v22, v13
	v_add_f32_e32 v13, v13, v23
	;; [unrolled: 1-line block ×3, first 2 shown]
	v_cndmask_b32_e64 v13, v15, v13, s[0:1]
	s_mov_b32 s0, 0x33800000
	v_cmp_lt_f32_e64 s[0:1], |v7|, s0
	s_nop 1
	v_cndmask_b32_e64 v7, v13, v7, s[0:1]
	v_add_f32_e32 v7, v12, v7
.LBB162_116:
	s_or_b64 exec, exec, s[28:29]
	v_max_f32_e32 v12, v7, v7
	v_min_f32_e32 v13, v12, v27
	v_cmp_u_f32_e64 s[0:1], v7, v7
	v_max_f32_e32 v12, v12, v27
	s_nop 0
	v_cndmask_b32_e64 v13, v13, v7, s[0:1]
	v_cndmask_b32_e64 v12, v12, v7, s[0:1]
	;; [unrolled: 1-line block ×4, first 2 shown]
	v_cmp_neq_f32_e64 s[0:1], v13, v12
	v_cmp_class_f32_e64 s[28:29], v13, s30
	s_or_b64 s[0:1], s[0:1], s[28:29]
	v_mov_b32_e32 v8, v7
	s_and_saveexec_b64 s[28:29], s[0:1]
	s_cbranch_execz .LBB162_118
; %bb.117:
	v_sub_f32_e32 v8, v13, v12
	s_mov_b32 s0, 0x3fb8aa3b
	v_mul_f32_e32 v13, 0x3fb8aa3b, v8
	v_fma_f32 v15, v8, s0, -v13
	v_rndne_f32_e32 v19, v13
	v_fmamk_f32 v15, v8, 0x32a5705f, v15
	v_sub_f32_e32 v13, v13, v19
	v_add_f32_e32 v13, v13, v15
	v_exp_f32_e32 v13, v13
	v_cvt_i32_f32_e32 v15, v19
	s_mov_b32 s0, 0xc2ce8ed0
	v_cmp_ngt_f32_e64 s[0:1], s0, v8
	s_mov_b32 s30, 0x7f800000
	v_ldexp_f32 v13, v13, v15
	v_cndmask_b32_e64 v13, 0, v13, s[0:1]
	s_mov_b32 s0, 0x42b17218
	v_mov_b32_e32 v15, 0x7f800000
	v_cmp_nlt_f32_e64 s[0:1], s0, v8
	s_nop 1
	v_cndmask_b32_e64 v8, v15, v13, s[0:1]
	v_add_f32_e32 v13, 1.0, v8
	v_add_f32_e32 v19, -1.0, v13
	v_sub_f32_e32 v20, v19, v13
	v_add_f32_e32 v20, 1.0, v20
	v_sub_f32_e32 v19, v8, v19
	v_add_f32_e32 v19, v19, v20
	v_frexp_mant_f32_e32 v22, v13
	s_mov_b32 s0, 0x3f2aaaab
	v_cvt_f64_f32_e32 v[20:21], v13
	v_frexp_exp_i32_f64_e32 v20, v[20:21]
	v_cmp_gt_f32_e64 s[0:1], s0, v22
	s_nop 1
	v_subbrev_co_u32_e64 v31, s[0:1], 0, v20, s[0:1]
	v_sub_u32_e32 v20, 0, v31
	v_ldexp_f32 v13, v13, v20
	v_ldexp_f32 v19, v19, v20
	v_add_f32_e32 v20, -1.0, v13
	v_add_f32_e32 v21, 1.0, v20
	v_sub_f32_e32 v21, v13, v21
	v_add_f32_e32 v22, v19, v21
	v_add_f32_e32 v21, 1.0, v13
	v_add_f32_e32 v23, -1.0, v21
	v_sub_f32_e32 v13, v13, v23
	v_add_f32_e32 v13, v19, v13
	v_add_f32_e32 v19, v21, v13
	v_rcp_f32_e32 v32, v19
	v_sub_f32_e32 v21, v21, v19
	v_add_f32_e32 v13, v13, v21
	v_add_f32_e32 v21, v20, v22
	v_sub_f32_e32 v20, v20, v21
	v_mul_f32_e32 v34, v21, v32
	v_add_f32_e32 v33, v22, v20
	v_mul_f32_e32 v22, v19, v34
	v_fma_f32 v24, v34, v19, -v22
	v_fmac_f32_e32 v24, v34, v13
	v_add_f32_e32 v20, v22, v24
	v_sub_f32_e32 v23, v21, v20
	v_pk_add_f32 v[26:27], v[20:21], v[22:23] neg_lo:[0,1] neg_hi:[0,1]
	v_mov_b32_e32 v25, v20
	v_pk_add_f32 v[20:21], v[26:27], v[24:25] neg_lo:[0,1] neg_hi:[0,1]
	s_mov_b32 s0, 0x3f317218
	v_add_f32_e32 v21, v33, v21
	v_add_f32_e32 v20, v20, v21
	;; [unrolled: 1-line block ×3, first 2 shown]
	v_mul_f32_e32 v33, v32, v21
	v_mul_f32_e32 v22, v19, v33
	v_fma_f32 v24, v33, v19, -v22
	v_fmac_f32_e32 v24, v33, v13
	v_sub_f32_e32 v13, v23, v21
	v_add_f32_e32 v13, v20, v13
	v_add_f32_e32 v20, v22, v24
	v_sub_f32_e32 v23, v21, v20
	v_pk_add_f32 v[26:27], v[20:21], v[22:23] neg_lo:[0,1] neg_hi:[0,1]
	v_mov_b32_e32 v25, v20
	v_pk_add_f32 v[20:21], v[26:27], v[24:25] neg_lo:[0,1] neg_hi:[0,1]
	v_add_f32_e32 v19, v34, v33
	v_add_f32_e32 v13, v13, v21
	;; [unrolled: 1-line block ×4, first 2 shown]
	v_sub_f32_e32 v20, v19, v34
	v_mul_f32_e32 v13, v32, v13
	v_sub_f32_e32 v20, v33, v20
	v_add_f32_e32 v13, v20, v13
	v_add_f32_e32 v20, v19, v13
	v_cvt_f32_i32_e32 v22, v31
	v_mul_f32_e32 v23, v20, v20
	v_mov_b32_e32 v21, 0x3ecc95a3
	v_fmac_f32_e32 v21, 0x3e9b6dac, v23
	v_fmaak_f32 v21, v23, v21, 0x3f2aaada
	v_sub_f32_e32 v19, v20, v19
	v_ldexp_f32 v25, v20, 1
	v_mul_f32_e32 v23, v20, v23
	v_mov_b32_e32 v20, 0x3f317218
	v_pk_mul_f32 v[20:21], v[22:23], v[20:21]
	v_sub_f32_e32 v13, v13, v19
	v_fma_f32 v19, v22, s0, -v20
	v_fmamk_f32 v24, v22, 0xb102e308, v19
	v_pk_add_f32 v[22:23], v[20:21], v[24:25]
	v_ldexp_f32 v13, v13, 1
	v_sub_f32_e32 v19, v23, v25
	v_sub_f32_e32 v19, v21, v19
	v_add_f32_e32 v27, v13, v19
	v_mov_b32_e32 v26, v20
	v_pk_add_f32 v[20:21], v[22:23], v[20:21] neg_lo:[0,1] neg_hi:[0,1]
	v_pk_add_f32 v[32:33], v[22:23], v[26:27]
	v_mov_b32_e32 v25, v22
	v_mov_b32_e32 v21, v33
	v_pk_add_f32 v[34:35], v[24:25], v[20:21] neg_lo:[0,1] neg_hi:[0,1]
	v_pk_add_f32 v[20:21], v[24:25], v[20:21]
	v_mov_b32_e32 v26, v27
	v_pk_add_f32 v[24:25], v[20:21], v[22:23] op_sel:[1,0] op_sel_hi:[0,1] neg_lo:[0,1] neg_hi:[0,1]
	v_pk_add_f32 v[36:37], v[32:33], v[24:25] op_sel_hi:[1,0] neg_lo:[0,1] neg_hi:[0,1]
	v_mov_b32_e32 v32, v33
	v_mov_b32_e32 v33, v21
	v_pk_mov_b32 v[24:25], v[22:23], v[24:25] op_sel:[1,0]
	v_mov_b32_e32 v27, v22
	v_pk_add_f32 v[24:25], v[32:33], v[24:25] neg_lo:[0,1] neg_hi:[0,1]
	v_mov_b32_e32 v36, v34
	v_pk_add_f32 v[22:23], v[26:27], v[24:25] neg_lo:[0,1] neg_hi:[0,1]
	v_mov_b32_e32 v35, v21
	v_pk_add_f32 v[24:25], v[36:37], v[22:23]
	v_cmp_neq_f32_e64 s[0:1], s30, v8
	v_pk_add_f32 v[26:27], v[24:25], v[24:25] op_sel:[0,1] op_sel_hi:[1,0]
	s_nop 0
	v_pk_add_f32 v[20:21], v[20:21], v[26:27] op_sel:[1,0] op_sel_hi:[0,1]
	v_mov_b32_e32 v25, v20
	v_pk_add_f32 v[32:33], v[24:25], v[34:35] neg_lo:[0,1] neg_hi:[0,1]
	v_mov_b32_e32 v23, v26
	v_sub_f32_e32 v13, v24, v32
	v_pk_add_f32 v[22:23], v[22:23], v[32:33] neg_lo:[0,1] neg_hi:[0,1]
	v_sub_f32_e32 v13, v34, v13
	v_add_f32_e32 v13, v22, v13
	v_add_f32_e32 v13, v13, v23
	;; [unrolled: 1-line block ×3, first 2 shown]
	v_cndmask_b32_e64 v13, v15, v13, s[0:1]
	s_mov_b32 s0, 0x33800000
	v_cmp_lt_f32_e64 s[0:1], |v8|, s0
	s_nop 1
	v_cndmask_b32_e64 v8, v13, v8, s[0:1]
	v_add_f32_e32 v8, v12, v8
.LBB162_118:
	s_or_b64 exec, exec, s[28:29]
	v_max_f32_e32 v12, v8, v8
	v_min_f32_e32 v13, v12, v28
	v_cmp_u_f32_e64 s[0:1], v8, v8
	v_max_f32_e32 v12, v12, v28
	s_movk_i32 s30, 0x1f8
	v_cndmask_b32_e64 v13, v13, v8, s[0:1]
	v_cndmask_b32_e64 v12, v12, v8, s[0:1]
	;; [unrolled: 1-line block ×4, first 2 shown]
	v_cmp_neq_f32_e64 s[0:1], v13, v12
	v_cmp_class_f32_e64 s[28:29], v13, s30
	s_or_b64 s[0:1], s[0:1], s[28:29]
	v_mov_b32_e32 v9, v8
	s_and_saveexec_b64 s[28:29], s[0:1]
	s_cbranch_execz .LBB162_120
; %bb.119:
	v_sub_f32_e32 v9, v13, v12
	s_mov_b32 s0, 0x3fb8aa3b
	v_mul_f32_e32 v13, 0x3fb8aa3b, v9
	v_fma_f32 v15, v9, s0, -v13
	v_rndne_f32_e32 v19, v13
	v_fmamk_f32 v15, v9, 0x32a5705f, v15
	v_sub_f32_e32 v13, v13, v19
	v_add_f32_e32 v13, v13, v15
	v_exp_f32_e32 v13, v13
	v_cvt_i32_f32_e32 v15, v19
	s_mov_b32 s0, 0xc2ce8ed0
	v_cmp_ngt_f32_e64 s[0:1], s0, v9
	s_mov_b32 s31, 0x7f800000
	v_ldexp_f32 v13, v13, v15
	v_cndmask_b32_e64 v13, 0, v13, s[0:1]
	s_mov_b32 s0, 0x42b17218
	v_mov_b32_e32 v15, 0x7f800000
	v_cmp_nlt_f32_e64 s[0:1], s0, v9
	s_nop 1
	v_cndmask_b32_e64 v9, v15, v13, s[0:1]
	v_add_f32_e32 v13, 1.0, v9
	v_add_f32_e32 v19, -1.0, v13
	v_sub_f32_e32 v20, v19, v13
	v_add_f32_e32 v20, 1.0, v20
	v_sub_f32_e32 v19, v9, v19
	v_add_f32_e32 v19, v19, v20
	v_frexp_mant_f32_e32 v22, v13
	s_mov_b32 s0, 0x3f2aaaab
	v_cvt_f64_f32_e32 v[20:21], v13
	v_frexp_exp_i32_f64_e32 v20, v[20:21]
	v_cmp_gt_f32_e64 s[0:1], s0, v22
	s_nop 1
	v_subbrev_co_u32_e64 v28, s[0:1], 0, v20, s[0:1]
	v_sub_u32_e32 v20, 0, v28
	v_ldexp_f32 v13, v13, v20
	v_ldexp_f32 v19, v19, v20
	v_add_f32_e32 v20, -1.0, v13
	v_add_f32_e32 v21, 1.0, v20
	v_sub_f32_e32 v21, v13, v21
	v_add_f32_e32 v22, v19, v21
	v_add_f32_e32 v21, 1.0, v13
	v_add_f32_e32 v23, -1.0, v21
	v_sub_f32_e32 v13, v13, v23
	v_add_f32_e32 v13, v19, v13
	v_add_f32_e32 v19, v21, v13
	v_rcp_f32_e32 v31, v19
	v_sub_f32_e32 v21, v21, v19
	v_add_f32_e32 v13, v13, v21
	v_add_f32_e32 v21, v20, v22
	v_sub_f32_e32 v20, v20, v21
	v_mul_f32_e32 v33, v21, v31
	v_add_f32_e32 v32, v22, v20
	v_mul_f32_e32 v22, v19, v33
	v_fma_f32 v24, v33, v19, -v22
	v_fmac_f32_e32 v24, v33, v13
	v_add_f32_e32 v20, v22, v24
	v_sub_f32_e32 v23, v21, v20
	v_pk_add_f32 v[26:27], v[20:21], v[22:23] neg_lo:[0,1] neg_hi:[0,1]
	v_mov_b32_e32 v25, v20
	v_pk_add_f32 v[20:21], v[26:27], v[24:25] neg_lo:[0,1] neg_hi:[0,1]
	s_mov_b32 s0, 0x3f317218
	v_add_f32_e32 v21, v32, v21
	v_add_f32_e32 v20, v20, v21
	;; [unrolled: 1-line block ×3, first 2 shown]
	v_mul_f32_e32 v32, v31, v21
	v_mul_f32_e32 v22, v19, v32
	v_fma_f32 v24, v32, v19, -v22
	v_fmac_f32_e32 v24, v32, v13
	v_sub_f32_e32 v13, v23, v21
	v_add_f32_e32 v13, v20, v13
	v_add_f32_e32 v20, v22, v24
	v_sub_f32_e32 v23, v21, v20
	v_pk_add_f32 v[26:27], v[20:21], v[22:23] neg_lo:[0,1] neg_hi:[0,1]
	v_mov_b32_e32 v25, v20
	v_pk_add_f32 v[20:21], v[26:27], v[24:25] neg_lo:[0,1] neg_hi:[0,1]
	v_add_f32_e32 v19, v33, v32
	v_add_f32_e32 v13, v13, v21
	;; [unrolled: 1-line block ×4, first 2 shown]
	v_sub_f32_e32 v20, v19, v33
	v_mul_f32_e32 v13, v31, v13
	v_sub_f32_e32 v20, v32, v20
	v_add_f32_e32 v13, v20, v13
	v_add_f32_e32 v20, v19, v13
	v_cvt_f32_i32_e32 v22, v28
	v_mul_f32_e32 v23, v20, v20
	v_mov_b32_e32 v21, 0x3ecc95a3
	v_fmac_f32_e32 v21, 0x3e9b6dac, v23
	v_fmaak_f32 v21, v23, v21, 0x3f2aaada
	v_sub_f32_e32 v19, v20, v19
	v_ldexp_f32 v25, v20, 1
	v_mul_f32_e32 v23, v20, v23
	v_mov_b32_e32 v20, 0x3f317218
	v_pk_mul_f32 v[20:21], v[22:23], v[20:21]
	v_sub_f32_e32 v13, v13, v19
	v_fma_f32 v19, v22, s0, -v20
	v_fmamk_f32 v24, v22, 0xb102e308, v19
	v_pk_add_f32 v[22:23], v[20:21], v[24:25]
	v_ldexp_f32 v13, v13, 1
	v_sub_f32_e32 v19, v23, v25
	v_sub_f32_e32 v19, v21, v19
	v_add_f32_e32 v27, v13, v19
	v_mov_b32_e32 v26, v20
	v_pk_add_f32 v[20:21], v[22:23], v[20:21] neg_lo:[0,1] neg_hi:[0,1]
	v_pk_add_f32 v[32:33], v[22:23], v[26:27]
	v_mov_b32_e32 v25, v22
	v_mov_b32_e32 v21, v33
	v_pk_add_f32 v[34:35], v[24:25], v[20:21] neg_lo:[0,1] neg_hi:[0,1]
	v_pk_add_f32 v[20:21], v[24:25], v[20:21]
	v_mov_b32_e32 v26, v27
	v_pk_add_f32 v[24:25], v[20:21], v[22:23] op_sel:[1,0] op_sel_hi:[0,1] neg_lo:[0,1] neg_hi:[0,1]
	v_pk_add_f32 v[36:37], v[32:33], v[24:25] op_sel_hi:[1,0] neg_lo:[0,1] neg_hi:[0,1]
	v_mov_b32_e32 v32, v33
	v_mov_b32_e32 v33, v21
	v_pk_mov_b32 v[24:25], v[22:23], v[24:25] op_sel:[1,0]
	v_mov_b32_e32 v27, v22
	v_pk_add_f32 v[24:25], v[32:33], v[24:25] neg_lo:[0,1] neg_hi:[0,1]
	v_mov_b32_e32 v36, v34
	v_pk_add_f32 v[22:23], v[26:27], v[24:25] neg_lo:[0,1] neg_hi:[0,1]
	v_mov_b32_e32 v35, v21
	v_pk_add_f32 v[24:25], v[36:37], v[22:23]
	v_cmp_neq_f32_e64 s[0:1], s31, v9
	v_pk_add_f32 v[26:27], v[24:25], v[24:25] op_sel:[0,1] op_sel_hi:[1,0]
	s_nop 0
	v_pk_add_f32 v[20:21], v[20:21], v[26:27] op_sel:[1,0] op_sel_hi:[0,1]
	v_mov_b32_e32 v25, v20
	v_pk_add_f32 v[32:33], v[24:25], v[34:35] neg_lo:[0,1] neg_hi:[0,1]
	v_mov_b32_e32 v23, v26
	v_sub_f32_e32 v13, v24, v32
	v_pk_add_f32 v[22:23], v[22:23], v[32:33] neg_lo:[0,1] neg_hi:[0,1]
	v_sub_f32_e32 v13, v34, v13
	v_add_f32_e32 v13, v22, v13
	v_add_f32_e32 v13, v13, v23
	;; [unrolled: 1-line block ×3, first 2 shown]
	v_cndmask_b32_e64 v13, v15, v13, s[0:1]
	s_mov_b32 s0, 0x33800000
	v_cmp_lt_f32_e64 s[0:1], |v9|, s0
	s_nop 1
	v_cndmask_b32_e64 v9, v13, v9, s[0:1]
	v_add_f32_e32 v9, v12, v9
.LBB162_120:
	s_or_b64 exec, exec, s[28:29]
	v_max_f32_e32 v12, v9, v9
	v_min_f32_e32 v13, v12, v29
	v_cmp_u_f32_e64 s[0:1], v9, v9
	v_max_f32_e32 v12, v12, v29
	s_nop 0
	v_cndmask_b32_e64 v13, v13, v9, s[0:1]
	v_cndmask_b32_e64 v12, v12, v9, s[0:1]
	;; [unrolled: 1-line block ×4, first 2 shown]
	v_cmp_neq_f32_e64 s[0:1], v15, v13
	v_cmp_class_f32_e64 s[28:29], v15, s30
	s_or_b64 s[0:1], s[0:1], s[28:29]
	v_mov_b32_e32 v12, v9
	s_and_saveexec_b64 s[28:29], s[0:1]
	s_cbranch_execz .LBB162_122
; %bb.121:
	v_sub_f32_e32 v12, v15, v13
	s_mov_b32 s0, 0x3fb8aa3b
	v_mul_f32_e32 v15, 0x3fb8aa3b, v12
	v_fma_f32 v16, v12, s0, -v15
	v_rndne_f32_e32 v19, v15
	v_fmamk_f32 v16, v12, 0x32a5705f, v16
	v_sub_f32_e32 v15, v15, v19
	v_add_f32_e32 v15, v15, v16
	v_exp_f32_e32 v15, v15
	v_cvt_i32_f32_e32 v16, v19
	s_mov_b32 s0, 0xc2ce8ed0
	v_cmp_ngt_f32_e64 s[0:1], s0, v12
	s_mov_b32 s30, 0x7f800000
	v_ldexp_f32 v15, v15, v16
	v_cndmask_b32_e64 v15, 0, v15, s[0:1]
	s_mov_b32 s0, 0x42b17218
	v_mov_b32_e32 v16, 0x7f800000
	v_cmp_nlt_f32_e64 s[0:1], s0, v12
	s_nop 1
	v_cndmask_b32_e64 v12, v16, v15, s[0:1]
	v_add_f32_e32 v15, 1.0, v12
	v_add_f32_e32 v19, -1.0, v15
	v_sub_f32_e32 v20, v19, v15
	v_add_f32_e32 v20, 1.0, v20
	v_sub_f32_e32 v19, v12, v19
	v_add_f32_e32 v19, v19, v20
	v_frexp_mant_f32_e32 v22, v15
	s_mov_b32 s0, 0x3f2aaaab
	v_cvt_f64_f32_e32 v[20:21], v15
	v_frexp_exp_i32_f64_e32 v20, v[20:21]
	v_cmp_gt_f32_e64 s[0:1], s0, v22
	s_nop 1
	v_subbrev_co_u32_e64 v28, s[0:1], 0, v20, s[0:1]
	v_sub_u32_e32 v20, 0, v28
	v_ldexp_f32 v15, v15, v20
	v_ldexp_f32 v19, v19, v20
	v_add_f32_e32 v20, -1.0, v15
	v_add_f32_e32 v21, 1.0, v20
	v_sub_f32_e32 v21, v15, v21
	v_add_f32_e32 v22, v19, v21
	v_add_f32_e32 v21, 1.0, v15
	v_add_f32_e32 v23, -1.0, v21
	v_sub_f32_e32 v15, v15, v23
	v_add_f32_e32 v15, v19, v15
	v_add_f32_e32 v19, v21, v15
	v_rcp_f32_e32 v29, v19
	v_sub_f32_e32 v21, v21, v19
	v_add_f32_e32 v15, v15, v21
	v_add_f32_e32 v21, v20, v22
	v_sub_f32_e32 v20, v20, v21
	v_mul_f32_e32 v32, v21, v29
	v_add_f32_e32 v31, v22, v20
	v_mul_f32_e32 v22, v19, v32
	v_fma_f32 v24, v32, v19, -v22
	v_fmac_f32_e32 v24, v32, v15
	v_add_f32_e32 v20, v22, v24
	v_sub_f32_e32 v23, v21, v20
	v_pk_add_f32 v[26:27], v[20:21], v[22:23] neg_lo:[0,1] neg_hi:[0,1]
	v_mov_b32_e32 v25, v20
	v_pk_add_f32 v[20:21], v[26:27], v[24:25] neg_lo:[0,1] neg_hi:[0,1]
	s_mov_b32 s0, 0x3f317218
	v_add_f32_e32 v21, v31, v21
	v_add_f32_e32 v20, v20, v21
	;; [unrolled: 1-line block ×3, first 2 shown]
	v_mul_f32_e32 v31, v29, v21
	v_mul_f32_e32 v22, v19, v31
	v_fma_f32 v24, v31, v19, -v22
	v_fmac_f32_e32 v24, v31, v15
	v_sub_f32_e32 v15, v23, v21
	v_add_f32_e32 v15, v20, v15
	v_add_f32_e32 v20, v22, v24
	v_sub_f32_e32 v23, v21, v20
	v_pk_add_f32 v[26:27], v[20:21], v[22:23] neg_lo:[0,1] neg_hi:[0,1]
	v_mov_b32_e32 v25, v20
	v_pk_add_f32 v[20:21], v[26:27], v[24:25] neg_lo:[0,1] neg_hi:[0,1]
	v_add_f32_e32 v19, v32, v31
	v_add_f32_e32 v15, v15, v21
	;; [unrolled: 1-line block ×4, first 2 shown]
	v_sub_f32_e32 v20, v19, v32
	v_mul_f32_e32 v15, v29, v15
	v_sub_f32_e32 v20, v31, v20
	v_add_f32_e32 v15, v20, v15
	v_add_f32_e32 v20, v19, v15
	v_cvt_f32_i32_e32 v22, v28
	v_mul_f32_e32 v23, v20, v20
	v_mov_b32_e32 v21, 0x3ecc95a3
	v_fmac_f32_e32 v21, 0x3e9b6dac, v23
	v_fmaak_f32 v21, v23, v21, 0x3f2aaada
	v_sub_f32_e32 v19, v20, v19
	v_ldexp_f32 v25, v20, 1
	v_mul_f32_e32 v23, v20, v23
	v_mov_b32_e32 v20, 0x3f317218
	v_pk_mul_f32 v[20:21], v[22:23], v[20:21]
	v_sub_f32_e32 v15, v15, v19
	v_fma_f32 v19, v22, s0, -v20
	v_fmamk_f32 v24, v22, 0xb102e308, v19
	v_pk_add_f32 v[22:23], v[20:21], v[24:25]
	v_ldexp_f32 v15, v15, 1
	v_sub_f32_e32 v19, v23, v25
	v_sub_f32_e32 v19, v21, v19
	v_add_f32_e32 v27, v15, v19
	v_mov_b32_e32 v26, v20
	v_pk_add_f32 v[20:21], v[22:23], v[20:21] neg_lo:[0,1] neg_hi:[0,1]
	v_pk_add_f32 v[28:29], v[22:23], v[26:27]
	v_mov_b32_e32 v25, v22
	v_mov_b32_e32 v21, v29
	v_pk_add_f32 v[32:33], v[24:25], v[20:21] neg_lo:[0,1] neg_hi:[0,1]
	v_pk_add_f32 v[20:21], v[24:25], v[20:21]
	v_mov_b32_e32 v26, v27
	v_pk_add_f32 v[24:25], v[20:21], v[22:23] op_sel:[1,0] op_sel_hi:[0,1] neg_lo:[0,1] neg_hi:[0,1]
	v_pk_add_f32 v[34:35], v[28:29], v[24:25] op_sel_hi:[1,0] neg_lo:[0,1] neg_hi:[0,1]
	v_mov_b32_e32 v28, v29
	v_mov_b32_e32 v29, v21
	v_pk_mov_b32 v[24:25], v[22:23], v[24:25] op_sel:[1,0]
	v_mov_b32_e32 v27, v22
	v_pk_add_f32 v[24:25], v[28:29], v[24:25] neg_lo:[0,1] neg_hi:[0,1]
	v_mov_b32_e32 v34, v32
	v_pk_add_f32 v[22:23], v[26:27], v[24:25] neg_lo:[0,1] neg_hi:[0,1]
	v_mov_b32_e32 v33, v21
	v_pk_add_f32 v[24:25], v[34:35], v[22:23]
	v_cmp_neq_f32_e64 s[0:1], s30, v12
	v_pk_add_f32 v[26:27], v[24:25], v[24:25] op_sel:[0,1] op_sel_hi:[1,0]
	s_nop 0
	v_pk_add_f32 v[20:21], v[20:21], v[26:27] op_sel:[1,0] op_sel_hi:[0,1]
	v_mov_b32_e32 v25, v20
	v_pk_add_f32 v[28:29], v[24:25], v[32:33] neg_lo:[0,1] neg_hi:[0,1]
	v_mov_b32_e32 v23, v26
	v_sub_f32_e32 v15, v24, v28
	v_pk_add_f32 v[22:23], v[22:23], v[28:29] neg_lo:[0,1] neg_hi:[0,1]
	v_sub_f32_e32 v15, v32, v15
	v_add_f32_e32 v15, v22, v15
	v_add_f32_e32 v15, v15, v23
	;; [unrolled: 1-line block ×3, first 2 shown]
	v_cndmask_b32_e64 v15, v16, v15, s[0:1]
	s_mov_b32 s0, 0x33800000
	v_cmp_lt_f32_e64 s[0:1], |v12|, s0
	s_nop 1
	v_cndmask_b32_e64 v12, v15, v12, s[0:1]
	v_add_f32_e32 v12, v13, v12
.LBB162_122:
	s_or_b64 exec, exec, s[28:29]
	v_max_f32_e32 v13, v12, v12
	v_min_f32_e32 v15, v13, v30
	v_cmp_u_f32_e64 s[0:1], v12, v12
	v_max_f32_e32 v13, v13, v30
	s_movk_i32 s28, 0x1f8
	v_cndmask_b32_e64 v15, v15, v12, s[0:1]
	v_cndmask_b32_e64 v13, v13, v12, s[0:1]
	;; [unrolled: 1-line block ×4, first 2 shown]
	v_cmp_neq_f32_e64 s[0:1], v16, v15
	v_cmp_class_f32_e64 s[28:29], v16, s28
	s_or_b64 s[0:1], s[0:1], s[28:29]
	v_mov_b32_e32 v13, v12
	s_and_saveexec_b64 s[28:29], s[0:1]
	s_cbranch_execz .LBB162_124
; %bb.123:
	v_sub_f32_e32 v13, v16, v15
	s_mov_b32 s0, 0x3fb8aa3b
	v_mul_f32_e32 v16, 0x3fb8aa3b, v13
	v_fma_f32 v17, v13, s0, -v16
	v_rndne_f32_e32 v19, v16
	v_fmamk_f32 v17, v13, 0x32a5705f, v17
	v_sub_f32_e32 v16, v16, v19
	v_add_f32_e32 v16, v16, v17
	v_exp_f32_e32 v16, v16
	v_cvt_i32_f32_e32 v17, v19
	s_mov_b32 s0, 0xc2ce8ed0
	v_cmp_ngt_f32_e64 s[0:1], s0, v13
	v_mov_b32_e32 v19, 0x7f800000
	v_ldexp_f32 v16, v16, v17
	v_cndmask_b32_e64 v16, 0, v16, s[0:1]
	s_mov_b32 s0, 0x42b17218
	v_cmp_nlt_f32_e64 s[0:1], s0, v13
	s_mov_b32 s30, 0x7f800000
	s_nop 0
	v_cndmask_b32_e64 v13, v19, v16, s[0:1]
	v_add_f32_e32 v20, 1.0, v13
	v_add_f32_e32 v16, -1.0, v20
	v_sub_f32_e32 v17, v16, v20
	v_add_f32_e32 v17, 1.0, v17
	v_sub_f32_e32 v16, v13, v16
	v_add_f32_e32 v21, v16, v17
	v_frexp_mant_f32_e32 v22, v20
	s_mov_b32 s0, 0x3f2aaaab
	v_cvt_f64_f32_e32 v[16:17], v20
	v_frexp_exp_i32_f64_e32 v16, v[16:17]
	v_cmp_gt_f32_e64 s[0:1], s0, v22
	s_nop 1
	v_subbrev_co_u32_e64 v26, s[0:1], 0, v16, s[0:1]
	v_sub_u32_e32 v16, 0, v26
	v_ldexp_f32 v17, v20, v16
	v_add_f32_e32 v20, -1.0, v17
	v_add_f32_e32 v22, 1.0, v17
	v_ldexp_f32 v16, v21, v16
	v_add_f32_e32 v21, 1.0, v20
	v_add_f32_e32 v23, -1.0, v22
	v_sub_f32_e32 v21, v17, v21
	v_sub_f32_e32 v17, v17, v23
	v_add_f32_e32 v21, v16, v21
	v_add_f32_e32 v16, v16, v17
	;; [unrolled: 1-line block ×3, first 2 shown]
	v_rcp_f32_e32 v29, v27
	v_sub_f32_e32 v17, v22, v27
	v_add_f32_e32 v28, v16, v17
	v_add_f32_e32 v17, v20, v21
	v_mul_f32_e32 v31, v17, v29
	v_sub_f32_e32 v16, v20, v17
	v_mul_f32_e32 v20, v27, v31
	v_fma_f32 v22, v31, v27, -v20
	v_fmac_f32_e32 v22, v31, v28
	v_add_f32_e32 v30, v21, v16
	v_add_f32_e32 v16, v20, v22
	v_sub_f32_e32 v21, v17, v16
	v_pk_add_f32 v[24:25], v[16:17], v[20:21] neg_lo:[0,1] neg_hi:[0,1]
	v_mov_b32_e32 v23, v16
	v_pk_add_f32 v[16:17], v[24:25], v[22:23] neg_lo:[0,1] neg_hi:[0,1]
	s_mov_b32 s0, 0x3f317218
	v_add_f32_e32 v17, v30, v17
	v_add_f32_e32 v16, v16, v17
	;; [unrolled: 1-line block ×3, first 2 shown]
	v_mul_f32_e32 v30, v29, v17
	v_mul_f32_e32 v20, v27, v30
	v_fma_f32 v22, v30, v27, -v20
	v_fmac_f32_e32 v22, v30, v28
	v_sub_f32_e32 v21, v21, v17
	v_add_f32_e32 v27, v16, v21
	v_add_f32_e32 v16, v20, v22
	v_sub_f32_e32 v21, v17, v16
	v_pk_add_f32 v[24:25], v[16:17], v[20:21] neg_lo:[0,1] neg_hi:[0,1]
	v_mov_b32_e32 v23, v16
	v_pk_add_f32 v[16:17], v[24:25], v[22:23] neg_lo:[0,1] neg_hi:[0,1]
	v_cvt_f32_i32_e32 v20, v26
	v_add_f32_e32 v17, v27, v17
	v_add_f32_e32 v16, v16, v17
	;; [unrolled: 1-line block ×4, first 2 shown]
	v_sub_f32_e32 v17, v21, v31
	v_mul_f32_e32 v16, v29, v16
	v_sub_f32_e32 v17, v30, v17
	v_add_f32_e32 v16, v17, v16
	v_add_f32_e32 v22, v21, v16
	v_mul_f32_e32 v24, v22, v22
	v_mov_b32_e32 v17, 0x3ecc95a3
	v_sub_f32_e32 v21, v22, v21
	v_fmac_f32_e32 v17, 0x3e9b6dac, v24
	v_sub_f32_e32 v16, v16, v21
	v_fmaak_f32 v17, v24, v17, 0x3f2aaada
	v_ldexp_f32 v25, v16, 1
	v_mul_f32_e32 v21, v22, v24
	v_mov_b32_e32 v16, 0x3f317218
	v_pk_mul_f32 v[16:17], v[20:21], v[16:17]
	v_ldexp_f32 v23, v22, 1
	v_fma_f32 v21, v20, s0, -v16
	v_fmamk_f32 v22, v20, 0xb102e308, v21
	v_pk_add_f32 v[20:21], v[16:17], v[22:23]
	v_mov_b32_e32 v24, v16
	v_sub_f32_e32 v23, v21, v23
	v_sub_f32_e32 v23, v17, v23
	v_add_f32_e32 v25, v25, v23
	v_pk_add_f32 v[16:17], v[20:21], v[16:17] neg_lo:[0,1] neg_hi:[0,1]
	v_pk_add_f32 v[26:27], v[20:21], v[24:25]
	v_mov_b32_e32 v23, v20
	v_mov_b32_e32 v17, v27
	v_pk_add_f32 v[28:29], v[22:23], v[16:17] neg_lo:[0,1] neg_hi:[0,1]
	v_pk_add_f32 v[16:17], v[22:23], v[16:17]
	v_mov_b32_e32 v24, v25
	v_pk_add_f32 v[22:23], v[16:17], v[20:21] op_sel:[1,0] op_sel_hi:[0,1] neg_lo:[0,1] neg_hi:[0,1]
	v_pk_add_f32 v[30:31], v[26:27], v[22:23] op_sel_hi:[1,0] neg_lo:[0,1] neg_hi:[0,1]
	v_mov_b32_e32 v26, v27
	v_mov_b32_e32 v27, v17
	v_pk_mov_b32 v[22:23], v[20:21], v[22:23] op_sel:[1,0]
	v_mov_b32_e32 v25, v20
	v_pk_add_f32 v[22:23], v[26:27], v[22:23] neg_lo:[0,1] neg_hi:[0,1]
	v_mov_b32_e32 v30, v28
	v_pk_add_f32 v[20:21], v[24:25], v[22:23] neg_lo:[0,1] neg_hi:[0,1]
	v_mov_b32_e32 v29, v17
	v_pk_add_f32 v[22:23], v[30:31], v[20:21]
	v_cmp_neq_f32_e64 s[0:1], s30, v13
	v_pk_add_f32 v[24:25], v[22:23], v[22:23] op_sel:[0,1] op_sel_hi:[1,0]
	s_nop 0
	v_pk_add_f32 v[16:17], v[16:17], v[24:25] op_sel:[1,0] op_sel_hi:[0,1]
	v_mov_b32_e32 v23, v16
	v_pk_add_f32 v[26:27], v[22:23], v[28:29] neg_lo:[0,1] neg_hi:[0,1]
	v_mov_b32_e32 v21, v24
	v_sub_f32_e32 v17, v22, v26
	v_pk_add_f32 v[20:21], v[20:21], v[26:27] neg_lo:[0,1] neg_hi:[0,1]
	v_sub_f32_e32 v17, v28, v17
	v_add_f32_e32 v17, v20, v17
	v_add_f32_e32 v17, v17, v21
	;; [unrolled: 1-line block ×3, first 2 shown]
	v_cndmask_b32_e64 v16, v19, v16, s[0:1]
	s_mov_b32 s0, 0x33800000
	v_cmp_lt_f32_e64 s[0:1], |v13|, s0
	s_nop 1
	v_cndmask_b32_e64 v13, v16, v13, s[0:1]
	v_add_f32_e32 v13, v15, v13
.LBB162_124:
	s_or_b64 exec, exec, s[28:29]
	v_add_u32_e32 v15, v14, v18
	s_barrier
	ds_write2_b64 v15, v[2:3], v[0:1] offset1:1
	ds_write2_b64 v15, v[4:5], v[10:11] offset0:2 offset1:3
	ds_write2_b64 v15, v[6:7], v[8:9] offset0:4 offset1:5
	ds_write_b64 v15, v[12:13] offset:48
	s_waitcnt lgkmcnt(0)
	s_barrier
	ds_read2st64_b32 v[12:13], v14 offset0:4 offset1:8
	ds_read2st64_b32 v[10:11], v14 offset0:12 offset1:16
	;; [unrolled: 1-line block ×6, first 2 shown]
	ds_read_b32 v16, v14 offset:13312
	v_mov_b32_e32 v15, 0
	v_lshl_add_u64 v[0:1], s[58:59], 0, v[14:15]
	s_and_saveexec_b64 s[0:1], vcc
	s_cbranch_execnz .LBB162_139
; %bb.125:
	s_or_b64 exec, exec, s[0:1]
	s_and_saveexec_b64 s[0:1], s[26:27]
	s_cbranch_execnz .LBB162_140
.LBB162_126:
	s_or_b64 exec, exec, s[0:1]
	s_and_saveexec_b64 s[0:1], s[2:3]
	s_cbranch_execnz .LBB162_141
.LBB162_127:
	s_or_b64 exec, exec, s[0:1]
	s_and_saveexec_b64 s[0:1], s[4:5]
	s_cbranch_execnz .LBB162_142
.LBB162_128:
	s_or_b64 exec, exec, s[0:1]
	s_and_saveexec_b64 s[0:1], s[6:7]
	s_cbranch_execnz .LBB162_143
.LBB162_129:
	s_or_b64 exec, exec, s[0:1]
	s_and_saveexec_b64 s[0:1], s[8:9]
	s_cbranch_execnz .LBB162_144
.LBB162_130:
	s_or_b64 exec, exec, s[0:1]
	s_and_saveexec_b64 s[0:1], s[10:11]
	s_cbranch_execnz .LBB162_145
.LBB162_131:
	s_or_b64 exec, exec, s[0:1]
	s_and_saveexec_b64 s[0:1], s[12:13]
	s_cbranch_execnz .LBB162_146
.LBB162_132:
	s_or_b64 exec, exec, s[0:1]
	s_and_saveexec_b64 s[0:1], s[14:15]
	s_cbranch_execnz .LBB162_147
.LBB162_133:
	s_or_b64 exec, exec, s[0:1]
	s_and_saveexec_b64 s[0:1], s[16:17]
	s_cbranch_execnz .LBB162_148
.LBB162_134:
	s_or_b64 exec, exec, s[0:1]
	s_and_saveexec_b64 s[0:1], s[18:19]
	s_cbranch_execnz .LBB162_149
.LBB162_135:
	s_or_b64 exec, exec, s[0:1]
	s_and_saveexec_b64 s[0:1], s[20:21]
	s_cbranch_execnz .LBB162_150
.LBB162_136:
	s_or_b64 exec, exec, s[0:1]
	s_and_saveexec_b64 s[0:1], s[22:23]
	s_cbranch_execnz .LBB162_151
.LBB162_137:
	s_or_b64 exec, exec, s[0:1]
	s_and_saveexec_b64 s[0:1], s[24:25]
	s_cbranch_execnz .LBB162_152
.LBB162_138:
	s_endpgm
.LBB162_139:
	ds_read_b32 v14, v14
	s_waitcnt lgkmcnt(0)
	global_store_dword v[0:1], v14, off
	s_or_b64 exec, exec, s[0:1]
	s_and_saveexec_b64 s[0:1], s[26:27]
	s_cbranch_execz .LBB162_126
.LBB162_140:
	s_waitcnt lgkmcnt(6)
	global_store_dword v[0:1], v12, off offset:1024
	s_or_b64 exec, exec, s[0:1]
	s_and_saveexec_b64 s[0:1], s[2:3]
	s_cbranch_execz .LBB162_127
.LBB162_141:
	s_waitcnt lgkmcnt(6)
	global_store_dword v[0:1], v13, off offset:2048
	s_or_b64 exec, exec, s[0:1]
	s_and_saveexec_b64 s[0:1], s[4:5]
	s_cbranch_execz .LBB162_128
.LBB162_142:
	s_waitcnt lgkmcnt(5)
	global_store_dword v[0:1], v10, off offset:3072
	s_or_b64 exec, exec, s[0:1]
	s_and_saveexec_b64 s[0:1], s[6:7]
	s_cbranch_execz .LBB162_129
.LBB162_143:
	s_waitcnt lgkmcnt(6)
	v_add_co_u32_e32 v12, vcc, 0x1000, v0
	s_nop 1
	v_addc_co_u32_e32 v13, vcc, 0, v1, vcc
	s_waitcnt lgkmcnt(5)
	global_store_dword v[12:13], v11, off
	s_or_b64 exec, exec, s[0:1]
	s_and_saveexec_b64 s[0:1], s[8:9]
	s_cbranch_execz .LBB162_130
.LBB162_144:
	s_waitcnt lgkmcnt(5)
	v_add_co_u32_e32 v10, vcc, 0x1000, v0
	s_nop 1
	v_addc_co_u32_e32 v11, vcc, 0, v1, vcc
	s_waitcnt lgkmcnt(4)
	global_store_dword v[10:11], v8, off offset:1024
	s_or_b64 exec, exec, s[0:1]
	s_and_saveexec_b64 s[0:1], s[10:11]
	s_cbranch_execz .LBB162_131
.LBB162_145:
	s_waitcnt lgkmcnt(5)
	v_add_co_u32_e32 v10, vcc, 0x1000, v0
	s_nop 1
	v_addc_co_u32_e32 v11, vcc, 0, v1, vcc
	s_waitcnt lgkmcnt(4)
	global_store_dword v[10:11], v9, off offset:2048
	s_or_b64 exec, exec, s[0:1]
	s_and_saveexec_b64 s[0:1], s[12:13]
	s_cbranch_execz .LBB162_132
.LBB162_146:
	s_waitcnt lgkmcnt(4)
	v_add_co_u32_e32 v8, vcc, 0x1000, v0
	s_nop 1
	v_addc_co_u32_e32 v9, vcc, 0, v1, vcc
	s_waitcnt lgkmcnt(3)
	global_store_dword v[8:9], v6, off offset:3072
	s_or_b64 exec, exec, s[0:1]
	s_and_saveexec_b64 s[0:1], s[14:15]
	s_cbranch_execz .LBB162_133
.LBB162_147:
	s_waitcnt lgkmcnt(4)
	v_add_co_u32_e32 v8, vcc, 0x2000, v0
	s_nop 1
	v_addc_co_u32_e32 v9, vcc, 0, v1, vcc
	s_waitcnt lgkmcnt(3)
	global_store_dword v[8:9], v7, off
	s_or_b64 exec, exec, s[0:1]
	s_and_saveexec_b64 s[0:1], s[16:17]
	s_cbranch_execz .LBB162_134
.LBB162_148:
	s_waitcnt lgkmcnt(3)
	v_add_co_u32_e32 v6, vcc, 0x2000, v0
	s_nop 1
	v_addc_co_u32_e32 v7, vcc, 0, v1, vcc
	s_waitcnt lgkmcnt(2)
	global_store_dword v[6:7], v4, off offset:1024
	s_or_b64 exec, exec, s[0:1]
	s_and_saveexec_b64 s[0:1], s[18:19]
	s_cbranch_execz .LBB162_135
.LBB162_149:
	s_waitcnt lgkmcnt(3)
	v_add_co_u32_e32 v6, vcc, 0x2000, v0
	s_nop 1
	v_addc_co_u32_e32 v7, vcc, 0, v1, vcc
	s_waitcnt lgkmcnt(2)
	global_store_dword v[6:7], v5, off offset:2048
	s_or_b64 exec, exec, s[0:1]
	s_and_saveexec_b64 s[0:1], s[20:21]
	s_cbranch_execz .LBB162_136
.LBB162_150:
	s_waitcnt lgkmcnt(2)
	v_add_co_u32_e32 v4, vcc, 0x2000, v0
	s_nop 1
	v_addc_co_u32_e32 v5, vcc, 0, v1, vcc
	s_waitcnt lgkmcnt(1)
	global_store_dword v[4:5], v2, off offset:3072
	s_or_b64 exec, exec, s[0:1]
	s_and_saveexec_b64 s[0:1], s[22:23]
	s_cbranch_execz .LBB162_137
.LBB162_151:
	s_waitcnt lgkmcnt(2)
	v_add_co_u32_e32 v4, vcc, 0x3000, v0
	s_nop 1
	v_addc_co_u32_e32 v5, vcc, 0, v1, vcc
	s_waitcnt lgkmcnt(1)
	global_store_dword v[4:5], v3, off
	s_or_b64 exec, exec, s[0:1]
	s_and_saveexec_b64 s[0:1], s[24:25]
	s_cbranch_execz .LBB162_138
.LBB162_152:
	v_add_co_u32_e32 v0, vcc, 0x3000, v0
	s_nop 1
	v_addc_co_u32_e32 v1, vcc, 0, v1, vcc
	s_waitcnt lgkmcnt(0)
	global_store_dword v[0:1], v16, off offset:1024
	s_endpgm
	.section	.rodata,"a",@progbits
	.p2align	6, 0x0
	.amdhsa_kernel _ZN7rocprim17ROCPRIM_400000_NS6detail17trampoline_kernelINS0_14default_configENS1_20scan_config_selectorIfEEZZNS1_9scan_implILNS1_25lookback_scan_determinismE0ELb0ELb0ES3_PKfPffZZZN2at6native31launch_logcumsumexp_cuda_kernelERKNSB_10TensorBaseESF_lENKUlvE_clEvENKUlvE0_clEvEUlffE_fEEDaPvRmT3_T4_T5_mT6_P12ihipStream_tbENKUlT_T0_E_clISt17integral_constantIbLb0EESV_IbLb1EEEEDaSR_SS_EUlSR_E0_NS1_11comp_targetILNS1_3genE0ELNS1_11target_archE4294967295ELNS1_3gpuE0ELNS1_3repE0EEENS1_30default_config_static_selectorELNS0_4arch9wavefront6targetE1EEEvT1_
		.amdhsa_group_segment_fixed_size 14336
		.amdhsa_private_segment_fixed_size 0
		.amdhsa_kernarg_size 32
		.amdhsa_user_sgpr_count 2
		.amdhsa_user_sgpr_dispatch_ptr 0
		.amdhsa_user_sgpr_queue_ptr 0
		.amdhsa_user_sgpr_kernarg_segment_ptr 1
		.amdhsa_user_sgpr_dispatch_id 0
		.amdhsa_user_sgpr_kernarg_preload_length 0
		.amdhsa_user_sgpr_kernarg_preload_offset 0
		.amdhsa_user_sgpr_private_segment_size 0
		.amdhsa_uses_dynamic_stack 0
		.amdhsa_enable_private_segment 0
		.amdhsa_system_sgpr_workgroup_id_x 1
		.amdhsa_system_sgpr_workgroup_id_y 0
		.amdhsa_system_sgpr_workgroup_id_z 0
		.amdhsa_system_sgpr_workgroup_info 0
		.amdhsa_system_vgpr_workitem_id 0
		.amdhsa_next_free_vgpr 55
		.amdhsa_next_free_sgpr 69
		.amdhsa_accum_offset 56
		.amdhsa_reserve_vcc 1
		.amdhsa_float_round_mode_32 0
		.amdhsa_float_round_mode_16_64 0
		.amdhsa_float_denorm_mode_32 3
		.amdhsa_float_denorm_mode_16_64 3
		.amdhsa_dx10_clamp 1
		.amdhsa_ieee_mode 1
		.amdhsa_fp16_overflow 0
		.amdhsa_tg_split 0
		.amdhsa_exception_fp_ieee_invalid_op 0
		.amdhsa_exception_fp_denorm_src 0
		.amdhsa_exception_fp_ieee_div_zero 0
		.amdhsa_exception_fp_ieee_overflow 0
		.amdhsa_exception_fp_ieee_underflow 0
		.amdhsa_exception_fp_ieee_inexact 0
		.amdhsa_exception_int_div_zero 0
	.end_amdhsa_kernel
	.section	.text._ZN7rocprim17ROCPRIM_400000_NS6detail17trampoline_kernelINS0_14default_configENS1_20scan_config_selectorIfEEZZNS1_9scan_implILNS1_25lookback_scan_determinismE0ELb0ELb0ES3_PKfPffZZZN2at6native31launch_logcumsumexp_cuda_kernelERKNSB_10TensorBaseESF_lENKUlvE_clEvENKUlvE0_clEvEUlffE_fEEDaPvRmT3_T4_T5_mT6_P12ihipStream_tbENKUlT_T0_E_clISt17integral_constantIbLb0EESV_IbLb1EEEEDaSR_SS_EUlSR_E0_NS1_11comp_targetILNS1_3genE0ELNS1_11target_archE4294967295ELNS1_3gpuE0ELNS1_3repE0EEENS1_30default_config_static_selectorELNS0_4arch9wavefront6targetE1EEEvT1_,"axG",@progbits,_ZN7rocprim17ROCPRIM_400000_NS6detail17trampoline_kernelINS0_14default_configENS1_20scan_config_selectorIfEEZZNS1_9scan_implILNS1_25lookback_scan_determinismE0ELb0ELb0ES3_PKfPffZZZN2at6native31launch_logcumsumexp_cuda_kernelERKNSB_10TensorBaseESF_lENKUlvE_clEvENKUlvE0_clEvEUlffE_fEEDaPvRmT3_T4_T5_mT6_P12ihipStream_tbENKUlT_T0_E_clISt17integral_constantIbLb0EESV_IbLb1EEEEDaSR_SS_EUlSR_E0_NS1_11comp_targetILNS1_3genE0ELNS1_11target_archE4294967295ELNS1_3gpuE0ELNS1_3repE0EEENS1_30default_config_static_selectorELNS0_4arch9wavefront6targetE1EEEvT1_,comdat
.Lfunc_end162:
	.size	_ZN7rocprim17ROCPRIM_400000_NS6detail17trampoline_kernelINS0_14default_configENS1_20scan_config_selectorIfEEZZNS1_9scan_implILNS1_25lookback_scan_determinismE0ELb0ELb0ES3_PKfPffZZZN2at6native31launch_logcumsumexp_cuda_kernelERKNSB_10TensorBaseESF_lENKUlvE_clEvENKUlvE0_clEvEUlffE_fEEDaPvRmT3_T4_T5_mT6_P12ihipStream_tbENKUlT_T0_E_clISt17integral_constantIbLb0EESV_IbLb1EEEEDaSR_SS_EUlSR_E0_NS1_11comp_targetILNS1_3genE0ELNS1_11target_archE4294967295ELNS1_3gpuE0ELNS1_3repE0EEENS1_30default_config_static_selectorELNS0_4arch9wavefront6targetE1EEEvT1_, .Lfunc_end162-_ZN7rocprim17ROCPRIM_400000_NS6detail17trampoline_kernelINS0_14default_configENS1_20scan_config_selectorIfEEZZNS1_9scan_implILNS1_25lookback_scan_determinismE0ELb0ELb0ES3_PKfPffZZZN2at6native31launch_logcumsumexp_cuda_kernelERKNSB_10TensorBaseESF_lENKUlvE_clEvENKUlvE0_clEvEUlffE_fEEDaPvRmT3_T4_T5_mT6_P12ihipStream_tbENKUlT_T0_E_clISt17integral_constantIbLb0EESV_IbLb1EEEEDaSR_SS_EUlSR_E0_NS1_11comp_targetILNS1_3genE0ELNS1_11target_archE4294967295ELNS1_3gpuE0ELNS1_3repE0EEENS1_30default_config_static_selectorELNS0_4arch9wavefront6targetE1EEEvT1_
                                        ; -- End function
	.set _ZN7rocprim17ROCPRIM_400000_NS6detail17trampoline_kernelINS0_14default_configENS1_20scan_config_selectorIfEEZZNS1_9scan_implILNS1_25lookback_scan_determinismE0ELb0ELb0ES3_PKfPffZZZN2at6native31launch_logcumsumexp_cuda_kernelERKNSB_10TensorBaseESF_lENKUlvE_clEvENKUlvE0_clEvEUlffE_fEEDaPvRmT3_T4_T5_mT6_P12ihipStream_tbENKUlT_T0_E_clISt17integral_constantIbLb0EESV_IbLb1EEEEDaSR_SS_EUlSR_E0_NS1_11comp_targetILNS1_3genE0ELNS1_11target_archE4294967295ELNS1_3gpuE0ELNS1_3repE0EEENS1_30default_config_static_selectorELNS0_4arch9wavefront6targetE1EEEvT1_.num_vgpr, 55
	.set _ZN7rocprim17ROCPRIM_400000_NS6detail17trampoline_kernelINS0_14default_configENS1_20scan_config_selectorIfEEZZNS1_9scan_implILNS1_25lookback_scan_determinismE0ELb0ELb0ES3_PKfPffZZZN2at6native31launch_logcumsumexp_cuda_kernelERKNSB_10TensorBaseESF_lENKUlvE_clEvENKUlvE0_clEvEUlffE_fEEDaPvRmT3_T4_T5_mT6_P12ihipStream_tbENKUlT_T0_E_clISt17integral_constantIbLb0EESV_IbLb1EEEEDaSR_SS_EUlSR_E0_NS1_11comp_targetILNS1_3genE0ELNS1_11target_archE4294967295ELNS1_3gpuE0ELNS1_3repE0EEENS1_30default_config_static_selectorELNS0_4arch9wavefront6targetE1EEEvT1_.num_agpr, 0
	.set _ZN7rocprim17ROCPRIM_400000_NS6detail17trampoline_kernelINS0_14default_configENS1_20scan_config_selectorIfEEZZNS1_9scan_implILNS1_25lookback_scan_determinismE0ELb0ELb0ES3_PKfPffZZZN2at6native31launch_logcumsumexp_cuda_kernelERKNSB_10TensorBaseESF_lENKUlvE_clEvENKUlvE0_clEvEUlffE_fEEDaPvRmT3_T4_T5_mT6_P12ihipStream_tbENKUlT_T0_E_clISt17integral_constantIbLb0EESV_IbLb1EEEEDaSR_SS_EUlSR_E0_NS1_11comp_targetILNS1_3genE0ELNS1_11target_archE4294967295ELNS1_3gpuE0ELNS1_3repE0EEENS1_30default_config_static_selectorELNS0_4arch9wavefront6targetE1EEEvT1_.numbered_sgpr, 69
	.set _ZN7rocprim17ROCPRIM_400000_NS6detail17trampoline_kernelINS0_14default_configENS1_20scan_config_selectorIfEEZZNS1_9scan_implILNS1_25lookback_scan_determinismE0ELb0ELb0ES3_PKfPffZZZN2at6native31launch_logcumsumexp_cuda_kernelERKNSB_10TensorBaseESF_lENKUlvE_clEvENKUlvE0_clEvEUlffE_fEEDaPvRmT3_T4_T5_mT6_P12ihipStream_tbENKUlT_T0_E_clISt17integral_constantIbLb0EESV_IbLb1EEEEDaSR_SS_EUlSR_E0_NS1_11comp_targetILNS1_3genE0ELNS1_11target_archE4294967295ELNS1_3gpuE0ELNS1_3repE0EEENS1_30default_config_static_selectorELNS0_4arch9wavefront6targetE1EEEvT1_.num_named_barrier, 0
	.set _ZN7rocprim17ROCPRIM_400000_NS6detail17trampoline_kernelINS0_14default_configENS1_20scan_config_selectorIfEEZZNS1_9scan_implILNS1_25lookback_scan_determinismE0ELb0ELb0ES3_PKfPffZZZN2at6native31launch_logcumsumexp_cuda_kernelERKNSB_10TensorBaseESF_lENKUlvE_clEvENKUlvE0_clEvEUlffE_fEEDaPvRmT3_T4_T5_mT6_P12ihipStream_tbENKUlT_T0_E_clISt17integral_constantIbLb0EESV_IbLb1EEEEDaSR_SS_EUlSR_E0_NS1_11comp_targetILNS1_3genE0ELNS1_11target_archE4294967295ELNS1_3gpuE0ELNS1_3repE0EEENS1_30default_config_static_selectorELNS0_4arch9wavefront6targetE1EEEvT1_.private_seg_size, 0
	.set _ZN7rocprim17ROCPRIM_400000_NS6detail17trampoline_kernelINS0_14default_configENS1_20scan_config_selectorIfEEZZNS1_9scan_implILNS1_25lookback_scan_determinismE0ELb0ELb0ES3_PKfPffZZZN2at6native31launch_logcumsumexp_cuda_kernelERKNSB_10TensorBaseESF_lENKUlvE_clEvENKUlvE0_clEvEUlffE_fEEDaPvRmT3_T4_T5_mT6_P12ihipStream_tbENKUlT_T0_E_clISt17integral_constantIbLb0EESV_IbLb1EEEEDaSR_SS_EUlSR_E0_NS1_11comp_targetILNS1_3genE0ELNS1_11target_archE4294967295ELNS1_3gpuE0ELNS1_3repE0EEENS1_30default_config_static_selectorELNS0_4arch9wavefront6targetE1EEEvT1_.uses_vcc, 1
	.set _ZN7rocprim17ROCPRIM_400000_NS6detail17trampoline_kernelINS0_14default_configENS1_20scan_config_selectorIfEEZZNS1_9scan_implILNS1_25lookback_scan_determinismE0ELb0ELb0ES3_PKfPffZZZN2at6native31launch_logcumsumexp_cuda_kernelERKNSB_10TensorBaseESF_lENKUlvE_clEvENKUlvE0_clEvEUlffE_fEEDaPvRmT3_T4_T5_mT6_P12ihipStream_tbENKUlT_T0_E_clISt17integral_constantIbLb0EESV_IbLb1EEEEDaSR_SS_EUlSR_E0_NS1_11comp_targetILNS1_3genE0ELNS1_11target_archE4294967295ELNS1_3gpuE0ELNS1_3repE0EEENS1_30default_config_static_selectorELNS0_4arch9wavefront6targetE1EEEvT1_.uses_flat_scratch, 0
	.set _ZN7rocprim17ROCPRIM_400000_NS6detail17trampoline_kernelINS0_14default_configENS1_20scan_config_selectorIfEEZZNS1_9scan_implILNS1_25lookback_scan_determinismE0ELb0ELb0ES3_PKfPffZZZN2at6native31launch_logcumsumexp_cuda_kernelERKNSB_10TensorBaseESF_lENKUlvE_clEvENKUlvE0_clEvEUlffE_fEEDaPvRmT3_T4_T5_mT6_P12ihipStream_tbENKUlT_T0_E_clISt17integral_constantIbLb0EESV_IbLb1EEEEDaSR_SS_EUlSR_E0_NS1_11comp_targetILNS1_3genE0ELNS1_11target_archE4294967295ELNS1_3gpuE0ELNS1_3repE0EEENS1_30default_config_static_selectorELNS0_4arch9wavefront6targetE1EEEvT1_.has_dyn_sized_stack, 0
	.set _ZN7rocprim17ROCPRIM_400000_NS6detail17trampoline_kernelINS0_14default_configENS1_20scan_config_selectorIfEEZZNS1_9scan_implILNS1_25lookback_scan_determinismE0ELb0ELb0ES3_PKfPffZZZN2at6native31launch_logcumsumexp_cuda_kernelERKNSB_10TensorBaseESF_lENKUlvE_clEvENKUlvE0_clEvEUlffE_fEEDaPvRmT3_T4_T5_mT6_P12ihipStream_tbENKUlT_T0_E_clISt17integral_constantIbLb0EESV_IbLb1EEEEDaSR_SS_EUlSR_E0_NS1_11comp_targetILNS1_3genE0ELNS1_11target_archE4294967295ELNS1_3gpuE0ELNS1_3repE0EEENS1_30default_config_static_selectorELNS0_4arch9wavefront6targetE1EEEvT1_.has_recursion, 0
	.set _ZN7rocprim17ROCPRIM_400000_NS6detail17trampoline_kernelINS0_14default_configENS1_20scan_config_selectorIfEEZZNS1_9scan_implILNS1_25lookback_scan_determinismE0ELb0ELb0ES3_PKfPffZZZN2at6native31launch_logcumsumexp_cuda_kernelERKNSB_10TensorBaseESF_lENKUlvE_clEvENKUlvE0_clEvEUlffE_fEEDaPvRmT3_T4_T5_mT6_P12ihipStream_tbENKUlT_T0_E_clISt17integral_constantIbLb0EESV_IbLb1EEEEDaSR_SS_EUlSR_E0_NS1_11comp_targetILNS1_3genE0ELNS1_11target_archE4294967295ELNS1_3gpuE0ELNS1_3repE0EEENS1_30default_config_static_selectorELNS0_4arch9wavefront6targetE1EEEvT1_.has_indirect_call, 0
	.section	.AMDGPU.csdata,"",@progbits
; Kernel info:
; codeLenInByte = 36956
; TotalNumSgprs: 75
; NumVgprs: 55
; NumAgprs: 0
; TotalNumVgprs: 55
; ScratchSize: 0
; MemoryBound: 0
; FloatMode: 240
; IeeeMode: 1
; LDSByteSize: 14336 bytes/workgroup (compile time only)
; SGPRBlocks: 9
; VGPRBlocks: 6
; NumSGPRsForWavesPerEU: 75
; NumVGPRsForWavesPerEU: 55
; AccumOffset: 56
; Occupancy: 8
; WaveLimiterHint : 0
; COMPUTE_PGM_RSRC2:SCRATCH_EN: 0
; COMPUTE_PGM_RSRC2:USER_SGPR: 2
; COMPUTE_PGM_RSRC2:TRAP_HANDLER: 0
; COMPUTE_PGM_RSRC2:TGID_X_EN: 1
; COMPUTE_PGM_RSRC2:TGID_Y_EN: 0
; COMPUTE_PGM_RSRC2:TGID_Z_EN: 0
; COMPUTE_PGM_RSRC2:TIDIG_COMP_CNT: 0
; COMPUTE_PGM_RSRC3_GFX90A:ACCUM_OFFSET: 13
; COMPUTE_PGM_RSRC3_GFX90A:TG_SPLIT: 0
	.section	.text._ZN7rocprim17ROCPRIM_400000_NS6detail17trampoline_kernelINS0_14default_configENS1_20scan_config_selectorIfEEZZNS1_9scan_implILNS1_25lookback_scan_determinismE0ELb0ELb0ES3_PKfPffZZZN2at6native31launch_logcumsumexp_cuda_kernelERKNSB_10TensorBaseESF_lENKUlvE_clEvENKUlvE0_clEvEUlffE_fEEDaPvRmT3_T4_T5_mT6_P12ihipStream_tbENKUlT_T0_E_clISt17integral_constantIbLb0EESV_IbLb1EEEEDaSR_SS_EUlSR_E0_NS1_11comp_targetILNS1_3genE5ELNS1_11target_archE942ELNS1_3gpuE9ELNS1_3repE0EEENS1_30default_config_static_selectorELNS0_4arch9wavefront6targetE1EEEvT1_,"axG",@progbits,_ZN7rocprim17ROCPRIM_400000_NS6detail17trampoline_kernelINS0_14default_configENS1_20scan_config_selectorIfEEZZNS1_9scan_implILNS1_25lookback_scan_determinismE0ELb0ELb0ES3_PKfPffZZZN2at6native31launch_logcumsumexp_cuda_kernelERKNSB_10TensorBaseESF_lENKUlvE_clEvENKUlvE0_clEvEUlffE_fEEDaPvRmT3_T4_T5_mT6_P12ihipStream_tbENKUlT_T0_E_clISt17integral_constantIbLb0EESV_IbLb1EEEEDaSR_SS_EUlSR_E0_NS1_11comp_targetILNS1_3genE5ELNS1_11target_archE942ELNS1_3gpuE9ELNS1_3repE0EEENS1_30default_config_static_selectorELNS0_4arch9wavefront6targetE1EEEvT1_,comdat
	.globl	_ZN7rocprim17ROCPRIM_400000_NS6detail17trampoline_kernelINS0_14default_configENS1_20scan_config_selectorIfEEZZNS1_9scan_implILNS1_25lookback_scan_determinismE0ELb0ELb0ES3_PKfPffZZZN2at6native31launch_logcumsumexp_cuda_kernelERKNSB_10TensorBaseESF_lENKUlvE_clEvENKUlvE0_clEvEUlffE_fEEDaPvRmT3_T4_T5_mT6_P12ihipStream_tbENKUlT_T0_E_clISt17integral_constantIbLb0EESV_IbLb1EEEEDaSR_SS_EUlSR_E0_NS1_11comp_targetILNS1_3genE5ELNS1_11target_archE942ELNS1_3gpuE9ELNS1_3repE0EEENS1_30default_config_static_selectorELNS0_4arch9wavefront6targetE1EEEvT1_ ; -- Begin function _ZN7rocprim17ROCPRIM_400000_NS6detail17trampoline_kernelINS0_14default_configENS1_20scan_config_selectorIfEEZZNS1_9scan_implILNS1_25lookback_scan_determinismE0ELb0ELb0ES3_PKfPffZZZN2at6native31launch_logcumsumexp_cuda_kernelERKNSB_10TensorBaseESF_lENKUlvE_clEvENKUlvE0_clEvEUlffE_fEEDaPvRmT3_T4_T5_mT6_P12ihipStream_tbENKUlT_T0_E_clISt17integral_constantIbLb0EESV_IbLb1EEEEDaSR_SS_EUlSR_E0_NS1_11comp_targetILNS1_3genE5ELNS1_11target_archE942ELNS1_3gpuE9ELNS1_3repE0EEENS1_30default_config_static_selectorELNS0_4arch9wavefront6targetE1EEEvT1_
	.p2align	8
	.type	_ZN7rocprim17ROCPRIM_400000_NS6detail17trampoline_kernelINS0_14default_configENS1_20scan_config_selectorIfEEZZNS1_9scan_implILNS1_25lookback_scan_determinismE0ELb0ELb0ES3_PKfPffZZZN2at6native31launch_logcumsumexp_cuda_kernelERKNSB_10TensorBaseESF_lENKUlvE_clEvENKUlvE0_clEvEUlffE_fEEDaPvRmT3_T4_T5_mT6_P12ihipStream_tbENKUlT_T0_E_clISt17integral_constantIbLb0EESV_IbLb1EEEEDaSR_SS_EUlSR_E0_NS1_11comp_targetILNS1_3genE5ELNS1_11target_archE942ELNS1_3gpuE9ELNS1_3repE0EEENS1_30default_config_static_selectorELNS0_4arch9wavefront6targetE1EEEvT1_,@function
_ZN7rocprim17ROCPRIM_400000_NS6detail17trampoline_kernelINS0_14default_configENS1_20scan_config_selectorIfEEZZNS1_9scan_implILNS1_25lookback_scan_determinismE0ELb0ELb0ES3_PKfPffZZZN2at6native31launch_logcumsumexp_cuda_kernelERKNSB_10TensorBaseESF_lENKUlvE_clEvENKUlvE0_clEvEUlffE_fEEDaPvRmT3_T4_T5_mT6_P12ihipStream_tbENKUlT_T0_E_clISt17integral_constantIbLb0EESV_IbLb1EEEEDaSR_SS_EUlSR_E0_NS1_11comp_targetILNS1_3genE5ELNS1_11target_archE942ELNS1_3gpuE9ELNS1_3repE0EEENS1_30default_config_static_selectorELNS0_4arch9wavefront6targetE1EEEvT1_: ; @_ZN7rocprim17ROCPRIM_400000_NS6detail17trampoline_kernelINS0_14default_configENS1_20scan_config_selectorIfEEZZNS1_9scan_implILNS1_25lookback_scan_determinismE0ELb0ELb0ES3_PKfPffZZZN2at6native31launch_logcumsumexp_cuda_kernelERKNSB_10TensorBaseESF_lENKUlvE_clEvENKUlvE0_clEvEUlffE_fEEDaPvRmT3_T4_T5_mT6_P12ihipStream_tbENKUlT_T0_E_clISt17integral_constantIbLb0EESV_IbLb1EEEEDaSR_SS_EUlSR_E0_NS1_11comp_targetILNS1_3genE5ELNS1_11target_archE942ELNS1_3gpuE9ELNS1_3repE0EEENS1_30default_config_static_selectorELNS0_4arch9wavefront6targetE1EEEvT1_
; %bb.0:
	.section	.rodata,"a",@progbits
	.p2align	6, 0x0
	.amdhsa_kernel _ZN7rocprim17ROCPRIM_400000_NS6detail17trampoline_kernelINS0_14default_configENS1_20scan_config_selectorIfEEZZNS1_9scan_implILNS1_25lookback_scan_determinismE0ELb0ELb0ES3_PKfPffZZZN2at6native31launch_logcumsumexp_cuda_kernelERKNSB_10TensorBaseESF_lENKUlvE_clEvENKUlvE0_clEvEUlffE_fEEDaPvRmT3_T4_T5_mT6_P12ihipStream_tbENKUlT_T0_E_clISt17integral_constantIbLb0EESV_IbLb1EEEEDaSR_SS_EUlSR_E0_NS1_11comp_targetILNS1_3genE5ELNS1_11target_archE942ELNS1_3gpuE9ELNS1_3repE0EEENS1_30default_config_static_selectorELNS0_4arch9wavefront6targetE1EEEvT1_
		.amdhsa_group_segment_fixed_size 0
		.amdhsa_private_segment_fixed_size 0
		.amdhsa_kernarg_size 32
		.amdhsa_user_sgpr_count 2
		.amdhsa_user_sgpr_dispatch_ptr 0
		.amdhsa_user_sgpr_queue_ptr 0
		.amdhsa_user_sgpr_kernarg_segment_ptr 1
		.amdhsa_user_sgpr_dispatch_id 0
		.amdhsa_user_sgpr_kernarg_preload_length 0
		.amdhsa_user_sgpr_kernarg_preload_offset 0
		.amdhsa_user_sgpr_private_segment_size 0
		.amdhsa_uses_dynamic_stack 0
		.amdhsa_enable_private_segment 0
		.amdhsa_system_sgpr_workgroup_id_x 1
		.amdhsa_system_sgpr_workgroup_id_y 0
		.amdhsa_system_sgpr_workgroup_id_z 0
		.amdhsa_system_sgpr_workgroup_info 0
		.amdhsa_system_vgpr_workitem_id 0
		.amdhsa_next_free_vgpr 1
		.amdhsa_next_free_sgpr 0
		.amdhsa_accum_offset 4
		.amdhsa_reserve_vcc 0
		.amdhsa_float_round_mode_32 0
		.amdhsa_float_round_mode_16_64 0
		.amdhsa_float_denorm_mode_32 3
		.amdhsa_float_denorm_mode_16_64 3
		.amdhsa_dx10_clamp 1
		.amdhsa_ieee_mode 1
		.amdhsa_fp16_overflow 0
		.amdhsa_tg_split 0
		.amdhsa_exception_fp_ieee_invalid_op 0
		.amdhsa_exception_fp_denorm_src 0
		.amdhsa_exception_fp_ieee_div_zero 0
		.amdhsa_exception_fp_ieee_overflow 0
		.amdhsa_exception_fp_ieee_underflow 0
		.amdhsa_exception_fp_ieee_inexact 0
		.amdhsa_exception_int_div_zero 0
	.end_amdhsa_kernel
	.section	.text._ZN7rocprim17ROCPRIM_400000_NS6detail17trampoline_kernelINS0_14default_configENS1_20scan_config_selectorIfEEZZNS1_9scan_implILNS1_25lookback_scan_determinismE0ELb0ELb0ES3_PKfPffZZZN2at6native31launch_logcumsumexp_cuda_kernelERKNSB_10TensorBaseESF_lENKUlvE_clEvENKUlvE0_clEvEUlffE_fEEDaPvRmT3_T4_T5_mT6_P12ihipStream_tbENKUlT_T0_E_clISt17integral_constantIbLb0EESV_IbLb1EEEEDaSR_SS_EUlSR_E0_NS1_11comp_targetILNS1_3genE5ELNS1_11target_archE942ELNS1_3gpuE9ELNS1_3repE0EEENS1_30default_config_static_selectorELNS0_4arch9wavefront6targetE1EEEvT1_,"axG",@progbits,_ZN7rocprim17ROCPRIM_400000_NS6detail17trampoline_kernelINS0_14default_configENS1_20scan_config_selectorIfEEZZNS1_9scan_implILNS1_25lookback_scan_determinismE0ELb0ELb0ES3_PKfPffZZZN2at6native31launch_logcumsumexp_cuda_kernelERKNSB_10TensorBaseESF_lENKUlvE_clEvENKUlvE0_clEvEUlffE_fEEDaPvRmT3_T4_T5_mT6_P12ihipStream_tbENKUlT_T0_E_clISt17integral_constantIbLb0EESV_IbLb1EEEEDaSR_SS_EUlSR_E0_NS1_11comp_targetILNS1_3genE5ELNS1_11target_archE942ELNS1_3gpuE9ELNS1_3repE0EEENS1_30default_config_static_selectorELNS0_4arch9wavefront6targetE1EEEvT1_,comdat
.Lfunc_end163:
	.size	_ZN7rocprim17ROCPRIM_400000_NS6detail17trampoline_kernelINS0_14default_configENS1_20scan_config_selectorIfEEZZNS1_9scan_implILNS1_25lookback_scan_determinismE0ELb0ELb0ES3_PKfPffZZZN2at6native31launch_logcumsumexp_cuda_kernelERKNSB_10TensorBaseESF_lENKUlvE_clEvENKUlvE0_clEvEUlffE_fEEDaPvRmT3_T4_T5_mT6_P12ihipStream_tbENKUlT_T0_E_clISt17integral_constantIbLb0EESV_IbLb1EEEEDaSR_SS_EUlSR_E0_NS1_11comp_targetILNS1_3genE5ELNS1_11target_archE942ELNS1_3gpuE9ELNS1_3repE0EEENS1_30default_config_static_selectorELNS0_4arch9wavefront6targetE1EEEvT1_, .Lfunc_end163-_ZN7rocprim17ROCPRIM_400000_NS6detail17trampoline_kernelINS0_14default_configENS1_20scan_config_selectorIfEEZZNS1_9scan_implILNS1_25lookback_scan_determinismE0ELb0ELb0ES3_PKfPffZZZN2at6native31launch_logcumsumexp_cuda_kernelERKNSB_10TensorBaseESF_lENKUlvE_clEvENKUlvE0_clEvEUlffE_fEEDaPvRmT3_T4_T5_mT6_P12ihipStream_tbENKUlT_T0_E_clISt17integral_constantIbLb0EESV_IbLb1EEEEDaSR_SS_EUlSR_E0_NS1_11comp_targetILNS1_3genE5ELNS1_11target_archE942ELNS1_3gpuE9ELNS1_3repE0EEENS1_30default_config_static_selectorELNS0_4arch9wavefront6targetE1EEEvT1_
                                        ; -- End function
	.set _ZN7rocprim17ROCPRIM_400000_NS6detail17trampoline_kernelINS0_14default_configENS1_20scan_config_selectorIfEEZZNS1_9scan_implILNS1_25lookback_scan_determinismE0ELb0ELb0ES3_PKfPffZZZN2at6native31launch_logcumsumexp_cuda_kernelERKNSB_10TensorBaseESF_lENKUlvE_clEvENKUlvE0_clEvEUlffE_fEEDaPvRmT3_T4_T5_mT6_P12ihipStream_tbENKUlT_T0_E_clISt17integral_constantIbLb0EESV_IbLb1EEEEDaSR_SS_EUlSR_E0_NS1_11comp_targetILNS1_3genE5ELNS1_11target_archE942ELNS1_3gpuE9ELNS1_3repE0EEENS1_30default_config_static_selectorELNS0_4arch9wavefront6targetE1EEEvT1_.num_vgpr, 0
	.set _ZN7rocprim17ROCPRIM_400000_NS6detail17trampoline_kernelINS0_14default_configENS1_20scan_config_selectorIfEEZZNS1_9scan_implILNS1_25lookback_scan_determinismE0ELb0ELb0ES3_PKfPffZZZN2at6native31launch_logcumsumexp_cuda_kernelERKNSB_10TensorBaseESF_lENKUlvE_clEvENKUlvE0_clEvEUlffE_fEEDaPvRmT3_T4_T5_mT6_P12ihipStream_tbENKUlT_T0_E_clISt17integral_constantIbLb0EESV_IbLb1EEEEDaSR_SS_EUlSR_E0_NS1_11comp_targetILNS1_3genE5ELNS1_11target_archE942ELNS1_3gpuE9ELNS1_3repE0EEENS1_30default_config_static_selectorELNS0_4arch9wavefront6targetE1EEEvT1_.num_agpr, 0
	.set _ZN7rocprim17ROCPRIM_400000_NS6detail17trampoline_kernelINS0_14default_configENS1_20scan_config_selectorIfEEZZNS1_9scan_implILNS1_25lookback_scan_determinismE0ELb0ELb0ES3_PKfPffZZZN2at6native31launch_logcumsumexp_cuda_kernelERKNSB_10TensorBaseESF_lENKUlvE_clEvENKUlvE0_clEvEUlffE_fEEDaPvRmT3_T4_T5_mT6_P12ihipStream_tbENKUlT_T0_E_clISt17integral_constantIbLb0EESV_IbLb1EEEEDaSR_SS_EUlSR_E0_NS1_11comp_targetILNS1_3genE5ELNS1_11target_archE942ELNS1_3gpuE9ELNS1_3repE0EEENS1_30default_config_static_selectorELNS0_4arch9wavefront6targetE1EEEvT1_.numbered_sgpr, 0
	.set _ZN7rocprim17ROCPRIM_400000_NS6detail17trampoline_kernelINS0_14default_configENS1_20scan_config_selectorIfEEZZNS1_9scan_implILNS1_25lookback_scan_determinismE0ELb0ELb0ES3_PKfPffZZZN2at6native31launch_logcumsumexp_cuda_kernelERKNSB_10TensorBaseESF_lENKUlvE_clEvENKUlvE0_clEvEUlffE_fEEDaPvRmT3_T4_T5_mT6_P12ihipStream_tbENKUlT_T0_E_clISt17integral_constantIbLb0EESV_IbLb1EEEEDaSR_SS_EUlSR_E0_NS1_11comp_targetILNS1_3genE5ELNS1_11target_archE942ELNS1_3gpuE9ELNS1_3repE0EEENS1_30default_config_static_selectorELNS0_4arch9wavefront6targetE1EEEvT1_.num_named_barrier, 0
	.set _ZN7rocprim17ROCPRIM_400000_NS6detail17trampoline_kernelINS0_14default_configENS1_20scan_config_selectorIfEEZZNS1_9scan_implILNS1_25lookback_scan_determinismE0ELb0ELb0ES3_PKfPffZZZN2at6native31launch_logcumsumexp_cuda_kernelERKNSB_10TensorBaseESF_lENKUlvE_clEvENKUlvE0_clEvEUlffE_fEEDaPvRmT3_T4_T5_mT6_P12ihipStream_tbENKUlT_T0_E_clISt17integral_constantIbLb0EESV_IbLb1EEEEDaSR_SS_EUlSR_E0_NS1_11comp_targetILNS1_3genE5ELNS1_11target_archE942ELNS1_3gpuE9ELNS1_3repE0EEENS1_30default_config_static_selectorELNS0_4arch9wavefront6targetE1EEEvT1_.private_seg_size, 0
	.set _ZN7rocprim17ROCPRIM_400000_NS6detail17trampoline_kernelINS0_14default_configENS1_20scan_config_selectorIfEEZZNS1_9scan_implILNS1_25lookback_scan_determinismE0ELb0ELb0ES3_PKfPffZZZN2at6native31launch_logcumsumexp_cuda_kernelERKNSB_10TensorBaseESF_lENKUlvE_clEvENKUlvE0_clEvEUlffE_fEEDaPvRmT3_T4_T5_mT6_P12ihipStream_tbENKUlT_T0_E_clISt17integral_constantIbLb0EESV_IbLb1EEEEDaSR_SS_EUlSR_E0_NS1_11comp_targetILNS1_3genE5ELNS1_11target_archE942ELNS1_3gpuE9ELNS1_3repE0EEENS1_30default_config_static_selectorELNS0_4arch9wavefront6targetE1EEEvT1_.uses_vcc, 0
	.set _ZN7rocprim17ROCPRIM_400000_NS6detail17trampoline_kernelINS0_14default_configENS1_20scan_config_selectorIfEEZZNS1_9scan_implILNS1_25lookback_scan_determinismE0ELb0ELb0ES3_PKfPffZZZN2at6native31launch_logcumsumexp_cuda_kernelERKNSB_10TensorBaseESF_lENKUlvE_clEvENKUlvE0_clEvEUlffE_fEEDaPvRmT3_T4_T5_mT6_P12ihipStream_tbENKUlT_T0_E_clISt17integral_constantIbLb0EESV_IbLb1EEEEDaSR_SS_EUlSR_E0_NS1_11comp_targetILNS1_3genE5ELNS1_11target_archE942ELNS1_3gpuE9ELNS1_3repE0EEENS1_30default_config_static_selectorELNS0_4arch9wavefront6targetE1EEEvT1_.uses_flat_scratch, 0
	.set _ZN7rocprim17ROCPRIM_400000_NS6detail17trampoline_kernelINS0_14default_configENS1_20scan_config_selectorIfEEZZNS1_9scan_implILNS1_25lookback_scan_determinismE0ELb0ELb0ES3_PKfPffZZZN2at6native31launch_logcumsumexp_cuda_kernelERKNSB_10TensorBaseESF_lENKUlvE_clEvENKUlvE0_clEvEUlffE_fEEDaPvRmT3_T4_T5_mT6_P12ihipStream_tbENKUlT_T0_E_clISt17integral_constantIbLb0EESV_IbLb1EEEEDaSR_SS_EUlSR_E0_NS1_11comp_targetILNS1_3genE5ELNS1_11target_archE942ELNS1_3gpuE9ELNS1_3repE0EEENS1_30default_config_static_selectorELNS0_4arch9wavefront6targetE1EEEvT1_.has_dyn_sized_stack, 0
	.set _ZN7rocprim17ROCPRIM_400000_NS6detail17trampoline_kernelINS0_14default_configENS1_20scan_config_selectorIfEEZZNS1_9scan_implILNS1_25lookback_scan_determinismE0ELb0ELb0ES3_PKfPffZZZN2at6native31launch_logcumsumexp_cuda_kernelERKNSB_10TensorBaseESF_lENKUlvE_clEvENKUlvE0_clEvEUlffE_fEEDaPvRmT3_T4_T5_mT6_P12ihipStream_tbENKUlT_T0_E_clISt17integral_constantIbLb0EESV_IbLb1EEEEDaSR_SS_EUlSR_E0_NS1_11comp_targetILNS1_3genE5ELNS1_11target_archE942ELNS1_3gpuE9ELNS1_3repE0EEENS1_30default_config_static_selectorELNS0_4arch9wavefront6targetE1EEEvT1_.has_recursion, 0
	.set _ZN7rocprim17ROCPRIM_400000_NS6detail17trampoline_kernelINS0_14default_configENS1_20scan_config_selectorIfEEZZNS1_9scan_implILNS1_25lookback_scan_determinismE0ELb0ELb0ES3_PKfPffZZZN2at6native31launch_logcumsumexp_cuda_kernelERKNSB_10TensorBaseESF_lENKUlvE_clEvENKUlvE0_clEvEUlffE_fEEDaPvRmT3_T4_T5_mT6_P12ihipStream_tbENKUlT_T0_E_clISt17integral_constantIbLb0EESV_IbLb1EEEEDaSR_SS_EUlSR_E0_NS1_11comp_targetILNS1_3genE5ELNS1_11target_archE942ELNS1_3gpuE9ELNS1_3repE0EEENS1_30default_config_static_selectorELNS0_4arch9wavefront6targetE1EEEvT1_.has_indirect_call, 0
	.section	.AMDGPU.csdata,"",@progbits
; Kernel info:
; codeLenInByte = 0
; TotalNumSgprs: 6
; NumVgprs: 0
; NumAgprs: 0
; TotalNumVgprs: 0
; ScratchSize: 0
; MemoryBound: 0
; FloatMode: 240
; IeeeMode: 1
; LDSByteSize: 0 bytes/workgroup (compile time only)
; SGPRBlocks: 0
; VGPRBlocks: 0
; NumSGPRsForWavesPerEU: 6
; NumVGPRsForWavesPerEU: 1
; AccumOffset: 4
; Occupancy: 8
; WaveLimiterHint : 0
; COMPUTE_PGM_RSRC2:SCRATCH_EN: 0
; COMPUTE_PGM_RSRC2:USER_SGPR: 2
; COMPUTE_PGM_RSRC2:TRAP_HANDLER: 0
; COMPUTE_PGM_RSRC2:TGID_X_EN: 1
; COMPUTE_PGM_RSRC2:TGID_Y_EN: 0
; COMPUTE_PGM_RSRC2:TGID_Z_EN: 0
; COMPUTE_PGM_RSRC2:TIDIG_COMP_CNT: 0
; COMPUTE_PGM_RSRC3_GFX90A:ACCUM_OFFSET: 0
; COMPUTE_PGM_RSRC3_GFX90A:TG_SPLIT: 0
	.section	.text._ZN7rocprim17ROCPRIM_400000_NS6detail17trampoline_kernelINS0_14default_configENS1_20scan_config_selectorIfEEZZNS1_9scan_implILNS1_25lookback_scan_determinismE0ELb0ELb0ES3_PKfPffZZZN2at6native31launch_logcumsumexp_cuda_kernelERKNSB_10TensorBaseESF_lENKUlvE_clEvENKUlvE0_clEvEUlffE_fEEDaPvRmT3_T4_T5_mT6_P12ihipStream_tbENKUlT_T0_E_clISt17integral_constantIbLb0EESV_IbLb1EEEEDaSR_SS_EUlSR_E0_NS1_11comp_targetILNS1_3genE4ELNS1_11target_archE910ELNS1_3gpuE8ELNS1_3repE0EEENS1_30default_config_static_selectorELNS0_4arch9wavefront6targetE1EEEvT1_,"axG",@progbits,_ZN7rocprim17ROCPRIM_400000_NS6detail17trampoline_kernelINS0_14default_configENS1_20scan_config_selectorIfEEZZNS1_9scan_implILNS1_25lookback_scan_determinismE0ELb0ELb0ES3_PKfPffZZZN2at6native31launch_logcumsumexp_cuda_kernelERKNSB_10TensorBaseESF_lENKUlvE_clEvENKUlvE0_clEvEUlffE_fEEDaPvRmT3_T4_T5_mT6_P12ihipStream_tbENKUlT_T0_E_clISt17integral_constantIbLb0EESV_IbLb1EEEEDaSR_SS_EUlSR_E0_NS1_11comp_targetILNS1_3genE4ELNS1_11target_archE910ELNS1_3gpuE8ELNS1_3repE0EEENS1_30default_config_static_selectorELNS0_4arch9wavefront6targetE1EEEvT1_,comdat
	.globl	_ZN7rocprim17ROCPRIM_400000_NS6detail17trampoline_kernelINS0_14default_configENS1_20scan_config_selectorIfEEZZNS1_9scan_implILNS1_25lookback_scan_determinismE0ELb0ELb0ES3_PKfPffZZZN2at6native31launch_logcumsumexp_cuda_kernelERKNSB_10TensorBaseESF_lENKUlvE_clEvENKUlvE0_clEvEUlffE_fEEDaPvRmT3_T4_T5_mT6_P12ihipStream_tbENKUlT_T0_E_clISt17integral_constantIbLb0EESV_IbLb1EEEEDaSR_SS_EUlSR_E0_NS1_11comp_targetILNS1_3genE4ELNS1_11target_archE910ELNS1_3gpuE8ELNS1_3repE0EEENS1_30default_config_static_selectorELNS0_4arch9wavefront6targetE1EEEvT1_ ; -- Begin function _ZN7rocprim17ROCPRIM_400000_NS6detail17trampoline_kernelINS0_14default_configENS1_20scan_config_selectorIfEEZZNS1_9scan_implILNS1_25lookback_scan_determinismE0ELb0ELb0ES3_PKfPffZZZN2at6native31launch_logcumsumexp_cuda_kernelERKNSB_10TensorBaseESF_lENKUlvE_clEvENKUlvE0_clEvEUlffE_fEEDaPvRmT3_T4_T5_mT6_P12ihipStream_tbENKUlT_T0_E_clISt17integral_constantIbLb0EESV_IbLb1EEEEDaSR_SS_EUlSR_E0_NS1_11comp_targetILNS1_3genE4ELNS1_11target_archE910ELNS1_3gpuE8ELNS1_3repE0EEENS1_30default_config_static_selectorELNS0_4arch9wavefront6targetE1EEEvT1_
	.p2align	8
	.type	_ZN7rocprim17ROCPRIM_400000_NS6detail17trampoline_kernelINS0_14default_configENS1_20scan_config_selectorIfEEZZNS1_9scan_implILNS1_25lookback_scan_determinismE0ELb0ELb0ES3_PKfPffZZZN2at6native31launch_logcumsumexp_cuda_kernelERKNSB_10TensorBaseESF_lENKUlvE_clEvENKUlvE0_clEvEUlffE_fEEDaPvRmT3_T4_T5_mT6_P12ihipStream_tbENKUlT_T0_E_clISt17integral_constantIbLb0EESV_IbLb1EEEEDaSR_SS_EUlSR_E0_NS1_11comp_targetILNS1_3genE4ELNS1_11target_archE910ELNS1_3gpuE8ELNS1_3repE0EEENS1_30default_config_static_selectorELNS0_4arch9wavefront6targetE1EEEvT1_,@function
_ZN7rocprim17ROCPRIM_400000_NS6detail17trampoline_kernelINS0_14default_configENS1_20scan_config_selectorIfEEZZNS1_9scan_implILNS1_25lookback_scan_determinismE0ELb0ELb0ES3_PKfPffZZZN2at6native31launch_logcumsumexp_cuda_kernelERKNSB_10TensorBaseESF_lENKUlvE_clEvENKUlvE0_clEvEUlffE_fEEDaPvRmT3_T4_T5_mT6_P12ihipStream_tbENKUlT_T0_E_clISt17integral_constantIbLb0EESV_IbLb1EEEEDaSR_SS_EUlSR_E0_NS1_11comp_targetILNS1_3genE4ELNS1_11target_archE910ELNS1_3gpuE8ELNS1_3repE0EEENS1_30default_config_static_selectorELNS0_4arch9wavefront6targetE1EEEvT1_: ; @_ZN7rocprim17ROCPRIM_400000_NS6detail17trampoline_kernelINS0_14default_configENS1_20scan_config_selectorIfEEZZNS1_9scan_implILNS1_25lookback_scan_determinismE0ELb0ELb0ES3_PKfPffZZZN2at6native31launch_logcumsumexp_cuda_kernelERKNSB_10TensorBaseESF_lENKUlvE_clEvENKUlvE0_clEvEUlffE_fEEDaPvRmT3_T4_T5_mT6_P12ihipStream_tbENKUlT_T0_E_clISt17integral_constantIbLb0EESV_IbLb1EEEEDaSR_SS_EUlSR_E0_NS1_11comp_targetILNS1_3genE4ELNS1_11target_archE910ELNS1_3gpuE8ELNS1_3repE0EEENS1_30default_config_static_selectorELNS0_4arch9wavefront6targetE1EEEvT1_
; %bb.0:
	.section	.rodata,"a",@progbits
	.p2align	6, 0x0
	.amdhsa_kernel _ZN7rocprim17ROCPRIM_400000_NS6detail17trampoline_kernelINS0_14default_configENS1_20scan_config_selectorIfEEZZNS1_9scan_implILNS1_25lookback_scan_determinismE0ELb0ELb0ES3_PKfPffZZZN2at6native31launch_logcumsumexp_cuda_kernelERKNSB_10TensorBaseESF_lENKUlvE_clEvENKUlvE0_clEvEUlffE_fEEDaPvRmT3_T4_T5_mT6_P12ihipStream_tbENKUlT_T0_E_clISt17integral_constantIbLb0EESV_IbLb1EEEEDaSR_SS_EUlSR_E0_NS1_11comp_targetILNS1_3genE4ELNS1_11target_archE910ELNS1_3gpuE8ELNS1_3repE0EEENS1_30default_config_static_selectorELNS0_4arch9wavefront6targetE1EEEvT1_
		.amdhsa_group_segment_fixed_size 0
		.amdhsa_private_segment_fixed_size 0
		.amdhsa_kernarg_size 32
		.amdhsa_user_sgpr_count 2
		.amdhsa_user_sgpr_dispatch_ptr 0
		.amdhsa_user_sgpr_queue_ptr 0
		.amdhsa_user_sgpr_kernarg_segment_ptr 1
		.amdhsa_user_sgpr_dispatch_id 0
		.amdhsa_user_sgpr_kernarg_preload_length 0
		.amdhsa_user_sgpr_kernarg_preload_offset 0
		.amdhsa_user_sgpr_private_segment_size 0
		.amdhsa_uses_dynamic_stack 0
		.amdhsa_enable_private_segment 0
		.amdhsa_system_sgpr_workgroup_id_x 1
		.amdhsa_system_sgpr_workgroup_id_y 0
		.amdhsa_system_sgpr_workgroup_id_z 0
		.amdhsa_system_sgpr_workgroup_info 0
		.amdhsa_system_vgpr_workitem_id 0
		.amdhsa_next_free_vgpr 1
		.amdhsa_next_free_sgpr 0
		.amdhsa_accum_offset 4
		.amdhsa_reserve_vcc 0
		.amdhsa_float_round_mode_32 0
		.amdhsa_float_round_mode_16_64 0
		.amdhsa_float_denorm_mode_32 3
		.amdhsa_float_denorm_mode_16_64 3
		.amdhsa_dx10_clamp 1
		.amdhsa_ieee_mode 1
		.amdhsa_fp16_overflow 0
		.amdhsa_tg_split 0
		.amdhsa_exception_fp_ieee_invalid_op 0
		.amdhsa_exception_fp_denorm_src 0
		.amdhsa_exception_fp_ieee_div_zero 0
		.amdhsa_exception_fp_ieee_overflow 0
		.amdhsa_exception_fp_ieee_underflow 0
		.amdhsa_exception_fp_ieee_inexact 0
		.amdhsa_exception_int_div_zero 0
	.end_amdhsa_kernel
	.section	.text._ZN7rocprim17ROCPRIM_400000_NS6detail17trampoline_kernelINS0_14default_configENS1_20scan_config_selectorIfEEZZNS1_9scan_implILNS1_25lookback_scan_determinismE0ELb0ELb0ES3_PKfPffZZZN2at6native31launch_logcumsumexp_cuda_kernelERKNSB_10TensorBaseESF_lENKUlvE_clEvENKUlvE0_clEvEUlffE_fEEDaPvRmT3_T4_T5_mT6_P12ihipStream_tbENKUlT_T0_E_clISt17integral_constantIbLb0EESV_IbLb1EEEEDaSR_SS_EUlSR_E0_NS1_11comp_targetILNS1_3genE4ELNS1_11target_archE910ELNS1_3gpuE8ELNS1_3repE0EEENS1_30default_config_static_selectorELNS0_4arch9wavefront6targetE1EEEvT1_,"axG",@progbits,_ZN7rocprim17ROCPRIM_400000_NS6detail17trampoline_kernelINS0_14default_configENS1_20scan_config_selectorIfEEZZNS1_9scan_implILNS1_25lookback_scan_determinismE0ELb0ELb0ES3_PKfPffZZZN2at6native31launch_logcumsumexp_cuda_kernelERKNSB_10TensorBaseESF_lENKUlvE_clEvENKUlvE0_clEvEUlffE_fEEDaPvRmT3_T4_T5_mT6_P12ihipStream_tbENKUlT_T0_E_clISt17integral_constantIbLb0EESV_IbLb1EEEEDaSR_SS_EUlSR_E0_NS1_11comp_targetILNS1_3genE4ELNS1_11target_archE910ELNS1_3gpuE8ELNS1_3repE0EEENS1_30default_config_static_selectorELNS0_4arch9wavefront6targetE1EEEvT1_,comdat
.Lfunc_end164:
	.size	_ZN7rocprim17ROCPRIM_400000_NS6detail17trampoline_kernelINS0_14default_configENS1_20scan_config_selectorIfEEZZNS1_9scan_implILNS1_25lookback_scan_determinismE0ELb0ELb0ES3_PKfPffZZZN2at6native31launch_logcumsumexp_cuda_kernelERKNSB_10TensorBaseESF_lENKUlvE_clEvENKUlvE0_clEvEUlffE_fEEDaPvRmT3_T4_T5_mT6_P12ihipStream_tbENKUlT_T0_E_clISt17integral_constantIbLb0EESV_IbLb1EEEEDaSR_SS_EUlSR_E0_NS1_11comp_targetILNS1_3genE4ELNS1_11target_archE910ELNS1_3gpuE8ELNS1_3repE0EEENS1_30default_config_static_selectorELNS0_4arch9wavefront6targetE1EEEvT1_, .Lfunc_end164-_ZN7rocprim17ROCPRIM_400000_NS6detail17trampoline_kernelINS0_14default_configENS1_20scan_config_selectorIfEEZZNS1_9scan_implILNS1_25lookback_scan_determinismE0ELb0ELb0ES3_PKfPffZZZN2at6native31launch_logcumsumexp_cuda_kernelERKNSB_10TensorBaseESF_lENKUlvE_clEvENKUlvE0_clEvEUlffE_fEEDaPvRmT3_T4_T5_mT6_P12ihipStream_tbENKUlT_T0_E_clISt17integral_constantIbLb0EESV_IbLb1EEEEDaSR_SS_EUlSR_E0_NS1_11comp_targetILNS1_3genE4ELNS1_11target_archE910ELNS1_3gpuE8ELNS1_3repE0EEENS1_30default_config_static_selectorELNS0_4arch9wavefront6targetE1EEEvT1_
                                        ; -- End function
	.set _ZN7rocprim17ROCPRIM_400000_NS6detail17trampoline_kernelINS0_14default_configENS1_20scan_config_selectorIfEEZZNS1_9scan_implILNS1_25lookback_scan_determinismE0ELb0ELb0ES3_PKfPffZZZN2at6native31launch_logcumsumexp_cuda_kernelERKNSB_10TensorBaseESF_lENKUlvE_clEvENKUlvE0_clEvEUlffE_fEEDaPvRmT3_T4_T5_mT6_P12ihipStream_tbENKUlT_T0_E_clISt17integral_constantIbLb0EESV_IbLb1EEEEDaSR_SS_EUlSR_E0_NS1_11comp_targetILNS1_3genE4ELNS1_11target_archE910ELNS1_3gpuE8ELNS1_3repE0EEENS1_30default_config_static_selectorELNS0_4arch9wavefront6targetE1EEEvT1_.num_vgpr, 0
	.set _ZN7rocprim17ROCPRIM_400000_NS6detail17trampoline_kernelINS0_14default_configENS1_20scan_config_selectorIfEEZZNS1_9scan_implILNS1_25lookback_scan_determinismE0ELb0ELb0ES3_PKfPffZZZN2at6native31launch_logcumsumexp_cuda_kernelERKNSB_10TensorBaseESF_lENKUlvE_clEvENKUlvE0_clEvEUlffE_fEEDaPvRmT3_T4_T5_mT6_P12ihipStream_tbENKUlT_T0_E_clISt17integral_constantIbLb0EESV_IbLb1EEEEDaSR_SS_EUlSR_E0_NS1_11comp_targetILNS1_3genE4ELNS1_11target_archE910ELNS1_3gpuE8ELNS1_3repE0EEENS1_30default_config_static_selectorELNS0_4arch9wavefront6targetE1EEEvT1_.num_agpr, 0
	.set _ZN7rocprim17ROCPRIM_400000_NS6detail17trampoline_kernelINS0_14default_configENS1_20scan_config_selectorIfEEZZNS1_9scan_implILNS1_25lookback_scan_determinismE0ELb0ELb0ES3_PKfPffZZZN2at6native31launch_logcumsumexp_cuda_kernelERKNSB_10TensorBaseESF_lENKUlvE_clEvENKUlvE0_clEvEUlffE_fEEDaPvRmT3_T4_T5_mT6_P12ihipStream_tbENKUlT_T0_E_clISt17integral_constantIbLb0EESV_IbLb1EEEEDaSR_SS_EUlSR_E0_NS1_11comp_targetILNS1_3genE4ELNS1_11target_archE910ELNS1_3gpuE8ELNS1_3repE0EEENS1_30default_config_static_selectorELNS0_4arch9wavefront6targetE1EEEvT1_.numbered_sgpr, 0
	.set _ZN7rocprim17ROCPRIM_400000_NS6detail17trampoline_kernelINS0_14default_configENS1_20scan_config_selectorIfEEZZNS1_9scan_implILNS1_25lookback_scan_determinismE0ELb0ELb0ES3_PKfPffZZZN2at6native31launch_logcumsumexp_cuda_kernelERKNSB_10TensorBaseESF_lENKUlvE_clEvENKUlvE0_clEvEUlffE_fEEDaPvRmT3_T4_T5_mT6_P12ihipStream_tbENKUlT_T0_E_clISt17integral_constantIbLb0EESV_IbLb1EEEEDaSR_SS_EUlSR_E0_NS1_11comp_targetILNS1_3genE4ELNS1_11target_archE910ELNS1_3gpuE8ELNS1_3repE0EEENS1_30default_config_static_selectorELNS0_4arch9wavefront6targetE1EEEvT1_.num_named_barrier, 0
	.set _ZN7rocprim17ROCPRIM_400000_NS6detail17trampoline_kernelINS0_14default_configENS1_20scan_config_selectorIfEEZZNS1_9scan_implILNS1_25lookback_scan_determinismE0ELb0ELb0ES3_PKfPffZZZN2at6native31launch_logcumsumexp_cuda_kernelERKNSB_10TensorBaseESF_lENKUlvE_clEvENKUlvE0_clEvEUlffE_fEEDaPvRmT3_T4_T5_mT6_P12ihipStream_tbENKUlT_T0_E_clISt17integral_constantIbLb0EESV_IbLb1EEEEDaSR_SS_EUlSR_E0_NS1_11comp_targetILNS1_3genE4ELNS1_11target_archE910ELNS1_3gpuE8ELNS1_3repE0EEENS1_30default_config_static_selectorELNS0_4arch9wavefront6targetE1EEEvT1_.private_seg_size, 0
	.set _ZN7rocprim17ROCPRIM_400000_NS6detail17trampoline_kernelINS0_14default_configENS1_20scan_config_selectorIfEEZZNS1_9scan_implILNS1_25lookback_scan_determinismE0ELb0ELb0ES3_PKfPffZZZN2at6native31launch_logcumsumexp_cuda_kernelERKNSB_10TensorBaseESF_lENKUlvE_clEvENKUlvE0_clEvEUlffE_fEEDaPvRmT3_T4_T5_mT6_P12ihipStream_tbENKUlT_T0_E_clISt17integral_constantIbLb0EESV_IbLb1EEEEDaSR_SS_EUlSR_E0_NS1_11comp_targetILNS1_3genE4ELNS1_11target_archE910ELNS1_3gpuE8ELNS1_3repE0EEENS1_30default_config_static_selectorELNS0_4arch9wavefront6targetE1EEEvT1_.uses_vcc, 0
	.set _ZN7rocprim17ROCPRIM_400000_NS6detail17trampoline_kernelINS0_14default_configENS1_20scan_config_selectorIfEEZZNS1_9scan_implILNS1_25lookback_scan_determinismE0ELb0ELb0ES3_PKfPffZZZN2at6native31launch_logcumsumexp_cuda_kernelERKNSB_10TensorBaseESF_lENKUlvE_clEvENKUlvE0_clEvEUlffE_fEEDaPvRmT3_T4_T5_mT6_P12ihipStream_tbENKUlT_T0_E_clISt17integral_constantIbLb0EESV_IbLb1EEEEDaSR_SS_EUlSR_E0_NS1_11comp_targetILNS1_3genE4ELNS1_11target_archE910ELNS1_3gpuE8ELNS1_3repE0EEENS1_30default_config_static_selectorELNS0_4arch9wavefront6targetE1EEEvT1_.uses_flat_scratch, 0
	.set _ZN7rocprim17ROCPRIM_400000_NS6detail17trampoline_kernelINS0_14default_configENS1_20scan_config_selectorIfEEZZNS1_9scan_implILNS1_25lookback_scan_determinismE0ELb0ELb0ES3_PKfPffZZZN2at6native31launch_logcumsumexp_cuda_kernelERKNSB_10TensorBaseESF_lENKUlvE_clEvENKUlvE0_clEvEUlffE_fEEDaPvRmT3_T4_T5_mT6_P12ihipStream_tbENKUlT_T0_E_clISt17integral_constantIbLb0EESV_IbLb1EEEEDaSR_SS_EUlSR_E0_NS1_11comp_targetILNS1_3genE4ELNS1_11target_archE910ELNS1_3gpuE8ELNS1_3repE0EEENS1_30default_config_static_selectorELNS0_4arch9wavefront6targetE1EEEvT1_.has_dyn_sized_stack, 0
	.set _ZN7rocprim17ROCPRIM_400000_NS6detail17trampoline_kernelINS0_14default_configENS1_20scan_config_selectorIfEEZZNS1_9scan_implILNS1_25lookback_scan_determinismE0ELb0ELb0ES3_PKfPffZZZN2at6native31launch_logcumsumexp_cuda_kernelERKNSB_10TensorBaseESF_lENKUlvE_clEvENKUlvE0_clEvEUlffE_fEEDaPvRmT3_T4_T5_mT6_P12ihipStream_tbENKUlT_T0_E_clISt17integral_constantIbLb0EESV_IbLb1EEEEDaSR_SS_EUlSR_E0_NS1_11comp_targetILNS1_3genE4ELNS1_11target_archE910ELNS1_3gpuE8ELNS1_3repE0EEENS1_30default_config_static_selectorELNS0_4arch9wavefront6targetE1EEEvT1_.has_recursion, 0
	.set _ZN7rocprim17ROCPRIM_400000_NS6detail17trampoline_kernelINS0_14default_configENS1_20scan_config_selectorIfEEZZNS1_9scan_implILNS1_25lookback_scan_determinismE0ELb0ELb0ES3_PKfPffZZZN2at6native31launch_logcumsumexp_cuda_kernelERKNSB_10TensorBaseESF_lENKUlvE_clEvENKUlvE0_clEvEUlffE_fEEDaPvRmT3_T4_T5_mT6_P12ihipStream_tbENKUlT_T0_E_clISt17integral_constantIbLb0EESV_IbLb1EEEEDaSR_SS_EUlSR_E0_NS1_11comp_targetILNS1_3genE4ELNS1_11target_archE910ELNS1_3gpuE8ELNS1_3repE0EEENS1_30default_config_static_selectorELNS0_4arch9wavefront6targetE1EEEvT1_.has_indirect_call, 0
	.section	.AMDGPU.csdata,"",@progbits
; Kernel info:
; codeLenInByte = 0
; TotalNumSgprs: 6
; NumVgprs: 0
; NumAgprs: 0
; TotalNumVgprs: 0
; ScratchSize: 0
; MemoryBound: 0
; FloatMode: 240
; IeeeMode: 1
; LDSByteSize: 0 bytes/workgroup (compile time only)
; SGPRBlocks: 0
; VGPRBlocks: 0
; NumSGPRsForWavesPerEU: 6
; NumVGPRsForWavesPerEU: 1
; AccumOffset: 4
; Occupancy: 8
; WaveLimiterHint : 0
; COMPUTE_PGM_RSRC2:SCRATCH_EN: 0
; COMPUTE_PGM_RSRC2:USER_SGPR: 2
; COMPUTE_PGM_RSRC2:TRAP_HANDLER: 0
; COMPUTE_PGM_RSRC2:TGID_X_EN: 1
; COMPUTE_PGM_RSRC2:TGID_Y_EN: 0
; COMPUTE_PGM_RSRC2:TGID_Z_EN: 0
; COMPUTE_PGM_RSRC2:TIDIG_COMP_CNT: 0
; COMPUTE_PGM_RSRC3_GFX90A:ACCUM_OFFSET: 0
; COMPUTE_PGM_RSRC3_GFX90A:TG_SPLIT: 0
	.section	.text._ZN7rocprim17ROCPRIM_400000_NS6detail17trampoline_kernelINS0_14default_configENS1_20scan_config_selectorIfEEZZNS1_9scan_implILNS1_25lookback_scan_determinismE0ELb0ELb0ES3_PKfPffZZZN2at6native31launch_logcumsumexp_cuda_kernelERKNSB_10TensorBaseESF_lENKUlvE_clEvENKUlvE0_clEvEUlffE_fEEDaPvRmT3_T4_T5_mT6_P12ihipStream_tbENKUlT_T0_E_clISt17integral_constantIbLb0EESV_IbLb1EEEEDaSR_SS_EUlSR_E0_NS1_11comp_targetILNS1_3genE3ELNS1_11target_archE908ELNS1_3gpuE7ELNS1_3repE0EEENS1_30default_config_static_selectorELNS0_4arch9wavefront6targetE1EEEvT1_,"axG",@progbits,_ZN7rocprim17ROCPRIM_400000_NS6detail17trampoline_kernelINS0_14default_configENS1_20scan_config_selectorIfEEZZNS1_9scan_implILNS1_25lookback_scan_determinismE0ELb0ELb0ES3_PKfPffZZZN2at6native31launch_logcumsumexp_cuda_kernelERKNSB_10TensorBaseESF_lENKUlvE_clEvENKUlvE0_clEvEUlffE_fEEDaPvRmT3_T4_T5_mT6_P12ihipStream_tbENKUlT_T0_E_clISt17integral_constantIbLb0EESV_IbLb1EEEEDaSR_SS_EUlSR_E0_NS1_11comp_targetILNS1_3genE3ELNS1_11target_archE908ELNS1_3gpuE7ELNS1_3repE0EEENS1_30default_config_static_selectorELNS0_4arch9wavefront6targetE1EEEvT1_,comdat
	.globl	_ZN7rocprim17ROCPRIM_400000_NS6detail17trampoline_kernelINS0_14default_configENS1_20scan_config_selectorIfEEZZNS1_9scan_implILNS1_25lookback_scan_determinismE0ELb0ELb0ES3_PKfPffZZZN2at6native31launch_logcumsumexp_cuda_kernelERKNSB_10TensorBaseESF_lENKUlvE_clEvENKUlvE0_clEvEUlffE_fEEDaPvRmT3_T4_T5_mT6_P12ihipStream_tbENKUlT_T0_E_clISt17integral_constantIbLb0EESV_IbLb1EEEEDaSR_SS_EUlSR_E0_NS1_11comp_targetILNS1_3genE3ELNS1_11target_archE908ELNS1_3gpuE7ELNS1_3repE0EEENS1_30default_config_static_selectorELNS0_4arch9wavefront6targetE1EEEvT1_ ; -- Begin function _ZN7rocprim17ROCPRIM_400000_NS6detail17trampoline_kernelINS0_14default_configENS1_20scan_config_selectorIfEEZZNS1_9scan_implILNS1_25lookback_scan_determinismE0ELb0ELb0ES3_PKfPffZZZN2at6native31launch_logcumsumexp_cuda_kernelERKNSB_10TensorBaseESF_lENKUlvE_clEvENKUlvE0_clEvEUlffE_fEEDaPvRmT3_T4_T5_mT6_P12ihipStream_tbENKUlT_T0_E_clISt17integral_constantIbLb0EESV_IbLb1EEEEDaSR_SS_EUlSR_E0_NS1_11comp_targetILNS1_3genE3ELNS1_11target_archE908ELNS1_3gpuE7ELNS1_3repE0EEENS1_30default_config_static_selectorELNS0_4arch9wavefront6targetE1EEEvT1_
	.p2align	8
	.type	_ZN7rocprim17ROCPRIM_400000_NS6detail17trampoline_kernelINS0_14default_configENS1_20scan_config_selectorIfEEZZNS1_9scan_implILNS1_25lookback_scan_determinismE0ELb0ELb0ES3_PKfPffZZZN2at6native31launch_logcumsumexp_cuda_kernelERKNSB_10TensorBaseESF_lENKUlvE_clEvENKUlvE0_clEvEUlffE_fEEDaPvRmT3_T4_T5_mT6_P12ihipStream_tbENKUlT_T0_E_clISt17integral_constantIbLb0EESV_IbLb1EEEEDaSR_SS_EUlSR_E0_NS1_11comp_targetILNS1_3genE3ELNS1_11target_archE908ELNS1_3gpuE7ELNS1_3repE0EEENS1_30default_config_static_selectorELNS0_4arch9wavefront6targetE1EEEvT1_,@function
_ZN7rocprim17ROCPRIM_400000_NS6detail17trampoline_kernelINS0_14default_configENS1_20scan_config_selectorIfEEZZNS1_9scan_implILNS1_25lookback_scan_determinismE0ELb0ELb0ES3_PKfPffZZZN2at6native31launch_logcumsumexp_cuda_kernelERKNSB_10TensorBaseESF_lENKUlvE_clEvENKUlvE0_clEvEUlffE_fEEDaPvRmT3_T4_T5_mT6_P12ihipStream_tbENKUlT_T0_E_clISt17integral_constantIbLb0EESV_IbLb1EEEEDaSR_SS_EUlSR_E0_NS1_11comp_targetILNS1_3genE3ELNS1_11target_archE908ELNS1_3gpuE7ELNS1_3repE0EEENS1_30default_config_static_selectorELNS0_4arch9wavefront6targetE1EEEvT1_: ; @_ZN7rocprim17ROCPRIM_400000_NS6detail17trampoline_kernelINS0_14default_configENS1_20scan_config_selectorIfEEZZNS1_9scan_implILNS1_25lookback_scan_determinismE0ELb0ELb0ES3_PKfPffZZZN2at6native31launch_logcumsumexp_cuda_kernelERKNSB_10TensorBaseESF_lENKUlvE_clEvENKUlvE0_clEvEUlffE_fEEDaPvRmT3_T4_T5_mT6_P12ihipStream_tbENKUlT_T0_E_clISt17integral_constantIbLb0EESV_IbLb1EEEEDaSR_SS_EUlSR_E0_NS1_11comp_targetILNS1_3genE3ELNS1_11target_archE908ELNS1_3gpuE7ELNS1_3repE0EEENS1_30default_config_static_selectorELNS0_4arch9wavefront6targetE1EEEvT1_
; %bb.0:
	.section	.rodata,"a",@progbits
	.p2align	6, 0x0
	.amdhsa_kernel _ZN7rocprim17ROCPRIM_400000_NS6detail17trampoline_kernelINS0_14default_configENS1_20scan_config_selectorIfEEZZNS1_9scan_implILNS1_25lookback_scan_determinismE0ELb0ELb0ES3_PKfPffZZZN2at6native31launch_logcumsumexp_cuda_kernelERKNSB_10TensorBaseESF_lENKUlvE_clEvENKUlvE0_clEvEUlffE_fEEDaPvRmT3_T4_T5_mT6_P12ihipStream_tbENKUlT_T0_E_clISt17integral_constantIbLb0EESV_IbLb1EEEEDaSR_SS_EUlSR_E0_NS1_11comp_targetILNS1_3genE3ELNS1_11target_archE908ELNS1_3gpuE7ELNS1_3repE0EEENS1_30default_config_static_selectorELNS0_4arch9wavefront6targetE1EEEvT1_
		.amdhsa_group_segment_fixed_size 0
		.amdhsa_private_segment_fixed_size 0
		.amdhsa_kernarg_size 32
		.amdhsa_user_sgpr_count 2
		.amdhsa_user_sgpr_dispatch_ptr 0
		.amdhsa_user_sgpr_queue_ptr 0
		.amdhsa_user_sgpr_kernarg_segment_ptr 1
		.amdhsa_user_sgpr_dispatch_id 0
		.amdhsa_user_sgpr_kernarg_preload_length 0
		.amdhsa_user_sgpr_kernarg_preload_offset 0
		.amdhsa_user_sgpr_private_segment_size 0
		.amdhsa_uses_dynamic_stack 0
		.amdhsa_enable_private_segment 0
		.amdhsa_system_sgpr_workgroup_id_x 1
		.amdhsa_system_sgpr_workgroup_id_y 0
		.amdhsa_system_sgpr_workgroup_id_z 0
		.amdhsa_system_sgpr_workgroup_info 0
		.amdhsa_system_vgpr_workitem_id 0
		.amdhsa_next_free_vgpr 1
		.amdhsa_next_free_sgpr 0
		.amdhsa_accum_offset 4
		.amdhsa_reserve_vcc 0
		.amdhsa_float_round_mode_32 0
		.amdhsa_float_round_mode_16_64 0
		.amdhsa_float_denorm_mode_32 3
		.amdhsa_float_denorm_mode_16_64 3
		.amdhsa_dx10_clamp 1
		.amdhsa_ieee_mode 1
		.amdhsa_fp16_overflow 0
		.amdhsa_tg_split 0
		.amdhsa_exception_fp_ieee_invalid_op 0
		.amdhsa_exception_fp_denorm_src 0
		.amdhsa_exception_fp_ieee_div_zero 0
		.amdhsa_exception_fp_ieee_overflow 0
		.amdhsa_exception_fp_ieee_underflow 0
		.amdhsa_exception_fp_ieee_inexact 0
		.amdhsa_exception_int_div_zero 0
	.end_amdhsa_kernel
	.section	.text._ZN7rocprim17ROCPRIM_400000_NS6detail17trampoline_kernelINS0_14default_configENS1_20scan_config_selectorIfEEZZNS1_9scan_implILNS1_25lookback_scan_determinismE0ELb0ELb0ES3_PKfPffZZZN2at6native31launch_logcumsumexp_cuda_kernelERKNSB_10TensorBaseESF_lENKUlvE_clEvENKUlvE0_clEvEUlffE_fEEDaPvRmT3_T4_T5_mT6_P12ihipStream_tbENKUlT_T0_E_clISt17integral_constantIbLb0EESV_IbLb1EEEEDaSR_SS_EUlSR_E0_NS1_11comp_targetILNS1_3genE3ELNS1_11target_archE908ELNS1_3gpuE7ELNS1_3repE0EEENS1_30default_config_static_selectorELNS0_4arch9wavefront6targetE1EEEvT1_,"axG",@progbits,_ZN7rocprim17ROCPRIM_400000_NS6detail17trampoline_kernelINS0_14default_configENS1_20scan_config_selectorIfEEZZNS1_9scan_implILNS1_25lookback_scan_determinismE0ELb0ELb0ES3_PKfPffZZZN2at6native31launch_logcumsumexp_cuda_kernelERKNSB_10TensorBaseESF_lENKUlvE_clEvENKUlvE0_clEvEUlffE_fEEDaPvRmT3_T4_T5_mT6_P12ihipStream_tbENKUlT_T0_E_clISt17integral_constantIbLb0EESV_IbLb1EEEEDaSR_SS_EUlSR_E0_NS1_11comp_targetILNS1_3genE3ELNS1_11target_archE908ELNS1_3gpuE7ELNS1_3repE0EEENS1_30default_config_static_selectorELNS0_4arch9wavefront6targetE1EEEvT1_,comdat
.Lfunc_end165:
	.size	_ZN7rocprim17ROCPRIM_400000_NS6detail17trampoline_kernelINS0_14default_configENS1_20scan_config_selectorIfEEZZNS1_9scan_implILNS1_25lookback_scan_determinismE0ELb0ELb0ES3_PKfPffZZZN2at6native31launch_logcumsumexp_cuda_kernelERKNSB_10TensorBaseESF_lENKUlvE_clEvENKUlvE0_clEvEUlffE_fEEDaPvRmT3_T4_T5_mT6_P12ihipStream_tbENKUlT_T0_E_clISt17integral_constantIbLb0EESV_IbLb1EEEEDaSR_SS_EUlSR_E0_NS1_11comp_targetILNS1_3genE3ELNS1_11target_archE908ELNS1_3gpuE7ELNS1_3repE0EEENS1_30default_config_static_selectorELNS0_4arch9wavefront6targetE1EEEvT1_, .Lfunc_end165-_ZN7rocprim17ROCPRIM_400000_NS6detail17trampoline_kernelINS0_14default_configENS1_20scan_config_selectorIfEEZZNS1_9scan_implILNS1_25lookback_scan_determinismE0ELb0ELb0ES3_PKfPffZZZN2at6native31launch_logcumsumexp_cuda_kernelERKNSB_10TensorBaseESF_lENKUlvE_clEvENKUlvE0_clEvEUlffE_fEEDaPvRmT3_T4_T5_mT6_P12ihipStream_tbENKUlT_T0_E_clISt17integral_constantIbLb0EESV_IbLb1EEEEDaSR_SS_EUlSR_E0_NS1_11comp_targetILNS1_3genE3ELNS1_11target_archE908ELNS1_3gpuE7ELNS1_3repE0EEENS1_30default_config_static_selectorELNS0_4arch9wavefront6targetE1EEEvT1_
                                        ; -- End function
	.set _ZN7rocprim17ROCPRIM_400000_NS6detail17trampoline_kernelINS0_14default_configENS1_20scan_config_selectorIfEEZZNS1_9scan_implILNS1_25lookback_scan_determinismE0ELb0ELb0ES3_PKfPffZZZN2at6native31launch_logcumsumexp_cuda_kernelERKNSB_10TensorBaseESF_lENKUlvE_clEvENKUlvE0_clEvEUlffE_fEEDaPvRmT3_T4_T5_mT6_P12ihipStream_tbENKUlT_T0_E_clISt17integral_constantIbLb0EESV_IbLb1EEEEDaSR_SS_EUlSR_E0_NS1_11comp_targetILNS1_3genE3ELNS1_11target_archE908ELNS1_3gpuE7ELNS1_3repE0EEENS1_30default_config_static_selectorELNS0_4arch9wavefront6targetE1EEEvT1_.num_vgpr, 0
	.set _ZN7rocprim17ROCPRIM_400000_NS6detail17trampoline_kernelINS0_14default_configENS1_20scan_config_selectorIfEEZZNS1_9scan_implILNS1_25lookback_scan_determinismE0ELb0ELb0ES3_PKfPffZZZN2at6native31launch_logcumsumexp_cuda_kernelERKNSB_10TensorBaseESF_lENKUlvE_clEvENKUlvE0_clEvEUlffE_fEEDaPvRmT3_T4_T5_mT6_P12ihipStream_tbENKUlT_T0_E_clISt17integral_constantIbLb0EESV_IbLb1EEEEDaSR_SS_EUlSR_E0_NS1_11comp_targetILNS1_3genE3ELNS1_11target_archE908ELNS1_3gpuE7ELNS1_3repE0EEENS1_30default_config_static_selectorELNS0_4arch9wavefront6targetE1EEEvT1_.num_agpr, 0
	.set _ZN7rocprim17ROCPRIM_400000_NS6detail17trampoline_kernelINS0_14default_configENS1_20scan_config_selectorIfEEZZNS1_9scan_implILNS1_25lookback_scan_determinismE0ELb0ELb0ES3_PKfPffZZZN2at6native31launch_logcumsumexp_cuda_kernelERKNSB_10TensorBaseESF_lENKUlvE_clEvENKUlvE0_clEvEUlffE_fEEDaPvRmT3_T4_T5_mT6_P12ihipStream_tbENKUlT_T0_E_clISt17integral_constantIbLb0EESV_IbLb1EEEEDaSR_SS_EUlSR_E0_NS1_11comp_targetILNS1_3genE3ELNS1_11target_archE908ELNS1_3gpuE7ELNS1_3repE0EEENS1_30default_config_static_selectorELNS0_4arch9wavefront6targetE1EEEvT1_.numbered_sgpr, 0
	.set _ZN7rocprim17ROCPRIM_400000_NS6detail17trampoline_kernelINS0_14default_configENS1_20scan_config_selectorIfEEZZNS1_9scan_implILNS1_25lookback_scan_determinismE0ELb0ELb0ES3_PKfPffZZZN2at6native31launch_logcumsumexp_cuda_kernelERKNSB_10TensorBaseESF_lENKUlvE_clEvENKUlvE0_clEvEUlffE_fEEDaPvRmT3_T4_T5_mT6_P12ihipStream_tbENKUlT_T0_E_clISt17integral_constantIbLb0EESV_IbLb1EEEEDaSR_SS_EUlSR_E0_NS1_11comp_targetILNS1_3genE3ELNS1_11target_archE908ELNS1_3gpuE7ELNS1_3repE0EEENS1_30default_config_static_selectorELNS0_4arch9wavefront6targetE1EEEvT1_.num_named_barrier, 0
	.set _ZN7rocprim17ROCPRIM_400000_NS6detail17trampoline_kernelINS0_14default_configENS1_20scan_config_selectorIfEEZZNS1_9scan_implILNS1_25lookback_scan_determinismE0ELb0ELb0ES3_PKfPffZZZN2at6native31launch_logcumsumexp_cuda_kernelERKNSB_10TensorBaseESF_lENKUlvE_clEvENKUlvE0_clEvEUlffE_fEEDaPvRmT3_T4_T5_mT6_P12ihipStream_tbENKUlT_T0_E_clISt17integral_constantIbLb0EESV_IbLb1EEEEDaSR_SS_EUlSR_E0_NS1_11comp_targetILNS1_3genE3ELNS1_11target_archE908ELNS1_3gpuE7ELNS1_3repE0EEENS1_30default_config_static_selectorELNS0_4arch9wavefront6targetE1EEEvT1_.private_seg_size, 0
	.set _ZN7rocprim17ROCPRIM_400000_NS6detail17trampoline_kernelINS0_14default_configENS1_20scan_config_selectorIfEEZZNS1_9scan_implILNS1_25lookback_scan_determinismE0ELb0ELb0ES3_PKfPffZZZN2at6native31launch_logcumsumexp_cuda_kernelERKNSB_10TensorBaseESF_lENKUlvE_clEvENKUlvE0_clEvEUlffE_fEEDaPvRmT3_T4_T5_mT6_P12ihipStream_tbENKUlT_T0_E_clISt17integral_constantIbLb0EESV_IbLb1EEEEDaSR_SS_EUlSR_E0_NS1_11comp_targetILNS1_3genE3ELNS1_11target_archE908ELNS1_3gpuE7ELNS1_3repE0EEENS1_30default_config_static_selectorELNS0_4arch9wavefront6targetE1EEEvT1_.uses_vcc, 0
	.set _ZN7rocprim17ROCPRIM_400000_NS6detail17trampoline_kernelINS0_14default_configENS1_20scan_config_selectorIfEEZZNS1_9scan_implILNS1_25lookback_scan_determinismE0ELb0ELb0ES3_PKfPffZZZN2at6native31launch_logcumsumexp_cuda_kernelERKNSB_10TensorBaseESF_lENKUlvE_clEvENKUlvE0_clEvEUlffE_fEEDaPvRmT3_T4_T5_mT6_P12ihipStream_tbENKUlT_T0_E_clISt17integral_constantIbLb0EESV_IbLb1EEEEDaSR_SS_EUlSR_E0_NS1_11comp_targetILNS1_3genE3ELNS1_11target_archE908ELNS1_3gpuE7ELNS1_3repE0EEENS1_30default_config_static_selectorELNS0_4arch9wavefront6targetE1EEEvT1_.uses_flat_scratch, 0
	.set _ZN7rocprim17ROCPRIM_400000_NS6detail17trampoline_kernelINS0_14default_configENS1_20scan_config_selectorIfEEZZNS1_9scan_implILNS1_25lookback_scan_determinismE0ELb0ELb0ES3_PKfPffZZZN2at6native31launch_logcumsumexp_cuda_kernelERKNSB_10TensorBaseESF_lENKUlvE_clEvENKUlvE0_clEvEUlffE_fEEDaPvRmT3_T4_T5_mT6_P12ihipStream_tbENKUlT_T0_E_clISt17integral_constantIbLb0EESV_IbLb1EEEEDaSR_SS_EUlSR_E0_NS1_11comp_targetILNS1_3genE3ELNS1_11target_archE908ELNS1_3gpuE7ELNS1_3repE0EEENS1_30default_config_static_selectorELNS0_4arch9wavefront6targetE1EEEvT1_.has_dyn_sized_stack, 0
	.set _ZN7rocprim17ROCPRIM_400000_NS6detail17trampoline_kernelINS0_14default_configENS1_20scan_config_selectorIfEEZZNS1_9scan_implILNS1_25lookback_scan_determinismE0ELb0ELb0ES3_PKfPffZZZN2at6native31launch_logcumsumexp_cuda_kernelERKNSB_10TensorBaseESF_lENKUlvE_clEvENKUlvE0_clEvEUlffE_fEEDaPvRmT3_T4_T5_mT6_P12ihipStream_tbENKUlT_T0_E_clISt17integral_constantIbLb0EESV_IbLb1EEEEDaSR_SS_EUlSR_E0_NS1_11comp_targetILNS1_3genE3ELNS1_11target_archE908ELNS1_3gpuE7ELNS1_3repE0EEENS1_30default_config_static_selectorELNS0_4arch9wavefront6targetE1EEEvT1_.has_recursion, 0
	.set _ZN7rocprim17ROCPRIM_400000_NS6detail17trampoline_kernelINS0_14default_configENS1_20scan_config_selectorIfEEZZNS1_9scan_implILNS1_25lookback_scan_determinismE0ELb0ELb0ES3_PKfPffZZZN2at6native31launch_logcumsumexp_cuda_kernelERKNSB_10TensorBaseESF_lENKUlvE_clEvENKUlvE0_clEvEUlffE_fEEDaPvRmT3_T4_T5_mT6_P12ihipStream_tbENKUlT_T0_E_clISt17integral_constantIbLb0EESV_IbLb1EEEEDaSR_SS_EUlSR_E0_NS1_11comp_targetILNS1_3genE3ELNS1_11target_archE908ELNS1_3gpuE7ELNS1_3repE0EEENS1_30default_config_static_selectorELNS0_4arch9wavefront6targetE1EEEvT1_.has_indirect_call, 0
	.section	.AMDGPU.csdata,"",@progbits
; Kernel info:
; codeLenInByte = 0
; TotalNumSgprs: 6
; NumVgprs: 0
; NumAgprs: 0
; TotalNumVgprs: 0
; ScratchSize: 0
; MemoryBound: 0
; FloatMode: 240
; IeeeMode: 1
; LDSByteSize: 0 bytes/workgroup (compile time only)
; SGPRBlocks: 0
; VGPRBlocks: 0
; NumSGPRsForWavesPerEU: 6
; NumVGPRsForWavesPerEU: 1
; AccumOffset: 4
; Occupancy: 8
; WaveLimiterHint : 0
; COMPUTE_PGM_RSRC2:SCRATCH_EN: 0
; COMPUTE_PGM_RSRC2:USER_SGPR: 2
; COMPUTE_PGM_RSRC2:TRAP_HANDLER: 0
; COMPUTE_PGM_RSRC2:TGID_X_EN: 1
; COMPUTE_PGM_RSRC2:TGID_Y_EN: 0
; COMPUTE_PGM_RSRC2:TGID_Z_EN: 0
; COMPUTE_PGM_RSRC2:TIDIG_COMP_CNT: 0
; COMPUTE_PGM_RSRC3_GFX90A:ACCUM_OFFSET: 0
; COMPUTE_PGM_RSRC3_GFX90A:TG_SPLIT: 0
	.section	.text._ZN7rocprim17ROCPRIM_400000_NS6detail17trampoline_kernelINS0_14default_configENS1_20scan_config_selectorIfEEZZNS1_9scan_implILNS1_25lookback_scan_determinismE0ELb0ELb0ES3_PKfPffZZZN2at6native31launch_logcumsumexp_cuda_kernelERKNSB_10TensorBaseESF_lENKUlvE_clEvENKUlvE0_clEvEUlffE_fEEDaPvRmT3_T4_T5_mT6_P12ihipStream_tbENKUlT_T0_E_clISt17integral_constantIbLb0EESV_IbLb1EEEEDaSR_SS_EUlSR_E0_NS1_11comp_targetILNS1_3genE2ELNS1_11target_archE906ELNS1_3gpuE6ELNS1_3repE0EEENS1_30default_config_static_selectorELNS0_4arch9wavefront6targetE1EEEvT1_,"axG",@progbits,_ZN7rocprim17ROCPRIM_400000_NS6detail17trampoline_kernelINS0_14default_configENS1_20scan_config_selectorIfEEZZNS1_9scan_implILNS1_25lookback_scan_determinismE0ELb0ELb0ES3_PKfPffZZZN2at6native31launch_logcumsumexp_cuda_kernelERKNSB_10TensorBaseESF_lENKUlvE_clEvENKUlvE0_clEvEUlffE_fEEDaPvRmT3_T4_T5_mT6_P12ihipStream_tbENKUlT_T0_E_clISt17integral_constantIbLb0EESV_IbLb1EEEEDaSR_SS_EUlSR_E0_NS1_11comp_targetILNS1_3genE2ELNS1_11target_archE906ELNS1_3gpuE6ELNS1_3repE0EEENS1_30default_config_static_selectorELNS0_4arch9wavefront6targetE1EEEvT1_,comdat
	.globl	_ZN7rocprim17ROCPRIM_400000_NS6detail17trampoline_kernelINS0_14default_configENS1_20scan_config_selectorIfEEZZNS1_9scan_implILNS1_25lookback_scan_determinismE0ELb0ELb0ES3_PKfPffZZZN2at6native31launch_logcumsumexp_cuda_kernelERKNSB_10TensorBaseESF_lENKUlvE_clEvENKUlvE0_clEvEUlffE_fEEDaPvRmT3_T4_T5_mT6_P12ihipStream_tbENKUlT_T0_E_clISt17integral_constantIbLb0EESV_IbLb1EEEEDaSR_SS_EUlSR_E0_NS1_11comp_targetILNS1_3genE2ELNS1_11target_archE906ELNS1_3gpuE6ELNS1_3repE0EEENS1_30default_config_static_selectorELNS0_4arch9wavefront6targetE1EEEvT1_ ; -- Begin function _ZN7rocprim17ROCPRIM_400000_NS6detail17trampoline_kernelINS0_14default_configENS1_20scan_config_selectorIfEEZZNS1_9scan_implILNS1_25lookback_scan_determinismE0ELb0ELb0ES3_PKfPffZZZN2at6native31launch_logcumsumexp_cuda_kernelERKNSB_10TensorBaseESF_lENKUlvE_clEvENKUlvE0_clEvEUlffE_fEEDaPvRmT3_T4_T5_mT6_P12ihipStream_tbENKUlT_T0_E_clISt17integral_constantIbLb0EESV_IbLb1EEEEDaSR_SS_EUlSR_E0_NS1_11comp_targetILNS1_3genE2ELNS1_11target_archE906ELNS1_3gpuE6ELNS1_3repE0EEENS1_30default_config_static_selectorELNS0_4arch9wavefront6targetE1EEEvT1_
	.p2align	8
	.type	_ZN7rocprim17ROCPRIM_400000_NS6detail17trampoline_kernelINS0_14default_configENS1_20scan_config_selectorIfEEZZNS1_9scan_implILNS1_25lookback_scan_determinismE0ELb0ELb0ES3_PKfPffZZZN2at6native31launch_logcumsumexp_cuda_kernelERKNSB_10TensorBaseESF_lENKUlvE_clEvENKUlvE0_clEvEUlffE_fEEDaPvRmT3_T4_T5_mT6_P12ihipStream_tbENKUlT_T0_E_clISt17integral_constantIbLb0EESV_IbLb1EEEEDaSR_SS_EUlSR_E0_NS1_11comp_targetILNS1_3genE2ELNS1_11target_archE906ELNS1_3gpuE6ELNS1_3repE0EEENS1_30default_config_static_selectorELNS0_4arch9wavefront6targetE1EEEvT1_,@function
_ZN7rocprim17ROCPRIM_400000_NS6detail17trampoline_kernelINS0_14default_configENS1_20scan_config_selectorIfEEZZNS1_9scan_implILNS1_25lookback_scan_determinismE0ELb0ELb0ES3_PKfPffZZZN2at6native31launch_logcumsumexp_cuda_kernelERKNSB_10TensorBaseESF_lENKUlvE_clEvENKUlvE0_clEvEUlffE_fEEDaPvRmT3_T4_T5_mT6_P12ihipStream_tbENKUlT_T0_E_clISt17integral_constantIbLb0EESV_IbLb1EEEEDaSR_SS_EUlSR_E0_NS1_11comp_targetILNS1_3genE2ELNS1_11target_archE906ELNS1_3gpuE6ELNS1_3repE0EEENS1_30default_config_static_selectorELNS0_4arch9wavefront6targetE1EEEvT1_: ; @_ZN7rocprim17ROCPRIM_400000_NS6detail17trampoline_kernelINS0_14default_configENS1_20scan_config_selectorIfEEZZNS1_9scan_implILNS1_25lookback_scan_determinismE0ELb0ELb0ES3_PKfPffZZZN2at6native31launch_logcumsumexp_cuda_kernelERKNSB_10TensorBaseESF_lENKUlvE_clEvENKUlvE0_clEvEUlffE_fEEDaPvRmT3_T4_T5_mT6_P12ihipStream_tbENKUlT_T0_E_clISt17integral_constantIbLb0EESV_IbLb1EEEEDaSR_SS_EUlSR_E0_NS1_11comp_targetILNS1_3genE2ELNS1_11target_archE906ELNS1_3gpuE6ELNS1_3repE0EEENS1_30default_config_static_selectorELNS0_4arch9wavefront6targetE1EEEvT1_
; %bb.0:
	.section	.rodata,"a",@progbits
	.p2align	6, 0x0
	.amdhsa_kernel _ZN7rocprim17ROCPRIM_400000_NS6detail17trampoline_kernelINS0_14default_configENS1_20scan_config_selectorIfEEZZNS1_9scan_implILNS1_25lookback_scan_determinismE0ELb0ELb0ES3_PKfPffZZZN2at6native31launch_logcumsumexp_cuda_kernelERKNSB_10TensorBaseESF_lENKUlvE_clEvENKUlvE0_clEvEUlffE_fEEDaPvRmT3_T4_T5_mT6_P12ihipStream_tbENKUlT_T0_E_clISt17integral_constantIbLb0EESV_IbLb1EEEEDaSR_SS_EUlSR_E0_NS1_11comp_targetILNS1_3genE2ELNS1_11target_archE906ELNS1_3gpuE6ELNS1_3repE0EEENS1_30default_config_static_selectorELNS0_4arch9wavefront6targetE1EEEvT1_
		.amdhsa_group_segment_fixed_size 0
		.amdhsa_private_segment_fixed_size 0
		.amdhsa_kernarg_size 32
		.amdhsa_user_sgpr_count 2
		.amdhsa_user_sgpr_dispatch_ptr 0
		.amdhsa_user_sgpr_queue_ptr 0
		.amdhsa_user_sgpr_kernarg_segment_ptr 1
		.amdhsa_user_sgpr_dispatch_id 0
		.amdhsa_user_sgpr_kernarg_preload_length 0
		.amdhsa_user_sgpr_kernarg_preload_offset 0
		.amdhsa_user_sgpr_private_segment_size 0
		.amdhsa_uses_dynamic_stack 0
		.amdhsa_enable_private_segment 0
		.amdhsa_system_sgpr_workgroup_id_x 1
		.amdhsa_system_sgpr_workgroup_id_y 0
		.amdhsa_system_sgpr_workgroup_id_z 0
		.amdhsa_system_sgpr_workgroup_info 0
		.amdhsa_system_vgpr_workitem_id 0
		.amdhsa_next_free_vgpr 1
		.amdhsa_next_free_sgpr 0
		.amdhsa_accum_offset 4
		.amdhsa_reserve_vcc 0
		.amdhsa_float_round_mode_32 0
		.amdhsa_float_round_mode_16_64 0
		.amdhsa_float_denorm_mode_32 3
		.amdhsa_float_denorm_mode_16_64 3
		.amdhsa_dx10_clamp 1
		.amdhsa_ieee_mode 1
		.amdhsa_fp16_overflow 0
		.amdhsa_tg_split 0
		.amdhsa_exception_fp_ieee_invalid_op 0
		.amdhsa_exception_fp_denorm_src 0
		.amdhsa_exception_fp_ieee_div_zero 0
		.amdhsa_exception_fp_ieee_overflow 0
		.amdhsa_exception_fp_ieee_underflow 0
		.amdhsa_exception_fp_ieee_inexact 0
		.amdhsa_exception_int_div_zero 0
	.end_amdhsa_kernel
	.section	.text._ZN7rocprim17ROCPRIM_400000_NS6detail17trampoline_kernelINS0_14default_configENS1_20scan_config_selectorIfEEZZNS1_9scan_implILNS1_25lookback_scan_determinismE0ELb0ELb0ES3_PKfPffZZZN2at6native31launch_logcumsumexp_cuda_kernelERKNSB_10TensorBaseESF_lENKUlvE_clEvENKUlvE0_clEvEUlffE_fEEDaPvRmT3_T4_T5_mT6_P12ihipStream_tbENKUlT_T0_E_clISt17integral_constantIbLb0EESV_IbLb1EEEEDaSR_SS_EUlSR_E0_NS1_11comp_targetILNS1_3genE2ELNS1_11target_archE906ELNS1_3gpuE6ELNS1_3repE0EEENS1_30default_config_static_selectorELNS0_4arch9wavefront6targetE1EEEvT1_,"axG",@progbits,_ZN7rocprim17ROCPRIM_400000_NS6detail17trampoline_kernelINS0_14default_configENS1_20scan_config_selectorIfEEZZNS1_9scan_implILNS1_25lookback_scan_determinismE0ELb0ELb0ES3_PKfPffZZZN2at6native31launch_logcumsumexp_cuda_kernelERKNSB_10TensorBaseESF_lENKUlvE_clEvENKUlvE0_clEvEUlffE_fEEDaPvRmT3_T4_T5_mT6_P12ihipStream_tbENKUlT_T0_E_clISt17integral_constantIbLb0EESV_IbLb1EEEEDaSR_SS_EUlSR_E0_NS1_11comp_targetILNS1_3genE2ELNS1_11target_archE906ELNS1_3gpuE6ELNS1_3repE0EEENS1_30default_config_static_selectorELNS0_4arch9wavefront6targetE1EEEvT1_,comdat
.Lfunc_end166:
	.size	_ZN7rocprim17ROCPRIM_400000_NS6detail17trampoline_kernelINS0_14default_configENS1_20scan_config_selectorIfEEZZNS1_9scan_implILNS1_25lookback_scan_determinismE0ELb0ELb0ES3_PKfPffZZZN2at6native31launch_logcumsumexp_cuda_kernelERKNSB_10TensorBaseESF_lENKUlvE_clEvENKUlvE0_clEvEUlffE_fEEDaPvRmT3_T4_T5_mT6_P12ihipStream_tbENKUlT_T0_E_clISt17integral_constantIbLb0EESV_IbLb1EEEEDaSR_SS_EUlSR_E0_NS1_11comp_targetILNS1_3genE2ELNS1_11target_archE906ELNS1_3gpuE6ELNS1_3repE0EEENS1_30default_config_static_selectorELNS0_4arch9wavefront6targetE1EEEvT1_, .Lfunc_end166-_ZN7rocprim17ROCPRIM_400000_NS6detail17trampoline_kernelINS0_14default_configENS1_20scan_config_selectorIfEEZZNS1_9scan_implILNS1_25lookback_scan_determinismE0ELb0ELb0ES3_PKfPffZZZN2at6native31launch_logcumsumexp_cuda_kernelERKNSB_10TensorBaseESF_lENKUlvE_clEvENKUlvE0_clEvEUlffE_fEEDaPvRmT3_T4_T5_mT6_P12ihipStream_tbENKUlT_T0_E_clISt17integral_constantIbLb0EESV_IbLb1EEEEDaSR_SS_EUlSR_E0_NS1_11comp_targetILNS1_3genE2ELNS1_11target_archE906ELNS1_3gpuE6ELNS1_3repE0EEENS1_30default_config_static_selectorELNS0_4arch9wavefront6targetE1EEEvT1_
                                        ; -- End function
	.set _ZN7rocprim17ROCPRIM_400000_NS6detail17trampoline_kernelINS0_14default_configENS1_20scan_config_selectorIfEEZZNS1_9scan_implILNS1_25lookback_scan_determinismE0ELb0ELb0ES3_PKfPffZZZN2at6native31launch_logcumsumexp_cuda_kernelERKNSB_10TensorBaseESF_lENKUlvE_clEvENKUlvE0_clEvEUlffE_fEEDaPvRmT3_T4_T5_mT6_P12ihipStream_tbENKUlT_T0_E_clISt17integral_constantIbLb0EESV_IbLb1EEEEDaSR_SS_EUlSR_E0_NS1_11comp_targetILNS1_3genE2ELNS1_11target_archE906ELNS1_3gpuE6ELNS1_3repE0EEENS1_30default_config_static_selectorELNS0_4arch9wavefront6targetE1EEEvT1_.num_vgpr, 0
	.set _ZN7rocprim17ROCPRIM_400000_NS6detail17trampoline_kernelINS0_14default_configENS1_20scan_config_selectorIfEEZZNS1_9scan_implILNS1_25lookback_scan_determinismE0ELb0ELb0ES3_PKfPffZZZN2at6native31launch_logcumsumexp_cuda_kernelERKNSB_10TensorBaseESF_lENKUlvE_clEvENKUlvE0_clEvEUlffE_fEEDaPvRmT3_T4_T5_mT6_P12ihipStream_tbENKUlT_T0_E_clISt17integral_constantIbLb0EESV_IbLb1EEEEDaSR_SS_EUlSR_E0_NS1_11comp_targetILNS1_3genE2ELNS1_11target_archE906ELNS1_3gpuE6ELNS1_3repE0EEENS1_30default_config_static_selectorELNS0_4arch9wavefront6targetE1EEEvT1_.num_agpr, 0
	.set _ZN7rocprim17ROCPRIM_400000_NS6detail17trampoline_kernelINS0_14default_configENS1_20scan_config_selectorIfEEZZNS1_9scan_implILNS1_25lookback_scan_determinismE0ELb0ELb0ES3_PKfPffZZZN2at6native31launch_logcumsumexp_cuda_kernelERKNSB_10TensorBaseESF_lENKUlvE_clEvENKUlvE0_clEvEUlffE_fEEDaPvRmT3_T4_T5_mT6_P12ihipStream_tbENKUlT_T0_E_clISt17integral_constantIbLb0EESV_IbLb1EEEEDaSR_SS_EUlSR_E0_NS1_11comp_targetILNS1_3genE2ELNS1_11target_archE906ELNS1_3gpuE6ELNS1_3repE0EEENS1_30default_config_static_selectorELNS0_4arch9wavefront6targetE1EEEvT1_.numbered_sgpr, 0
	.set _ZN7rocprim17ROCPRIM_400000_NS6detail17trampoline_kernelINS0_14default_configENS1_20scan_config_selectorIfEEZZNS1_9scan_implILNS1_25lookback_scan_determinismE0ELb0ELb0ES3_PKfPffZZZN2at6native31launch_logcumsumexp_cuda_kernelERKNSB_10TensorBaseESF_lENKUlvE_clEvENKUlvE0_clEvEUlffE_fEEDaPvRmT3_T4_T5_mT6_P12ihipStream_tbENKUlT_T0_E_clISt17integral_constantIbLb0EESV_IbLb1EEEEDaSR_SS_EUlSR_E0_NS1_11comp_targetILNS1_3genE2ELNS1_11target_archE906ELNS1_3gpuE6ELNS1_3repE0EEENS1_30default_config_static_selectorELNS0_4arch9wavefront6targetE1EEEvT1_.num_named_barrier, 0
	.set _ZN7rocprim17ROCPRIM_400000_NS6detail17trampoline_kernelINS0_14default_configENS1_20scan_config_selectorIfEEZZNS1_9scan_implILNS1_25lookback_scan_determinismE0ELb0ELb0ES3_PKfPffZZZN2at6native31launch_logcumsumexp_cuda_kernelERKNSB_10TensorBaseESF_lENKUlvE_clEvENKUlvE0_clEvEUlffE_fEEDaPvRmT3_T4_T5_mT6_P12ihipStream_tbENKUlT_T0_E_clISt17integral_constantIbLb0EESV_IbLb1EEEEDaSR_SS_EUlSR_E0_NS1_11comp_targetILNS1_3genE2ELNS1_11target_archE906ELNS1_3gpuE6ELNS1_3repE0EEENS1_30default_config_static_selectorELNS0_4arch9wavefront6targetE1EEEvT1_.private_seg_size, 0
	.set _ZN7rocprim17ROCPRIM_400000_NS6detail17trampoline_kernelINS0_14default_configENS1_20scan_config_selectorIfEEZZNS1_9scan_implILNS1_25lookback_scan_determinismE0ELb0ELb0ES3_PKfPffZZZN2at6native31launch_logcumsumexp_cuda_kernelERKNSB_10TensorBaseESF_lENKUlvE_clEvENKUlvE0_clEvEUlffE_fEEDaPvRmT3_T4_T5_mT6_P12ihipStream_tbENKUlT_T0_E_clISt17integral_constantIbLb0EESV_IbLb1EEEEDaSR_SS_EUlSR_E0_NS1_11comp_targetILNS1_3genE2ELNS1_11target_archE906ELNS1_3gpuE6ELNS1_3repE0EEENS1_30default_config_static_selectorELNS0_4arch9wavefront6targetE1EEEvT1_.uses_vcc, 0
	.set _ZN7rocprim17ROCPRIM_400000_NS6detail17trampoline_kernelINS0_14default_configENS1_20scan_config_selectorIfEEZZNS1_9scan_implILNS1_25lookback_scan_determinismE0ELb0ELb0ES3_PKfPffZZZN2at6native31launch_logcumsumexp_cuda_kernelERKNSB_10TensorBaseESF_lENKUlvE_clEvENKUlvE0_clEvEUlffE_fEEDaPvRmT3_T4_T5_mT6_P12ihipStream_tbENKUlT_T0_E_clISt17integral_constantIbLb0EESV_IbLb1EEEEDaSR_SS_EUlSR_E0_NS1_11comp_targetILNS1_3genE2ELNS1_11target_archE906ELNS1_3gpuE6ELNS1_3repE0EEENS1_30default_config_static_selectorELNS0_4arch9wavefront6targetE1EEEvT1_.uses_flat_scratch, 0
	.set _ZN7rocprim17ROCPRIM_400000_NS6detail17trampoline_kernelINS0_14default_configENS1_20scan_config_selectorIfEEZZNS1_9scan_implILNS1_25lookback_scan_determinismE0ELb0ELb0ES3_PKfPffZZZN2at6native31launch_logcumsumexp_cuda_kernelERKNSB_10TensorBaseESF_lENKUlvE_clEvENKUlvE0_clEvEUlffE_fEEDaPvRmT3_T4_T5_mT6_P12ihipStream_tbENKUlT_T0_E_clISt17integral_constantIbLb0EESV_IbLb1EEEEDaSR_SS_EUlSR_E0_NS1_11comp_targetILNS1_3genE2ELNS1_11target_archE906ELNS1_3gpuE6ELNS1_3repE0EEENS1_30default_config_static_selectorELNS0_4arch9wavefront6targetE1EEEvT1_.has_dyn_sized_stack, 0
	.set _ZN7rocprim17ROCPRIM_400000_NS6detail17trampoline_kernelINS0_14default_configENS1_20scan_config_selectorIfEEZZNS1_9scan_implILNS1_25lookback_scan_determinismE0ELb0ELb0ES3_PKfPffZZZN2at6native31launch_logcumsumexp_cuda_kernelERKNSB_10TensorBaseESF_lENKUlvE_clEvENKUlvE0_clEvEUlffE_fEEDaPvRmT3_T4_T5_mT6_P12ihipStream_tbENKUlT_T0_E_clISt17integral_constantIbLb0EESV_IbLb1EEEEDaSR_SS_EUlSR_E0_NS1_11comp_targetILNS1_3genE2ELNS1_11target_archE906ELNS1_3gpuE6ELNS1_3repE0EEENS1_30default_config_static_selectorELNS0_4arch9wavefront6targetE1EEEvT1_.has_recursion, 0
	.set _ZN7rocprim17ROCPRIM_400000_NS6detail17trampoline_kernelINS0_14default_configENS1_20scan_config_selectorIfEEZZNS1_9scan_implILNS1_25lookback_scan_determinismE0ELb0ELb0ES3_PKfPffZZZN2at6native31launch_logcumsumexp_cuda_kernelERKNSB_10TensorBaseESF_lENKUlvE_clEvENKUlvE0_clEvEUlffE_fEEDaPvRmT3_T4_T5_mT6_P12ihipStream_tbENKUlT_T0_E_clISt17integral_constantIbLb0EESV_IbLb1EEEEDaSR_SS_EUlSR_E0_NS1_11comp_targetILNS1_3genE2ELNS1_11target_archE906ELNS1_3gpuE6ELNS1_3repE0EEENS1_30default_config_static_selectorELNS0_4arch9wavefront6targetE1EEEvT1_.has_indirect_call, 0
	.section	.AMDGPU.csdata,"",@progbits
; Kernel info:
; codeLenInByte = 0
; TotalNumSgprs: 6
; NumVgprs: 0
; NumAgprs: 0
; TotalNumVgprs: 0
; ScratchSize: 0
; MemoryBound: 0
; FloatMode: 240
; IeeeMode: 1
; LDSByteSize: 0 bytes/workgroup (compile time only)
; SGPRBlocks: 0
; VGPRBlocks: 0
; NumSGPRsForWavesPerEU: 6
; NumVGPRsForWavesPerEU: 1
; AccumOffset: 4
; Occupancy: 8
; WaveLimiterHint : 0
; COMPUTE_PGM_RSRC2:SCRATCH_EN: 0
; COMPUTE_PGM_RSRC2:USER_SGPR: 2
; COMPUTE_PGM_RSRC2:TRAP_HANDLER: 0
; COMPUTE_PGM_RSRC2:TGID_X_EN: 1
; COMPUTE_PGM_RSRC2:TGID_Y_EN: 0
; COMPUTE_PGM_RSRC2:TGID_Z_EN: 0
; COMPUTE_PGM_RSRC2:TIDIG_COMP_CNT: 0
; COMPUTE_PGM_RSRC3_GFX90A:ACCUM_OFFSET: 0
; COMPUTE_PGM_RSRC3_GFX90A:TG_SPLIT: 0
	.section	.text._ZN7rocprim17ROCPRIM_400000_NS6detail17trampoline_kernelINS0_14default_configENS1_20scan_config_selectorIfEEZZNS1_9scan_implILNS1_25lookback_scan_determinismE0ELb0ELb0ES3_PKfPffZZZN2at6native31launch_logcumsumexp_cuda_kernelERKNSB_10TensorBaseESF_lENKUlvE_clEvENKUlvE0_clEvEUlffE_fEEDaPvRmT3_T4_T5_mT6_P12ihipStream_tbENKUlT_T0_E_clISt17integral_constantIbLb0EESV_IbLb1EEEEDaSR_SS_EUlSR_E0_NS1_11comp_targetILNS1_3genE10ELNS1_11target_archE1201ELNS1_3gpuE5ELNS1_3repE0EEENS1_30default_config_static_selectorELNS0_4arch9wavefront6targetE1EEEvT1_,"axG",@progbits,_ZN7rocprim17ROCPRIM_400000_NS6detail17trampoline_kernelINS0_14default_configENS1_20scan_config_selectorIfEEZZNS1_9scan_implILNS1_25lookback_scan_determinismE0ELb0ELb0ES3_PKfPffZZZN2at6native31launch_logcumsumexp_cuda_kernelERKNSB_10TensorBaseESF_lENKUlvE_clEvENKUlvE0_clEvEUlffE_fEEDaPvRmT3_T4_T5_mT6_P12ihipStream_tbENKUlT_T0_E_clISt17integral_constantIbLb0EESV_IbLb1EEEEDaSR_SS_EUlSR_E0_NS1_11comp_targetILNS1_3genE10ELNS1_11target_archE1201ELNS1_3gpuE5ELNS1_3repE0EEENS1_30default_config_static_selectorELNS0_4arch9wavefront6targetE1EEEvT1_,comdat
	.globl	_ZN7rocprim17ROCPRIM_400000_NS6detail17trampoline_kernelINS0_14default_configENS1_20scan_config_selectorIfEEZZNS1_9scan_implILNS1_25lookback_scan_determinismE0ELb0ELb0ES3_PKfPffZZZN2at6native31launch_logcumsumexp_cuda_kernelERKNSB_10TensorBaseESF_lENKUlvE_clEvENKUlvE0_clEvEUlffE_fEEDaPvRmT3_T4_T5_mT6_P12ihipStream_tbENKUlT_T0_E_clISt17integral_constantIbLb0EESV_IbLb1EEEEDaSR_SS_EUlSR_E0_NS1_11comp_targetILNS1_3genE10ELNS1_11target_archE1201ELNS1_3gpuE5ELNS1_3repE0EEENS1_30default_config_static_selectorELNS0_4arch9wavefront6targetE1EEEvT1_ ; -- Begin function _ZN7rocprim17ROCPRIM_400000_NS6detail17trampoline_kernelINS0_14default_configENS1_20scan_config_selectorIfEEZZNS1_9scan_implILNS1_25lookback_scan_determinismE0ELb0ELb0ES3_PKfPffZZZN2at6native31launch_logcumsumexp_cuda_kernelERKNSB_10TensorBaseESF_lENKUlvE_clEvENKUlvE0_clEvEUlffE_fEEDaPvRmT3_T4_T5_mT6_P12ihipStream_tbENKUlT_T0_E_clISt17integral_constantIbLb0EESV_IbLb1EEEEDaSR_SS_EUlSR_E0_NS1_11comp_targetILNS1_3genE10ELNS1_11target_archE1201ELNS1_3gpuE5ELNS1_3repE0EEENS1_30default_config_static_selectorELNS0_4arch9wavefront6targetE1EEEvT1_
	.p2align	8
	.type	_ZN7rocprim17ROCPRIM_400000_NS6detail17trampoline_kernelINS0_14default_configENS1_20scan_config_selectorIfEEZZNS1_9scan_implILNS1_25lookback_scan_determinismE0ELb0ELb0ES3_PKfPffZZZN2at6native31launch_logcumsumexp_cuda_kernelERKNSB_10TensorBaseESF_lENKUlvE_clEvENKUlvE0_clEvEUlffE_fEEDaPvRmT3_T4_T5_mT6_P12ihipStream_tbENKUlT_T0_E_clISt17integral_constantIbLb0EESV_IbLb1EEEEDaSR_SS_EUlSR_E0_NS1_11comp_targetILNS1_3genE10ELNS1_11target_archE1201ELNS1_3gpuE5ELNS1_3repE0EEENS1_30default_config_static_selectorELNS0_4arch9wavefront6targetE1EEEvT1_,@function
_ZN7rocprim17ROCPRIM_400000_NS6detail17trampoline_kernelINS0_14default_configENS1_20scan_config_selectorIfEEZZNS1_9scan_implILNS1_25lookback_scan_determinismE0ELb0ELb0ES3_PKfPffZZZN2at6native31launch_logcumsumexp_cuda_kernelERKNSB_10TensorBaseESF_lENKUlvE_clEvENKUlvE0_clEvEUlffE_fEEDaPvRmT3_T4_T5_mT6_P12ihipStream_tbENKUlT_T0_E_clISt17integral_constantIbLb0EESV_IbLb1EEEEDaSR_SS_EUlSR_E0_NS1_11comp_targetILNS1_3genE10ELNS1_11target_archE1201ELNS1_3gpuE5ELNS1_3repE0EEENS1_30default_config_static_selectorELNS0_4arch9wavefront6targetE1EEEvT1_: ; @_ZN7rocprim17ROCPRIM_400000_NS6detail17trampoline_kernelINS0_14default_configENS1_20scan_config_selectorIfEEZZNS1_9scan_implILNS1_25lookback_scan_determinismE0ELb0ELb0ES3_PKfPffZZZN2at6native31launch_logcumsumexp_cuda_kernelERKNSB_10TensorBaseESF_lENKUlvE_clEvENKUlvE0_clEvEUlffE_fEEDaPvRmT3_T4_T5_mT6_P12ihipStream_tbENKUlT_T0_E_clISt17integral_constantIbLb0EESV_IbLb1EEEEDaSR_SS_EUlSR_E0_NS1_11comp_targetILNS1_3genE10ELNS1_11target_archE1201ELNS1_3gpuE5ELNS1_3repE0EEENS1_30default_config_static_selectorELNS0_4arch9wavefront6targetE1EEEvT1_
; %bb.0:
	.section	.rodata,"a",@progbits
	.p2align	6, 0x0
	.amdhsa_kernel _ZN7rocprim17ROCPRIM_400000_NS6detail17trampoline_kernelINS0_14default_configENS1_20scan_config_selectorIfEEZZNS1_9scan_implILNS1_25lookback_scan_determinismE0ELb0ELb0ES3_PKfPffZZZN2at6native31launch_logcumsumexp_cuda_kernelERKNSB_10TensorBaseESF_lENKUlvE_clEvENKUlvE0_clEvEUlffE_fEEDaPvRmT3_T4_T5_mT6_P12ihipStream_tbENKUlT_T0_E_clISt17integral_constantIbLb0EESV_IbLb1EEEEDaSR_SS_EUlSR_E0_NS1_11comp_targetILNS1_3genE10ELNS1_11target_archE1201ELNS1_3gpuE5ELNS1_3repE0EEENS1_30default_config_static_selectorELNS0_4arch9wavefront6targetE1EEEvT1_
		.amdhsa_group_segment_fixed_size 0
		.amdhsa_private_segment_fixed_size 0
		.amdhsa_kernarg_size 32
		.amdhsa_user_sgpr_count 2
		.amdhsa_user_sgpr_dispatch_ptr 0
		.amdhsa_user_sgpr_queue_ptr 0
		.amdhsa_user_sgpr_kernarg_segment_ptr 1
		.amdhsa_user_sgpr_dispatch_id 0
		.amdhsa_user_sgpr_kernarg_preload_length 0
		.amdhsa_user_sgpr_kernarg_preload_offset 0
		.amdhsa_user_sgpr_private_segment_size 0
		.amdhsa_uses_dynamic_stack 0
		.amdhsa_enable_private_segment 0
		.amdhsa_system_sgpr_workgroup_id_x 1
		.amdhsa_system_sgpr_workgroup_id_y 0
		.amdhsa_system_sgpr_workgroup_id_z 0
		.amdhsa_system_sgpr_workgroup_info 0
		.amdhsa_system_vgpr_workitem_id 0
		.amdhsa_next_free_vgpr 1
		.amdhsa_next_free_sgpr 0
		.amdhsa_accum_offset 4
		.amdhsa_reserve_vcc 0
		.amdhsa_float_round_mode_32 0
		.amdhsa_float_round_mode_16_64 0
		.amdhsa_float_denorm_mode_32 3
		.amdhsa_float_denorm_mode_16_64 3
		.amdhsa_dx10_clamp 1
		.amdhsa_ieee_mode 1
		.amdhsa_fp16_overflow 0
		.amdhsa_tg_split 0
		.amdhsa_exception_fp_ieee_invalid_op 0
		.amdhsa_exception_fp_denorm_src 0
		.amdhsa_exception_fp_ieee_div_zero 0
		.amdhsa_exception_fp_ieee_overflow 0
		.amdhsa_exception_fp_ieee_underflow 0
		.amdhsa_exception_fp_ieee_inexact 0
		.amdhsa_exception_int_div_zero 0
	.end_amdhsa_kernel
	.section	.text._ZN7rocprim17ROCPRIM_400000_NS6detail17trampoline_kernelINS0_14default_configENS1_20scan_config_selectorIfEEZZNS1_9scan_implILNS1_25lookback_scan_determinismE0ELb0ELb0ES3_PKfPffZZZN2at6native31launch_logcumsumexp_cuda_kernelERKNSB_10TensorBaseESF_lENKUlvE_clEvENKUlvE0_clEvEUlffE_fEEDaPvRmT3_T4_T5_mT6_P12ihipStream_tbENKUlT_T0_E_clISt17integral_constantIbLb0EESV_IbLb1EEEEDaSR_SS_EUlSR_E0_NS1_11comp_targetILNS1_3genE10ELNS1_11target_archE1201ELNS1_3gpuE5ELNS1_3repE0EEENS1_30default_config_static_selectorELNS0_4arch9wavefront6targetE1EEEvT1_,"axG",@progbits,_ZN7rocprim17ROCPRIM_400000_NS6detail17trampoline_kernelINS0_14default_configENS1_20scan_config_selectorIfEEZZNS1_9scan_implILNS1_25lookback_scan_determinismE0ELb0ELb0ES3_PKfPffZZZN2at6native31launch_logcumsumexp_cuda_kernelERKNSB_10TensorBaseESF_lENKUlvE_clEvENKUlvE0_clEvEUlffE_fEEDaPvRmT3_T4_T5_mT6_P12ihipStream_tbENKUlT_T0_E_clISt17integral_constantIbLb0EESV_IbLb1EEEEDaSR_SS_EUlSR_E0_NS1_11comp_targetILNS1_3genE10ELNS1_11target_archE1201ELNS1_3gpuE5ELNS1_3repE0EEENS1_30default_config_static_selectorELNS0_4arch9wavefront6targetE1EEEvT1_,comdat
.Lfunc_end167:
	.size	_ZN7rocprim17ROCPRIM_400000_NS6detail17trampoline_kernelINS0_14default_configENS1_20scan_config_selectorIfEEZZNS1_9scan_implILNS1_25lookback_scan_determinismE0ELb0ELb0ES3_PKfPffZZZN2at6native31launch_logcumsumexp_cuda_kernelERKNSB_10TensorBaseESF_lENKUlvE_clEvENKUlvE0_clEvEUlffE_fEEDaPvRmT3_T4_T5_mT6_P12ihipStream_tbENKUlT_T0_E_clISt17integral_constantIbLb0EESV_IbLb1EEEEDaSR_SS_EUlSR_E0_NS1_11comp_targetILNS1_3genE10ELNS1_11target_archE1201ELNS1_3gpuE5ELNS1_3repE0EEENS1_30default_config_static_selectorELNS0_4arch9wavefront6targetE1EEEvT1_, .Lfunc_end167-_ZN7rocprim17ROCPRIM_400000_NS6detail17trampoline_kernelINS0_14default_configENS1_20scan_config_selectorIfEEZZNS1_9scan_implILNS1_25lookback_scan_determinismE0ELb0ELb0ES3_PKfPffZZZN2at6native31launch_logcumsumexp_cuda_kernelERKNSB_10TensorBaseESF_lENKUlvE_clEvENKUlvE0_clEvEUlffE_fEEDaPvRmT3_T4_T5_mT6_P12ihipStream_tbENKUlT_T0_E_clISt17integral_constantIbLb0EESV_IbLb1EEEEDaSR_SS_EUlSR_E0_NS1_11comp_targetILNS1_3genE10ELNS1_11target_archE1201ELNS1_3gpuE5ELNS1_3repE0EEENS1_30default_config_static_selectorELNS0_4arch9wavefront6targetE1EEEvT1_
                                        ; -- End function
	.set _ZN7rocprim17ROCPRIM_400000_NS6detail17trampoline_kernelINS0_14default_configENS1_20scan_config_selectorIfEEZZNS1_9scan_implILNS1_25lookback_scan_determinismE0ELb0ELb0ES3_PKfPffZZZN2at6native31launch_logcumsumexp_cuda_kernelERKNSB_10TensorBaseESF_lENKUlvE_clEvENKUlvE0_clEvEUlffE_fEEDaPvRmT3_T4_T5_mT6_P12ihipStream_tbENKUlT_T0_E_clISt17integral_constantIbLb0EESV_IbLb1EEEEDaSR_SS_EUlSR_E0_NS1_11comp_targetILNS1_3genE10ELNS1_11target_archE1201ELNS1_3gpuE5ELNS1_3repE0EEENS1_30default_config_static_selectorELNS0_4arch9wavefront6targetE1EEEvT1_.num_vgpr, 0
	.set _ZN7rocprim17ROCPRIM_400000_NS6detail17trampoline_kernelINS0_14default_configENS1_20scan_config_selectorIfEEZZNS1_9scan_implILNS1_25lookback_scan_determinismE0ELb0ELb0ES3_PKfPffZZZN2at6native31launch_logcumsumexp_cuda_kernelERKNSB_10TensorBaseESF_lENKUlvE_clEvENKUlvE0_clEvEUlffE_fEEDaPvRmT3_T4_T5_mT6_P12ihipStream_tbENKUlT_T0_E_clISt17integral_constantIbLb0EESV_IbLb1EEEEDaSR_SS_EUlSR_E0_NS1_11comp_targetILNS1_3genE10ELNS1_11target_archE1201ELNS1_3gpuE5ELNS1_3repE0EEENS1_30default_config_static_selectorELNS0_4arch9wavefront6targetE1EEEvT1_.num_agpr, 0
	.set _ZN7rocprim17ROCPRIM_400000_NS6detail17trampoline_kernelINS0_14default_configENS1_20scan_config_selectorIfEEZZNS1_9scan_implILNS1_25lookback_scan_determinismE0ELb0ELb0ES3_PKfPffZZZN2at6native31launch_logcumsumexp_cuda_kernelERKNSB_10TensorBaseESF_lENKUlvE_clEvENKUlvE0_clEvEUlffE_fEEDaPvRmT3_T4_T5_mT6_P12ihipStream_tbENKUlT_T0_E_clISt17integral_constantIbLb0EESV_IbLb1EEEEDaSR_SS_EUlSR_E0_NS1_11comp_targetILNS1_3genE10ELNS1_11target_archE1201ELNS1_3gpuE5ELNS1_3repE0EEENS1_30default_config_static_selectorELNS0_4arch9wavefront6targetE1EEEvT1_.numbered_sgpr, 0
	.set _ZN7rocprim17ROCPRIM_400000_NS6detail17trampoline_kernelINS0_14default_configENS1_20scan_config_selectorIfEEZZNS1_9scan_implILNS1_25lookback_scan_determinismE0ELb0ELb0ES3_PKfPffZZZN2at6native31launch_logcumsumexp_cuda_kernelERKNSB_10TensorBaseESF_lENKUlvE_clEvENKUlvE0_clEvEUlffE_fEEDaPvRmT3_T4_T5_mT6_P12ihipStream_tbENKUlT_T0_E_clISt17integral_constantIbLb0EESV_IbLb1EEEEDaSR_SS_EUlSR_E0_NS1_11comp_targetILNS1_3genE10ELNS1_11target_archE1201ELNS1_3gpuE5ELNS1_3repE0EEENS1_30default_config_static_selectorELNS0_4arch9wavefront6targetE1EEEvT1_.num_named_barrier, 0
	.set _ZN7rocprim17ROCPRIM_400000_NS6detail17trampoline_kernelINS0_14default_configENS1_20scan_config_selectorIfEEZZNS1_9scan_implILNS1_25lookback_scan_determinismE0ELb0ELb0ES3_PKfPffZZZN2at6native31launch_logcumsumexp_cuda_kernelERKNSB_10TensorBaseESF_lENKUlvE_clEvENKUlvE0_clEvEUlffE_fEEDaPvRmT3_T4_T5_mT6_P12ihipStream_tbENKUlT_T0_E_clISt17integral_constantIbLb0EESV_IbLb1EEEEDaSR_SS_EUlSR_E0_NS1_11comp_targetILNS1_3genE10ELNS1_11target_archE1201ELNS1_3gpuE5ELNS1_3repE0EEENS1_30default_config_static_selectorELNS0_4arch9wavefront6targetE1EEEvT1_.private_seg_size, 0
	.set _ZN7rocprim17ROCPRIM_400000_NS6detail17trampoline_kernelINS0_14default_configENS1_20scan_config_selectorIfEEZZNS1_9scan_implILNS1_25lookback_scan_determinismE0ELb0ELb0ES3_PKfPffZZZN2at6native31launch_logcumsumexp_cuda_kernelERKNSB_10TensorBaseESF_lENKUlvE_clEvENKUlvE0_clEvEUlffE_fEEDaPvRmT3_T4_T5_mT6_P12ihipStream_tbENKUlT_T0_E_clISt17integral_constantIbLb0EESV_IbLb1EEEEDaSR_SS_EUlSR_E0_NS1_11comp_targetILNS1_3genE10ELNS1_11target_archE1201ELNS1_3gpuE5ELNS1_3repE0EEENS1_30default_config_static_selectorELNS0_4arch9wavefront6targetE1EEEvT1_.uses_vcc, 0
	.set _ZN7rocprim17ROCPRIM_400000_NS6detail17trampoline_kernelINS0_14default_configENS1_20scan_config_selectorIfEEZZNS1_9scan_implILNS1_25lookback_scan_determinismE0ELb0ELb0ES3_PKfPffZZZN2at6native31launch_logcumsumexp_cuda_kernelERKNSB_10TensorBaseESF_lENKUlvE_clEvENKUlvE0_clEvEUlffE_fEEDaPvRmT3_T4_T5_mT6_P12ihipStream_tbENKUlT_T0_E_clISt17integral_constantIbLb0EESV_IbLb1EEEEDaSR_SS_EUlSR_E0_NS1_11comp_targetILNS1_3genE10ELNS1_11target_archE1201ELNS1_3gpuE5ELNS1_3repE0EEENS1_30default_config_static_selectorELNS0_4arch9wavefront6targetE1EEEvT1_.uses_flat_scratch, 0
	.set _ZN7rocprim17ROCPRIM_400000_NS6detail17trampoline_kernelINS0_14default_configENS1_20scan_config_selectorIfEEZZNS1_9scan_implILNS1_25lookback_scan_determinismE0ELb0ELb0ES3_PKfPffZZZN2at6native31launch_logcumsumexp_cuda_kernelERKNSB_10TensorBaseESF_lENKUlvE_clEvENKUlvE0_clEvEUlffE_fEEDaPvRmT3_T4_T5_mT6_P12ihipStream_tbENKUlT_T0_E_clISt17integral_constantIbLb0EESV_IbLb1EEEEDaSR_SS_EUlSR_E0_NS1_11comp_targetILNS1_3genE10ELNS1_11target_archE1201ELNS1_3gpuE5ELNS1_3repE0EEENS1_30default_config_static_selectorELNS0_4arch9wavefront6targetE1EEEvT1_.has_dyn_sized_stack, 0
	.set _ZN7rocprim17ROCPRIM_400000_NS6detail17trampoline_kernelINS0_14default_configENS1_20scan_config_selectorIfEEZZNS1_9scan_implILNS1_25lookback_scan_determinismE0ELb0ELb0ES3_PKfPffZZZN2at6native31launch_logcumsumexp_cuda_kernelERKNSB_10TensorBaseESF_lENKUlvE_clEvENKUlvE0_clEvEUlffE_fEEDaPvRmT3_T4_T5_mT6_P12ihipStream_tbENKUlT_T0_E_clISt17integral_constantIbLb0EESV_IbLb1EEEEDaSR_SS_EUlSR_E0_NS1_11comp_targetILNS1_3genE10ELNS1_11target_archE1201ELNS1_3gpuE5ELNS1_3repE0EEENS1_30default_config_static_selectorELNS0_4arch9wavefront6targetE1EEEvT1_.has_recursion, 0
	.set _ZN7rocprim17ROCPRIM_400000_NS6detail17trampoline_kernelINS0_14default_configENS1_20scan_config_selectorIfEEZZNS1_9scan_implILNS1_25lookback_scan_determinismE0ELb0ELb0ES3_PKfPffZZZN2at6native31launch_logcumsumexp_cuda_kernelERKNSB_10TensorBaseESF_lENKUlvE_clEvENKUlvE0_clEvEUlffE_fEEDaPvRmT3_T4_T5_mT6_P12ihipStream_tbENKUlT_T0_E_clISt17integral_constantIbLb0EESV_IbLb1EEEEDaSR_SS_EUlSR_E0_NS1_11comp_targetILNS1_3genE10ELNS1_11target_archE1201ELNS1_3gpuE5ELNS1_3repE0EEENS1_30default_config_static_selectorELNS0_4arch9wavefront6targetE1EEEvT1_.has_indirect_call, 0
	.section	.AMDGPU.csdata,"",@progbits
; Kernel info:
; codeLenInByte = 0
; TotalNumSgprs: 6
; NumVgprs: 0
; NumAgprs: 0
; TotalNumVgprs: 0
; ScratchSize: 0
; MemoryBound: 0
; FloatMode: 240
; IeeeMode: 1
; LDSByteSize: 0 bytes/workgroup (compile time only)
; SGPRBlocks: 0
; VGPRBlocks: 0
; NumSGPRsForWavesPerEU: 6
; NumVGPRsForWavesPerEU: 1
; AccumOffset: 4
; Occupancy: 8
; WaveLimiterHint : 0
; COMPUTE_PGM_RSRC2:SCRATCH_EN: 0
; COMPUTE_PGM_RSRC2:USER_SGPR: 2
; COMPUTE_PGM_RSRC2:TRAP_HANDLER: 0
; COMPUTE_PGM_RSRC2:TGID_X_EN: 1
; COMPUTE_PGM_RSRC2:TGID_Y_EN: 0
; COMPUTE_PGM_RSRC2:TGID_Z_EN: 0
; COMPUTE_PGM_RSRC2:TIDIG_COMP_CNT: 0
; COMPUTE_PGM_RSRC3_GFX90A:ACCUM_OFFSET: 0
; COMPUTE_PGM_RSRC3_GFX90A:TG_SPLIT: 0
	.section	.text._ZN7rocprim17ROCPRIM_400000_NS6detail17trampoline_kernelINS0_14default_configENS1_20scan_config_selectorIfEEZZNS1_9scan_implILNS1_25lookback_scan_determinismE0ELb0ELb0ES3_PKfPffZZZN2at6native31launch_logcumsumexp_cuda_kernelERKNSB_10TensorBaseESF_lENKUlvE_clEvENKUlvE0_clEvEUlffE_fEEDaPvRmT3_T4_T5_mT6_P12ihipStream_tbENKUlT_T0_E_clISt17integral_constantIbLb0EESV_IbLb1EEEEDaSR_SS_EUlSR_E0_NS1_11comp_targetILNS1_3genE10ELNS1_11target_archE1200ELNS1_3gpuE4ELNS1_3repE0EEENS1_30default_config_static_selectorELNS0_4arch9wavefront6targetE1EEEvT1_,"axG",@progbits,_ZN7rocprim17ROCPRIM_400000_NS6detail17trampoline_kernelINS0_14default_configENS1_20scan_config_selectorIfEEZZNS1_9scan_implILNS1_25lookback_scan_determinismE0ELb0ELb0ES3_PKfPffZZZN2at6native31launch_logcumsumexp_cuda_kernelERKNSB_10TensorBaseESF_lENKUlvE_clEvENKUlvE0_clEvEUlffE_fEEDaPvRmT3_T4_T5_mT6_P12ihipStream_tbENKUlT_T0_E_clISt17integral_constantIbLb0EESV_IbLb1EEEEDaSR_SS_EUlSR_E0_NS1_11comp_targetILNS1_3genE10ELNS1_11target_archE1200ELNS1_3gpuE4ELNS1_3repE0EEENS1_30default_config_static_selectorELNS0_4arch9wavefront6targetE1EEEvT1_,comdat
	.globl	_ZN7rocprim17ROCPRIM_400000_NS6detail17trampoline_kernelINS0_14default_configENS1_20scan_config_selectorIfEEZZNS1_9scan_implILNS1_25lookback_scan_determinismE0ELb0ELb0ES3_PKfPffZZZN2at6native31launch_logcumsumexp_cuda_kernelERKNSB_10TensorBaseESF_lENKUlvE_clEvENKUlvE0_clEvEUlffE_fEEDaPvRmT3_T4_T5_mT6_P12ihipStream_tbENKUlT_T0_E_clISt17integral_constantIbLb0EESV_IbLb1EEEEDaSR_SS_EUlSR_E0_NS1_11comp_targetILNS1_3genE10ELNS1_11target_archE1200ELNS1_3gpuE4ELNS1_3repE0EEENS1_30default_config_static_selectorELNS0_4arch9wavefront6targetE1EEEvT1_ ; -- Begin function _ZN7rocprim17ROCPRIM_400000_NS6detail17trampoline_kernelINS0_14default_configENS1_20scan_config_selectorIfEEZZNS1_9scan_implILNS1_25lookback_scan_determinismE0ELb0ELb0ES3_PKfPffZZZN2at6native31launch_logcumsumexp_cuda_kernelERKNSB_10TensorBaseESF_lENKUlvE_clEvENKUlvE0_clEvEUlffE_fEEDaPvRmT3_T4_T5_mT6_P12ihipStream_tbENKUlT_T0_E_clISt17integral_constantIbLb0EESV_IbLb1EEEEDaSR_SS_EUlSR_E0_NS1_11comp_targetILNS1_3genE10ELNS1_11target_archE1200ELNS1_3gpuE4ELNS1_3repE0EEENS1_30default_config_static_selectorELNS0_4arch9wavefront6targetE1EEEvT1_
	.p2align	8
	.type	_ZN7rocprim17ROCPRIM_400000_NS6detail17trampoline_kernelINS0_14default_configENS1_20scan_config_selectorIfEEZZNS1_9scan_implILNS1_25lookback_scan_determinismE0ELb0ELb0ES3_PKfPffZZZN2at6native31launch_logcumsumexp_cuda_kernelERKNSB_10TensorBaseESF_lENKUlvE_clEvENKUlvE0_clEvEUlffE_fEEDaPvRmT3_T4_T5_mT6_P12ihipStream_tbENKUlT_T0_E_clISt17integral_constantIbLb0EESV_IbLb1EEEEDaSR_SS_EUlSR_E0_NS1_11comp_targetILNS1_3genE10ELNS1_11target_archE1200ELNS1_3gpuE4ELNS1_3repE0EEENS1_30default_config_static_selectorELNS0_4arch9wavefront6targetE1EEEvT1_,@function
_ZN7rocprim17ROCPRIM_400000_NS6detail17trampoline_kernelINS0_14default_configENS1_20scan_config_selectorIfEEZZNS1_9scan_implILNS1_25lookback_scan_determinismE0ELb0ELb0ES3_PKfPffZZZN2at6native31launch_logcumsumexp_cuda_kernelERKNSB_10TensorBaseESF_lENKUlvE_clEvENKUlvE0_clEvEUlffE_fEEDaPvRmT3_T4_T5_mT6_P12ihipStream_tbENKUlT_T0_E_clISt17integral_constantIbLb0EESV_IbLb1EEEEDaSR_SS_EUlSR_E0_NS1_11comp_targetILNS1_3genE10ELNS1_11target_archE1200ELNS1_3gpuE4ELNS1_3repE0EEENS1_30default_config_static_selectorELNS0_4arch9wavefront6targetE1EEEvT1_: ; @_ZN7rocprim17ROCPRIM_400000_NS6detail17trampoline_kernelINS0_14default_configENS1_20scan_config_selectorIfEEZZNS1_9scan_implILNS1_25lookback_scan_determinismE0ELb0ELb0ES3_PKfPffZZZN2at6native31launch_logcumsumexp_cuda_kernelERKNSB_10TensorBaseESF_lENKUlvE_clEvENKUlvE0_clEvEUlffE_fEEDaPvRmT3_T4_T5_mT6_P12ihipStream_tbENKUlT_T0_E_clISt17integral_constantIbLb0EESV_IbLb1EEEEDaSR_SS_EUlSR_E0_NS1_11comp_targetILNS1_3genE10ELNS1_11target_archE1200ELNS1_3gpuE4ELNS1_3repE0EEENS1_30default_config_static_selectorELNS0_4arch9wavefront6targetE1EEEvT1_
; %bb.0:
	.section	.rodata,"a",@progbits
	.p2align	6, 0x0
	.amdhsa_kernel _ZN7rocprim17ROCPRIM_400000_NS6detail17trampoline_kernelINS0_14default_configENS1_20scan_config_selectorIfEEZZNS1_9scan_implILNS1_25lookback_scan_determinismE0ELb0ELb0ES3_PKfPffZZZN2at6native31launch_logcumsumexp_cuda_kernelERKNSB_10TensorBaseESF_lENKUlvE_clEvENKUlvE0_clEvEUlffE_fEEDaPvRmT3_T4_T5_mT6_P12ihipStream_tbENKUlT_T0_E_clISt17integral_constantIbLb0EESV_IbLb1EEEEDaSR_SS_EUlSR_E0_NS1_11comp_targetILNS1_3genE10ELNS1_11target_archE1200ELNS1_3gpuE4ELNS1_3repE0EEENS1_30default_config_static_selectorELNS0_4arch9wavefront6targetE1EEEvT1_
		.amdhsa_group_segment_fixed_size 0
		.amdhsa_private_segment_fixed_size 0
		.amdhsa_kernarg_size 32
		.amdhsa_user_sgpr_count 2
		.amdhsa_user_sgpr_dispatch_ptr 0
		.amdhsa_user_sgpr_queue_ptr 0
		.amdhsa_user_sgpr_kernarg_segment_ptr 1
		.amdhsa_user_sgpr_dispatch_id 0
		.amdhsa_user_sgpr_kernarg_preload_length 0
		.amdhsa_user_sgpr_kernarg_preload_offset 0
		.amdhsa_user_sgpr_private_segment_size 0
		.amdhsa_uses_dynamic_stack 0
		.amdhsa_enable_private_segment 0
		.amdhsa_system_sgpr_workgroup_id_x 1
		.amdhsa_system_sgpr_workgroup_id_y 0
		.amdhsa_system_sgpr_workgroup_id_z 0
		.amdhsa_system_sgpr_workgroup_info 0
		.amdhsa_system_vgpr_workitem_id 0
		.amdhsa_next_free_vgpr 1
		.amdhsa_next_free_sgpr 0
		.amdhsa_accum_offset 4
		.amdhsa_reserve_vcc 0
		.amdhsa_float_round_mode_32 0
		.amdhsa_float_round_mode_16_64 0
		.amdhsa_float_denorm_mode_32 3
		.amdhsa_float_denorm_mode_16_64 3
		.amdhsa_dx10_clamp 1
		.amdhsa_ieee_mode 1
		.amdhsa_fp16_overflow 0
		.amdhsa_tg_split 0
		.amdhsa_exception_fp_ieee_invalid_op 0
		.amdhsa_exception_fp_denorm_src 0
		.amdhsa_exception_fp_ieee_div_zero 0
		.amdhsa_exception_fp_ieee_overflow 0
		.amdhsa_exception_fp_ieee_underflow 0
		.amdhsa_exception_fp_ieee_inexact 0
		.amdhsa_exception_int_div_zero 0
	.end_amdhsa_kernel
	.section	.text._ZN7rocprim17ROCPRIM_400000_NS6detail17trampoline_kernelINS0_14default_configENS1_20scan_config_selectorIfEEZZNS1_9scan_implILNS1_25lookback_scan_determinismE0ELb0ELb0ES3_PKfPffZZZN2at6native31launch_logcumsumexp_cuda_kernelERKNSB_10TensorBaseESF_lENKUlvE_clEvENKUlvE0_clEvEUlffE_fEEDaPvRmT3_T4_T5_mT6_P12ihipStream_tbENKUlT_T0_E_clISt17integral_constantIbLb0EESV_IbLb1EEEEDaSR_SS_EUlSR_E0_NS1_11comp_targetILNS1_3genE10ELNS1_11target_archE1200ELNS1_3gpuE4ELNS1_3repE0EEENS1_30default_config_static_selectorELNS0_4arch9wavefront6targetE1EEEvT1_,"axG",@progbits,_ZN7rocprim17ROCPRIM_400000_NS6detail17trampoline_kernelINS0_14default_configENS1_20scan_config_selectorIfEEZZNS1_9scan_implILNS1_25lookback_scan_determinismE0ELb0ELb0ES3_PKfPffZZZN2at6native31launch_logcumsumexp_cuda_kernelERKNSB_10TensorBaseESF_lENKUlvE_clEvENKUlvE0_clEvEUlffE_fEEDaPvRmT3_T4_T5_mT6_P12ihipStream_tbENKUlT_T0_E_clISt17integral_constantIbLb0EESV_IbLb1EEEEDaSR_SS_EUlSR_E0_NS1_11comp_targetILNS1_3genE10ELNS1_11target_archE1200ELNS1_3gpuE4ELNS1_3repE0EEENS1_30default_config_static_selectorELNS0_4arch9wavefront6targetE1EEEvT1_,comdat
.Lfunc_end168:
	.size	_ZN7rocprim17ROCPRIM_400000_NS6detail17trampoline_kernelINS0_14default_configENS1_20scan_config_selectorIfEEZZNS1_9scan_implILNS1_25lookback_scan_determinismE0ELb0ELb0ES3_PKfPffZZZN2at6native31launch_logcumsumexp_cuda_kernelERKNSB_10TensorBaseESF_lENKUlvE_clEvENKUlvE0_clEvEUlffE_fEEDaPvRmT3_T4_T5_mT6_P12ihipStream_tbENKUlT_T0_E_clISt17integral_constantIbLb0EESV_IbLb1EEEEDaSR_SS_EUlSR_E0_NS1_11comp_targetILNS1_3genE10ELNS1_11target_archE1200ELNS1_3gpuE4ELNS1_3repE0EEENS1_30default_config_static_selectorELNS0_4arch9wavefront6targetE1EEEvT1_, .Lfunc_end168-_ZN7rocprim17ROCPRIM_400000_NS6detail17trampoline_kernelINS0_14default_configENS1_20scan_config_selectorIfEEZZNS1_9scan_implILNS1_25lookback_scan_determinismE0ELb0ELb0ES3_PKfPffZZZN2at6native31launch_logcumsumexp_cuda_kernelERKNSB_10TensorBaseESF_lENKUlvE_clEvENKUlvE0_clEvEUlffE_fEEDaPvRmT3_T4_T5_mT6_P12ihipStream_tbENKUlT_T0_E_clISt17integral_constantIbLb0EESV_IbLb1EEEEDaSR_SS_EUlSR_E0_NS1_11comp_targetILNS1_3genE10ELNS1_11target_archE1200ELNS1_3gpuE4ELNS1_3repE0EEENS1_30default_config_static_selectorELNS0_4arch9wavefront6targetE1EEEvT1_
                                        ; -- End function
	.set _ZN7rocprim17ROCPRIM_400000_NS6detail17trampoline_kernelINS0_14default_configENS1_20scan_config_selectorIfEEZZNS1_9scan_implILNS1_25lookback_scan_determinismE0ELb0ELb0ES3_PKfPffZZZN2at6native31launch_logcumsumexp_cuda_kernelERKNSB_10TensorBaseESF_lENKUlvE_clEvENKUlvE0_clEvEUlffE_fEEDaPvRmT3_T4_T5_mT6_P12ihipStream_tbENKUlT_T0_E_clISt17integral_constantIbLb0EESV_IbLb1EEEEDaSR_SS_EUlSR_E0_NS1_11comp_targetILNS1_3genE10ELNS1_11target_archE1200ELNS1_3gpuE4ELNS1_3repE0EEENS1_30default_config_static_selectorELNS0_4arch9wavefront6targetE1EEEvT1_.num_vgpr, 0
	.set _ZN7rocprim17ROCPRIM_400000_NS6detail17trampoline_kernelINS0_14default_configENS1_20scan_config_selectorIfEEZZNS1_9scan_implILNS1_25lookback_scan_determinismE0ELb0ELb0ES3_PKfPffZZZN2at6native31launch_logcumsumexp_cuda_kernelERKNSB_10TensorBaseESF_lENKUlvE_clEvENKUlvE0_clEvEUlffE_fEEDaPvRmT3_T4_T5_mT6_P12ihipStream_tbENKUlT_T0_E_clISt17integral_constantIbLb0EESV_IbLb1EEEEDaSR_SS_EUlSR_E0_NS1_11comp_targetILNS1_3genE10ELNS1_11target_archE1200ELNS1_3gpuE4ELNS1_3repE0EEENS1_30default_config_static_selectorELNS0_4arch9wavefront6targetE1EEEvT1_.num_agpr, 0
	.set _ZN7rocprim17ROCPRIM_400000_NS6detail17trampoline_kernelINS0_14default_configENS1_20scan_config_selectorIfEEZZNS1_9scan_implILNS1_25lookback_scan_determinismE0ELb0ELb0ES3_PKfPffZZZN2at6native31launch_logcumsumexp_cuda_kernelERKNSB_10TensorBaseESF_lENKUlvE_clEvENKUlvE0_clEvEUlffE_fEEDaPvRmT3_T4_T5_mT6_P12ihipStream_tbENKUlT_T0_E_clISt17integral_constantIbLb0EESV_IbLb1EEEEDaSR_SS_EUlSR_E0_NS1_11comp_targetILNS1_3genE10ELNS1_11target_archE1200ELNS1_3gpuE4ELNS1_3repE0EEENS1_30default_config_static_selectorELNS0_4arch9wavefront6targetE1EEEvT1_.numbered_sgpr, 0
	.set _ZN7rocprim17ROCPRIM_400000_NS6detail17trampoline_kernelINS0_14default_configENS1_20scan_config_selectorIfEEZZNS1_9scan_implILNS1_25lookback_scan_determinismE0ELb0ELb0ES3_PKfPffZZZN2at6native31launch_logcumsumexp_cuda_kernelERKNSB_10TensorBaseESF_lENKUlvE_clEvENKUlvE0_clEvEUlffE_fEEDaPvRmT3_T4_T5_mT6_P12ihipStream_tbENKUlT_T0_E_clISt17integral_constantIbLb0EESV_IbLb1EEEEDaSR_SS_EUlSR_E0_NS1_11comp_targetILNS1_3genE10ELNS1_11target_archE1200ELNS1_3gpuE4ELNS1_3repE0EEENS1_30default_config_static_selectorELNS0_4arch9wavefront6targetE1EEEvT1_.num_named_barrier, 0
	.set _ZN7rocprim17ROCPRIM_400000_NS6detail17trampoline_kernelINS0_14default_configENS1_20scan_config_selectorIfEEZZNS1_9scan_implILNS1_25lookback_scan_determinismE0ELb0ELb0ES3_PKfPffZZZN2at6native31launch_logcumsumexp_cuda_kernelERKNSB_10TensorBaseESF_lENKUlvE_clEvENKUlvE0_clEvEUlffE_fEEDaPvRmT3_T4_T5_mT6_P12ihipStream_tbENKUlT_T0_E_clISt17integral_constantIbLb0EESV_IbLb1EEEEDaSR_SS_EUlSR_E0_NS1_11comp_targetILNS1_3genE10ELNS1_11target_archE1200ELNS1_3gpuE4ELNS1_3repE0EEENS1_30default_config_static_selectorELNS0_4arch9wavefront6targetE1EEEvT1_.private_seg_size, 0
	.set _ZN7rocprim17ROCPRIM_400000_NS6detail17trampoline_kernelINS0_14default_configENS1_20scan_config_selectorIfEEZZNS1_9scan_implILNS1_25lookback_scan_determinismE0ELb0ELb0ES3_PKfPffZZZN2at6native31launch_logcumsumexp_cuda_kernelERKNSB_10TensorBaseESF_lENKUlvE_clEvENKUlvE0_clEvEUlffE_fEEDaPvRmT3_T4_T5_mT6_P12ihipStream_tbENKUlT_T0_E_clISt17integral_constantIbLb0EESV_IbLb1EEEEDaSR_SS_EUlSR_E0_NS1_11comp_targetILNS1_3genE10ELNS1_11target_archE1200ELNS1_3gpuE4ELNS1_3repE0EEENS1_30default_config_static_selectorELNS0_4arch9wavefront6targetE1EEEvT1_.uses_vcc, 0
	.set _ZN7rocprim17ROCPRIM_400000_NS6detail17trampoline_kernelINS0_14default_configENS1_20scan_config_selectorIfEEZZNS1_9scan_implILNS1_25lookback_scan_determinismE0ELb0ELb0ES3_PKfPffZZZN2at6native31launch_logcumsumexp_cuda_kernelERKNSB_10TensorBaseESF_lENKUlvE_clEvENKUlvE0_clEvEUlffE_fEEDaPvRmT3_T4_T5_mT6_P12ihipStream_tbENKUlT_T0_E_clISt17integral_constantIbLb0EESV_IbLb1EEEEDaSR_SS_EUlSR_E0_NS1_11comp_targetILNS1_3genE10ELNS1_11target_archE1200ELNS1_3gpuE4ELNS1_3repE0EEENS1_30default_config_static_selectorELNS0_4arch9wavefront6targetE1EEEvT1_.uses_flat_scratch, 0
	.set _ZN7rocprim17ROCPRIM_400000_NS6detail17trampoline_kernelINS0_14default_configENS1_20scan_config_selectorIfEEZZNS1_9scan_implILNS1_25lookback_scan_determinismE0ELb0ELb0ES3_PKfPffZZZN2at6native31launch_logcumsumexp_cuda_kernelERKNSB_10TensorBaseESF_lENKUlvE_clEvENKUlvE0_clEvEUlffE_fEEDaPvRmT3_T4_T5_mT6_P12ihipStream_tbENKUlT_T0_E_clISt17integral_constantIbLb0EESV_IbLb1EEEEDaSR_SS_EUlSR_E0_NS1_11comp_targetILNS1_3genE10ELNS1_11target_archE1200ELNS1_3gpuE4ELNS1_3repE0EEENS1_30default_config_static_selectorELNS0_4arch9wavefront6targetE1EEEvT1_.has_dyn_sized_stack, 0
	.set _ZN7rocprim17ROCPRIM_400000_NS6detail17trampoline_kernelINS0_14default_configENS1_20scan_config_selectorIfEEZZNS1_9scan_implILNS1_25lookback_scan_determinismE0ELb0ELb0ES3_PKfPffZZZN2at6native31launch_logcumsumexp_cuda_kernelERKNSB_10TensorBaseESF_lENKUlvE_clEvENKUlvE0_clEvEUlffE_fEEDaPvRmT3_T4_T5_mT6_P12ihipStream_tbENKUlT_T0_E_clISt17integral_constantIbLb0EESV_IbLb1EEEEDaSR_SS_EUlSR_E0_NS1_11comp_targetILNS1_3genE10ELNS1_11target_archE1200ELNS1_3gpuE4ELNS1_3repE0EEENS1_30default_config_static_selectorELNS0_4arch9wavefront6targetE1EEEvT1_.has_recursion, 0
	.set _ZN7rocprim17ROCPRIM_400000_NS6detail17trampoline_kernelINS0_14default_configENS1_20scan_config_selectorIfEEZZNS1_9scan_implILNS1_25lookback_scan_determinismE0ELb0ELb0ES3_PKfPffZZZN2at6native31launch_logcumsumexp_cuda_kernelERKNSB_10TensorBaseESF_lENKUlvE_clEvENKUlvE0_clEvEUlffE_fEEDaPvRmT3_T4_T5_mT6_P12ihipStream_tbENKUlT_T0_E_clISt17integral_constantIbLb0EESV_IbLb1EEEEDaSR_SS_EUlSR_E0_NS1_11comp_targetILNS1_3genE10ELNS1_11target_archE1200ELNS1_3gpuE4ELNS1_3repE0EEENS1_30default_config_static_selectorELNS0_4arch9wavefront6targetE1EEEvT1_.has_indirect_call, 0
	.section	.AMDGPU.csdata,"",@progbits
; Kernel info:
; codeLenInByte = 0
; TotalNumSgprs: 6
; NumVgprs: 0
; NumAgprs: 0
; TotalNumVgprs: 0
; ScratchSize: 0
; MemoryBound: 0
; FloatMode: 240
; IeeeMode: 1
; LDSByteSize: 0 bytes/workgroup (compile time only)
; SGPRBlocks: 0
; VGPRBlocks: 0
; NumSGPRsForWavesPerEU: 6
; NumVGPRsForWavesPerEU: 1
; AccumOffset: 4
; Occupancy: 8
; WaveLimiterHint : 0
; COMPUTE_PGM_RSRC2:SCRATCH_EN: 0
; COMPUTE_PGM_RSRC2:USER_SGPR: 2
; COMPUTE_PGM_RSRC2:TRAP_HANDLER: 0
; COMPUTE_PGM_RSRC2:TGID_X_EN: 1
; COMPUTE_PGM_RSRC2:TGID_Y_EN: 0
; COMPUTE_PGM_RSRC2:TGID_Z_EN: 0
; COMPUTE_PGM_RSRC2:TIDIG_COMP_CNT: 0
; COMPUTE_PGM_RSRC3_GFX90A:ACCUM_OFFSET: 0
; COMPUTE_PGM_RSRC3_GFX90A:TG_SPLIT: 0
	.section	.text._ZN7rocprim17ROCPRIM_400000_NS6detail17trampoline_kernelINS0_14default_configENS1_20scan_config_selectorIfEEZZNS1_9scan_implILNS1_25lookback_scan_determinismE0ELb0ELb0ES3_PKfPffZZZN2at6native31launch_logcumsumexp_cuda_kernelERKNSB_10TensorBaseESF_lENKUlvE_clEvENKUlvE0_clEvEUlffE_fEEDaPvRmT3_T4_T5_mT6_P12ihipStream_tbENKUlT_T0_E_clISt17integral_constantIbLb0EESV_IbLb1EEEEDaSR_SS_EUlSR_E0_NS1_11comp_targetILNS1_3genE9ELNS1_11target_archE1100ELNS1_3gpuE3ELNS1_3repE0EEENS1_30default_config_static_selectorELNS0_4arch9wavefront6targetE1EEEvT1_,"axG",@progbits,_ZN7rocprim17ROCPRIM_400000_NS6detail17trampoline_kernelINS0_14default_configENS1_20scan_config_selectorIfEEZZNS1_9scan_implILNS1_25lookback_scan_determinismE0ELb0ELb0ES3_PKfPffZZZN2at6native31launch_logcumsumexp_cuda_kernelERKNSB_10TensorBaseESF_lENKUlvE_clEvENKUlvE0_clEvEUlffE_fEEDaPvRmT3_T4_T5_mT6_P12ihipStream_tbENKUlT_T0_E_clISt17integral_constantIbLb0EESV_IbLb1EEEEDaSR_SS_EUlSR_E0_NS1_11comp_targetILNS1_3genE9ELNS1_11target_archE1100ELNS1_3gpuE3ELNS1_3repE0EEENS1_30default_config_static_selectorELNS0_4arch9wavefront6targetE1EEEvT1_,comdat
	.globl	_ZN7rocprim17ROCPRIM_400000_NS6detail17trampoline_kernelINS0_14default_configENS1_20scan_config_selectorIfEEZZNS1_9scan_implILNS1_25lookback_scan_determinismE0ELb0ELb0ES3_PKfPffZZZN2at6native31launch_logcumsumexp_cuda_kernelERKNSB_10TensorBaseESF_lENKUlvE_clEvENKUlvE0_clEvEUlffE_fEEDaPvRmT3_T4_T5_mT6_P12ihipStream_tbENKUlT_T0_E_clISt17integral_constantIbLb0EESV_IbLb1EEEEDaSR_SS_EUlSR_E0_NS1_11comp_targetILNS1_3genE9ELNS1_11target_archE1100ELNS1_3gpuE3ELNS1_3repE0EEENS1_30default_config_static_selectorELNS0_4arch9wavefront6targetE1EEEvT1_ ; -- Begin function _ZN7rocprim17ROCPRIM_400000_NS6detail17trampoline_kernelINS0_14default_configENS1_20scan_config_selectorIfEEZZNS1_9scan_implILNS1_25lookback_scan_determinismE0ELb0ELb0ES3_PKfPffZZZN2at6native31launch_logcumsumexp_cuda_kernelERKNSB_10TensorBaseESF_lENKUlvE_clEvENKUlvE0_clEvEUlffE_fEEDaPvRmT3_T4_T5_mT6_P12ihipStream_tbENKUlT_T0_E_clISt17integral_constantIbLb0EESV_IbLb1EEEEDaSR_SS_EUlSR_E0_NS1_11comp_targetILNS1_3genE9ELNS1_11target_archE1100ELNS1_3gpuE3ELNS1_3repE0EEENS1_30default_config_static_selectorELNS0_4arch9wavefront6targetE1EEEvT1_
	.p2align	8
	.type	_ZN7rocprim17ROCPRIM_400000_NS6detail17trampoline_kernelINS0_14default_configENS1_20scan_config_selectorIfEEZZNS1_9scan_implILNS1_25lookback_scan_determinismE0ELb0ELb0ES3_PKfPffZZZN2at6native31launch_logcumsumexp_cuda_kernelERKNSB_10TensorBaseESF_lENKUlvE_clEvENKUlvE0_clEvEUlffE_fEEDaPvRmT3_T4_T5_mT6_P12ihipStream_tbENKUlT_T0_E_clISt17integral_constantIbLb0EESV_IbLb1EEEEDaSR_SS_EUlSR_E0_NS1_11comp_targetILNS1_3genE9ELNS1_11target_archE1100ELNS1_3gpuE3ELNS1_3repE0EEENS1_30default_config_static_selectorELNS0_4arch9wavefront6targetE1EEEvT1_,@function
_ZN7rocprim17ROCPRIM_400000_NS6detail17trampoline_kernelINS0_14default_configENS1_20scan_config_selectorIfEEZZNS1_9scan_implILNS1_25lookback_scan_determinismE0ELb0ELb0ES3_PKfPffZZZN2at6native31launch_logcumsumexp_cuda_kernelERKNSB_10TensorBaseESF_lENKUlvE_clEvENKUlvE0_clEvEUlffE_fEEDaPvRmT3_T4_T5_mT6_P12ihipStream_tbENKUlT_T0_E_clISt17integral_constantIbLb0EESV_IbLb1EEEEDaSR_SS_EUlSR_E0_NS1_11comp_targetILNS1_3genE9ELNS1_11target_archE1100ELNS1_3gpuE3ELNS1_3repE0EEENS1_30default_config_static_selectorELNS0_4arch9wavefront6targetE1EEEvT1_: ; @_ZN7rocprim17ROCPRIM_400000_NS6detail17trampoline_kernelINS0_14default_configENS1_20scan_config_selectorIfEEZZNS1_9scan_implILNS1_25lookback_scan_determinismE0ELb0ELb0ES3_PKfPffZZZN2at6native31launch_logcumsumexp_cuda_kernelERKNSB_10TensorBaseESF_lENKUlvE_clEvENKUlvE0_clEvEUlffE_fEEDaPvRmT3_T4_T5_mT6_P12ihipStream_tbENKUlT_T0_E_clISt17integral_constantIbLb0EESV_IbLb1EEEEDaSR_SS_EUlSR_E0_NS1_11comp_targetILNS1_3genE9ELNS1_11target_archE1100ELNS1_3gpuE3ELNS1_3repE0EEENS1_30default_config_static_selectorELNS0_4arch9wavefront6targetE1EEEvT1_
; %bb.0:
	.section	.rodata,"a",@progbits
	.p2align	6, 0x0
	.amdhsa_kernel _ZN7rocprim17ROCPRIM_400000_NS6detail17trampoline_kernelINS0_14default_configENS1_20scan_config_selectorIfEEZZNS1_9scan_implILNS1_25lookback_scan_determinismE0ELb0ELb0ES3_PKfPffZZZN2at6native31launch_logcumsumexp_cuda_kernelERKNSB_10TensorBaseESF_lENKUlvE_clEvENKUlvE0_clEvEUlffE_fEEDaPvRmT3_T4_T5_mT6_P12ihipStream_tbENKUlT_T0_E_clISt17integral_constantIbLb0EESV_IbLb1EEEEDaSR_SS_EUlSR_E0_NS1_11comp_targetILNS1_3genE9ELNS1_11target_archE1100ELNS1_3gpuE3ELNS1_3repE0EEENS1_30default_config_static_selectorELNS0_4arch9wavefront6targetE1EEEvT1_
		.amdhsa_group_segment_fixed_size 0
		.amdhsa_private_segment_fixed_size 0
		.amdhsa_kernarg_size 32
		.amdhsa_user_sgpr_count 2
		.amdhsa_user_sgpr_dispatch_ptr 0
		.amdhsa_user_sgpr_queue_ptr 0
		.amdhsa_user_sgpr_kernarg_segment_ptr 1
		.amdhsa_user_sgpr_dispatch_id 0
		.amdhsa_user_sgpr_kernarg_preload_length 0
		.amdhsa_user_sgpr_kernarg_preload_offset 0
		.amdhsa_user_sgpr_private_segment_size 0
		.amdhsa_uses_dynamic_stack 0
		.amdhsa_enable_private_segment 0
		.amdhsa_system_sgpr_workgroup_id_x 1
		.amdhsa_system_sgpr_workgroup_id_y 0
		.amdhsa_system_sgpr_workgroup_id_z 0
		.amdhsa_system_sgpr_workgroup_info 0
		.amdhsa_system_vgpr_workitem_id 0
		.amdhsa_next_free_vgpr 1
		.amdhsa_next_free_sgpr 0
		.amdhsa_accum_offset 4
		.amdhsa_reserve_vcc 0
		.amdhsa_float_round_mode_32 0
		.amdhsa_float_round_mode_16_64 0
		.amdhsa_float_denorm_mode_32 3
		.amdhsa_float_denorm_mode_16_64 3
		.amdhsa_dx10_clamp 1
		.amdhsa_ieee_mode 1
		.amdhsa_fp16_overflow 0
		.amdhsa_tg_split 0
		.amdhsa_exception_fp_ieee_invalid_op 0
		.amdhsa_exception_fp_denorm_src 0
		.amdhsa_exception_fp_ieee_div_zero 0
		.amdhsa_exception_fp_ieee_overflow 0
		.amdhsa_exception_fp_ieee_underflow 0
		.amdhsa_exception_fp_ieee_inexact 0
		.amdhsa_exception_int_div_zero 0
	.end_amdhsa_kernel
	.section	.text._ZN7rocprim17ROCPRIM_400000_NS6detail17trampoline_kernelINS0_14default_configENS1_20scan_config_selectorIfEEZZNS1_9scan_implILNS1_25lookback_scan_determinismE0ELb0ELb0ES3_PKfPffZZZN2at6native31launch_logcumsumexp_cuda_kernelERKNSB_10TensorBaseESF_lENKUlvE_clEvENKUlvE0_clEvEUlffE_fEEDaPvRmT3_T4_T5_mT6_P12ihipStream_tbENKUlT_T0_E_clISt17integral_constantIbLb0EESV_IbLb1EEEEDaSR_SS_EUlSR_E0_NS1_11comp_targetILNS1_3genE9ELNS1_11target_archE1100ELNS1_3gpuE3ELNS1_3repE0EEENS1_30default_config_static_selectorELNS0_4arch9wavefront6targetE1EEEvT1_,"axG",@progbits,_ZN7rocprim17ROCPRIM_400000_NS6detail17trampoline_kernelINS0_14default_configENS1_20scan_config_selectorIfEEZZNS1_9scan_implILNS1_25lookback_scan_determinismE0ELb0ELb0ES3_PKfPffZZZN2at6native31launch_logcumsumexp_cuda_kernelERKNSB_10TensorBaseESF_lENKUlvE_clEvENKUlvE0_clEvEUlffE_fEEDaPvRmT3_T4_T5_mT6_P12ihipStream_tbENKUlT_T0_E_clISt17integral_constantIbLb0EESV_IbLb1EEEEDaSR_SS_EUlSR_E0_NS1_11comp_targetILNS1_3genE9ELNS1_11target_archE1100ELNS1_3gpuE3ELNS1_3repE0EEENS1_30default_config_static_selectorELNS0_4arch9wavefront6targetE1EEEvT1_,comdat
.Lfunc_end169:
	.size	_ZN7rocprim17ROCPRIM_400000_NS6detail17trampoline_kernelINS0_14default_configENS1_20scan_config_selectorIfEEZZNS1_9scan_implILNS1_25lookback_scan_determinismE0ELb0ELb0ES3_PKfPffZZZN2at6native31launch_logcumsumexp_cuda_kernelERKNSB_10TensorBaseESF_lENKUlvE_clEvENKUlvE0_clEvEUlffE_fEEDaPvRmT3_T4_T5_mT6_P12ihipStream_tbENKUlT_T0_E_clISt17integral_constantIbLb0EESV_IbLb1EEEEDaSR_SS_EUlSR_E0_NS1_11comp_targetILNS1_3genE9ELNS1_11target_archE1100ELNS1_3gpuE3ELNS1_3repE0EEENS1_30default_config_static_selectorELNS0_4arch9wavefront6targetE1EEEvT1_, .Lfunc_end169-_ZN7rocprim17ROCPRIM_400000_NS6detail17trampoline_kernelINS0_14default_configENS1_20scan_config_selectorIfEEZZNS1_9scan_implILNS1_25lookback_scan_determinismE0ELb0ELb0ES3_PKfPffZZZN2at6native31launch_logcumsumexp_cuda_kernelERKNSB_10TensorBaseESF_lENKUlvE_clEvENKUlvE0_clEvEUlffE_fEEDaPvRmT3_T4_T5_mT6_P12ihipStream_tbENKUlT_T0_E_clISt17integral_constantIbLb0EESV_IbLb1EEEEDaSR_SS_EUlSR_E0_NS1_11comp_targetILNS1_3genE9ELNS1_11target_archE1100ELNS1_3gpuE3ELNS1_3repE0EEENS1_30default_config_static_selectorELNS0_4arch9wavefront6targetE1EEEvT1_
                                        ; -- End function
	.set _ZN7rocprim17ROCPRIM_400000_NS6detail17trampoline_kernelINS0_14default_configENS1_20scan_config_selectorIfEEZZNS1_9scan_implILNS1_25lookback_scan_determinismE0ELb0ELb0ES3_PKfPffZZZN2at6native31launch_logcumsumexp_cuda_kernelERKNSB_10TensorBaseESF_lENKUlvE_clEvENKUlvE0_clEvEUlffE_fEEDaPvRmT3_T4_T5_mT6_P12ihipStream_tbENKUlT_T0_E_clISt17integral_constantIbLb0EESV_IbLb1EEEEDaSR_SS_EUlSR_E0_NS1_11comp_targetILNS1_3genE9ELNS1_11target_archE1100ELNS1_3gpuE3ELNS1_3repE0EEENS1_30default_config_static_selectorELNS0_4arch9wavefront6targetE1EEEvT1_.num_vgpr, 0
	.set _ZN7rocprim17ROCPRIM_400000_NS6detail17trampoline_kernelINS0_14default_configENS1_20scan_config_selectorIfEEZZNS1_9scan_implILNS1_25lookback_scan_determinismE0ELb0ELb0ES3_PKfPffZZZN2at6native31launch_logcumsumexp_cuda_kernelERKNSB_10TensorBaseESF_lENKUlvE_clEvENKUlvE0_clEvEUlffE_fEEDaPvRmT3_T4_T5_mT6_P12ihipStream_tbENKUlT_T0_E_clISt17integral_constantIbLb0EESV_IbLb1EEEEDaSR_SS_EUlSR_E0_NS1_11comp_targetILNS1_3genE9ELNS1_11target_archE1100ELNS1_3gpuE3ELNS1_3repE0EEENS1_30default_config_static_selectorELNS0_4arch9wavefront6targetE1EEEvT1_.num_agpr, 0
	.set _ZN7rocprim17ROCPRIM_400000_NS6detail17trampoline_kernelINS0_14default_configENS1_20scan_config_selectorIfEEZZNS1_9scan_implILNS1_25lookback_scan_determinismE0ELb0ELb0ES3_PKfPffZZZN2at6native31launch_logcumsumexp_cuda_kernelERKNSB_10TensorBaseESF_lENKUlvE_clEvENKUlvE0_clEvEUlffE_fEEDaPvRmT3_T4_T5_mT6_P12ihipStream_tbENKUlT_T0_E_clISt17integral_constantIbLb0EESV_IbLb1EEEEDaSR_SS_EUlSR_E0_NS1_11comp_targetILNS1_3genE9ELNS1_11target_archE1100ELNS1_3gpuE3ELNS1_3repE0EEENS1_30default_config_static_selectorELNS0_4arch9wavefront6targetE1EEEvT1_.numbered_sgpr, 0
	.set _ZN7rocprim17ROCPRIM_400000_NS6detail17trampoline_kernelINS0_14default_configENS1_20scan_config_selectorIfEEZZNS1_9scan_implILNS1_25lookback_scan_determinismE0ELb0ELb0ES3_PKfPffZZZN2at6native31launch_logcumsumexp_cuda_kernelERKNSB_10TensorBaseESF_lENKUlvE_clEvENKUlvE0_clEvEUlffE_fEEDaPvRmT3_T4_T5_mT6_P12ihipStream_tbENKUlT_T0_E_clISt17integral_constantIbLb0EESV_IbLb1EEEEDaSR_SS_EUlSR_E0_NS1_11comp_targetILNS1_3genE9ELNS1_11target_archE1100ELNS1_3gpuE3ELNS1_3repE0EEENS1_30default_config_static_selectorELNS0_4arch9wavefront6targetE1EEEvT1_.num_named_barrier, 0
	.set _ZN7rocprim17ROCPRIM_400000_NS6detail17trampoline_kernelINS0_14default_configENS1_20scan_config_selectorIfEEZZNS1_9scan_implILNS1_25lookback_scan_determinismE0ELb0ELb0ES3_PKfPffZZZN2at6native31launch_logcumsumexp_cuda_kernelERKNSB_10TensorBaseESF_lENKUlvE_clEvENKUlvE0_clEvEUlffE_fEEDaPvRmT3_T4_T5_mT6_P12ihipStream_tbENKUlT_T0_E_clISt17integral_constantIbLb0EESV_IbLb1EEEEDaSR_SS_EUlSR_E0_NS1_11comp_targetILNS1_3genE9ELNS1_11target_archE1100ELNS1_3gpuE3ELNS1_3repE0EEENS1_30default_config_static_selectorELNS0_4arch9wavefront6targetE1EEEvT1_.private_seg_size, 0
	.set _ZN7rocprim17ROCPRIM_400000_NS6detail17trampoline_kernelINS0_14default_configENS1_20scan_config_selectorIfEEZZNS1_9scan_implILNS1_25lookback_scan_determinismE0ELb0ELb0ES3_PKfPffZZZN2at6native31launch_logcumsumexp_cuda_kernelERKNSB_10TensorBaseESF_lENKUlvE_clEvENKUlvE0_clEvEUlffE_fEEDaPvRmT3_T4_T5_mT6_P12ihipStream_tbENKUlT_T0_E_clISt17integral_constantIbLb0EESV_IbLb1EEEEDaSR_SS_EUlSR_E0_NS1_11comp_targetILNS1_3genE9ELNS1_11target_archE1100ELNS1_3gpuE3ELNS1_3repE0EEENS1_30default_config_static_selectorELNS0_4arch9wavefront6targetE1EEEvT1_.uses_vcc, 0
	.set _ZN7rocprim17ROCPRIM_400000_NS6detail17trampoline_kernelINS0_14default_configENS1_20scan_config_selectorIfEEZZNS1_9scan_implILNS1_25lookback_scan_determinismE0ELb0ELb0ES3_PKfPffZZZN2at6native31launch_logcumsumexp_cuda_kernelERKNSB_10TensorBaseESF_lENKUlvE_clEvENKUlvE0_clEvEUlffE_fEEDaPvRmT3_T4_T5_mT6_P12ihipStream_tbENKUlT_T0_E_clISt17integral_constantIbLb0EESV_IbLb1EEEEDaSR_SS_EUlSR_E0_NS1_11comp_targetILNS1_3genE9ELNS1_11target_archE1100ELNS1_3gpuE3ELNS1_3repE0EEENS1_30default_config_static_selectorELNS0_4arch9wavefront6targetE1EEEvT1_.uses_flat_scratch, 0
	.set _ZN7rocprim17ROCPRIM_400000_NS6detail17trampoline_kernelINS0_14default_configENS1_20scan_config_selectorIfEEZZNS1_9scan_implILNS1_25lookback_scan_determinismE0ELb0ELb0ES3_PKfPffZZZN2at6native31launch_logcumsumexp_cuda_kernelERKNSB_10TensorBaseESF_lENKUlvE_clEvENKUlvE0_clEvEUlffE_fEEDaPvRmT3_T4_T5_mT6_P12ihipStream_tbENKUlT_T0_E_clISt17integral_constantIbLb0EESV_IbLb1EEEEDaSR_SS_EUlSR_E0_NS1_11comp_targetILNS1_3genE9ELNS1_11target_archE1100ELNS1_3gpuE3ELNS1_3repE0EEENS1_30default_config_static_selectorELNS0_4arch9wavefront6targetE1EEEvT1_.has_dyn_sized_stack, 0
	.set _ZN7rocprim17ROCPRIM_400000_NS6detail17trampoline_kernelINS0_14default_configENS1_20scan_config_selectorIfEEZZNS1_9scan_implILNS1_25lookback_scan_determinismE0ELb0ELb0ES3_PKfPffZZZN2at6native31launch_logcumsumexp_cuda_kernelERKNSB_10TensorBaseESF_lENKUlvE_clEvENKUlvE0_clEvEUlffE_fEEDaPvRmT3_T4_T5_mT6_P12ihipStream_tbENKUlT_T0_E_clISt17integral_constantIbLb0EESV_IbLb1EEEEDaSR_SS_EUlSR_E0_NS1_11comp_targetILNS1_3genE9ELNS1_11target_archE1100ELNS1_3gpuE3ELNS1_3repE0EEENS1_30default_config_static_selectorELNS0_4arch9wavefront6targetE1EEEvT1_.has_recursion, 0
	.set _ZN7rocprim17ROCPRIM_400000_NS6detail17trampoline_kernelINS0_14default_configENS1_20scan_config_selectorIfEEZZNS1_9scan_implILNS1_25lookback_scan_determinismE0ELb0ELb0ES3_PKfPffZZZN2at6native31launch_logcumsumexp_cuda_kernelERKNSB_10TensorBaseESF_lENKUlvE_clEvENKUlvE0_clEvEUlffE_fEEDaPvRmT3_T4_T5_mT6_P12ihipStream_tbENKUlT_T0_E_clISt17integral_constantIbLb0EESV_IbLb1EEEEDaSR_SS_EUlSR_E0_NS1_11comp_targetILNS1_3genE9ELNS1_11target_archE1100ELNS1_3gpuE3ELNS1_3repE0EEENS1_30default_config_static_selectorELNS0_4arch9wavefront6targetE1EEEvT1_.has_indirect_call, 0
	.section	.AMDGPU.csdata,"",@progbits
; Kernel info:
; codeLenInByte = 0
; TotalNumSgprs: 6
; NumVgprs: 0
; NumAgprs: 0
; TotalNumVgprs: 0
; ScratchSize: 0
; MemoryBound: 0
; FloatMode: 240
; IeeeMode: 1
; LDSByteSize: 0 bytes/workgroup (compile time only)
; SGPRBlocks: 0
; VGPRBlocks: 0
; NumSGPRsForWavesPerEU: 6
; NumVGPRsForWavesPerEU: 1
; AccumOffset: 4
; Occupancy: 8
; WaveLimiterHint : 0
; COMPUTE_PGM_RSRC2:SCRATCH_EN: 0
; COMPUTE_PGM_RSRC2:USER_SGPR: 2
; COMPUTE_PGM_RSRC2:TRAP_HANDLER: 0
; COMPUTE_PGM_RSRC2:TGID_X_EN: 1
; COMPUTE_PGM_RSRC2:TGID_Y_EN: 0
; COMPUTE_PGM_RSRC2:TGID_Z_EN: 0
; COMPUTE_PGM_RSRC2:TIDIG_COMP_CNT: 0
; COMPUTE_PGM_RSRC3_GFX90A:ACCUM_OFFSET: 0
; COMPUTE_PGM_RSRC3_GFX90A:TG_SPLIT: 0
	.section	.text._ZN7rocprim17ROCPRIM_400000_NS6detail17trampoline_kernelINS0_14default_configENS1_20scan_config_selectorIfEEZZNS1_9scan_implILNS1_25lookback_scan_determinismE0ELb0ELb0ES3_PKfPffZZZN2at6native31launch_logcumsumexp_cuda_kernelERKNSB_10TensorBaseESF_lENKUlvE_clEvENKUlvE0_clEvEUlffE_fEEDaPvRmT3_T4_T5_mT6_P12ihipStream_tbENKUlT_T0_E_clISt17integral_constantIbLb0EESV_IbLb1EEEEDaSR_SS_EUlSR_E0_NS1_11comp_targetILNS1_3genE8ELNS1_11target_archE1030ELNS1_3gpuE2ELNS1_3repE0EEENS1_30default_config_static_selectorELNS0_4arch9wavefront6targetE1EEEvT1_,"axG",@progbits,_ZN7rocprim17ROCPRIM_400000_NS6detail17trampoline_kernelINS0_14default_configENS1_20scan_config_selectorIfEEZZNS1_9scan_implILNS1_25lookback_scan_determinismE0ELb0ELb0ES3_PKfPffZZZN2at6native31launch_logcumsumexp_cuda_kernelERKNSB_10TensorBaseESF_lENKUlvE_clEvENKUlvE0_clEvEUlffE_fEEDaPvRmT3_T4_T5_mT6_P12ihipStream_tbENKUlT_T0_E_clISt17integral_constantIbLb0EESV_IbLb1EEEEDaSR_SS_EUlSR_E0_NS1_11comp_targetILNS1_3genE8ELNS1_11target_archE1030ELNS1_3gpuE2ELNS1_3repE0EEENS1_30default_config_static_selectorELNS0_4arch9wavefront6targetE1EEEvT1_,comdat
	.globl	_ZN7rocprim17ROCPRIM_400000_NS6detail17trampoline_kernelINS0_14default_configENS1_20scan_config_selectorIfEEZZNS1_9scan_implILNS1_25lookback_scan_determinismE0ELb0ELb0ES3_PKfPffZZZN2at6native31launch_logcumsumexp_cuda_kernelERKNSB_10TensorBaseESF_lENKUlvE_clEvENKUlvE0_clEvEUlffE_fEEDaPvRmT3_T4_T5_mT6_P12ihipStream_tbENKUlT_T0_E_clISt17integral_constantIbLb0EESV_IbLb1EEEEDaSR_SS_EUlSR_E0_NS1_11comp_targetILNS1_3genE8ELNS1_11target_archE1030ELNS1_3gpuE2ELNS1_3repE0EEENS1_30default_config_static_selectorELNS0_4arch9wavefront6targetE1EEEvT1_ ; -- Begin function _ZN7rocprim17ROCPRIM_400000_NS6detail17trampoline_kernelINS0_14default_configENS1_20scan_config_selectorIfEEZZNS1_9scan_implILNS1_25lookback_scan_determinismE0ELb0ELb0ES3_PKfPffZZZN2at6native31launch_logcumsumexp_cuda_kernelERKNSB_10TensorBaseESF_lENKUlvE_clEvENKUlvE0_clEvEUlffE_fEEDaPvRmT3_T4_T5_mT6_P12ihipStream_tbENKUlT_T0_E_clISt17integral_constantIbLb0EESV_IbLb1EEEEDaSR_SS_EUlSR_E0_NS1_11comp_targetILNS1_3genE8ELNS1_11target_archE1030ELNS1_3gpuE2ELNS1_3repE0EEENS1_30default_config_static_selectorELNS0_4arch9wavefront6targetE1EEEvT1_
	.p2align	8
	.type	_ZN7rocprim17ROCPRIM_400000_NS6detail17trampoline_kernelINS0_14default_configENS1_20scan_config_selectorIfEEZZNS1_9scan_implILNS1_25lookback_scan_determinismE0ELb0ELb0ES3_PKfPffZZZN2at6native31launch_logcumsumexp_cuda_kernelERKNSB_10TensorBaseESF_lENKUlvE_clEvENKUlvE0_clEvEUlffE_fEEDaPvRmT3_T4_T5_mT6_P12ihipStream_tbENKUlT_T0_E_clISt17integral_constantIbLb0EESV_IbLb1EEEEDaSR_SS_EUlSR_E0_NS1_11comp_targetILNS1_3genE8ELNS1_11target_archE1030ELNS1_3gpuE2ELNS1_3repE0EEENS1_30default_config_static_selectorELNS0_4arch9wavefront6targetE1EEEvT1_,@function
_ZN7rocprim17ROCPRIM_400000_NS6detail17trampoline_kernelINS0_14default_configENS1_20scan_config_selectorIfEEZZNS1_9scan_implILNS1_25lookback_scan_determinismE0ELb0ELb0ES3_PKfPffZZZN2at6native31launch_logcumsumexp_cuda_kernelERKNSB_10TensorBaseESF_lENKUlvE_clEvENKUlvE0_clEvEUlffE_fEEDaPvRmT3_T4_T5_mT6_P12ihipStream_tbENKUlT_T0_E_clISt17integral_constantIbLb0EESV_IbLb1EEEEDaSR_SS_EUlSR_E0_NS1_11comp_targetILNS1_3genE8ELNS1_11target_archE1030ELNS1_3gpuE2ELNS1_3repE0EEENS1_30default_config_static_selectorELNS0_4arch9wavefront6targetE1EEEvT1_: ; @_ZN7rocprim17ROCPRIM_400000_NS6detail17trampoline_kernelINS0_14default_configENS1_20scan_config_selectorIfEEZZNS1_9scan_implILNS1_25lookback_scan_determinismE0ELb0ELb0ES3_PKfPffZZZN2at6native31launch_logcumsumexp_cuda_kernelERKNSB_10TensorBaseESF_lENKUlvE_clEvENKUlvE0_clEvEUlffE_fEEDaPvRmT3_T4_T5_mT6_P12ihipStream_tbENKUlT_T0_E_clISt17integral_constantIbLb0EESV_IbLb1EEEEDaSR_SS_EUlSR_E0_NS1_11comp_targetILNS1_3genE8ELNS1_11target_archE1030ELNS1_3gpuE2ELNS1_3repE0EEENS1_30default_config_static_selectorELNS0_4arch9wavefront6targetE1EEEvT1_
; %bb.0:
	.section	.rodata,"a",@progbits
	.p2align	6, 0x0
	.amdhsa_kernel _ZN7rocprim17ROCPRIM_400000_NS6detail17trampoline_kernelINS0_14default_configENS1_20scan_config_selectorIfEEZZNS1_9scan_implILNS1_25lookback_scan_determinismE0ELb0ELb0ES3_PKfPffZZZN2at6native31launch_logcumsumexp_cuda_kernelERKNSB_10TensorBaseESF_lENKUlvE_clEvENKUlvE0_clEvEUlffE_fEEDaPvRmT3_T4_T5_mT6_P12ihipStream_tbENKUlT_T0_E_clISt17integral_constantIbLb0EESV_IbLb1EEEEDaSR_SS_EUlSR_E0_NS1_11comp_targetILNS1_3genE8ELNS1_11target_archE1030ELNS1_3gpuE2ELNS1_3repE0EEENS1_30default_config_static_selectorELNS0_4arch9wavefront6targetE1EEEvT1_
		.amdhsa_group_segment_fixed_size 0
		.amdhsa_private_segment_fixed_size 0
		.amdhsa_kernarg_size 32
		.amdhsa_user_sgpr_count 2
		.amdhsa_user_sgpr_dispatch_ptr 0
		.amdhsa_user_sgpr_queue_ptr 0
		.amdhsa_user_sgpr_kernarg_segment_ptr 1
		.amdhsa_user_sgpr_dispatch_id 0
		.amdhsa_user_sgpr_kernarg_preload_length 0
		.amdhsa_user_sgpr_kernarg_preload_offset 0
		.amdhsa_user_sgpr_private_segment_size 0
		.amdhsa_uses_dynamic_stack 0
		.amdhsa_enable_private_segment 0
		.amdhsa_system_sgpr_workgroup_id_x 1
		.amdhsa_system_sgpr_workgroup_id_y 0
		.amdhsa_system_sgpr_workgroup_id_z 0
		.amdhsa_system_sgpr_workgroup_info 0
		.amdhsa_system_vgpr_workitem_id 0
		.amdhsa_next_free_vgpr 1
		.amdhsa_next_free_sgpr 0
		.amdhsa_accum_offset 4
		.amdhsa_reserve_vcc 0
		.amdhsa_float_round_mode_32 0
		.amdhsa_float_round_mode_16_64 0
		.amdhsa_float_denorm_mode_32 3
		.amdhsa_float_denorm_mode_16_64 3
		.amdhsa_dx10_clamp 1
		.amdhsa_ieee_mode 1
		.amdhsa_fp16_overflow 0
		.amdhsa_tg_split 0
		.amdhsa_exception_fp_ieee_invalid_op 0
		.amdhsa_exception_fp_denorm_src 0
		.amdhsa_exception_fp_ieee_div_zero 0
		.amdhsa_exception_fp_ieee_overflow 0
		.amdhsa_exception_fp_ieee_underflow 0
		.amdhsa_exception_fp_ieee_inexact 0
		.amdhsa_exception_int_div_zero 0
	.end_amdhsa_kernel
	.section	.text._ZN7rocprim17ROCPRIM_400000_NS6detail17trampoline_kernelINS0_14default_configENS1_20scan_config_selectorIfEEZZNS1_9scan_implILNS1_25lookback_scan_determinismE0ELb0ELb0ES3_PKfPffZZZN2at6native31launch_logcumsumexp_cuda_kernelERKNSB_10TensorBaseESF_lENKUlvE_clEvENKUlvE0_clEvEUlffE_fEEDaPvRmT3_T4_T5_mT6_P12ihipStream_tbENKUlT_T0_E_clISt17integral_constantIbLb0EESV_IbLb1EEEEDaSR_SS_EUlSR_E0_NS1_11comp_targetILNS1_3genE8ELNS1_11target_archE1030ELNS1_3gpuE2ELNS1_3repE0EEENS1_30default_config_static_selectorELNS0_4arch9wavefront6targetE1EEEvT1_,"axG",@progbits,_ZN7rocprim17ROCPRIM_400000_NS6detail17trampoline_kernelINS0_14default_configENS1_20scan_config_selectorIfEEZZNS1_9scan_implILNS1_25lookback_scan_determinismE0ELb0ELb0ES3_PKfPffZZZN2at6native31launch_logcumsumexp_cuda_kernelERKNSB_10TensorBaseESF_lENKUlvE_clEvENKUlvE0_clEvEUlffE_fEEDaPvRmT3_T4_T5_mT6_P12ihipStream_tbENKUlT_T0_E_clISt17integral_constantIbLb0EESV_IbLb1EEEEDaSR_SS_EUlSR_E0_NS1_11comp_targetILNS1_3genE8ELNS1_11target_archE1030ELNS1_3gpuE2ELNS1_3repE0EEENS1_30default_config_static_selectorELNS0_4arch9wavefront6targetE1EEEvT1_,comdat
.Lfunc_end170:
	.size	_ZN7rocprim17ROCPRIM_400000_NS6detail17trampoline_kernelINS0_14default_configENS1_20scan_config_selectorIfEEZZNS1_9scan_implILNS1_25lookback_scan_determinismE0ELb0ELb0ES3_PKfPffZZZN2at6native31launch_logcumsumexp_cuda_kernelERKNSB_10TensorBaseESF_lENKUlvE_clEvENKUlvE0_clEvEUlffE_fEEDaPvRmT3_T4_T5_mT6_P12ihipStream_tbENKUlT_T0_E_clISt17integral_constantIbLb0EESV_IbLb1EEEEDaSR_SS_EUlSR_E0_NS1_11comp_targetILNS1_3genE8ELNS1_11target_archE1030ELNS1_3gpuE2ELNS1_3repE0EEENS1_30default_config_static_selectorELNS0_4arch9wavefront6targetE1EEEvT1_, .Lfunc_end170-_ZN7rocprim17ROCPRIM_400000_NS6detail17trampoline_kernelINS0_14default_configENS1_20scan_config_selectorIfEEZZNS1_9scan_implILNS1_25lookback_scan_determinismE0ELb0ELb0ES3_PKfPffZZZN2at6native31launch_logcumsumexp_cuda_kernelERKNSB_10TensorBaseESF_lENKUlvE_clEvENKUlvE0_clEvEUlffE_fEEDaPvRmT3_T4_T5_mT6_P12ihipStream_tbENKUlT_T0_E_clISt17integral_constantIbLb0EESV_IbLb1EEEEDaSR_SS_EUlSR_E0_NS1_11comp_targetILNS1_3genE8ELNS1_11target_archE1030ELNS1_3gpuE2ELNS1_3repE0EEENS1_30default_config_static_selectorELNS0_4arch9wavefront6targetE1EEEvT1_
                                        ; -- End function
	.set _ZN7rocprim17ROCPRIM_400000_NS6detail17trampoline_kernelINS0_14default_configENS1_20scan_config_selectorIfEEZZNS1_9scan_implILNS1_25lookback_scan_determinismE0ELb0ELb0ES3_PKfPffZZZN2at6native31launch_logcumsumexp_cuda_kernelERKNSB_10TensorBaseESF_lENKUlvE_clEvENKUlvE0_clEvEUlffE_fEEDaPvRmT3_T4_T5_mT6_P12ihipStream_tbENKUlT_T0_E_clISt17integral_constantIbLb0EESV_IbLb1EEEEDaSR_SS_EUlSR_E0_NS1_11comp_targetILNS1_3genE8ELNS1_11target_archE1030ELNS1_3gpuE2ELNS1_3repE0EEENS1_30default_config_static_selectorELNS0_4arch9wavefront6targetE1EEEvT1_.num_vgpr, 0
	.set _ZN7rocprim17ROCPRIM_400000_NS6detail17trampoline_kernelINS0_14default_configENS1_20scan_config_selectorIfEEZZNS1_9scan_implILNS1_25lookback_scan_determinismE0ELb0ELb0ES3_PKfPffZZZN2at6native31launch_logcumsumexp_cuda_kernelERKNSB_10TensorBaseESF_lENKUlvE_clEvENKUlvE0_clEvEUlffE_fEEDaPvRmT3_T4_T5_mT6_P12ihipStream_tbENKUlT_T0_E_clISt17integral_constantIbLb0EESV_IbLb1EEEEDaSR_SS_EUlSR_E0_NS1_11comp_targetILNS1_3genE8ELNS1_11target_archE1030ELNS1_3gpuE2ELNS1_3repE0EEENS1_30default_config_static_selectorELNS0_4arch9wavefront6targetE1EEEvT1_.num_agpr, 0
	.set _ZN7rocprim17ROCPRIM_400000_NS6detail17trampoline_kernelINS0_14default_configENS1_20scan_config_selectorIfEEZZNS1_9scan_implILNS1_25lookback_scan_determinismE0ELb0ELb0ES3_PKfPffZZZN2at6native31launch_logcumsumexp_cuda_kernelERKNSB_10TensorBaseESF_lENKUlvE_clEvENKUlvE0_clEvEUlffE_fEEDaPvRmT3_T4_T5_mT6_P12ihipStream_tbENKUlT_T0_E_clISt17integral_constantIbLb0EESV_IbLb1EEEEDaSR_SS_EUlSR_E0_NS1_11comp_targetILNS1_3genE8ELNS1_11target_archE1030ELNS1_3gpuE2ELNS1_3repE0EEENS1_30default_config_static_selectorELNS0_4arch9wavefront6targetE1EEEvT1_.numbered_sgpr, 0
	.set _ZN7rocprim17ROCPRIM_400000_NS6detail17trampoline_kernelINS0_14default_configENS1_20scan_config_selectorIfEEZZNS1_9scan_implILNS1_25lookback_scan_determinismE0ELb0ELb0ES3_PKfPffZZZN2at6native31launch_logcumsumexp_cuda_kernelERKNSB_10TensorBaseESF_lENKUlvE_clEvENKUlvE0_clEvEUlffE_fEEDaPvRmT3_T4_T5_mT6_P12ihipStream_tbENKUlT_T0_E_clISt17integral_constantIbLb0EESV_IbLb1EEEEDaSR_SS_EUlSR_E0_NS1_11comp_targetILNS1_3genE8ELNS1_11target_archE1030ELNS1_3gpuE2ELNS1_3repE0EEENS1_30default_config_static_selectorELNS0_4arch9wavefront6targetE1EEEvT1_.num_named_barrier, 0
	.set _ZN7rocprim17ROCPRIM_400000_NS6detail17trampoline_kernelINS0_14default_configENS1_20scan_config_selectorIfEEZZNS1_9scan_implILNS1_25lookback_scan_determinismE0ELb0ELb0ES3_PKfPffZZZN2at6native31launch_logcumsumexp_cuda_kernelERKNSB_10TensorBaseESF_lENKUlvE_clEvENKUlvE0_clEvEUlffE_fEEDaPvRmT3_T4_T5_mT6_P12ihipStream_tbENKUlT_T0_E_clISt17integral_constantIbLb0EESV_IbLb1EEEEDaSR_SS_EUlSR_E0_NS1_11comp_targetILNS1_3genE8ELNS1_11target_archE1030ELNS1_3gpuE2ELNS1_3repE0EEENS1_30default_config_static_selectorELNS0_4arch9wavefront6targetE1EEEvT1_.private_seg_size, 0
	.set _ZN7rocprim17ROCPRIM_400000_NS6detail17trampoline_kernelINS0_14default_configENS1_20scan_config_selectorIfEEZZNS1_9scan_implILNS1_25lookback_scan_determinismE0ELb0ELb0ES3_PKfPffZZZN2at6native31launch_logcumsumexp_cuda_kernelERKNSB_10TensorBaseESF_lENKUlvE_clEvENKUlvE0_clEvEUlffE_fEEDaPvRmT3_T4_T5_mT6_P12ihipStream_tbENKUlT_T0_E_clISt17integral_constantIbLb0EESV_IbLb1EEEEDaSR_SS_EUlSR_E0_NS1_11comp_targetILNS1_3genE8ELNS1_11target_archE1030ELNS1_3gpuE2ELNS1_3repE0EEENS1_30default_config_static_selectorELNS0_4arch9wavefront6targetE1EEEvT1_.uses_vcc, 0
	.set _ZN7rocprim17ROCPRIM_400000_NS6detail17trampoline_kernelINS0_14default_configENS1_20scan_config_selectorIfEEZZNS1_9scan_implILNS1_25lookback_scan_determinismE0ELb0ELb0ES3_PKfPffZZZN2at6native31launch_logcumsumexp_cuda_kernelERKNSB_10TensorBaseESF_lENKUlvE_clEvENKUlvE0_clEvEUlffE_fEEDaPvRmT3_T4_T5_mT6_P12ihipStream_tbENKUlT_T0_E_clISt17integral_constantIbLb0EESV_IbLb1EEEEDaSR_SS_EUlSR_E0_NS1_11comp_targetILNS1_3genE8ELNS1_11target_archE1030ELNS1_3gpuE2ELNS1_3repE0EEENS1_30default_config_static_selectorELNS0_4arch9wavefront6targetE1EEEvT1_.uses_flat_scratch, 0
	.set _ZN7rocprim17ROCPRIM_400000_NS6detail17trampoline_kernelINS0_14default_configENS1_20scan_config_selectorIfEEZZNS1_9scan_implILNS1_25lookback_scan_determinismE0ELb0ELb0ES3_PKfPffZZZN2at6native31launch_logcumsumexp_cuda_kernelERKNSB_10TensorBaseESF_lENKUlvE_clEvENKUlvE0_clEvEUlffE_fEEDaPvRmT3_T4_T5_mT6_P12ihipStream_tbENKUlT_T0_E_clISt17integral_constantIbLb0EESV_IbLb1EEEEDaSR_SS_EUlSR_E0_NS1_11comp_targetILNS1_3genE8ELNS1_11target_archE1030ELNS1_3gpuE2ELNS1_3repE0EEENS1_30default_config_static_selectorELNS0_4arch9wavefront6targetE1EEEvT1_.has_dyn_sized_stack, 0
	.set _ZN7rocprim17ROCPRIM_400000_NS6detail17trampoline_kernelINS0_14default_configENS1_20scan_config_selectorIfEEZZNS1_9scan_implILNS1_25lookback_scan_determinismE0ELb0ELb0ES3_PKfPffZZZN2at6native31launch_logcumsumexp_cuda_kernelERKNSB_10TensorBaseESF_lENKUlvE_clEvENKUlvE0_clEvEUlffE_fEEDaPvRmT3_T4_T5_mT6_P12ihipStream_tbENKUlT_T0_E_clISt17integral_constantIbLb0EESV_IbLb1EEEEDaSR_SS_EUlSR_E0_NS1_11comp_targetILNS1_3genE8ELNS1_11target_archE1030ELNS1_3gpuE2ELNS1_3repE0EEENS1_30default_config_static_selectorELNS0_4arch9wavefront6targetE1EEEvT1_.has_recursion, 0
	.set _ZN7rocprim17ROCPRIM_400000_NS6detail17trampoline_kernelINS0_14default_configENS1_20scan_config_selectorIfEEZZNS1_9scan_implILNS1_25lookback_scan_determinismE0ELb0ELb0ES3_PKfPffZZZN2at6native31launch_logcumsumexp_cuda_kernelERKNSB_10TensorBaseESF_lENKUlvE_clEvENKUlvE0_clEvEUlffE_fEEDaPvRmT3_T4_T5_mT6_P12ihipStream_tbENKUlT_T0_E_clISt17integral_constantIbLb0EESV_IbLb1EEEEDaSR_SS_EUlSR_E0_NS1_11comp_targetILNS1_3genE8ELNS1_11target_archE1030ELNS1_3gpuE2ELNS1_3repE0EEENS1_30default_config_static_selectorELNS0_4arch9wavefront6targetE1EEEvT1_.has_indirect_call, 0
	.section	.AMDGPU.csdata,"",@progbits
; Kernel info:
; codeLenInByte = 0
; TotalNumSgprs: 6
; NumVgprs: 0
; NumAgprs: 0
; TotalNumVgprs: 0
; ScratchSize: 0
; MemoryBound: 0
; FloatMode: 240
; IeeeMode: 1
; LDSByteSize: 0 bytes/workgroup (compile time only)
; SGPRBlocks: 0
; VGPRBlocks: 0
; NumSGPRsForWavesPerEU: 6
; NumVGPRsForWavesPerEU: 1
; AccumOffset: 4
; Occupancy: 8
; WaveLimiterHint : 0
; COMPUTE_PGM_RSRC2:SCRATCH_EN: 0
; COMPUTE_PGM_RSRC2:USER_SGPR: 2
; COMPUTE_PGM_RSRC2:TRAP_HANDLER: 0
; COMPUTE_PGM_RSRC2:TGID_X_EN: 1
; COMPUTE_PGM_RSRC2:TGID_Y_EN: 0
; COMPUTE_PGM_RSRC2:TGID_Z_EN: 0
; COMPUTE_PGM_RSRC2:TIDIG_COMP_CNT: 0
; COMPUTE_PGM_RSRC3_GFX90A:ACCUM_OFFSET: 0
; COMPUTE_PGM_RSRC3_GFX90A:TG_SPLIT: 0
	.section	.text._ZN2at6native32tensor_kernel_scan_innermost_dimIfZZZNS0_31launch_logcumsumexp_cuda_kernelERKNS_10TensorBaseES4_lENKUlvE_clEvENKUlvE0_clEvEUlffE_EEvPT_PKS8_jjjS8_T0_,"axG",@progbits,_ZN2at6native32tensor_kernel_scan_innermost_dimIfZZZNS0_31launch_logcumsumexp_cuda_kernelERKNS_10TensorBaseES4_lENKUlvE_clEvENKUlvE0_clEvEUlffE_EEvPT_PKS8_jjjS8_T0_,comdat
	.globl	_ZN2at6native32tensor_kernel_scan_innermost_dimIfZZZNS0_31launch_logcumsumexp_cuda_kernelERKNS_10TensorBaseES4_lENKUlvE_clEvENKUlvE0_clEvEUlffE_EEvPT_PKS8_jjjS8_T0_ ; -- Begin function _ZN2at6native32tensor_kernel_scan_innermost_dimIfZZZNS0_31launch_logcumsumexp_cuda_kernelERKNS_10TensorBaseES4_lENKUlvE_clEvENKUlvE0_clEvEUlffE_EEvPT_PKS8_jjjS8_T0_
	.p2align	8
	.type	_ZN2at6native32tensor_kernel_scan_innermost_dimIfZZZNS0_31launch_logcumsumexp_cuda_kernelERKNS_10TensorBaseES4_lENKUlvE_clEvENKUlvE0_clEvEUlffE_EEvPT_PKS8_jjjS8_T0_,@function
_ZN2at6native32tensor_kernel_scan_innermost_dimIfZZZNS0_31launch_logcumsumexp_cuda_kernelERKNS_10TensorBaseES4_lENKUlvE_clEvENKUlvE0_clEvEUlffE_EEvPT_PKS8_jjjS8_T0_: ; @_ZN2at6native32tensor_kernel_scan_innermost_dimIfZZZNS0_31launch_logcumsumexp_cuda_kernelERKNS_10TensorBaseES4_lENKUlvE_clEvENKUlvE0_clEvEUlffE_EEvPT_PKS8_jjjS8_T0_
; %bb.0:
	s_load_dwordx8 s[16:23], s[0:1], 0x0
	v_bfe_u32 v2, v0, 10, 10
	s_waitcnt lgkmcnt(0)
	s_lshl_b32 s3, 2, s22
	s_mul_hi_u32 s4, s20, s21
	v_mul_lo_u32 v1, s3, v2
	v_lshl_add_u32 v18, v1, 2, 0
	s_cmp_lg_u32 s4, 0
	s_mov_b64 s[4:5], -1
	s_cbranch_scc1 .LBB171_30
; %bb.1:
	s_load_dword s6, s[0:1], 0x34
	s_add_u32 s4, s0, 40
	s_addc_u32 s5, s1, 0
	s_waitcnt lgkmcnt(0)
	s_lshr_b32 s6, s6, 16
	s_mul_i32 s26, s2, s6
	s_cmp_ge_u32 s26, s20
	s_cbranch_scc1 .LBB171_29
; %bb.2:
	s_load_dword s28, s[4:5], 0x0
	s_lshl_b32 s27, 1, s22
	s_cmp_lg_u32 s21, 0
	s_cselect_b64 s[10:11], -1, 0
	v_and_b32_e32 v1, 0x3ff, v0
	v_lshl_add_u32 v3, v1, 2, v18
	s_lshl_b32 s4, s3, 2
	v_cndmask_b32_e64 v4, 0, 1, s[10:11]
	v_lshl_add_u32 v14, s27, 2, v3
	v_cmp_eq_u32_e64 s[8:9], 0, v1
	v_add3_u32 v15, v18, s4, -4
	s_waitcnt lgkmcnt(0)
	s_mul_i32 s28, s28, s6
	s_add_i32 s29, s22, 1
	v_cmp_ne_u32_e64 s[4:5], 1, v4
	v_mov_b32_e32 v5, 0
	s_movk_i32 s30, 0x1f8
	s_mov_b32 s31, 0x3fb8aa3b
	s_mov_b32 s33, 0xc2ce8ed0
	s_mov_b32 s34, 0x42b17218
	s_mov_b32 s35, 0x7f800000
	s_mov_b32 s36, 0x3f2aaaab
	v_mov_b32_e32 v16, 0x3ecc95a3
	s_mov_b32 s37, 0x3f317218
	s_mov_b32 s38, 0x33800000
	v_mov_b32_e32 v17, 0x7f800000
	v_mov_b32_e32 v6, 0x3f317218
                                        ; implicit-def: $vgpr4
	s_branch .LBB171_4
.LBB171_3:                              ;   in Loop: Header=BB171_4 Depth=1
	s_add_i32 s26, s26, s28
	s_cmp_ge_u32 s26, s20
	s_cbranch_scc1 .LBB171_29
.LBB171_4:                              ; =>This Loop Header: Depth=1
                                        ;     Child Loop BB171_7 Depth 2
                                        ;       Child Loop BB171_19 Depth 3
	s_and_b64 vcc, exec, s[4:5]
	s_cbranch_vccnz .LBB171_3
; %bb.5:                                ;   in Loop: Header=BB171_4 Depth=1
	v_add_u32_e32 v7, s26, v2
	v_mul_lo_u32 v4, v7, s21
	v_lshlrev_b64 v[10:11], 2, v[4:5]
	v_lshl_add_u64 v[8:9], s[18:19], 0, v[10:11]
	v_lshl_add_u64 v[10:11], s[16:17], 0, v[10:11]
	v_cmp_gt_u32_e32 vcc, s20, v7
	v_cmp_le_u32_e64 s[6:7], s20, v7
	s_mov_b32 s39, 0
	v_mov_b32_e32 v7, s23
	s_branch .LBB171_7
.LBB171_6:                              ;   in Loop: Header=BB171_7 Depth=2
	s_or_b64 exec, exec, s[12:13]
	ds_read_b32 v7, v15
	s_add_i32 s39, s39, s3
	s_cmp_ge_u32 s39, s21
	s_waitcnt lgkmcnt(0)
	s_barrier
	s_cbranch_scc1 .LBB171_3
.LBB171_7:                              ;   Parent Loop BB171_4 Depth=1
                                        ; =>  This Loop Header: Depth=2
                                        ;       Child Loop BB171_19 Depth 3
	v_add_u32_e32 v4, s39, v1
	v_add_u32_e32 v12, s27, v4
	s_and_saveexec_b64 s[14:15], vcc
	s_cbranch_execz .LBB171_16
; %bb.8:                                ;   in Loop: Header=BB171_7 Depth=2
	v_cmp_gt_u32_e64 s[10:11], s21, v4
	v_mov_b32_e32 v13, s23
	s_and_saveexec_b64 s[12:13], s[10:11]
	s_cbranch_execz .LBB171_10
; %bb.9:                                ;   in Loop: Header=BB171_7 Depth=2
	v_lshl_add_u64 v[20:21], v[4:5], 2, v[8:9]
	global_load_dword v13, v[20:21], off
.LBB171_10:                             ;   in Loop: Header=BB171_7 Depth=2
	s_or_b64 exec, exec, s[12:13]
	s_waitcnt vmcnt(0)
	ds_write_b32 v3, v13
	v_cmp_gt_u32_e64 s[10:11], s21, v12
	v_mov_b32_e32 v13, s23
	s_and_saveexec_b64 s[12:13], s[10:11]
	s_cbranch_execz .LBB171_12
; %bb.11:                               ;   in Loop: Header=BB171_7 Depth=2
	v_mov_b32_e32 v13, v5
	v_lshl_add_u64 v[20:21], v[12:13], 2, v[8:9]
	global_load_dword v13, v[20:21], off
.LBB171_12:                             ;   in Loop: Header=BB171_7 Depth=2
	s_or_b64 exec, exec, s[12:13]
	s_waitcnt vmcnt(0)
	ds_write_b32 v14, v13
	s_and_b64 exec, exec, s[8:9]
	s_cbranch_execz .LBB171_16
; %bb.13:                               ;   in Loop: Header=BB171_7 Depth=2
	ds_read_b32 v19, v18
	v_max_f32_e32 v13, v7, v7
	v_cmp_u_f32_e64 s[12:13], v7, v7
	s_waitcnt lgkmcnt(0)
	v_max_f32_e32 v20, v19, v19
	v_min_f32_e32 v21, v20, v13
	v_max_f32_e32 v13, v20, v13
	v_cmp_u_f32_e64 s[10:11], v19, v19
	s_nop 1
	v_cndmask_b32_e64 v20, v21, v19, s[10:11]
	v_cndmask_b32_e64 v13, v13, v19, s[10:11]
	;; [unrolled: 1-line block ×4, first 2 shown]
	v_cmp_neq_f32_e64 s[10:11], v20, v13
	v_cmp_class_f32_e64 s[12:13], v20, s30
	s_or_b64 s[10:11], s[10:11], s[12:13]
	s_and_saveexec_b64 s[12:13], s[10:11]
	s_cbranch_execz .LBB171_15
; %bb.14:                               ;   in Loop: Header=BB171_7 Depth=2
	v_sub_f32_e32 v7, v20, v13
	v_mul_f32_e32 v19, 0x3fb8aa3b, v7
	v_fma_f32 v20, v7, s31, -v19
	v_rndne_f32_e32 v21, v19
	v_fmac_f32_e32 v20, 0x32a5705f, v7
	v_sub_f32_e32 v19, v19, v21
	v_add_f32_e32 v19, v19, v20
	v_cvt_i32_f32_e32 v20, v21
	v_exp_f32_e32 v19, v19
	v_cmp_ngt_f32_e64 s[10:11], s33, v7
	v_ldexp_f32 v19, v19, v20
	s_nop 0
	v_cndmask_b32_e64 v19, 0, v19, s[10:11]
	v_cmp_nlt_f32_e64 s[10:11], s34, v7
	s_nop 1
	v_cndmask_b32_e64 v19, v17, v19, s[10:11]
	v_add_f32_e32 v7, 1.0, v19
	v_add_f32_e32 v20, -1.0, v7
	v_sub_f32_e32 v21, v20, v7
	v_add_f32_e32 v21, 1.0, v21
	v_sub_f32_e32 v20, v19, v20
	v_add_f32_e32 v22, v20, v21
	v_frexp_mant_f32_e32 v23, v7
	v_cvt_f64_f32_e32 v[20:21], v7
	v_frexp_exp_i32_f64_e32 v20, v[20:21]
	v_cmp_gt_f32_e64 s[10:11], s36, v23
	s_nop 1
	v_subbrev_co_u32_e64 v28, s[10:11], 0, v20, s[10:11]
	v_sub_u32_e32 v20, 0, v28
	v_ldexp_f32 v7, v7, v20
	v_ldexp_f32 v20, v22, v20
	v_add_f32_e32 v22, -1.0, v7
	v_add_f32_e32 v21, 1.0, v22
	v_sub_f32_e32 v21, v7, v21
	v_add_f32_e32 v23, v20, v21
	v_add_f32_e32 v21, 1.0, v7
	v_add_f32_e32 v24, -1.0, v21
	v_sub_f32_e32 v7, v7, v24
	v_add_f32_e32 v7, v20, v7
	v_add_f32_e32 v29, v21, v7
	v_rcp_f32_e32 v30, v29
	v_sub_f32_e32 v20, v21, v29
	v_add_f32_e32 v21, v22, v23
	v_add_f32_e32 v7, v7, v20
	v_mul_f32_e32 v32, v21, v30
	v_sub_f32_e32 v20, v22, v21
	v_mul_f32_e32 v22, v29, v32
	v_fma_f32 v24, v32, v29, -v22
	v_fmac_f32_e32 v24, v32, v7
	v_add_f32_e32 v31, v23, v20
	v_add_f32_e32 v20, v22, v24
	v_sub_f32_e32 v23, v21, v20
	v_pk_add_f32 v[26:27], v[20:21], v[22:23] neg_lo:[0,1] neg_hi:[0,1]
	v_mov_b32_e32 v25, v20
	v_pk_add_f32 v[20:21], v[26:27], v[24:25] neg_lo:[0,1] neg_hi:[0,1]
	v_cmp_neq_f32_e64 s[10:11], s35, v19
	v_add_f32_e32 v21, v31, v21
	v_add_f32_e32 v20, v20, v21
	;; [unrolled: 1-line block ×3, first 2 shown]
	v_mul_f32_e32 v31, v30, v21
	v_mul_f32_e32 v22, v29, v31
	v_fma_f32 v24, v31, v29, -v22
	v_fmac_f32_e32 v24, v31, v7
	v_sub_f32_e32 v7, v23, v21
	v_add_f32_e32 v7, v20, v7
	v_add_f32_e32 v20, v22, v24
	v_sub_f32_e32 v23, v21, v20
	v_pk_add_f32 v[26:27], v[20:21], v[22:23] neg_lo:[0,1] neg_hi:[0,1]
	v_mov_b32_e32 v25, v20
	v_pk_add_f32 v[20:21], v[26:27], v[24:25] neg_lo:[0,1] neg_hi:[0,1]
	s_nop 0
	v_add_f32_e32 v7, v7, v21
	v_add_f32_e32 v7, v20, v7
	;; [unrolled: 1-line block ×4, first 2 shown]
	v_sub_f32_e32 v20, v21, v32
	v_mul_f32_e32 v7, v30, v7
	v_sub_f32_e32 v20, v31, v20
	v_add_f32_e32 v22, v20, v7
	v_add_f32_e32 v24, v21, v22
	v_cvt_f32_i32_e32 v20, v28
	v_mul_f32_e32 v25, v24, v24
	v_sub_f32_e32 v21, v24, v21
	v_fmamk_f32 v7, v25, 0x3e9b6dac, v16
	v_sub_f32_e32 v21, v22, v21
	v_fmaak_f32 v7, v25, v7, 0x3f2aaada
	v_ldexp_f32 v26, v21, 1
	v_mul_f32_e32 v21, v24, v25
	v_ldexp_f32 v23, v24, 1
	v_pk_mul_f32 v[24:25], v[20:21], v[6:7]
	s_nop 0
	v_fma_f32 v22, v20, s37, -v24
	v_fmac_f32_e32 v22, 0xb102e308, v20
	v_pk_add_f32 v[20:21], v[24:25], v[22:23]
	s_nop 0
	v_sub_f32_e32 v7, v21, v23
	v_sub_f32_e32 v7, v25, v7
	v_add_f32_e32 v27, v26, v7
	v_mov_b32_e32 v26, v24
	v_pk_add_f32 v[24:25], v[20:21], v[24:25] neg_lo:[0,1] neg_hi:[0,1]
	v_pk_add_f32 v[28:29], v[20:21], v[26:27]
	v_mov_b32_e32 v23, v20
	v_mov_b32_e32 v25, v29
	v_pk_add_f32 v[30:31], v[22:23], v[24:25] neg_lo:[0,1] neg_hi:[0,1]
	v_pk_add_f32 v[22:23], v[22:23], v[24:25]
	v_mov_b32_e32 v26, v27
	v_pk_add_f32 v[24:25], v[22:23], v[20:21] op_sel:[1,0] op_sel_hi:[0,1] neg_lo:[0,1] neg_hi:[0,1]
	v_pk_add_f32 v[32:33], v[28:29], v[24:25] op_sel_hi:[1,0] neg_lo:[0,1] neg_hi:[0,1]
	v_mov_b32_e32 v28, v29
	v_mov_b32_e32 v29, v23
	v_pk_mov_b32 v[24:25], v[20:21], v[24:25] op_sel:[1,0]
	v_mov_b32_e32 v27, v20
	v_pk_add_f32 v[24:25], v[28:29], v[24:25] neg_lo:[0,1] neg_hi:[0,1]
	v_mov_b32_e32 v32, v30
	v_pk_add_f32 v[20:21], v[26:27], v[24:25] neg_lo:[0,1] neg_hi:[0,1]
	v_mov_b32_e32 v31, v23
	v_pk_add_f32 v[24:25], v[32:33], v[20:21]
	s_nop 0
	v_pk_add_f32 v[26:27], v[24:25], v[24:25] op_sel:[0,1] op_sel_hi:[1,0]
	s_nop 0
	v_pk_add_f32 v[22:23], v[22:23], v[26:27] op_sel:[1,0] op_sel_hi:[0,1]
	v_mov_b32_e32 v25, v22
	v_pk_add_f32 v[28:29], v[24:25], v[30:31] neg_lo:[0,1] neg_hi:[0,1]
	v_mov_b32_e32 v21, v26
	v_sub_f32_e32 v7, v24, v28
	v_pk_add_f32 v[20:21], v[20:21], v[28:29] neg_lo:[0,1] neg_hi:[0,1]
	v_sub_f32_e32 v7, v30, v7
	v_add_f32_e32 v7, v20, v7
	v_add_f32_e32 v7, v7, v21
	v_add_f32_e32 v7, v22, v7
	v_cndmask_b32_e64 v7, v17, v7, s[10:11]
	v_cmp_lt_f32_e64 s[10:11], |v19|, s38
	s_nop 1
	v_cndmask_b32_e64 v7, v7, v19, s[10:11]
	v_add_f32_e32 v19, v13, v7
.LBB171_15:                             ;   in Loop: Header=BB171_7 Depth=2
	s_or_b64 exec, exec, s[12:13]
	ds_write_b32 v18, v19
.LBB171_16:                             ;   in Loop: Header=BB171_7 Depth=2
	s_or_b64 exec, exec, s[14:15]
	v_mov_b32_e32 v7, 0
	s_mov_b64 s[14:15], 0
	s_waitcnt lgkmcnt(0)
	s_barrier
	s_branch .LBB171_19
.LBB171_17:                             ;   in Loop: Header=BB171_19 Depth=3
	s_or_b64 exec, exec, s[12:13]
	ds_write_b32 v19, v7
.LBB171_18:                             ;   in Loop: Header=BB171_19 Depth=3
	s_or_b64 exec, exec, s[24:25]
	v_cmp_eq_u32_e64 s[10:11], s29, v13
	s_or_b64 s[14:15], s[10:11], s[14:15]
	v_mov_b32_e32 v7, v13
	s_waitcnt lgkmcnt(0)
	s_barrier
	s_andn2_b64 exec, exec, s[14:15]
	s_cbranch_execz .LBB171_24
.LBB171_19:                             ;   Parent Loop BB171_4 Depth=1
                                        ;     Parent Loop BB171_7 Depth=2
                                        ; =>    This Inner Loop Header: Depth=3
	v_add_u32_e32 v13, 1, v7
	s_and_saveexec_b64 s[10:11], s[6:7]
	s_xor_b64 s[10:11], exec, s[10:11]
; %bb.20:                               ;   in Loop: Header=BB171_19 Depth=3
	v_add_u32_e32 v13, 1, v7
                                        ; implicit-def: $vgpr7
; %bb.21:                               ;   in Loop: Header=BB171_19 Depth=3
	s_andn2_saveexec_b64 s[24:25], s[10:11]
	s_cbranch_execz .LBB171_18
; %bb.22:                               ;   in Loop: Header=BB171_19 Depth=3
	v_lshlrev_b32_e64 v19, v7, 1
	v_lshrrev_b32_e32 v20, v7, v1
	v_lshl_or_b32 v19, v20, v13, v19
	v_bfm_b32 v7, v7, 0
	v_and_b32_e32 v7, v7, v1
	v_lshl_add_u32 v20, v19, 2, v18
	v_lshl_add_u32 v19, v7, 2, v20
	v_add_u32_e32 v7, -4, v20
	ds_read_b32 v20, v7
	ds_read_b32 v7, v19
	s_waitcnt lgkmcnt(1)
	v_max_f32_e32 v22, v20, v20
	s_waitcnt lgkmcnt(0)
	v_max_f32_e32 v23, v7, v7
	v_min_f32_e32 v21, v23, v22
	v_cmp_u_f32_e64 s[10:11], v7, v7
	v_max_f32_e32 v22, v23, v22
	v_cmp_u_f32_e64 s[12:13], v20, v20
	v_cndmask_b32_e64 v21, v21, v7, s[10:11]
	v_cndmask_b32_e64 v22, v22, v7, s[10:11]
	;; [unrolled: 1-line block ×4, first 2 shown]
	v_cmp_neq_f32_e64 s[10:11], v21, v20
	v_cmp_class_f32_e64 s[12:13], v21, s30
	s_or_b64 s[10:11], s[10:11], s[12:13]
	s_and_saveexec_b64 s[12:13], s[10:11]
	s_cbranch_execz .LBB171_17
; %bb.23:                               ;   in Loop: Header=BB171_19 Depth=3
	v_sub_f32_e32 v7, v21, v20
	v_mul_f32_e32 v21, 0x3fb8aa3b, v7
	v_fma_f32 v22, v7, s31, -v21
	v_rndne_f32_e32 v23, v21
	v_fmac_f32_e32 v22, 0x32a5705f, v7
	v_sub_f32_e32 v21, v21, v23
	v_add_f32_e32 v21, v21, v22
	v_cvt_i32_f32_e32 v22, v23
	v_exp_f32_e32 v21, v21
	v_cmp_ngt_f32_e64 s[10:11], s33, v7
	v_ldexp_f32 v21, v21, v22
	s_nop 0
	v_cndmask_b32_e64 v21, 0, v21, s[10:11]
	v_cmp_nlt_f32_e64 s[10:11], s34, v7
	s_nop 1
	v_cndmask_b32_e64 v21, v17, v21, s[10:11]
	v_add_f32_e32 v7, 1.0, v21
	v_add_f32_e32 v22, -1.0, v7
	v_sub_f32_e32 v23, v22, v7
	v_add_f32_e32 v23, 1.0, v23
	v_sub_f32_e32 v22, v21, v22
	v_add_f32_e32 v24, v22, v23
	v_frexp_mant_f32_e32 v25, v7
	v_cvt_f64_f32_e32 v[22:23], v7
	v_frexp_exp_i32_f64_e32 v22, v[22:23]
	v_cmp_gt_f32_e64 s[10:11], s36, v25
	s_nop 1
	v_subbrev_co_u32_e64 v30, s[10:11], 0, v22, s[10:11]
	v_sub_u32_e32 v22, 0, v30
	v_ldexp_f32 v7, v7, v22
	v_ldexp_f32 v22, v24, v22
	v_add_f32_e32 v24, -1.0, v7
	v_add_f32_e32 v23, 1.0, v24
	v_sub_f32_e32 v23, v7, v23
	v_add_f32_e32 v25, v22, v23
	v_add_f32_e32 v23, 1.0, v7
	v_add_f32_e32 v26, -1.0, v23
	v_sub_f32_e32 v7, v7, v26
	v_add_f32_e32 v7, v22, v7
	v_add_f32_e32 v31, v23, v7
	v_rcp_f32_e32 v32, v31
	v_sub_f32_e32 v22, v23, v31
	v_add_f32_e32 v23, v24, v25
	v_add_f32_e32 v7, v7, v22
	v_mul_f32_e32 v34, v23, v32
	v_sub_f32_e32 v22, v24, v23
	v_mul_f32_e32 v24, v31, v34
	v_fma_f32 v26, v34, v31, -v24
	v_fmac_f32_e32 v26, v34, v7
	v_add_f32_e32 v33, v25, v22
	v_add_f32_e32 v22, v24, v26
	v_sub_f32_e32 v25, v23, v22
	v_pk_add_f32 v[28:29], v[22:23], v[24:25] neg_lo:[0,1] neg_hi:[0,1]
	v_mov_b32_e32 v27, v22
	v_pk_add_f32 v[22:23], v[28:29], v[26:27] neg_lo:[0,1] neg_hi:[0,1]
	v_cmp_neq_f32_e64 s[10:11], s35, v21
	v_add_f32_e32 v23, v33, v23
	v_add_f32_e32 v22, v22, v23
	;; [unrolled: 1-line block ×3, first 2 shown]
	v_mul_f32_e32 v33, v32, v23
	v_mul_f32_e32 v24, v31, v33
	v_fma_f32 v26, v33, v31, -v24
	v_fmac_f32_e32 v26, v33, v7
	v_sub_f32_e32 v7, v25, v23
	v_add_f32_e32 v7, v22, v7
	v_add_f32_e32 v22, v24, v26
	v_sub_f32_e32 v25, v23, v22
	v_pk_add_f32 v[28:29], v[22:23], v[24:25] neg_lo:[0,1] neg_hi:[0,1]
	v_mov_b32_e32 v27, v22
	v_pk_add_f32 v[22:23], v[28:29], v[26:27] neg_lo:[0,1] neg_hi:[0,1]
	s_nop 0
	v_add_f32_e32 v7, v7, v23
	v_add_f32_e32 v7, v22, v7
	;; [unrolled: 1-line block ×4, first 2 shown]
	v_sub_f32_e32 v22, v23, v34
	v_mul_f32_e32 v7, v32, v7
	v_sub_f32_e32 v22, v33, v22
	v_add_f32_e32 v24, v22, v7
	v_add_f32_e32 v26, v23, v24
	v_cvt_f32_i32_e32 v22, v30
	v_mul_f32_e32 v27, v26, v26
	v_sub_f32_e32 v23, v26, v23
	v_fmamk_f32 v7, v27, 0x3e9b6dac, v16
	v_sub_f32_e32 v23, v24, v23
	v_fmaak_f32 v7, v27, v7, 0x3f2aaada
	v_ldexp_f32 v28, v23, 1
	v_mul_f32_e32 v23, v26, v27
	v_ldexp_f32 v25, v26, 1
	v_pk_mul_f32 v[26:27], v[22:23], v[6:7]
	s_nop 0
	v_fma_f32 v24, v22, s37, -v26
	v_fmac_f32_e32 v24, 0xb102e308, v22
	v_pk_add_f32 v[22:23], v[26:27], v[24:25]
	s_nop 0
	v_sub_f32_e32 v7, v23, v25
	v_sub_f32_e32 v7, v27, v7
	v_add_f32_e32 v29, v28, v7
	v_mov_b32_e32 v28, v26
	v_pk_add_f32 v[26:27], v[22:23], v[26:27] neg_lo:[0,1] neg_hi:[0,1]
	v_pk_add_f32 v[30:31], v[22:23], v[28:29]
	v_mov_b32_e32 v25, v22
	v_mov_b32_e32 v27, v31
	v_pk_add_f32 v[32:33], v[24:25], v[26:27] neg_lo:[0,1] neg_hi:[0,1]
	v_pk_add_f32 v[24:25], v[24:25], v[26:27]
	v_mov_b32_e32 v28, v29
	v_pk_add_f32 v[26:27], v[24:25], v[22:23] op_sel:[1,0] op_sel_hi:[0,1] neg_lo:[0,1] neg_hi:[0,1]
	v_pk_add_f32 v[34:35], v[30:31], v[26:27] op_sel_hi:[1,0] neg_lo:[0,1] neg_hi:[0,1]
	v_mov_b32_e32 v30, v31
	v_mov_b32_e32 v31, v25
	v_pk_mov_b32 v[26:27], v[22:23], v[26:27] op_sel:[1,0]
	v_mov_b32_e32 v29, v22
	v_pk_add_f32 v[26:27], v[30:31], v[26:27] neg_lo:[0,1] neg_hi:[0,1]
	v_mov_b32_e32 v34, v32
	v_pk_add_f32 v[22:23], v[28:29], v[26:27] neg_lo:[0,1] neg_hi:[0,1]
	v_mov_b32_e32 v33, v25
	v_pk_add_f32 v[26:27], v[34:35], v[22:23]
	s_nop 0
	v_pk_add_f32 v[28:29], v[26:27], v[26:27] op_sel:[0,1] op_sel_hi:[1,0]
	s_nop 0
	v_pk_add_f32 v[24:25], v[24:25], v[28:29] op_sel:[1,0] op_sel_hi:[0,1]
	v_mov_b32_e32 v27, v24
	v_pk_add_f32 v[30:31], v[26:27], v[32:33] neg_lo:[0,1] neg_hi:[0,1]
	v_mov_b32_e32 v23, v28
	v_sub_f32_e32 v7, v26, v30
	v_pk_add_f32 v[22:23], v[22:23], v[30:31] neg_lo:[0,1] neg_hi:[0,1]
	v_sub_f32_e32 v7, v32, v7
	v_add_f32_e32 v7, v22, v7
	v_add_f32_e32 v7, v7, v23
	v_add_f32_e32 v7, v24, v7
	v_cndmask_b32_e64 v7, v17, v7, s[10:11]
	v_cmp_lt_f32_e64 s[10:11], |v21|, s38
	s_nop 1
	v_cndmask_b32_e64 v7, v7, v21, s[10:11]
	v_add_f32_e32 v7, v20, v7
	s_branch .LBB171_17
.LBB171_24:                             ;   in Loop: Header=BB171_7 Depth=2
	s_or_b64 exec, exec, s[14:15]
	s_and_saveexec_b64 s[12:13], vcc
	s_cbranch_execz .LBB171_6
; %bb.25:                               ;   in Loop: Header=BB171_7 Depth=2
	v_cmp_gt_u32_e64 s[10:11], s21, v4
	s_and_saveexec_b64 s[14:15], s[10:11]
	s_cbranch_execz .LBB171_27
; %bb.26:                               ;   in Loop: Header=BB171_7 Depth=2
	ds_read_b32 v7, v3
	v_lshl_add_u64 v[20:21], v[4:5], 2, v[10:11]
	s_waitcnt lgkmcnt(0)
	global_store_dword v[20:21], v7, off
.LBB171_27:                             ;   in Loop: Header=BB171_7 Depth=2
	s_or_b64 exec, exec, s[14:15]
	v_cmp_gt_u32_e64 s[10:11], s21, v12
	s_and_b64 exec, exec, s[10:11]
	s_cbranch_execz .LBB171_6
; %bb.28:                               ;   in Loop: Header=BB171_7 Depth=2
	ds_read_b32 v4, v14
	v_mov_b32_e32 v13, v5
	v_lshl_add_u64 v[12:13], v[12:13], 2, v[10:11]
	s_waitcnt lgkmcnt(0)
	global_store_dword v[12:13], v4, off
	s_branch .LBB171_6
.LBB171_29:
	s_mov_b64 s[4:5], 0
.LBB171_30:
	s_andn2_b64 vcc, exec, s[4:5]
	s_cbranch_vccnz .LBB171_61
; %bb.31:
	s_load_dword s3, s[0:1], 0x34
	s_add_u32 s0, s0, 40
	s_mov_b32 s11, 0
	s_addc_u32 s1, s1, 0
	s_mov_b32 s10, s20
	s_waitcnt lgkmcnt(0)
	s_lshr_b32 s3, s3, 16
	s_mul_hi_u32 s13, s3, s2
	s_mul_i32 s12, s3, s2
	v_mov_b64_e32 v[4:5], s[10:11]
	v_cmp_ge_u64_e32 vcc, s[12:13], v[4:5]
	s_cbranch_vccnz .LBB171_61
; %bb.32:
	s_lshl_b32 s14, 1, s22
	s_and_b32 s4, 0xffff, s3
	s_ashr_i32 s15, s14, 31
	s_load_dword s5, s[0:1], 0x0
	s_cmp_lg_u32 s21, 0
	s_cselect_b64 s[2:3], -1, 0
	s_mov_b32 s24, s21
	v_and_b32_e32 v0, 0x3ff, v0
	s_lshl_b64 s[20:21], s[14:15], 1
	v_cndmask_b32_e64 v4, 0, 1, s[2:3]
	v_mov_b32_e32 v3, 0
	v_lshl_add_u32 v19, v0, 2, v18
	s_lshl_b32 s6, s20, 2
	v_cmp_ne_u32_e64 s[2:3], 1, v4
                                        ; implicit-def: $vgpr4
	s_mov_b32 s25, s11
	v_mov_b32_e32 v1, v3
	v_lshl_add_u32 v20, s14, 2, v19
	v_cmp_eq_u32_e64 s[0:1], 0, v0
	v_add3_u32 v21, v18, s6, -4
	s_waitcnt lgkmcnt(0)
	s_mul_i32 s33, s5, s4
	s_add_i32 s22, s22, 1
	s_movk_i32 s34, 0x1f8
	s_mov_b32 s35, 0x3fb8aa3b
	s_mov_b32 s36, 0xc2ce8ed0
	;; [unrolled: 1-line block ×5, first 2 shown]
	v_mov_b32_e32 v22, 0x3ecc95a3
	s_mov_b32 s40, 0x3f317218
	s_mov_b32 s41, 0x33800000
	v_mov_b32_e32 v23, 0x7f800000
	v_mov_b32_e32 v4, 0x3f317218
	s_branch .LBB171_34
.LBB171_33:                             ;   in Loop: Header=BB171_34 Depth=1
	s_add_u32 s12, s12, s33
	s_addc_u32 s13, s13, 0
	v_mov_b64_e32 v[6:7], s[10:11]
	v_cmp_ge_u64_e32 vcc, s[12:13], v[6:7]
	s_cbranch_vccnz .LBB171_61
.LBB171_34:                             ; =>This Loop Header: Depth=1
                                        ;     Child Loop BB171_37 Depth 2
                                        ;       Child Loop BB171_49 Depth 3
	s_and_b64 vcc, exec, s[2:3]
	s_cbranch_vccnz .LBB171_33
; %bb.35:                               ;   in Loop: Header=BB171_34 Depth=1
	v_lshl_add_u64 v[10:11], s[12:13], 0, v[2:3]
	v_mad_u64_u32 v[6:7], s[4:5], v10, s24, 0
	v_mov_b32_e32 v8, v7
	v_mad_u64_u32 v[8:9], s[4:5], v11, s24, v[8:9]
	v_mov_b32_e32 v7, v8
	v_lshlrev_b64 v[8:9], 2, v[6:7]
	v_lshl_add_u64 v[6:7], s[18:19], 0, v[8:9]
	v_lshl_add_u64 v[8:9], s[16:17], 0, v[8:9]
	v_cmp_gt_u64_e64 s[4:5], s[10:11], v[10:11]
	v_cmp_le_u64_e64 s[6:7], s[10:11], v[10:11]
	s_mov_b64 s[26:27], 0
	v_mov_b32_e32 v5, s23
	s_branch .LBB171_37
.LBB171_36:                             ;   in Loop: Header=BB171_37 Depth=2
	s_or_b64 exec, exec, s[8:9]
	ds_read_b32 v5, v21
	s_add_u32 s26, s26, s20
	s_addc_u32 s27, s27, s21
	v_mov_b64_e32 v[10:11], s[24:25]
	v_cmp_ge_u64_e32 vcc, s[26:27], v[10:11]
	s_waitcnt lgkmcnt(0)
	s_barrier
	s_cbranch_vccnz .LBB171_33
.LBB171_37:                             ;   Parent Loop BB171_34 Depth=1
                                        ; =>  This Loop Header: Depth=2
                                        ;       Child Loop BB171_49 Depth 3
	v_lshl_add_u64 v[12:13], s[26:27], 0, v[0:1]
	v_lshl_add_u64 v[10:11], v[12:13], 0, s[14:15]
	s_and_saveexec_b64 s[28:29], s[4:5]
	s_cbranch_execz .LBB171_46
; %bb.38:                               ;   in Loop: Header=BB171_37 Depth=2
	v_cmp_gt_u64_e32 vcc, s[24:25], v[12:13]
	v_mov_b32_e32 v14, s23
	s_and_saveexec_b64 s[8:9], vcc
	s_cbranch_execz .LBB171_40
; %bb.39:                               ;   in Loop: Header=BB171_37 Depth=2
	v_lshl_add_u64 v[14:15], v[12:13], 2, v[6:7]
	global_load_dword v14, v[14:15], off
.LBB171_40:                             ;   in Loop: Header=BB171_37 Depth=2
	s_or_b64 exec, exec, s[8:9]
	s_waitcnt vmcnt(0)
	ds_write_b32 v19, v14
	v_cmp_gt_u64_e32 vcc, s[24:25], v[10:11]
	v_mov_b32_e32 v14, s23
	s_and_saveexec_b64 s[8:9], vcc
	s_cbranch_execz .LBB171_42
; %bb.41:                               ;   in Loop: Header=BB171_37 Depth=2
	v_lshl_add_u64 v[14:15], v[10:11], 2, v[6:7]
	global_load_dword v14, v[14:15], off
.LBB171_42:                             ;   in Loop: Header=BB171_37 Depth=2
	s_or_b64 exec, exec, s[8:9]
	s_waitcnt vmcnt(0)
	ds_write_b32 v20, v14
	s_and_b64 exec, exec, s[0:1]
	s_cbranch_execz .LBB171_46
; %bb.43:                               ;   in Loop: Header=BB171_37 Depth=2
	ds_read_b32 v15, v18
	v_max_f32_e32 v14, v5, v5
	v_cmp_u_f32_e64 s[8:9], v5, v5
	s_waitcnt lgkmcnt(0)
	v_max_f32_e32 v16, v15, v15
	v_min_f32_e32 v17, v16, v14
	v_max_f32_e32 v14, v16, v14
	v_cmp_u_f32_e32 vcc, v15, v15
	s_nop 1
	v_cndmask_b32_e32 v16, v17, v15, vcc
	v_cndmask_b32_e32 v14, v14, v15, vcc
	v_cndmask_b32_e64 v16, v16, v5, s[8:9]
	v_cndmask_b32_e64 v14, v14, v5, s[8:9]
	v_cmp_neq_f32_e32 vcc, v16, v14
	v_cmp_class_f32_e64 s[8:9], v16, s34
	s_or_b64 s[30:31], vcc, s[8:9]
	s_and_saveexec_b64 s[8:9], s[30:31]
	s_cbranch_execz .LBB171_45
; %bb.44:                               ;   in Loop: Header=BB171_37 Depth=2
	v_sub_f32_e32 v5, v16, v14
	v_mul_f32_e32 v15, 0x3fb8aa3b, v5
	v_fma_f32 v16, v5, s35, -v15
	v_rndne_f32_e32 v17, v15
	v_fmac_f32_e32 v16, 0x32a5705f, v5
	v_sub_f32_e32 v15, v15, v17
	v_add_f32_e32 v15, v15, v16
	v_cvt_i32_f32_e32 v16, v17
	v_exp_f32_e32 v15, v15
	v_cmp_ngt_f32_e32 vcc, s36, v5
	v_ldexp_f32 v15, v15, v16
	s_nop 0
	v_cndmask_b32_e32 v15, 0, v15, vcc
	v_cmp_nlt_f32_e32 vcc, s37, v5
	s_nop 1
	v_cndmask_b32_e32 v15, v23, v15, vcc
	v_add_f32_e32 v5, 1.0, v15
	v_add_f32_e32 v16, -1.0, v5
	v_sub_f32_e32 v17, v16, v5
	v_add_f32_e32 v17, 1.0, v17
	v_sub_f32_e32 v16, v15, v16
	v_add_f32_e32 v24, v16, v17
	v_frexp_mant_f32_e32 v25, v5
	v_cvt_f64_f32_e32 v[16:17], v5
	v_frexp_exp_i32_f64_e32 v16, v[16:17]
	v_cmp_gt_f32_e32 vcc, s39, v25
	s_nop 1
	v_subbrev_co_u32_e32 v30, vcc, 0, v16, vcc
	v_sub_u32_e32 v16, 0, v30
	v_ldexp_f32 v5, v5, v16
	v_ldexp_f32 v16, v24, v16
	v_add_f32_e32 v24, -1.0, v5
	v_add_f32_e32 v17, 1.0, v24
	v_sub_f32_e32 v17, v5, v17
	v_add_f32_e32 v25, v16, v17
	v_add_f32_e32 v17, 1.0, v5
	v_add_f32_e32 v26, -1.0, v17
	v_sub_f32_e32 v5, v5, v26
	v_add_f32_e32 v5, v16, v5
	v_add_f32_e32 v31, v17, v5
	v_rcp_f32_e32 v32, v31
	v_sub_f32_e32 v16, v17, v31
	v_add_f32_e32 v17, v24, v25
	v_add_f32_e32 v5, v5, v16
	v_mul_f32_e32 v34, v17, v32
	v_sub_f32_e32 v16, v24, v17
	v_mul_f32_e32 v24, v31, v34
	v_fma_f32 v26, v34, v31, -v24
	v_fmac_f32_e32 v26, v34, v5
	v_add_f32_e32 v33, v25, v16
	v_add_f32_e32 v16, v24, v26
	v_sub_f32_e32 v25, v17, v16
	v_pk_add_f32 v[28:29], v[16:17], v[24:25] neg_lo:[0,1] neg_hi:[0,1]
	v_mov_b32_e32 v27, v16
	v_pk_add_f32 v[16:17], v[28:29], v[26:27] neg_lo:[0,1] neg_hi:[0,1]
	v_cmp_neq_f32_e32 vcc, s38, v15
	v_add_f32_e32 v17, v33, v17
	v_add_f32_e32 v16, v16, v17
	;; [unrolled: 1-line block ×3, first 2 shown]
	v_mul_f32_e32 v33, v32, v17
	v_mul_f32_e32 v24, v31, v33
	v_fma_f32 v26, v33, v31, -v24
	v_fmac_f32_e32 v26, v33, v5
	v_sub_f32_e32 v5, v25, v17
	v_add_f32_e32 v5, v16, v5
	v_add_f32_e32 v16, v24, v26
	v_sub_f32_e32 v25, v17, v16
	v_pk_add_f32 v[28:29], v[16:17], v[24:25] neg_lo:[0,1] neg_hi:[0,1]
	v_mov_b32_e32 v27, v16
	v_pk_add_f32 v[16:17], v[28:29], v[26:27] neg_lo:[0,1] neg_hi:[0,1]
	s_nop 0
	v_add_f32_e32 v5, v5, v17
	v_add_f32_e32 v5, v16, v5
	;; [unrolled: 1-line block ×4, first 2 shown]
	v_sub_f32_e32 v16, v17, v34
	v_mul_f32_e32 v5, v32, v5
	v_sub_f32_e32 v16, v33, v16
	v_add_f32_e32 v24, v16, v5
	v_add_f32_e32 v26, v17, v24
	v_cvt_f32_i32_e32 v16, v30
	v_mul_f32_e32 v27, v26, v26
	v_sub_f32_e32 v17, v26, v17
	v_fmamk_f32 v5, v27, 0x3e9b6dac, v22
	v_sub_f32_e32 v17, v24, v17
	v_fmaak_f32 v5, v27, v5, 0x3f2aaada
	v_ldexp_f32 v28, v17, 1
	v_mul_f32_e32 v17, v26, v27
	v_ldexp_f32 v25, v26, 1
	v_pk_mul_f32 v[26:27], v[16:17], v[4:5]
	s_nop 0
	v_fma_f32 v24, v16, s40, -v26
	v_fmac_f32_e32 v24, 0xb102e308, v16
	v_pk_add_f32 v[16:17], v[26:27], v[24:25]
	s_nop 0
	v_sub_f32_e32 v5, v17, v25
	v_sub_f32_e32 v5, v27, v5
	v_add_f32_e32 v29, v28, v5
	v_mov_b32_e32 v28, v26
	v_pk_add_f32 v[26:27], v[16:17], v[26:27] neg_lo:[0,1] neg_hi:[0,1]
	v_pk_add_f32 v[30:31], v[16:17], v[28:29]
	v_mov_b32_e32 v25, v16
	v_mov_b32_e32 v27, v31
	v_pk_add_f32 v[32:33], v[24:25], v[26:27] neg_lo:[0,1] neg_hi:[0,1]
	v_pk_add_f32 v[24:25], v[24:25], v[26:27]
	v_mov_b32_e32 v28, v29
	v_pk_add_f32 v[26:27], v[24:25], v[16:17] op_sel:[1,0] op_sel_hi:[0,1] neg_lo:[0,1] neg_hi:[0,1]
	v_pk_add_f32 v[34:35], v[30:31], v[26:27] op_sel_hi:[1,0] neg_lo:[0,1] neg_hi:[0,1]
	v_mov_b32_e32 v30, v31
	v_mov_b32_e32 v31, v25
	v_pk_mov_b32 v[26:27], v[16:17], v[26:27] op_sel:[1,0]
	v_mov_b32_e32 v29, v16
	v_pk_add_f32 v[26:27], v[30:31], v[26:27] neg_lo:[0,1] neg_hi:[0,1]
	v_mov_b32_e32 v34, v32
	v_pk_add_f32 v[16:17], v[28:29], v[26:27] neg_lo:[0,1] neg_hi:[0,1]
	v_mov_b32_e32 v33, v25
	v_pk_add_f32 v[26:27], v[34:35], v[16:17]
	s_nop 0
	v_pk_add_f32 v[28:29], v[26:27], v[26:27] op_sel:[0,1] op_sel_hi:[1,0]
	s_nop 0
	v_pk_add_f32 v[24:25], v[24:25], v[28:29] op_sel:[1,0] op_sel_hi:[0,1]
	v_mov_b32_e32 v27, v24
	v_pk_add_f32 v[30:31], v[26:27], v[32:33] neg_lo:[0,1] neg_hi:[0,1]
	v_mov_b32_e32 v17, v28
	v_sub_f32_e32 v5, v26, v30
	v_pk_add_f32 v[16:17], v[16:17], v[30:31] neg_lo:[0,1] neg_hi:[0,1]
	v_sub_f32_e32 v5, v32, v5
	v_add_f32_e32 v5, v16, v5
	v_add_f32_e32 v5, v5, v17
	;; [unrolled: 1-line block ×3, first 2 shown]
	v_cndmask_b32_e32 v5, v23, v5, vcc
	v_cmp_lt_f32_e64 vcc, |v15|, s41
	s_nop 1
	v_cndmask_b32_e32 v5, v5, v15, vcc
	v_add_f32_e32 v15, v14, v5
.LBB171_45:                             ;   in Loop: Header=BB171_37 Depth=2
	s_or_b64 exec, exec, s[8:9]
	ds_write_b32 v18, v15
.LBB171_46:                             ;   in Loop: Header=BB171_37 Depth=2
	s_or_b64 exec, exec, s[28:29]
	v_mov_b32_e32 v5, 0
	s_mov_b64 s[28:29], 0
	s_waitcnt lgkmcnt(0)
	s_barrier
	s_branch .LBB171_49
.LBB171_47:                             ;   in Loop: Header=BB171_49 Depth=3
	s_or_b64 exec, exec, s[8:9]
	ds_write_b32 v14, v5
.LBB171_48:                             ;   in Loop: Header=BB171_49 Depth=3
	s_or_b64 exec, exec, s[30:31]
	v_cmp_eq_u32_e32 vcc, s22, v24
	s_or_b64 s[28:29], vcc, s[28:29]
	v_mov_b32_e32 v5, v24
	s_waitcnt lgkmcnt(0)
	s_barrier
	s_andn2_b64 exec, exec, s[28:29]
	s_cbranch_execz .LBB171_56
.LBB171_49:                             ;   Parent Loop BB171_34 Depth=1
                                        ;     Parent Loop BB171_37 Depth=2
                                        ; =>    This Inner Loop Header: Depth=3
	v_add_u32_e32 v24, 1, v5
	s_and_saveexec_b64 s[8:9], s[6:7]
	s_xor_b64 s[8:9], exec, s[8:9]
; %bb.50:                               ;   in Loop: Header=BB171_49 Depth=3
	v_add_u32_e32 v24, 1, v5
                                        ; implicit-def: $vgpr5
; %bb.51:                               ;   in Loop: Header=BB171_49 Depth=3
	s_andn2_saveexec_b64 s[30:31], s[8:9]
	s_cbranch_execz .LBB171_48
; %bb.52:                               ;   in Loop: Header=BB171_49 Depth=3
	v_lshlrev_b32_e64 v14, v5, 1
	v_ashrrev_i32_e32 v15, 31, v14
	v_cmp_ge_u64_e32 vcc, v[0:1], v[14:15]
	v_mov_b64_e32 v[16:17], v[0:1]
	s_and_saveexec_b64 s[8:9], vcc
	s_cbranch_execz .LBB171_54
; %bb.53:                               ;   in Loop: Header=BB171_49 Depth=3
	v_cvt_f32_u32_e32 v15, v14
	v_sub_u32_e32 v16, 0, v14
	v_rcp_iflag_f32_e32 v15, v15
	s_nop 0
	v_mul_f32_e32 v15, 0x4f7ffffe, v15
	v_cvt_u32_f32_e32 v15, v15
	v_mul_lo_u32 v16, v16, v15
	v_mul_hi_u32 v16, v15, v16
	v_add_u32_e32 v15, v15, v16
	v_mul_hi_u32 v15, v0, v15
	v_mul_lo_u32 v15, v15, v14
	v_sub_u32_e32 v15, v0, v15
	v_sub_u32_e32 v16, v15, v14
	v_cmp_ge_u32_e32 vcc, v15, v14
	s_nop 1
	v_cndmask_b32_e32 v15, v15, v16, vcc
	v_sub_u32_e32 v16, v15, v14
	v_cmp_ge_u32_e32 vcc, v15, v14
	s_nop 1
	v_cndmask_b32_e32 v16, v15, v16, vcc
.LBB171_54:                             ;   in Loop: Header=BB171_49 Depth=3
	s_or_b64 exec, exec, s[8:9]
	v_lshrrev_b32_e32 v5, v5, v0
	v_lshl_or_b32 v5, v5, v24, v14
	v_lshl_add_u32 v5, v5, 2, v18
	v_lshl_add_u32 v14, v16, 2, v5
	v_add_u32_e32 v5, -4, v5
	ds_read_b32 v15, v5
	ds_read_b32 v5, v14
	s_waitcnt lgkmcnt(1)
	v_max_f32_e32 v17, v15, v15
	s_waitcnt lgkmcnt(0)
	v_max_f32_e32 v25, v5, v5
	v_min_f32_e32 v16, v25, v17
	v_cmp_u_f32_e32 vcc, v5, v5
	v_max_f32_e32 v17, v25, v17
	v_cmp_u_f32_e64 s[8:9], v15, v15
	v_cndmask_b32_e32 v16, v16, v5, vcc
	v_cndmask_b32_e32 v17, v17, v5, vcc
	v_cndmask_b32_e64 v16, v16, v15, s[8:9]
	v_cndmask_b32_e64 v15, v17, v15, s[8:9]
	v_cmp_neq_f32_e32 vcc, v16, v15
	v_cmp_class_f32_e64 s[8:9], v16, s34
	s_or_b64 s[42:43], vcc, s[8:9]
	s_and_saveexec_b64 s[8:9], s[42:43]
	s_cbranch_execz .LBB171_47
; %bb.55:                               ;   in Loop: Header=BB171_49 Depth=3
	v_sub_f32_e32 v5, v16, v15
	v_mul_f32_e32 v16, 0x3fb8aa3b, v5
	v_fma_f32 v17, v5, s35, -v16
	v_rndne_f32_e32 v25, v16
	v_fmac_f32_e32 v17, 0x32a5705f, v5
	v_sub_f32_e32 v16, v16, v25
	v_add_f32_e32 v16, v16, v17
	v_cvt_i32_f32_e32 v17, v25
	v_exp_f32_e32 v16, v16
	v_cmp_ngt_f32_e32 vcc, s36, v5
	v_ldexp_f32 v16, v16, v17
	s_nop 0
	v_cndmask_b32_e32 v16, 0, v16, vcc
	v_cmp_nlt_f32_e32 vcc, s37, v5
	s_nop 1
	v_cndmask_b32_e32 v25, v23, v16, vcc
	v_add_f32_e32 v5, 1.0, v25
	v_add_f32_e32 v16, -1.0, v5
	v_sub_f32_e32 v17, v16, v5
	v_add_f32_e32 v17, 1.0, v17
	v_sub_f32_e32 v16, v25, v16
	v_add_f32_e32 v26, v16, v17
	v_frexp_mant_f32_e32 v27, v5
	v_cvt_f64_f32_e32 v[16:17], v5
	v_frexp_exp_i32_f64_e32 v16, v[16:17]
	v_cmp_gt_f32_e32 vcc, s39, v27
	s_nop 1
	v_subbrev_co_u32_e32 v32, vcc, 0, v16, vcc
	v_sub_u32_e32 v16, 0, v32
	v_ldexp_f32 v5, v5, v16
	v_ldexp_f32 v16, v26, v16
	v_add_f32_e32 v26, -1.0, v5
	v_add_f32_e32 v17, 1.0, v26
	v_sub_f32_e32 v17, v5, v17
	v_add_f32_e32 v27, v16, v17
	v_add_f32_e32 v17, 1.0, v5
	v_add_f32_e32 v28, -1.0, v17
	v_sub_f32_e32 v5, v5, v28
	v_add_f32_e32 v5, v16, v5
	v_add_f32_e32 v33, v17, v5
	v_rcp_f32_e32 v34, v33
	v_sub_f32_e32 v16, v17, v33
	v_add_f32_e32 v17, v26, v27
	v_add_f32_e32 v5, v5, v16
	v_mul_f32_e32 v36, v17, v34
	v_sub_f32_e32 v16, v26, v17
	v_mul_f32_e32 v26, v33, v36
	v_fma_f32 v28, v36, v33, -v26
	v_fmac_f32_e32 v28, v36, v5
	v_add_f32_e32 v35, v27, v16
	v_add_f32_e32 v16, v26, v28
	v_sub_f32_e32 v27, v17, v16
	v_pk_add_f32 v[30:31], v[16:17], v[26:27] neg_lo:[0,1] neg_hi:[0,1]
	v_mov_b32_e32 v29, v16
	v_pk_add_f32 v[16:17], v[30:31], v[28:29] neg_lo:[0,1] neg_hi:[0,1]
	v_cmp_neq_f32_e32 vcc, s38, v25
	v_add_f32_e32 v17, v35, v17
	v_add_f32_e32 v16, v16, v17
	;; [unrolled: 1-line block ×3, first 2 shown]
	v_mul_f32_e32 v35, v34, v17
	v_mul_f32_e32 v26, v33, v35
	v_fma_f32 v28, v35, v33, -v26
	v_fmac_f32_e32 v28, v35, v5
	v_sub_f32_e32 v5, v27, v17
	v_add_f32_e32 v5, v16, v5
	v_add_f32_e32 v16, v26, v28
	v_sub_f32_e32 v27, v17, v16
	v_pk_add_f32 v[30:31], v[16:17], v[26:27] neg_lo:[0,1] neg_hi:[0,1]
	v_mov_b32_e32 v29, v16
	v_pk_add_f32 v[16:17], v[30:31], v[28:29] neg_lo:[0,1] neg_hi:[0,1]
	s_nop 0
	v_add_f32_e32 v5, v5, v17
	v_add_f32_e32 v5, v16, v5
	;; [unrolled: 1-line block ×4, first 2 shown]
	v_sub_f32_e32 v16, v17, v36
	v_mul_f32_e32 v5, v34, v5
	v_sub_f32_e32 v16, v35, v16
	v_add_f32_e32 v26, v16, v5
	v_add_f32_e32 v28, v17, v26
	v_cvt_f32_i32_e32 v16, v32
	v_mul_f32_e32 v29, v28, v28
	v_sub_f32_e32 v17, v28, v17
	v_fmamk_f32 v5, v29, 0x3e9b6dac, v22
	v_sub_f32_e32 v17, v26, v17
	v_fmaak_f32 v5, v29, v5, 0x3f2aaada
	v_ldexp_f32 v30, v17, 1
	v_mul_f32_e32 v17, v28, v29
	v_ldexp_f32 v27, v28, 1
	v_pk_mul_f32 v[28:29], v[16:17], v[4:5]
	s_nop 0
	v_fma_f32 v26, v16, s40, -v28
	v_fmac_f32_e32 v26, 0xb102e308, v16
	v_pk_add_f32 v[16:17], v[28:29], v[26:27]
	s_nop 0
	v_sub_f32_e32 v5, v17, v27
	v_sub_f32_e32 v5, v29, v5
	v_add_f32_e32 v31, v30, v5
	v_mov_b32_e32 v30, v28
	v_pk_add_f32 v[28:29], v[16:17], v[28:29] neg_lo:[0,1] neg_hi:[0,1]
	v_pk_add_f32 v[32:33], v[16:17], v[30:31]
	v_mov_b32_e32 v27, v16
	v_mov_b32_e32 v29, v33
	v_pk_add_f32 v[34:35], v[26:27], v[28:29] neg_lo:[0,1] neg_hi:[0,1]
	v_pk_add_f32 v[26:27], v[26:27], v[28:29]
	v_mov_b32_e32 v30, v31
	v_pk_add_f32 v[28:29], v[26:27], v[16:17] op_sel:[1,0] op_sel_hi:[0,1] neg_lo:[0,1] neg_hi:[0,1]
	v_pk_add_f32 v[36:37], v[32:33], v[28:29] op_sel_hi:[1,0] neg_lo:[0,1] neg_hi:[0,1]
	v_mov_b32_e32 v32, v33
	v_mov_b32_e32 v33, v27
	v_pk_mov_b32 v[28:29], v[16:17], v[28:29] op_sel:[1,0]
	v_mov_b32_e32 v31, v16
	v_pk_add_f32 v[28:29], v[32:33], v[28:29] neg_lo:[0,1] neg_hi:[0,1]
	v_mov_b32_e32 v36, v34
	v_pk_add_f32 v[16:17], v[30:31], v[28:29] neg_lo:[0,1] neg_hi:[0,1]
	v_mov_b32_e32 v35, v27
	v_pk_add_f32 v[28:29], v[36:37], v[16:17]
	s_nop 0
	v_pk_add_f32 v[30:31], v[28:29], v[28:29] op_sel:[0,1] op_sel_hi:[1,0]
	s_nop 0
	v_pk_add_f32 v[26:27], v[26:27], v[30:31] op_sel:[1,0] op_sel_hi:[0,1]
	v_mov_b32_e32 v29, v26
	v_pk_add_f32 v[32:33], v[28:29], v[34:35] neg_lo:[0,1] neg_hi:[0,1]
	v_mov_b32_e32 v17, v30
	v_sub_f32_e32 v5, v28, v32
	v_pk_add_f32 v[16:17], v[16:17], v[32:33] neg_lo:[0,1] neg_hi:[0,1]
	v_sub_f32_e32 v5, v34, v5
	v_add_f32_e32 v5, v16, v5
	v_add_f32_e32 v5, v5, v17
	;; [unrolled: 1-line block ×3, first 2 shown]
	v_cndmask_b32_e32 v5, v23, v5, vcc
	v_cmp_lt_f32_e64 vcc, |v25|, s41
	s_nop 1
	v_cndmask_b32_e32 v5, v5, v25, vcc
	v_add_f32_e32 v5, v15, v5
	s_branch .LBB171_47
.LBB171_56:                             ;   in Loop: Header=BB171_37 Depth=2
	s_or_b64 exec, exec, s[28:29]
	s_and_saveexec_b64 s[8:9], s[4:5]
	s_cbranch_execz .LBB171_36
; %bb.57:                               ;   in Loop: Header=BB171_37 Depth=2
	v_cmp_gt_u64_e32 vcc, s[24:25], v[12:13]
	s_and_saveexec_b64 s[28:29], vcc
	s_cbranch_execz .LBB171_59
; %bb.58:                               ;   in Loop: Header=BB171_37 Depth=2
	ds_read_b32 v5, v19
	v_lshl_add_u64 v[12:13], v[12:13], 2, v[8:9]
	s_waitcnt lgkmcnt(0)
	global_store_dword v[12:13], v5, off
.LBB171_59:                             ;   in Loop: Header=BB171_37 Depth=2
	s_or_b64 exec, exec, s[28:29]
	v_cmp_gt_u64_e32 vcc, s[24:25], v[10:11]
	s_and_b64 exec, exec, vcc
	s_cbranch_execz .LBB171_36
; %bb.60:                               ;   in Loop: Header=BB171_37 Depth=2
	ds_read_b32 v5, v20
	v_lshl_add_u64 v[10:11], v[10:11], 2, v[8:9]
	s_waitcnt lgkmcnt(0)
	global_store_dword v[10:11], v5, off
	s_branch .LBB171_36
.LBB171_61:
	s_endpgm
	.section	.rodata,"a",@progbits
	.p2align	6, 0x0
	.amdhsa_kernel _ZN2at6native32tensor_kernel_scan_innermost_dimIfZZZNS0_31launch_logcumsumexp_cuda_kernelERKNS_10TensorBaseES4_lENKUlvE_clEvENKUlvE0_clEvEUlffE_EEvPT_PKS8_jjjS8_T0_
		.amdhsa_group_segment_fixed_size 0
		.amdhsa_private_segment_fixed_size 0
		.amdhsa_kernarg_size 296
		.amdhsa_user_sgpr_count 2
		.amdhsa_user_sgpr_dispatch_ptr 0
		.amdhsa_user_sgpr_queue_ptr 0
		.amdhsa_user_sgpr_kernarg_segment_ptr 1
		.amdhsa_user_sgpr_dispatch_id 0
		.amdhsa_user_sgpr_kernarg_preload_length 0
		.amdhsa_user_sgpr_kernarg_preload_offset 0
		.amdhsa_user_sgpr_private_segment_size 0
		.amdhsa_uses_dynamic_stack 0
		.amdhsa_enable_private_segment 0
		.amdhsa_system_sgpr_workgroup_id_x 1
		.amdhsa_system_sgpr_workgroup_id_y 0
		.amdhsa_system_sgpr_workgroup_id_z 0
		.amdhsa_system_sgpr_workgroup_info 0
		.amdhsa_system_vgpr_workitem_id 1
		.amdhsa_next_free_vgpr 38
		.amdhsa_next_free_sgpr 44
		.amdhsa_accum_offset 40
		.amdhsa_reserve_vcc 1
		.amdhsa_float_round_mode_32 0
		.amdhsa_float_round_mode_16_64 0
		.amdhsa_float_denorm_mode_32 3
		.amdhsa_float_denorm_mode_16_64 3
		.amdhsa_dx10_clamp 1
		.amdhsa_ieee_mode 1
		.amdhsa_fp16_overflow 0
		.amdhsa_tg_split 0
		.amdhsa_exception_fp_ieee_invalid_op 0
		.amdhsa_exception_fp_denorm_src 0
		.amdhsa_exception_fp_ieee_div_zero 0
		.amdhsa_exception_fp_ieee_overflow 0
		.amdhsa_exception_fp_ieee_underflow 0
		.amdhsa_exception_fp_ieee_inexact 0
		.amdhsa_exception_int_div_zero 0
	.end_amdhsa_kernel
	.section	.text._ZN2at6native32tensor_kernel_scan_innermost_dimIfZZZNS0_31launch_logcumsumexp_cuda_kernelERKNS_10TensorBaseES4_lENKUlvE_clEvENKUlvE0_clEvEUlffE_EEvPT_PKS8_jjjS8_T0_,"axG",@progbits,_ZN2at6native32tensor_kernel_scan_innermost_dimIfZZZNS0_31launch_logcumsumexp_cuda_kernelERKNS_10TensorBaseES4_lENKUlvE_clEvENKUlvE0_clEvEUlffE_EEvPT_PKS8_jjjS8_T0_,comdat
.Lfunc_end171:
	.size	_ZN2at6native32tensor_kernel_scan_innermost_dimIfZZZNS0_31launch_logcumsumexp_cuda_kernelERKNS_10TensorBaseES4_lENKUlvE_clEvENKUlvE0_clEvEUlffE_EEvPT_PKS8_jjjS8_T0_, .Lfunc_end171-_ZN2at6native32tensor_kernel_scan_innermost_dimIfZZZNS0_31launch_logcumsumexp_cuda_kernelERKNS_10TensorBaseES4_lENKUlvE_clEvENKUlvE0_clEvEUlffE_EEvPT_PKS8_jjjS8_T0_
                                        ; -- End function
	.set _ZN2at6native32tensor_kernel_scan_innermost_dimIfZZZNS0_31launch_logcumsumexp_cuda_kernelERKNS_10TensorBaseES4_lENKUlvE_clEvENKUlvE0_clEvEUlffE_EEvPT_PKS8_jjjS8_T0_.num_vgpr, 38
	.set _ZN2at6native32tensor_kernel_scan_innermost_dimIfZZZNS0_31launch_logcumsumexp_cuda_kernelERKNS_10TensorBaseES4_lENKUlvE_clEvENKUlvE0_clEvEUlffE_EEvPT_PKS8_jjjS8_T0_.num_agpr, 0
	.set _ZN2at6native32tensor_kernel_scan_innermost_dimIfZZZNS0_31launch_logcumsumexp_cuda_kernelERKNS_10TensorBaseES4_lENKUlvE_clEvENKUlvE0_clEvEUlffE_EEvPT_PKS8_jjjS8_T0_.numbered_sgpr, 44
	.set _ZN2at6native32tensor_kernel_scan_innermost_dimIfZZZNS0_31launch_logcumsumexp_cuda_kernelERKNS_10TensorBaseES4_lENKUlvE_clEvENKUlvE0_clEvEUlffE_EEvPT_PKS8_jjjS8_T0_.num_named_barrier, 0
	.set _ZN2at6native32tensor_kernel_scan_innermost_dimIfZZZNS0_31launch_logcumsumexp_cuda_kernelERKNS_10TensorBaseES4_lENKUlvE_clEvENKUlvE0_clEvEUlffE_EEvPT_PKS8_jjjS8_T0_.private_seg_size, 0
	.set _ZN2at6native32tensor_kernel_scan_innermost_dimIfZZZNS0_31launch_logcumsumexp_cuda_kernelERKNS_10TensorBaseES4_lENKUlvE_clEvENKUlvE0_clEvEUlffE_EEvPT_PKS8_jjjS8_T0_.uses_vcc, 1
	.set _ZN2at6native32tensor_kernel_scan_innermost_dimIfZZZNS0_31launch_logcumsumexp_cuda_kernelERKNS_10TensorBaseES4_lENKUlvE_clEvENKUlvE0_clEvEUlffE_EEvPT_PKS8_jjjS8_T0_.uses_flat_scratch, 0
	.set _ZN2at6native32tensor_kernel_scan_innermost_dimIfZZZNS0_31launch_logcumsumexp_cuda_kernelERKNS_10TensorBaseES4_lENKUlvE_clEvENKUlvE0_clEvEUlffE_EEvPT_PKS8_jjjS8_T0_.has_dyn_sized_stack, 0
	.set _ZN2at6native32tensor_kernel_scan_innermost_dimIfZZZNS0_31launch_logcumsumexp_cuda_kernelERKNS_10TensorBaseES4_lENKUlvE_clEvENKUlvE0_clEvEUlffE_EEvPT_PKS8_jjjS8_T0_.has_recursion, 0
	.set _ZN2at6native32tensor_kernel_scan_innermost_dimIfZZZNS0_31launch_logcumsumexp_cuda_kernelERKNS_10TensorBaseES4_lENKUlvE_clEvENKUlvE0_clEvEUlffE_EEvPT_PKS8_jjjS8_T0_.has_indirect_call, 0
	.section	.AMDGPU.csdata,"",@progbits
; Kernel info:
; codeLenInByte = 4936
; TotalNumSgprs: 50
; NumVgprs: 38
; NumAgprs: 0
; TotalNumVgprs: 38
; ScratchSize: 0
; MemoryBound: 0
; FloatMode: 240
; IeeeMode: 1
; LDSByteSize: 0 bytes/workgroup (compile time only)
; SGPRBlocks: 6
; VGPRBlocks: 4
; NumSGPRsForWavesPerEU: 50
; NumVGPRsForWavesPerEU: 38
; AccumOffset: 40
; Occupancy: 8
; WaveLimiterHint : 0
; COMPUTE_PGM_RSRC2:SCRATCH_EN: 0
; COMPUTE_PGM_RSRC2:USER_SGPR: 2
; COMPUTE_PGM_RSRC2:TRAP_HANDLER: 0
; COMPUTE_PGM_RSRC2:TGID_X_EN: 1
; COMPUTE_PGM_RSRC2:TGID_Y_EN: 0
; COMPUTE_PGM_RSRC2:TGID_Z_EN: 0
; COMPUTE_PGM_RSRC2:TIDIG_COMP_CNT: 1
; COMPUTE_PGM_RSRC3_GFX90A:ACCUM_OFFSET: 9
; COMPUTE_PGM_RSRC3_GFX90A:TG_SPLIT: 0
	.section	.text._ZN2at6native28tensor_kernel_scan_outer_dimIfjZZZNS0_31launch_logcumsumexp_cuda_kernelERKNS_10TensorBaseES4_lENKUlvE_clEvENKUlvE0_clEvEUlffE_EEvPT_PKS8_jjjS8_T1_,"axG",@progbits,_ZN2at6native28tensor_kernel_scan_outer_dimIfjZZZNS0_31launch_logcumsumexp_cuda_kernelERKNS_10TensorBaseES4_lENKUlvE_clEvENKUlvE0_clEvEUlffE_EEvPT_PKS8_jjjS8_T1_,comdat
	.globl	_ZN2at6native28tensor_kernel_scan_outer_dimIfjZZZNS0_31launch_logcumsumexp_cuda_kernelERKNS_10TensorBaseES4_lENKUlvE_clEvENKUlvE0_clEvEUlffE_EEvPT_PKS8_jjjS8_T1_ ; -- Begin function _ZN2at6native28tensor_kernel_scan_outer_dimIfjZZZNS0_31launch_logcumsumexp_cuda_kernelERKNS_10TensorBaseES4_lENKUlvE_clEvENKUlvE0_clEvEUlffE_EEvPT_PKS8_jjjS8_T1_
	.p2align	8
	.type	_ZN2at6native28tensor_kernel_scan_outer_dimIfjZZZNS0_31launch_logcumsumexp_cuda_kernelERKNS_10TensorBaseES4_lENKUlvE_clEvENKUlvE0_clEvEUlffE_EEvPT_PKS8_jjjS8_T1_,@function
_ZN2at6native28tensor_kernel_scan_outer_dimIfjZZZNS0_31launch_logcumsumexp_cuda_kernelERKNS_10TensorBaseES4_lENKUlvE_clEvENKUlvE0_clEvEUlffE_EEvPT_PKS8_jjjS8_T1_: ; @_ZN2at6native28tensor_kernel_scan_outer_dimIfjZZZNS0_31launch_logcumsumexp_cuda_kernelERKNS_10TensorBaseES4_lENKUlvE_clEvENKUlvE0_clEvEUlffE_EEvPT_PKS8_jjjS8_T1_
; %bb.0:
	s_load_dwordx4 s[8:11], s[0:1], 0x10
	s_waitcnt lgkmcnt(0)
	s_cmp_ge_u32 s2, s8
	s_cbranch_scc1 .LBB172_11
; %bb.1:
	s_load_dword s4, s[0:1], 0x34
	s_load_dwordx4 s[12:15], s[0:1], 0x0
	s_load_dword s28, s[0:1], 0x28
	s_add_u32 s6, s0, 40
	s_addc_u32 s7, s1, 0
	s_waitcnt lgkmcnt(0)
	s_and_b32 s29, s4, 0xffff
	s_mul_i32 s3, s3, s29
	s_cmp_lg_u32 s10, 0
	v_add_u32_e32 v6, s3, v0
	s_cselect_b64 s[4:5], -1, 0
	s_mul_i32 s3, s2, s10
	s_mov_b32 s17, 0
	s_mov_b32 s16, s9
	s_mul_i32 s20, s3, s9
	s_mul_i32 s3, s28, s10
	v_cndmask_b32_e64 v0, 0, 1, s[4:5]
	v_cmp_gt_u32_e64 s[0:1], s9, v6
	s_mul_i32 s3, s3, s9
	s_lshl_b64 s[18:19], s[16:17], 2
	v_cmp_ne_u32_e64 s[4:5], 1, v0
	v_mov_b32_e32 v1, 0
	s_movk_i32 s30, 0x1f8
	s_mov_b32 s31, 0x3fb8aa3b
	s_mov_b32 s33, 0xc2ce8ed0
	;; [unrolled: 1-line block ×5, first 2 shown]
	v_mov_b32_e32 v7, 0x3ecc95a3
	s_mov_b32 s37, 0x3f317218
	s_mov_b32 s38, 0x33800000
	v_mov_b32_e32 v8, 0x7f800000
	v_mov_b32_e32 v2, 0x3f317218
	s_mov_b32 s16, s20
                                        ; implicit-def: $vgpr0
	s_branch .LBB172_3
.LBB172_2:                              ;   in Loop: Header=BB172_3 Depth=1
	s_or_b64 exec, exec, s[20:21]
	s_add_i32 s2, s28, s2
	s_add_i32 s16, s16, s3
	s_cmp_ge_u32 s2, s8
	s_cbranch_scc1 .LBB172_11
.LBB172_3:                              ; =>This Loop Header: Depth=1
                                        ;     Child Loop BB172_6 Depth 2
                                        ;       Child Loop BB172_9 Depth 3
	s_and_saveexec_b64 s[20:21], s[0:1]
	s_cbranch_execz .LBB172_2
; %bb.4:                                ;   in Loop: Header=BB172_3 Depth=1
	s_load_dword s39, s[6:7], 0x4
	s_lshl_b64 s[22:23], s[16:17], 2
	s_mov_b64 s[24:25], 0
	v_mov_b32_e32 v0, v6
	s_waitcnt lgkmcnt(0)
	s_mul_i32 s39, s39, s29
	s_branch .LBB172_6
.LBB172_5:                              ;   in Loop: Header=BB172_6 Depth=2
	v_add_u32_e32 v0, s39, v0
	v_cmp_le_u32_e32 vcc, s9, v0
	s_or_b64 s[24:25], vcc, s[24:25]
	s_andn2_b64 exec, exec, s[24:25]
	s_cbranch_execz .LBB172_2
.LBB172_6:                              ;   Parent Loop BB172_3 Depth=1
                                        ; =>  This Loop Header: Depth=2
                                        ;       Child Loop BB172_9 Depth 3
	s_and_b64 vcc, exec, s[4:5]
	s_cbranch_vccnz .LBB172_5
; %bb.7:                                ;   in Loop: Header=BB172_6 Depth=2
	v_lshl_add_u64 v[4:5], v[0:1], 2, s[22:23]
	v_mov_b32_e32 v3, s11
	s_mov_b32 s40, s10
	s_branch .LBB172_9
.LBB172_8:                              ;   in Loop: Header=BB172_9 Depth=3
	s_or_b64 exec, exec, s[26:27]
	s_add_i32 s40, s40, -1
	v_lshl_add_u64 v[10:11], s[12:13], 0, v[4:5]
	s_cmp_eq_u32 s40, 0
	v_lshl_add_u64 v[4:5], v[4:5], 0, s[18:19]
	global_store_dword v[10:11], v3, off
	s_cbranch_scc1 .LBB172_5
.LBB172_9:                              ;   Parent Loop BB172_3 Depth=1
                                        ;     Parent Loop BB172_6 Depth=2
                                        ; =>    This Inner Loop Header: Depth=3
	v_lshl_add_u64 v[10:11], s[14:15], 0, v[4:5]
	global_load_dword v9, v[10:11], off
	v_max_f32_e32 v10, v3, v3
	v_cmp_u_f32_e32 vcc, v3, v3
	s_waitcnt vmcnt(0)
	v_max_f32_e32 v11, v9, v9
	v_min_f32_e32 v12, v10, v11
	v_max_f32_e32 v10, v10, v11
	v_cndmask_b32_e32 v11, v12, v3, vcc
	v_cndmask_b32_e32 v12, v10, v3, vcc
	v_cmp_u_f32_e32 vcc, v9, v9
	s_nop 1
	v_cndmask_b32_e32 v10, v11, v9, vcc
	v_cndmask_b32_e32 v9, v12, v9, vcc
	v_cmp_neq_f32_e32 vcc, v10, v9
	v_cmp_class_f32_e64 s[26:27], v10, s30
	s_or_b64 s[42:43], vcc, s[26:27]
	s_and_saveexec_b64 s[26:27], s[42:43]
	s_cbranch_execz .LBB172_8
; %bb.10:                               ;   in Loop: Header=BB172_9 Depth=3
	v_sub_f32_e32 v3, v10, v9
	v_mul_f32_e32 v10, 0x3fb8aa3b, v3
	v_fma_f32 v11, v3, s31, -v10
	v_rndne_f32_e32 v12, v10
	v_fmac_f32_e32 v11, 0x32a5705f, v3
	v_sub_f32_e32 v10, v10, v12
	v_add_f32_e32 v10, v10, v11
	v_cvt_i32_f32_e32 v11, v12
	v_exp_f32_e32 v10, v10
	v_cmp_ngt_f32_e32 vcc, s33, v3
	v_ldexp_f32 v10, v10, v11
	s_nop 0
	v_cndmask_b32_e32 v10, 0, v10, vcc
	v_cmp_nlt_f32_e32 vcc, s34, v3
	s_nop 1
	v_cndmask_b32_e32 v24, v8, v10, vcc
	v_add_f32_e32 v3, 1.0, v24
	v_add_f32_e32 v10, -1.0, v3
	v_sub_f32_e32 v11, v10, v3
	v_add_f32_e32 v11, 1.0, v11
	v_sub_f32_e32 v10, v24, v10
	v_add_f32_e32 v12, v10, v11
	v_frexp_mant_f32_e32 v13, v3
	v_cvt_f64_f32_e32 v[10:11], v3
	v_frexp_exp_i32_f64_e32 v10, v[10:11]
	v_cmp_gt_f32_e32 vcc, s36, v13
	s_nop 1
	v_subbrev_co_u32_e32 v18, vcc, 0, v10, vcc
	v_sub_u32_e32 v10, 0, v18
	v_ldexp_f32 v3, v3, v10
	v_ldexp_f32 v10, v12, v10
	v_add_f32_e32 v12, -1.0, v3
	v_add_f32_e32 v11, 1.0, v12
	v_sub_f32_e32 v11, v3, v11
	v_add_f32_e32 v13, v10, v11
	v_add_f32_e32 v11, 1.0, v3
	v_add_f32_e32 v14, -1.0, v11
	v_sub_f32_e32 v3, v3, v14
	v_add_f32_e32 v3, v10, v3
	v_add_f32_e32 v19, v11, v3
	v_rcp_f32_e32 v20, v19
	v_sub_f32_e32 v10, v11, v19
	v_add_f32_e32 v11, v12, v13
	v_add_f32_e32 v3, v3, v10
	v_mul_f32_e32 v22, v11, v20
	v_sub_f32_e32 v10, v12, v11
	v_mul_f32_e32 v12, v19, v22
	v_fma_f32 v14, v22, v19, -v12
	v_fmac_f32_e32 v14, v22, v3
	v_add_f32_e32 v21, v13, v10
	v_add_f32_e32 v10, v12, v14
	v_sub_f32_e32 v13, v11, v10
	v_pk_add_f32 v[16:17], v[10:11], v[12:13] neg_lo:[0,1] neg_hi:[0,1]
	v_mov_b32_e32 v15, v10
	v_pk_add_f32 v[10:11], v[16:17], v[14:15] neg_lo:[0,1] neg_hi:[0,1]
	v_cmp_neq_f32_e32 vcc, s35, v24
	v_add_f32_e32 v11, v21, v11
	v_add_f32_e32 v10, v10, v11
	;; [unrolled: 1-line block ×3, first 2 shown]
	v_mul_f32_e32 v21, v20, v11
	v_mul_f32_e32 v12, v19, v21
	v_fma_f32 v14, v21, v19, -v12
	v_fmac_f32_e32 v14, v21, v3
	v_sub_f32_e32 v3, v13, v11
	v_add_f32_e32 v3, v10, v3
	v_add_f32_e32 v10, v12, v14
	v_sub_f32_e32 v13, v11, v10
	v_pk_add_f32 v[16:17], v[10:11], v[12:13] neg_lo:[0,1] neg_hi:[0,1]
	v_mov_b32_e32 v15, v10
	v_pk_add_f32 v[10:11], v[16:17], v[14:15] neg_lo:[0,1] neg_hi:[0,1]
	s_nop 0
	v_add_f32_e32 v3, v3, v11
	v_add_f32_e32 v3, v10, v3
	;; [unrolled: 1-line block ×4, first 2 shown]
	v_sub_f32_e32 v10, v11, v22
	v_mul_f32_e32 v3, v20, v3
	v_sub_f32_e32 v10, v21, v10
	v_add_f32_e32 v12, v10, v3
	v_add_f32_e32 v14, v11, v12
	v_cvt_f32_i32_e32 v10, v18
	v_mul_f32_e32 v15, v14, v14
	v_sub_f32_e32 v11, v14, v11
	v_fmamk_f32 v3, v15, 0x3e9b6dac, v7
	v_sub_f32_e32 v11, v12, v11
	v_fmaak_f32 v3, v15, v3, 0x3f2aaada
	v_ldexp_f32 v16, v11, 1
	v_mul_f32_e32 v11, v14, v15
	v_ldexp_f32 v13, v14, 1
	v_pk_mul_f32 v[14:15], v[10:11], v[2:3]
	s_nop 0
	v_fma_f32 v12, v10, s37, -v14
	v_fmac_f32_e32 v12, 0xb102e308, v10
	v_pk_add_f32 v[10:11], v[14:15], v[12:13]
	s_nop 0
	v_sub_f32_e32 v3, v11, v13
	v_sub_f32_e32 v3, v15, v3
	v_add_f32_e32 v17, v16, v3
	v_mov_b32_e32 v16, v14
	v_pk_add_f32 v[14:15], v[10:11], v[14:15] neg_lo:[0,1] neg_hi:[0,1]
	v_pk_add_f32 v[18:19], v[10:11], v[16:17]
	v_mov_b32_e32 v13, v10
	v_mov_b32_e32 v15, v19
	v_pk_add_f32 v[20:21], v[12:13], v[14:15] neg_lo:[0,1] neg_hi:[0,1]
	v_pk_add_f32 v[12:13], v[12:13], v[14:15]
	v_mov_b32_e32 v16, v17
	v_pk_add_f32 v[14:15], v[12:13], v[10:11] op_sel:[1,0] op_sel_hi:[0,1] neg_lo:[0,1] neg_hi:[0,1]
	v_pk_add_f32 v[22:23], v[18:19], v[14:15] op_sel_hi:[1,0] neg_lo:[0,1] neg_hi:[0,1]
	v_mov_b32_e32 v18, v19
	v_mov_b32_e32 v19, v13
	v_pk_mov_b32 v[14:15], v[10:11], v[14:15] op_sel:[1,0]
	v_mov_b32_e32 v17, v10
	v_pk_add_f32 v[14:15], v[18:19], v[14:15] neg_lo:[0,1] neg_hi:[0,1]
	v_mov_b32_e32 v22, v20
	v_pk_add_f32 v[10:11], v[16:17], v[14:15] neg_lo:[0,1] neg_hi:[0,1]
	v_mov_b32_e32 v21, v13
	v_pk_add_f32 v[14:15], v[22:23], v[10:11]
	s_nop 0
	v_pk_add_f32 v[16:17], v[14:15], v[14:15] op_sel:[0,1] op_sel_hi:[1,0]
	s_nop 0
	v_pk_add_f32 v[12:13], v[12:13], v[16:17] op_sel:[1,0] op_sel_hi:[0,1]
	v_mov_b32_e32 v15, v12
	v_pk_add_f32 v[18:19], v[14:15], v[20:21] neg_lo:[0,1] neg_hi:[0,1]
	v_mov_b32_e32 v11, v16
	v_sub_f32_e32 v3, v14, v18
	v_pk_add_f32 v[10:11], v[10:11], v[18:19] neg_lo:[0,1] neg_hi:[0,1]
	v_sub_f32_e32 v3, v20, v3
	v_add_f32_e32 v3, v10, v3
	v_add_f32_e32 v3, v3, v11
	;; [unrolled: 1-line block ×3, first 2 shown]
	v_cndmask_b32_e32 v3, v8, v3, vcc
	v_cmp_lt_f32_e64 vcc, |v24|, s38
	s_nop 1
	v_cndmask_b32_e32 v3, v3, v24, vcc
	v_add_f32_e32 v3, v9, v3
	s_branch .LBB172_8
.LBB172_11:
	s_endpgm
	.section	.rodata,"a",@progbits
	.p2align	6, 0x0
	.amdhsa_kernel _ZN2at6native28tensor_kernel_scan_outer_dimIfjZZZNS0_31launch_logcumsumexp_cuda_kernelERKNS_10TensorBaseES4_lENKUlvE_clEvENKUlvE0_clEvEUlffE_EEvPT_PKS8_jjjS8_T1_
		.amdhsa_group_segment_fixed_size 0
		.amdhsa_private_segment_fixed_size 0
		.amdhsa_kernarg_size 296
		.amdhsa_user_sgpr_count 2
		.amdhsa_user_sgpr_dispatch_ptr 0
		.amdhsa_user_sgpr_queue_ptr 0
		.amdhsa_user_sgpr_kernarg_segment_ptr 1
		.amdhsa_user_sgpr_dispatch_id 0
		.amdhsa_user_sgpr_kernarg_preload_length 0
		.amdhsa_user_sgpr_kernarg_preload_offset 0
		.amdhsa_user_sgpr_private_segment_size 0
		.amdhsa_uses_dynamic_stack 0
		.amdhsa_enable_private_segment 0
		.amdhsa_system_sgpr_workgroup_id_x 1
		.amdhsa_system_sgpr_workgroup_id_y 1
		.amdhsa_system_sgpr_workgroup_id_z 0
		.amdhsa_system_sgpr_workgroup_info 0
		.amdhsa_system_vgpr_workitem_id 0
		.amdhsa_next_free_vgpr 25
		.amdhsa_next_free_sgpr 44
		.amdhsa_accum_offset 28
		.amdhsa_reserve_vcc 1
		.amdhsa_float_round_mode_32 0
		.amdhsa_float_round_mode_16_64 0
		.amdhsa_float_denorm_mode_32 3
		.amdhsa_float_denorm_mode_16_64 3
		.amdhsa_dx10_clamp 1
		.amdhsa_ieee_mode 1
		.amdhsa_fp16_overflow 0
		.amdhsa_tg_split 0
		.amdhsa_exception_fp_ieee_invalid_op 0
		.amdhsa_exception_fp_denorm_src 0
		.amdhsa_exception_fp_ieee_div_zero 0
		.amdhsa_exception_fp_ieee_overflow 0
		.amdhsa_exception_fp_ieee_underflow 0
		.amdhsa_exception_fp_ieee_inexact 0
		.amdhsa_exception_int_div_zero 0
	.end_amdhsa_kernel
	.section	.text._ZN2at6native28tensor_kernel_scan_outer_dimIfjZZZNS0_31launch_logcumsumexp_cuda_kernelERKNS_10TensorBaseES4_lENKUlvE_clEvENKUlvE0_clEvEUlffE_EEvPT_PKS8_jjjS8_T1_,"axG",@progbits,_ZN2at6native28tensor_kernel_scan_outer_dimIfjZZZNS0_31launch_logcumsumexp_cuda_kernelERKNS_10TensorBaseES4_lENKUlvE_clEvENKUlvE0_clEvEUlffE_EEvPT_PKS8_jjjS8_T1_,comdat
.Lfunc_end172:
	.size	_ZN2at6native28tensor_kernel_scan_outer_dimIfjZZZNS0_31launch_logcumsumexp_cuda_kernelERKNS_10TensorBaseES4_lENKUlvE_clEvENKUlvE0_clEvEUlffE_EEvPT_PKS8_jjjS8_T1_, .Lfunc_end172-_ZN2at6native28tensor_kernel_scan_outer_dimIfjZZZNS0_31launch_logcumsumexp_cuda_kernelERKNS_10TensorBaseES4_lENKUlvE_clEvENKUlvE0_clEvEUlffE_EEvPT_PKS8_jjjS8_T1_
                                        ; -- End function
	.set _ZN2at6native28tensor_kernel_scan_outer_dimIfjZZZNS0_31launch_logcumsumexp_cuda_kernelERKNS_10TensorBaseES4_lENKUlvE_clEvENKUlvE0_clEvEUlffE_EEvPT_PKS8_jjjS8_T1_.num_vgpr, 25
	.set _ZN2at6native28tensor_kernel_scan_outer_dimIfjZZZNS0_31launch_logcumsumexp_cuda_kernelERKNS_10TensorBaseES4_lENKUlvE_clEvENKUlvE0_clEvEUlffE_EEvPT_PKS8_jjjS8_T1_.num_agpr, 0
	.set _ZN2at6native28tensor_kernel_scan_outer_dimIfjZZZNS0_31launch_logcumsumexp_cuda_kernelERKNS_10TensorBaseES4_lENKUlvE_clEvENKUlvE0_clEvEUlffE_EEvPT_PKS8_jjjS8_T1_.numbered_sgpr, 44
	.set _ZN2at6native28tensor_kernel_scan_outer_dimIfjZZZNS0_31launch_logcumsumexp_cuda_kernelERKNS_10TensorBaseES4_lENKUlvE_clEvENKUlvE0_clEvEUlffE_EEvPT_PKS8_jjjS8_T1_.num_named_barrier, 0
	.set _ZN2at6native28tensor_kernel_scan_outer_dimIfjZZZNS0_31launch_logcumsumexp_cuda_kernelERKNS_10TensorBaseES4_lENKUlvE_clEvENKUlvE0_clEvEUlffE_EEvPT_PKS8_jjjS8_T1_.private_seg_size, 0
	.set _ZN2at6native28tensor_kernel_scan_outer_dimIfjZZZNS0_31launch_logcumsumexp_cuda_kernelERKNS_10TensorBaseES4_lENKUlvE_clEvENKUlvE0_clEvEUlffE_EEvPT_PKS8_jjjS8_T1_.uses_vcc, 1
	.set _ZN2at6native28tensor_kernel_scan_outer_dimIfjZZZNS0_31launch_logcumsumexp_cuda_kernelERKNS_10TensorBaseES4_lENKUlvE_clEvENKUlvE0_clEvEUlffE_EEvPT_PKS8_jjjS8_T1_.uses_flat_scratch, 0
	.set _ZN2at6native28tensor_kernel_scan_outer_dimIfjZZZNS0_31launch_logcumsumexp_cuda_kernelERKNS_10TensorBaseES4_lENKUlvE_clEvENKUlvE0_clEvEUlffE_EEvPT_PKS8_jjjS8_T1_.has_dyn_sized_stack, 0
	.set _ZN2at6native28tensor_kernel_scan_outer_dimIfjZZZNS0_31launch_logcumsumexp_cuda_kernelERKNS_10TensorBaseES4_lENKUlvE_clEvENKUlvE0_clEvEUlffE_EEvPT_PKS8_jjjS8_T1_.has_recursion, 0
	.set _ZN2at6native28tensor_kernel_scan_outer_dimIfjZZZNS0_31launch_logcumsumexp_cuda_kernelERKNS_10TensorBaseES4_lENKUlvE_clEvENKUlvE0_clEvEUlffE_EEvPT_PKS8_jjjS8_T1_.has_indirect_call, 0
	.section	.AMDGPU.csdata,"",@progbits
; Kernel info:
; codeLenInByte = 1152
; TotalNumSgprs: 50
; NumVgprs: 25
; NumAgprs: 0
; TotalNumVgprs: 25
; ScratchSize: 0
; MemoryBound: 0
; FloatMode: 240
; IeeeMode: 1
; LDSByteSize: 0 bytes/workgroup (compile time only)
; SGPRBlocks: 6
; VGPRBlocks: 3
; NumSGPRsForWavesPerEU: 50
; NumVGPRsForWavesPerEU: 25
; AccumOffset: 28
; Occupancy: 8
; WaveLimiterHint : 0
; COMPUTE_PGM_RSRC2:SCRATCH_EN: 0
; COMPUTE_PGM_RSRC2:USER_SGPR: 2
; COMPUTE_PGM_RSRC2:TRAP_HANDLER: 0
; COMPUTE_PGM_RSRC2:TGID_X_EN: 1
; COMPUTE_PGM_RSRC2:TGID_Y_EN: 1
; COMPUTE_PGM_RSRC2:TGID_Z_EN: 0
; COMPUTE_PGM_RSRC2:TIDIG_COMP_CNT: 0
; COMPUTE_PGM_RSRC3_GFX90A:ACCUM_OFFSET: 6
; COMPUTE_PGM_RSRC3_GFX90A:TG_SPLIT: 0
	.section	.text._ZN2at6native28tensor_kernel_scan_outer_dimIfmZZZNS0_31launch_logcumsumexp_cuda_kernelERKNS_10TensorBaseES4_lENKUlvE_clEvENKUlvE0_clEvEUlffE_EEvPT_PKS8_jjjS8_T1_,"axG",@progbits,_ZN2at6native28tensor_kernel_scan_outer_dimIfmZZZNS0_31launch_logcumsumexp_cuda_kernelERKNS_10TensorBaseES4_lENKUlvE_clEvENKUlvE0_clEvEUlffE_EEvPT_PKS8_jjjS8_T1_,comdat
	.globl	_ZN2at6native28tensor_kernel_scan_outer_dimIfmZZZNS0_31launch_logcumsumexp_cuda_kernelERKNS_10TensorBaseES4_lENKUlvE_clEvENKUlvE0_clEvEUlffE_EEvPT_PKS8_jjjS8_T1_ ; -- Begin function _ZN2at6native28tensor_kernel_scan_outer_dimIfmZZZNS0_31launch_logcumsumexp_cuda_kernelERKNS_10TensorBaseES4_lENKUlvE_clEvENKUlvE0_clEvEUlffE_EEvPT_PKS8_jjjS8_T1_
	.p2align	8
	.type	_ZN2at6native28tensor_kernel_scan_outer_dimIfmZZZNS0_31launch_logcumsumexp_cuda_kernelERKNS_10TensorBaseES4_lENKUlvE_clEvENKUlvE0_clEvEUlffE_EEvPT_PKS8_jjjS8_T1_,@function
_ZN2at6native28tensor_kernel_scan_outer_dimIfmZZZNS0_31launch_logcumsumexp_cuda_kernelERKNS_10TensorBaseES4_lENKUlvE_clEvENKUlvE0_clEvEUlffE_EEvPT_PKS8_jjjS8_T1_: ; @_ZN2at6native28tensor_kernel_scan_outer_dimIfmZZZNS0_31launch_logcumsumexp_cuda_kernelERKNS_10TensorBaseES4_lENKUlvE_clEvENKUlvE0_clEvEUlffE_EEvPT_PKS8_jjjS8_T1_
; %bb.0:
	s_load_dwordx4 s[8:11], s[0:1], 0x10
	s_waitcnt lgkmcnt(0)
	s_cmp_ge_u32 s2, s8
	s_cbranch_scc1 .LBB173_11
; %bb.1:
	s_load_dword s4, s[0:1], 0x34
	s_load_dwordx4 s[12:15], s[0:1], 0x0
	s_load_dword s28, s[0:1], 0x28
	s_add_u32 s6, s0, 40
	s_addc_u32 s7, s1, 0
	s_waitcnt lgkmcnt(0)
	s_and_b32 s29, s4, 0xffff
	s_cmp_lg_u32 s10, 0
	s_mul_i32 s3, s3, s29
	s_cselect_b64 s[20:21], -1, 0
	v_add_u32_e32 v6, s3, v0
	s_mov_b32 s5, 0
	s_mov_b32 s4, s9
	s_mul_hi_u32 s17, s10, s9
	s_mul_i32 s16, s10, s9
	v_cndmask_b32_e64 v0, 0, 1, s[20:21]
	v_cmp_gt_u32_e64 s[0:1], s9, v6
	s_lshl_b64 s[16:17], s[16:17], 2
	s_lshl_b64 s[18:19], s[4:5], 2
	v_cmp_ne_u32_e64 s[4:5], 1, v0
	v_mov_b32_e32 v1, 0
	s_movk_i32 s3, 0x1f8
	s_mov_b32 s30, 0x3fb8aa3b
	s_mov_b32 s31, 0xc2ce8ed0
	;; [unrolled: 1-line block ×5, first 2 shown]
	v_mov_b32_e32 v7, 0x3ecc95a3
	s_mov_b32 s36, 0x3f317218
	s_mov_b32 s37, 0x33800000
	v_mov_b32_e32 v8, 0x7f800000
	v_mov_b32_e32 v2, 0x3f317218
                                        ; implicit-def: $vgpr0
	s_branch .LBB173_3
.LBB173_2:                              ;   in Loop: Header=BB173_3 Depth=1
	s_or_b64 exec, exec, s[20:21]
	s_add_i32 s2, s2, s28
	s_cmp_ge_u32 s2, s8
	s_cbranch_scc1 .LBB173_11
.LBB173_3:                              ; =>This Loop Header: Depth=1
                                        ;     Child Loop BB173_6 Depth 2
                                        ;       Child Loop BB173_9 Depth 3
	s_and_saveexec_b64 s[20:21], s[0:1]
	s_cbranch_execz .LBB173_2
; %bb.4:                                ;   in Loop: Header=BB173_3 Depth=1
	s_load_dword s38, s[6:7], 0x4
	s_mul_i32 s23, s17, s2
	s_mul_hi_u32 s24, s16, s2
	s_mul_i32 s22, s16, s2
	s_add_i32 s23, s24, s23
	s_waitcnt lgkmcnt(0)
	s_mul_i32 s38, s38, s29
	s_mov_b64 s[24:25], 0
	v_mov_b32_e32 v0, v6
	s_branch .LBB173_6
.LBB173_5:                              ;   in Loop: Header=BB173_6 Depth=2
	v_add_u32_e32 v0, s38, v0
	v_cmp_le_u32_e32 vcc, s9, v0
	s_or_b64 s[24:25], vcc, s[24:25]
	s_andn2_b64 exec, exec, s[24:25]
	s_cbranch_execz .LBB173_2
.LBB173_6:                              ;   Parent Loop BB173_3 Depth=1
                                        ; =>  This Loop Header: Depth=2
                                        ;       Child Loop BB173_9 Depth 3
	s_and_b64 vcc, exec, s[4:5]
	s_cbranch_vccnz .LBB173_5
; %bb.7:                                ;   in Loop: Header=BB173_6 Depth=2
	v_lshl_add_u64 v[4:5], v[0:1], 2, s[22:23]
	v_mov_b32_e32 v3, s11
	s_mov_b32 s39, s10
	s_branch .LBB173_9
.LBB173_8:                              ;   in Loop: Header=BB173_9 Depth=3
	s_or_b64 exec, exec, s[26:27]
	s_add_i32 s39, s39, -1
	v_lshl_add_u64 v[10:11], s[12:13], 0, v[4:5]
	s_cmp_eq_u32 s39, 0
	v_lshl_add_u64 v[4:5], v[4:5], 0, s[18:19]
	global_store_dword v[10:11], v3, off
	s_cbranch_scc1 .LBB173_5
.LBB173_9:                              ;   Parent Loop BB173_3 Depth=1
                                        ;     Parent Loop BB173_6 Depth=2
                                        ; =>    This Inner Loop Header: Depth=3
	v_lshl_add_u64 v[10:11], s[14:15], 0, v[4:5]
	global_load_dword v9, v[10:11], off
	v_max_f32_e32 v10, v3, v3
	v_cmp_u_f32_e32 vcc, v3, v3
	s_waitcnt vmcnt(0)
	v_max_f32_e32 v11, v9, v9
	v_min_f32_e32 v12, v10, v11
	v_max_f32_e32 v10, v10, v11
	v_cndmask_b32_e32 v11, v12, v3, vcc
	v_cndmask_b32_e32 v12, v10, v3, vcc
	v_cmp_u_f32_e32 vcc, v9, v9
	s_nop 1
	v_cndmask_b32_e32 v10, v11, v9, vcc
	v_cndmask_b32_e32 v9, v12, v9, vcc
	v_cmp_neq_f32_e32 vcc, v10, v9
	v_cmp_class_f32_e64 s[26:27], v10, s3
	s_or_b64 s[40:41], vcc, s[26:27]
	s_and_saveexec_b64 s[26:27], s[40:41]
	s_cbranch_execz .LBB173_8
; %bb.10:                               ;   in Loop: Header=BB173_9 Depth=3
	v_sub_f32_e32 v3, v10, v9
	v_mul_f32_e32 v10, 0x3fb8aa3b, v3
	v_fma_f32 v11, v3, s30, -v10
	v_rndne_f32_e32 v12, v10
	v_fmac_f32_e32 v11, 0x32a5705f, v3
	v_sub_f32_e32 v10, v10, v12
	v_add_f32_e32 v10, v10, v11
	v_cvt_i32_f32_e32 v11, v12
	v_exp_f32_e32 v10, v10
	v_cmp_ngt_f32_e32 vcc, s31, v3
	v_ldexp_f32 v10, v10, v11
	s_nop 0
	v_cndmask_b32_e32 v10, 0, v10, vcc
	v_cmp_nlt_f32_e32 vcc, s33, v3
	s_nop 1
	v_cndmask_b32_e32 v24, v8, v10, vcc
	v_add_f32_e32 v3, 1.0, v24
	v_add_f32_e32 v10, -1.0, v3
	v_sub_f32_e32 v11, v10, v3
	v_add_f32_e32 v11, 1.0, v11
	v_sub_f32_e32 v10, v24, v10
	v_add_f32_e32 v12, v10, v11
	v_frexp_mant_f32_e32 v13, v3
	v_cvt_f64_f32_e32 v[10:11], v3
	v_frexp_exp_i32_f64_e32 v10, v[10:11]
	v_cmp_gt_f32_e32 vcc, s35, v13
	s_nop 1
	v_subbrev_co_u32_e32 v18, vcc, 0, v10, vcc
	v_sub_u32_e32 v10, 0, v18
	v_ldexp_f32 v3, v3, v10
	v_ldexp_f32 v10, v12, v10
	v_add_f32_e32 v12, -1.0, v3
	v_add_f32_e32 v11, 1.0, v12
	v_sub_f32_e32 v11, v3, v11
	v_add_f32_e32 v13, v10, v11
	v_add_f32_e32 v11, 1.0, v3
	v_add_f32_e32 v14, -1.0, v11
	v_sub_f32_e32 v3, v3, v14
	v_add_f32_e32 v3, v10, v3
	v_add_f32_e32 v19, v11, v3
	v_rcp_f32_e32 v20, v19
	v_sub_f32_e32 v10, v11, v19
	v_add_f32_e32 v11, v12, v13
	v_add_f32_e32 v3, v3, v10
	v_mul_f32_e32 v22, v11, v20
	v_sub_f32_e32 v10, v12, v11
	v_mul_f32_e32 v12, v19, v22
	v_fma_f32 v14, v22, v19, -v12
	v_fmac_f32_e32 v14, v22, v3
	v_add_f32_e32 v21, v13, v10
	v_add_f32_e32 v10, v12, v14
	v_sub_f32_e32 v13, v11, v10
	v_pk_add_f32 v[16:17], v[10:11], v[12:13] neg_lo:[0,1] neg_hi:[0,1]
	v_mov_b32_e32 v15, v10
	v_pk_add_f32 v[10:11], v[16:17], v[14:15] neg_lo:[0,1] neg_hi:[0,1]
	v_cmp_neq_f32_e32 vcc, s34, v24
	v_add_f32_e32 v11, v21, v11
	v_add_f32_e32 v10, v10, v11
	;; [unrolled: 1-line block ×3, first 2 shown]
	v_mul_f32_e32 v21, v20, v11
	v_mul_f32_e32 v12, v19, v21
	v_fma_f32 v14, v21, v19, -v12
	v_fmac_f32_e32 v14, v21, v3
	v_sub_f32_e32 v3, v13, v11
	v_add_f32_e32 v3, v10, v3
	v_add_f32_e32 v10, v12, v14
	v_sub_f32_e32 v13, v11, v10
	v_pk_add_f32 v[16:17], v[10:11], v[12:13] neg_lo:[0,1] neg_hi:[0,1]
	v_mov_b32_e32 v15, v10
	v_pk_add_f32 v[10:11], v[16:17], v[14:15] neg_lo:[0,1] neg_hi:[0,1]
	s_nop 0
	v_add_f32_e32 v3, v3, v11
	v_add_f32_e32 v3, v10, v3
	;; [unrolled: 1-line block ×4, first 2 shown]
	v_sub_f32_e32 v10, v11, v22
	v_mul_f32_e32 v3, v20, v3
	v_sub_f32_e32 v10, v21, v10
	v_add_f32_e32 v12, v10, v3
	v_add_f32_e32 v14, v11, v12
	v_cvt_f32_i32_e32 v10, v18
	v_mul_f32_e32 v15, v14, v14
	v_sub_f32_e32 v11, v14, v11
	v_fmamk_f32 v3, v15, 0x3e9b6dac, v7
	v_sub_f32_e32 v11, v12, v11
	v_fmaak_f32 v3, v15, v3, 0x3f2aaada
	v_ldexp_f32 v16, v11, 1
	v_mul_f32_e32 v11, v14, v15
	v_ldexp_f32 v13, v14, 1
	v_pk_mul_f32 v[14:15], v[10:11], v[2:3]
	s_nop 0
	v_fma_f32 v12, v10, s36, -v14
	v_fmac_f32_e32 v12, 0xb102e308, v10
	v_pk_add_f32 v[10:11], v[14:15], v[12:13]
	s_nop 0
	v_sub_f32_e32 v3, v11, v13
	v_sub_f32_e32 v3, v15, v3
	v_add_f32_e32 v17, v16, v3
	v_mov_b32_e32 v16, v14
	v_pk_add_f32 v[14:15], v[10:11], v[14:15] neg_lo:[0,1] neg_hi:[0,1]
	v_pk_add_f32 v[18:19], v[10:11], v[16:17]
	v_mov_b32_e32 v13, v10
	v_mov_b32_e32 v15, v19
	v_pk_add_f32 v[20:21], v[12:13], v[14:15] neg_lo:[0,1] neg_hi:[0,1]
	v_pk_add_f32 v[12:13], v[12:13], v[14:15]
	v_mov_b32_e32 v16, v17
	v_pk_add_f32 v[14:15], v[12:13], v[10:11] op_sel:[1,0] op_sel_hi:[0,1] neg_lo:[0,1] neg_hi:[0,1]
	v_pk_add_f32 v[22:23], v[18:19], v[14:15] op_sel_hi:[1,0] neg_lo:[0,1] neg_hi:[0,1]
	v_mov_b32_e32 v18, v19
	v_mov_b32_e32 v19, v13
	v_pk_mov_b32 v[14:15], v[10:11], v[14:15] op_sel:[1,0]
	v_mov_b32_e32 v17, v10
	v_pk_add_f32 v[14:15], v[18:19], v[14:15] neg_lo:[0,1] neg_hi:[0,1]
	v_mov_b32_e32 v22, v20
	v_pk_add_f32 v[10:11], v[16:17], v[14:15] neg_lo:[0,1] neg_hi:[0,1]
	v_mov_b32_e32 v21, v13
	v_pk_add_f32 v[14:15], v[22:23], v[10:11]
	s_nop 0
	v_pk_add_f32 v[16:17], v[14:15], v[14:15] op_sel:[0,1] op_sel_hi:[1,0]
	s_nop 0
	v_pk_add_f32 v[12:13], v[12:13], v[16:17] op_sel:[1,0] op_sel_hi:[0,1]
	v_mov_b32_e32 v15, v12
	v_pk_add_f32 v[18:19], v[14:15], v[20:21] neg_lo:[0,1] neg_hi:[0,1]
	v_mov_b32_e32 v11, v16
	v_sub_f32_e32 v3, v14, v18
	v_pk_add_f32 v[10:11], v[10:11], v[18:19] neg_lo:[0,1] neg_hi:[0,1]
	v_sub_f32_e32 v3, v20, v3
	v_add_f32_e32 v3, v10, v3
	v_add_f32_e32 v3, v3, v11
	;; [unrolled: 1-line block ×3, first 2 shown]
	v_cndmask_b32_e32 v3, v8, v3, vcc
	v_cmp_lt_f32_e64 vcc, |v24|, s37
	s_nop 1
	v_cndmask_b32_e32 v3, v3, v24, vcc
	v_add_f32_e32 v3, v9, v3
	s_branch .LBB173_8
.LBB173_11:
	s_endpgm
	.section	.rodata,"a",@progbits
	.p2align	6, 0x0
	.amdhsa_kernel _ZN2at6native28tensor_kernel_scan_outer_dimIfmZZZNS0_31launch_logcumsumexp_cuda_kernelERKNS_10TensorBaseES4_lENKUlvE_clEvENKUlvE0_clEvEUlffE_EEvPT_PKS8_jjjS8_T1_
		.amdhsa_group_segment_fixed_size 0
		.amdhsa_private_segment_fixed_size 0
		.amdhsa_kernarg_size 296
		.amdhsa_user_sgpr_count 2
		.amdhsa_user_sgpr_dispatch_ptr 0
		.amdhsa_user_sgpr_queue_ptr 0
		.amdhsa_user_sgpr_kernarg_segment_ptr 1
		.amdhsa_user_sgpr_dispatch_id 0
		.amdhsa_user_sgpr_kernarg_preload_length 0
		.amdhsa_user_sgpr_kernarg_preload_offset 0
		.amdhsa_user_sgpr_private_segment_size 0
		.amdhsa_uses_dynamic_stack 0
		.amdhsa_enable_private_segment 0
		.amdhsa_system_sgpr_workgroup_id_x 1
		.amdhsa_system_sgpr_workgroup_id_y 1
		.amdhsa_system_sgpr_workgroup_id_z 0
		.amdhsa_system_sgpr_workgroup_info 0
		.amdhsa_system_vgpr_workitem_id 0
		.amdhsa_next_free_vgpr 25
		.amdhsa_next_free_sgpr 42
		.amdhsa_accum_offset 28
		.amdhsa_reserve_vcc 1
		.amdhsa_float_round_mode_32 0
		.amdhsa_float_round_mode_16_64 0
		.amdhsa_float_denorm_mode_32 3
		.amdhsa_float_denorm_mode_16_64 3
		.amdhsa_dx10_clamp 1
		.amdhsa_ieee_mode 1
		.amdhsa_fp16_overflow 0
		.amdhsa_tg_split 0
		.amdhsa_exception_fp_ieee_invalid_op 0
		.amdhsa_exception_fp_denorm_src 0
		.amdhsa_exception_fp_ieee_div_zero 0
		.amdhsa_exception_fp_ieee_overflow 0
		.amdhsa_exception_fp_ieee_underflow 0
		.amdhsa_exception_fp_ieee_inexact 0
		.amdhsa_exception_int_div_zero 0
	.end_amdhsa_kernel
	.section	.text._ZN2at6native28tensor_kernel_scan_outer_dimIfmZZZNS0_31launch_logcumsumexp_cuda_kernelERKNS_10TensorBaseES4_lENKUlvE_clEvENKUlvE0_clEvEUlffE_EEvPT_PKS8_jjjS8_T1_,"axG",@progbits,_ZN2at6native28tensor_kernel_scan_outer_dimIfmZZZNS0_31launch_logcumsumexp_cuda_kernelERKNS_10TensorBaseES4_lENKUlvE_clEvENKUlvE0_clEvEUlffE_EEvPT_PKS8_jjjS8_T1_,comdat
.Lfunc_end173:
	.size	_ZN2at6native28tensor_kernel_scan_outer_dimIfmZZZNS0_31launch_logcumsumexp_cuda_kernelERKNS_10TensorBaseES4_lENKUlvE_clEvENKUlvE0_clEvEUlffE_EEvPT_PKS8_jjjS8_T1_, .Lfunc_end173-_ZN2at6native28tensor_kernel_scan_outer_dimIfmZZZNS0_31launch_logcumsumexp_cuda_kernelERKNS_10TensorBaseES4_lENKUlvE_clEvENKUlvE0_clEvEUlffE_EEvPT_PKS8_jjjS8_T1_
                                        ; -- End function
	.set _ZN2at6native28tensor_kernel_scan_outer_dimIfmZZZNS0_31launch_logcumsumexp_cuda_kernelERKNS_10TensorBaseES4_lENKUlvE_clEvENKUlvE0_clEvEUlffE_EEvPT_PKS8_jjjS8_T1_.num_vgpr, 25
	.set _ZN2at6native28tensor_kernel_scan_outer_dimIfmZZZNS0_31launch_logcumsumexp_cuda_kernelERKNS_10TensorBaseES4_lENKUlvE_clEvENKUlvE0_clEvEUlffE_EEvPT_PKS8_jjjS8_T1_.num_agpr, 0
	.set _ZN2at6native28tensor_kernel_scan_outer_dimIfmZZZNS0_31launch_logcumsumexp_cuda_kernelERKNS_10TensorBaseES4_lENKUlvE_clEvENKUlvE0_clEvEUlffE_EEvPT_PKS8_jjjS8_T1_.numbered_sgpr, 42
	.set _ZN2at6native28tensor_kernel_scan_outer_dimIfmZZZNS0_31launch_logcumsumexp_cuda_kernelERKNS_10TensorBaseES4_lENKUlvE_clEvENKUlvE0_clEvEUlffE_EEvPT_PKS8_jjjS8_T1_.num_named_barrier, 0
	.set _ZN2at6native28tensor_kernel_scan_outer_dimIfmZZZNS0_31launch_logcumsumexp_cuda_kernelERKNS_10TensorBaseES4_lENKUlvE_clEvENKUlvE0_clEvEUlffE_EEvPT_PKS8_jjjS8_T1_.private_seg_size, 0
	.set _ZN2at6native28tensor_kernel_scan_outer_dimIfmZZZNS0_31launch_logcumsumexp_cuda_kernelERKNS_10TensorBaseES4_lENKUlvE_clEvENKUlvE0_clEvEUlffE_EEvPT_PKS8_jjjS8_T1_.uses_vcc, 1
	.set _ZN2at6native28tensor_kernel_scan_outer_dimIfmZZZNS0_31launch_logcumsumexp_cuda_kernelERKNS_10TensorBaseES4_lENKUlvE_clEvENKUlvE0_clEvEUlffE_EEvPT_PKS8_jjjS8_T1_.uses_flat_scratch, 0
	.set _ZN2at6native28tensor_kernel_scan_outer_dimIfmZZZNS0_31launch_logcumsumexp_cuda_kernelERKNS_10TensorBaseES4_lENKUlvE_clEvENKUlvE0_clEvEUlffE_EEvPT_PKS8_jjjS8_T1_.has_dyn_sized_stack, 0
	.set _ZN2at6native28tensor_kernel_scan_outer_dimIfmZZZNS0_31launch_logcumsumexp_cuda_kernelERKNS_10TensorBaseES4_lENKUlvE_clEvENKUlvE0_clEvEUlffE_EEvPT_PKS8_jjjS8_T1_.has_recursion, 0
	.set _ZN2at6native28tensor_kernel_scan_outer_dimIfmZZZNS0_31launch_logcumsumexp_cuda_kernelERKNS_10TensorBaseES4_lENKUlvE_clEvENKUlvE0_clEvEUlffE_EEvPT_PKS8_jjjS8_T1_.has_indirect_call, 0
	.section	.AMDGPU.csdata,"",@progbits
; Kernel info:
; codeLenInByte = 1152
; TotalNumSgprs: 48
; NumVgprs: 25
; NumAgprs: 0
; TotalNumVgprs: 25
; ScratchSize: 0
; MemoryBound: 0
; FloatMode: 240
; IeeeMode: 1
; LDSByteSize: 0 bytes/workgroup (compile time only)
; SGPRBlocks: 5
; VGPRBlocks: 3
; NumSGPRsForWavesPerEU: 48
; NumVGPRsForWavesPerEU: 25
; AccumOffset: 28
; Occupancy: 8
; WaveLimiterHint : 0
; COMPUTE_PGM_RSRC2:SCRATCH_EN: 0
; COMPUTE_PGM_RSRC2:USER_SGPR: 2
; COMPUTE_PGM_RSRC2:TRAP_HANDLER: 0
; COMPUTE_PGM_RSRC2:TGID_X_EN: 1
; COMPUTE_PGM_RSRC2:TGID_Y_EN: 1
; COMPUTE_PGM_RSRC2:TGID_Z_EN: 0
; COMPUTE_PGM_RSRC2:TIDIG_COMP_CNT: 0
; COMPUTE_PGM_RSRC3_GFX90A:ACCUM_OFFSET: 6
; COMPUTE_PGM_RSRC3_GFX90A:TG_SPLIT: 0
	.section	.text._ZN7rocprim17ROCPRIM_400000_NS6detail31init_lookback_scan_state_kernelINS1_19lookback_scan_stateIN3c107complexIdEELb0ELb0EEENS1_16block_id_wrapperIjLb0EEEEEvT_jT0_jPNSA_10value_typeE,"axG",@progbits,_ZN7rocprim17ROCPRIM_400000_NS6detail31init_lookback_scan_state_kernelINS1_19lookback_scan_stateIN3c107complexIdEELb0ELb0EEENS1_16block_id_wrapperIjLb0EEEEEvT_jT0_jPNSA_10value_typeE,comdat
	.protected	_ZN7rocprim17ROCPRIM_400000_NS6detail31init_lookback_scan_state_kernelINS1_19lookback_scan_stateIN3c107complexIdEELb0ELb0EEENS1_16block_id_wrapperIjLb0EEEEEvT_jT0_jPNSA_10value_typeE ; -- Begin function _ZN7rocprim17ROCPRIM_400000_NS6detail31init_lookback_scan_state_kernelINS1_19lookback_scan_stateIN3c107complexIdEELb0ELb0EEENS1_16block_id_wrapperIjLb0EEEEEvT_jT0_jPNSA_10value_typeE
	.globl	_ZN7rocprim17ROCPRIM_400000_NS6detail31init_lookback_scan_state_kernelINS1_19lookback_scan_stateIN3c107complexIdEELb0ELb0EEENS1_16block_id_wrapperIjLb0EEEEEvT_jT0_jPNSA_10value_typeE
	.p2align	8
	.type	_ZN7rocprim17ROCPRIM_400000_NS6detail31init_lookback_scan_state_kernelINS1_19lookback_scan_stateIN3c107complexIdEELb0ELb0EEENS1_16block_id_wrapperIjLb0EEEEEvT_jT0_jPNSA_10value_typeE,@function
_ZN7rocprim17ROCPRIM_400000_NS6detail31init_lookback_scan_state_kernelINS1_19lookback_scan_stateIN3c107complexIdEELb0ELb0EEENS1_16block_id_wrapperIjLb0EEEEEvT_jT0_jPNSA_10value_typeE: ; @_ZN7rocprim17ROCPRIM_400000_NS6detail31init_lookback_scan_state_kernelINS1_19lookback_scan_stateIN3c107complexIdEELb0ELb0EEENS1_16block_id_wrapperIjLb0EEEEEvT_jT0_jPNSA_10value_typeE
; %bb.0:
	s_load_dword s3, s[0:1], 0x3c
	s_load_dwordx2 s[10:11], s[0:1], 0x28
	s_load_dwordx2 s[8:9], s[0:1], 0x10
	s_load_dword s14, s[0:1], 0x18
	s_waitcnt lgkmcnt(0)
	s_and_b32 s3, s3, 0xffff
	s_mul_i32 s2, s2, s3
	s_cmp_eq_u64 s[10:11], 0
	v_add_u32_e32 v0, s2, v0
	s_cbranch_scc1 .LBB174_6
; %bb.1:
	s_load_dword s4, s[0:1], 0x20
	s_mov_b32 s13, 0
	s_waitcnt lgkmcnt(0)
	s_cmp_lt_u32 s4, s14
	s_cselect_b32 s2, s4, 0
	v_cmp_eq_u32_e32 vcc, s2, v0
	s_and_saveexec_b64 s[2:3], vcc
	s_cbranch_execz .LBB174_5
; %bb.2:
	s_add_i32 s12, s4, 64
	v_mov_b32_e32 v1, s12
	global_load_ubyte v2, v1, s[8:9] sc1
	s_load_dwordx4 s[4:7], s[0:1], 0x0
	v_mov_b32_e32 v1, 0
	s_add_u32 s0, s8, s12
	s_addc_u32 s1, s9, 0
	s_waitcnt vmcnt(0)
	v_cmp_ne_u32_sdwa s[16:17], v2, v1 src0_sel:WORD_0 src1_sel:DWORD
	s_and_b64 vcc, exec, s[16:17]
	v_readfirstlane_b32 s15, v2
	s_cbranch_vccnz .LBB174_4
.LBB174_3:                              ; =>This Inner Loop Header: Depth=1
	global_load_ubyte v2, v1, s[0:1] sc1
	s_waitcnt vmcnt(0)
	v_cmp_eq_u32_sdwa s[16:17], v2, v1 src0_sel:WORD_0 src1_sel:DWORD
	s_and_b64 vcc, exec, s[16:17]
	v_readfirstlane_b32 s15, v2
	s_cbranch_vccnz .LBB174_3
.LBB174_4:
	s_and_b32 s0, 0xffff, s15
	s_cmp_eq_u32 s0, 1
	s_waitcnt lgkmcnt(0)
	s_cselect_b32 s5, s5, s7
	s_cselect_b32 s4, s4, s6
	s_lshl_b64 s[0:1], s[12:13], 4
	s_add_u32 s0, s4, s0
	s_addc_u32 s1, s5, s1
	v_mov_b32_e32 v1, 0
	s_waitcnt vmcnt(0)
	global_load_dword v2, v1, s[0:1] sc1
	global_load_dword v3, v1, s[0:1] offset:4 sc1
	global_load_dword v4, v1, s[0:1] offset:8 sc1
	;; [unrolled: 1-line block ×3, first 2 shown]
	s_waitcnt vmcnt(0)
	global_store_dwordx4 v1, v[2:5], s[10:11]
.LBB174_5:
	s_or_b64 exec, exec, s[2:3]
.LBB174_6:
	v_cmp_gt_u32_e32 vcc, s14, v0
	s_and_saveexec_b64 s[0:1], vcc
	s_cbranch_execnz .LBB174_9
; %bb.7:
	s_or_b64 exec, exec, s[0:1]
	v_cmp_gt_u32_e32 vcc, 64, v0
	s_and_saveexec_b64 s[0:1], vcc
	s_cbranch_execnz .LBB174_10
.LBB174_8:
	s_endpgm
.LBB174_9:
	v_add_u32_e32 v1, 64, v0
	v_mov_b32_e32 v2, 0
	global_store_byte v1, v2, s[8:9]
	s_or_b64 exec, exec, s[0:1]
	v_cmp_gt_u32_e32 vcc, 64, v0
	s_and_saveexec_b64 s[0:1], vcc
	s_cbranch_execz .LBB174_8
.LBB174_10:
	v_mov_b32_e32 v1, 0xff
	global_store_byte v0, v1, s[8:9]
	s_endpgm
	.section	.rodata,"a",@progbits
	.p2align	6, 0x0
	.amdhsa_kernel _ZN7rocprim17ROCPRIM_400000_NS6detail31init_lookback_scan_state_kernelINS1_19lookback_scan_stateIN3c107complexIdEELb0ELb0EEENS1_16block_id_wrapperIjLb0EEEEEvT_jT0_jPNSA_10value_typeE
		.amdhsa_group_segment_fixed_size 0
		.amdhsa_private_segment_fixed_size 0
		.amdhsa_kernarg_size 304
		.amdhsa_user_sgpr_count 2
		.amdhsa_user_sgpr_dispatch_ptr 0
		.amdhsa_user_sgpr_queue_ptr 0
		.amdhsa_user_sgpr_kernarg_segment_ptr 1
		.amdhsa_user_sgpr_dispatch_id 0
		.amdhsa_user_sgpr_kernarg_preload_length 0
		.amdhsa_user_sgpr_kernarg_preload_offset 0
		.amdhsa_user_sgpr_private_segment_size 0
		.amdhsa_uses_dynamic_stack 0
		.amdhsa_enable_private_segment 0
		.amdhsa_system_sgpr_workgroup_id_x 1
		.amdhsa_system_sgpr_workgroup_id_y 0
		.amdhsa_system_sgpr_workgroup_id_z 0
		.amdhsa_system_sgpr_workgroup_info 0
		.amdhsa_system_vgpr_workitem_id 0
		.amdhsa_next_free_vgpr 6
		.amdhsa_next_free_sgpr 18
		.amdhsa_accum_offset 8
		.amdhsa_reserve_vcc 1
		.amdhsa_float_round_mode_32 0
		.amdhsa_float_round_mode_16_64 0
		.amdhsa_float_denorm_mode_32 3
		.amdhsa_float_denorm_mode_16_64 3
		.amdhsa_dx10_clamp 1
		.amdhsa_ieee_mode 1
		.amdhsa_fp16_overflow 0
		.amdhsa_tg_split 0
		.amdhsa_exception_fp_ieee_invalid_op 0
		.amdhsa_exception_fp_denorm_src 0
		.amdhsa_exception_fp_ieee_div_zero 0
		.amdhsa_exception_fp_ieee_overflow 0
		.amdhsa_exception_fp_ieee_underflow 0
		.amdhsa_exception_fp_ieee_inexact 0
		.amdhsa_exception_int_div_zero 0
	.end_amdhsa_kernel
	.section	.text._ZN7rocprim17ROCPRIM_400000_NS6detail31init_lookback_scan_state_kernelINS1_19lookback_scan_stateIN3c107complexIdEELb0ELb0EEENS1_16block_id_wrapperIjLb0EEEEEvT_jT0_jPNSA_10value_typeE,"axG",@progbits,_ZN7rocprim17ROCPRIM_400000_NS6detail31init_lookback_scan_state_kernelINS1_19lookback_scan_stateIN3c107complexIdEELb0ELb0EEENS1_16block_id_wrapperIjLb0EEEEEvT_jT0_jPNSA_10value_typeE,comdat
.Lfunc_end174:
	.size	_ZN7rocprim17ROCPRIM_400000_NS6detail31init_lookback_scan_state_kernelINS1_19lookback_scan_stateIN3c107complexIdEELb0ELb0EEENS1_16block_id_wrapperIjLb0EEEEEvT_jT0_jPNSA_10value_typeE, .Lfunc_end174-_ZN7rocprim17ROCPRIM_400000_NS6detail31init_lookback_scan_state_kernelINS1_19lookback_scan_stateIN3c107complexIdEELb0ELb0EEENS1_16block_id_wrapperIjLb0EEEEEvT_jT0_jPNSA_10value_typeE
                                        ; -- End function
	.set _ZN7rocprim17ROCPRIM_400000_NS6detail31init_lookback_scan_state_kernelINS1_19lookback_scan_stateIN3c107complexIdEELb0ELb0EEENS1_16block_id_wrapperIjLb0EEEEEvT_jT0_jPNSA_10value_typeE.num_vgpr, 6
	.set _ZN7rocprim17ROCPRIM_400000_NS6detail31init_lookback_scan_state_kernelINS1_19lookback_scan_stateIN3c107complexIdEELb0ELb0EEENS1_16block_id_wrapperIjLb0EEEEEvT_jT0_jPNSA_10value_typeE.num_agpr, 0
	.set _ZN7rocprim17ROCPRIM_400000_NS6detail31init_lookback_scan_state_kernelINS1_19lookback_scan_stateIN3c107complexIdEELb0ELb0EEENS1_16block_id_wrapperIjLb0EEEEEvT_jT0_jPNSA_10value_typeE.numbered_sgpr, 18
	.set _ZN7rocprim17ROCPRIM_400000_NS6detail31init_lookback_scan_state_kernelINS1_19lookback_scan_stateIN3c107complexIdEELb0ELb0EEENS1_16block_id_wrapperIjLb0EEEEEvT_jT0_jPNSA_10value_typeE.num_named_barrier, 0
	.set _ZN7rocprim17ROCPRIM_400000_NS6detail31init_lookback_scan_state_kernelINS1_19lookback_scan_stateIN3c107complexIdEELb0ELb0EEENS1_16block_id_wrapperIjLb0EEEEEvT_jT0_jPNSA_10value_typeE.private_seg_size, 0
	.set _ZN7rocprim17ROCPRIM_400000_NS6detail31init_lookback_scan_state_kernelINS1_19lookback_scan_stateIN3c107complexIdEELb0ELb0EEENS1_16block_id_wrapperIjLb0EEEEEvT_jT0_jPNSA_10value_typeE.uses_vcc, 1
	.set _ZN7rocprim17ROCPRIM_400000_NS6detail31init_lookback_scan_state_kernelINS1_19lookback_scan_stateIN3c107complexIdEELb0ELb0EEENS1_16block_id_wrapperIjLb0EEEEEvT_jT0_jPNSA_10value_typeE.uses_flat_scratch, 0
	.set _ZN7rocprim17ROCPRIM_400000_NS6detail31init_lookback_scan_state_kernelINS1_19lookback_scan_stateIN3c107complexIdEELb0ELb0EEENS1_16block_id_wrapperIjLb0EEEEEvT_jT0_jPNSA_10value_typeE.has_dyn_sized_stack, 0
	.set _ZN7rocprim17ROCPRIM_400000_NS6detail31init_lookback_scan_state_kernelINS1_19lookback_scan_stateIN3c107complexIdEELb0ELb0EEENS1_16block_id_wrapperIjLb0EEEEEvT_jT0_jPNSA_10value_typeE.has_recursion, 0
	.set _ZN7rocprim17ROCPRIM_400000_NS6detail31init_lookback_scan_state_kernelINS1_19lookback_scan_stateIN3c107complexIdEELb0ELb0EEENS1_16block_id_wrapperIjLb0EEEEEvT_jT0_jPNSA_10value_typeE.has_indirect_call, 0
	.section	.AMDGPU.csdata,"",@progbits
; Kernel info:
; codeLenInByte = 364
; TotalNumSgprs: 24
; NumVgprs: 6
; NumAgprs: 0
; TotalNumVgprs: 6
; ScratchSize: 0
; MemoryBound: 0
; FloatMode: 240
; IeeeMode: 1
; LDSByteSize: 0 bytes/workgroup (compile time only)
; SGPRBlocks: 2
; VGPRBlocks: 0
; NumSGPRsForWavesPerEU: 24
; NumVGPRsForWavesPerEU: 6
; AccumOffset: 8
; Occupancy: 8
; WaveLimiterHint : 0
; COMPUTE_PGM_RSRC2:SCRATCH_EN: 0
; COMPUTE_PGM_RSRC2:USER_SGPR: 2
; COMPUTE_PGM_RSRC2:TRAP_HANDLER: 0
; COMPUTE_PGM_RSRC2:TGID_X_EN: 1
; COMPUTE_PGM_RSRC2:TGID_Y_EN: 0
; COMPUTE_PGM_RSRC2:TGID_Z_EN: 0
; COMPUTE_PGM_RSRC2:TIDIG_COMP_CNT: 0
; COMPUTE_PGM_RSRC3_GFX90A:ACCUM_OFFSET: 1
; COMPUTE_PGM_RSRC3_GFX90A:TG_SPLIT: 0
	.text
	.p2align	2                               ; -- Begin function _ZZZZN2at6native31launch_logcumsumexp_cuda_kernelERKNS_10TensorBaseES3_lENKUlvE_clEvENKUlvE1_clEvENKUlN3c107complexIdEES8_E_clES8_S8_
	.type	_ZZZZN2at6native31launch_logcumsumexp_cuda_kernelERKNS_10TensorBaseES3_lENKUlvE_clEvENKUlvE1_clEvENKUlN3c107complexIdEES8_E_clES8_S8_,@function
_ZZZZN2at6native31launch_logcumsumexp_cuda_kernelERKNS_10TensorBaseES3_lENKUlvE_clEvENKUlvE1_clEvENKUlN3c107complexIdEES8_E_clES8_S8_: ; @_ZZZZN2at6native31launch_logcumsumexp_cuda_kernelERKNS_10TensorBaseES3_lENKUlvE_clEvENKUlvE1_clEvENKUlN3c107complexIdEES8_E_clES8_S8_
; %bb.0:
	s_waitcnt vmcnt(0) expcnt(0) lgkmcnt(0)
	v_cmp_o_f64_e32 vcc, v[4:5], v[6:7]
	v_mov_b64_e32 v[8:9], v[6:7]
	v_mov_b64_e32 v[10:11], v[4:5]
	s_and_saveexec_b64 s[4:5], vcc
; %bb.1:
	v_cmp_u_f64_e64 s[0:1], v[0:1], v[2:3]
	v_cmp_lt_f64_e64 s[2:3], v[0:1], v[4:5]
	s_or_b64 s[0:1], s[2:3], s[0:1]
	v_cndmask_b32_e64 v11, v5, v1, s[0:1]
	v_cndmask_b32_e64 v10, v4, v0, s[0:1]
	;; [unrolled: 1-line block ×4, first 2 shown]
; %bb.2:
	s_or_b64 exec, exec, s[4:5]
	s_and_saveexec_b64 s[2:3], vcc
; %bb.3:
	v_cmp_u_f64_e32 vcc, v[0:1], v[2:3]
	v_cmp_ge_f64_e64 s[0:1], v[0:1], v[4:5]
	s_or_b64 vcc, s[0:1], vcc
	v_cndmask_b32_e32 v5, v5, v1, vcc
	v_cndmask_b32_e32 v4, v4, v0, vcc
	;; [unrolled: 1-line block ×4, first 2 shown]
; %bb.4:
	s_or_b64 exec, exec, s[2:3]
	v_mov_b32_e32 v0, 0
	v_mov_b32_e32 v2, 0
	v_cmp_o_f64_e32 vcc, v[10:11], v[8:9]
	v_mov_b32_e32 v1, 0x7ff80000
	v_mov_b32_e32 v3, 0x7ff80000
	s_and_saveexec_b64 s[4:5], vcc
	s_cbranch_execz .LBB175_48
; %bb.5:
	s_movk_i32 s0, 0x1f8
	v_cmp_class_f64_e64 s[0:1], v[10:11], s0
	v_cmp_neq_f64_e32 vcc, v[10:11], v[4:5]
	s_or_b64 s[0:1], s[0:1], vcc
	s_and_saveexec_b64 s[2:3], s[0:1]
	s_xor_b64 s[6:7], exec, s[2:3]
	s_cbranch_execz .LBB175_21
; %bb.6:
	s_mov_b32 s0, 0
	v_add_f64 v[0:1], v[8:9], -v[6:7]
	s_mov_b32 s1, 0x41d00000
	v_cmp_nlt_f64_e64 s[2:3], |v[0:1]|, s[0:1]
	v_trig_preop_f64 v[20:21], |v[0:1]|, 0
	v_trig_preop_f64 v[18:19], |v[0:1]|, 1
	v_trig_preop_f64 v[16:17], |v[0:1]|, 2
                                        ; implicit-def: $vgpr22
                                        ; implicit-def: $vgpr2_vgpr3
                                        ; implicit-def: $vgpr8_vgpr9
	s_and_saveexec_b64 s[0:1], s[2:3]
	s_xor_b64 s[8:9], exec, s[0:1]
	s_cbranch_execz .LBB175_8
; %bb.7:
	s_mov_b32 s0, 0
	s_mov_b32 s1, 0x7b000000
	s_movk_i32 s10, 0xff80
	v_and_b32_e32 v8, 0x7fffffff, v1
	v_ldexp_f64 v[2:3], |v[0:1]|, s10
	v_cmp_ge_f64_e64 vcc, |v[0:1]|, s[0:1]
	s_mov_b32 s0, 0
	s_mov_b32 s1, 0x7ff00000
	v_cndmask_b32_e32 v3, v8, v3, vcc
	v_cndmask_b32_e32 v2, v0, v2, vcc
	v_mul_f64 v[12:13], v[20:21], v[2:3]
	v_mul_f64 v[8:9], v[18:19], v[2:3]
	v_fma_f64 v[14:15], v[20:21], v[2:3], -v[12:13]
	v_add_f64 v[22:23], v[8:9], v[14:15]
	v_add_f64 v[30:31], v[22:23], -v[8:9]
	v_add_f64 v[14:15], v[14:15], -v[30:31]
	;; [unrolled: 1-line block ×4, first 2 shown]
	v_add_f64 v[14:15], v[14:15], v[30:31]
	v_fma_f64 v[8:9], v[18:19], v[2:3], -v[8:9]
	v_mul_f64 v[30:31], v[16:17], v[2:3]
	v_add_f64 v[32:33], v[30:31], v[8:9]
	v_add_f64 v[24:25], v[12:13], v[22:23]
	;; [unrolled: 1-line block ×3, first 2 shown]
	v_ldexp_f64 v[26:27], v[24:25], -2
	v_add_f64 v[12:13], v[24:25], -v[12:13]
	v_add_f64 v[24:25], v[34:35], -v[32:33]
	;; [unrolled: 1-line block ×5, first 2 shown]
	v_add_f64 v[14:15], v[14:15], v[24:25]
	v_add_f64 v[24:25], v[32:33], -v[30:31]
	v_add_f64 v[8:9], v[8:9], -v[24:25]
	;; [unrolled: 1-line block ×5, first 2 shown]
	v_add_f64 v[8:9], v[8:9], v[24:25]
	v_fract_f64_e32 v[28:29], v[26:27]
	v_add_f64 v[22:23], v[12:13], v[34:35]
	v_add_f64 v[8:9], v[8:9], v[14:15]
	v_fma_f64 v[2:3], v[16:17], v[2:3], -v[30:31]
	v_add_f64 v[12:13], v[22:23], -v[12:13]
	v_add_f64 v[2:3], v[2:3], v[8:9]
	v_ldexp_f64 v[8:9], v[28:29], 2
	v_cmp_neq_f64_e64 vcc, |v[26:27]|, s[0:1]
	v_add_f64 v[12:13], v[34:35], -v[12:13]
	v_add_f64 v[2:3], v[12:13], v[2:3]
	v_cndmask_b32_e32 v9, 0, v9, vcc
	v_cndmask_b32_e32 v8, 0, v8, vcc
	v_add_f64 v[12:13], v[22:23], v[8:9]
	v_mov_b32_e32 v14, 0x40100000
	v_cmp_gt_f64_e32 vcc, 0, v[12:13]
	v_mov_b32_e32 v12, 0
	s_mov_b32 s10, 0x33145c07
	v_cndmask_b32_e32 v13, 0, v14, vcc
	v_add_f64 v[8:9], v[8:9], v[12:13]
	v_add_f64 v[14:15], v[22:23], v[8:9]
	v_cvt_i32_f64_e32 v13, v[14:15]
	v_cvt_f64_i32_e32 v[14:15], v13
	v_add_f64 v[8:9], v[8:9], -v[14:15]
	v_add_f64 v[14:15], v[22:23], v[8:9]
	v_add_f64 v[8:9], v[14:15], -v[8:9]
	v_add_f64 v[8:9], v[22:23], -v[8:9]
	v_add_f64 v[2:3], v[2:3], v[8:9]
	v_cmp_le_f64_e32 vcc, 0.5, v[14:15]
	v_mov_b32_e32 v8, 0x3ff00000
	s_mov_b32 s11, 0x3c91a626
	v_addc_co_u32_e64 v22, s[0:1], 0, v13, vcc
	v_cndmask_b32_e32 v13, 0, v8, vcc
	v_add_f64 v[8:9], v[14:15], -v[12:13]
	v_add_f64 v[12:13], v[8:9], v[2:3]
	s_mov_b32 s0, 0x54442d18
	v_add_f64 v[8:9], v[12:13], -v[8:9]
	s_mov_b32 s1, 0x3ff921fb
	v_add_f64 v[2:3], v[2:3], -v[8:9]
	v_mul_f64 v[8:9], v[12:13], s[0:1]
	v_fma_f64 v[14:15], v[12:13], s[0:1], -v[8:9]
	v_fmac_f64_e32 v[14:15], s[10:11], v[12:13]
	v_fmac_f64_e32 v[14:15], s[0:1], v[2:3]
	v_add_f64 v[2:3], v[8:9], v[14:15]
	v_add_f64 v[8:9], v[2:3], -v[8:9]
	v_add_f64 v[8:9], v[14:15], -v[8:9]
	s_andn2_saveexec_b64 s[0:1], s[8:9]
	s_cbranch_execz .LBB175_10
	s_branch .LBB175_9
.LBB175_8:
	s_andn2_saveexec_b64 s[0:1], s[8:9]
	s_cbranch_execz .LBB175_10
.LBB175_9:
	s_mov_b32 s8, 0x6dc9c883
	s_mov_b32 s9, 0x3fe45f30
	v_mul_f64 v[2:3], |v[0:1]|, s[8:9]
	s_mov_b32 s8, 0x54442d18
	v_rndne_f64_e32 v[12:13], v[2:3]
	s_mov_b32 s9, 0xbff921fb
	v_fma_f64 v[2:3], v[12:13], s[8:9], |v[0:1]|
	s_mov_b32 s9, 0xbc91a626
	s_mov_b32 s8, 0x33145c00
	v_mul_f64 v[14:15], v[12:13], s[8:9]
	v_add_f64 v[24:25], v[2:3], v[14:15]
	v_fma_f64 v[8:9], s[8:9], v[12:13], v[2:3]
	s_mov_b32 s9, 0x3c91a626
	v_add_f64 v[2:3], v[2:3], -v[24:25]
	v_fma_f64 v[22:23], s[8:9], v[12:13], v[14:15]
	v_add_f64 v[2:3], v[2:3], v[14:15]
	v_add_f64 v[14:15], v[24:25], -v[8:9]
	v_add_f64 v[2:3], v[14:15], v[2:3]
	s_mov_b32 s8, 0x252049c0
	v_add_f64 v[14:15], v[2:3], -v[22:23]
	s_mov_b32 s9, 0xb97b839a
	v_fmac_f64_e32 v[14:15], s[8:9], v[12:13]
	v_add_f64 v[2:3], v[8:9], v[14:15]
	v_add_f64 v[8:9], v[2:3], -v[8:9]
	v_add_f64 v[8:9], v[14:15], -v[8:9]
	v_cvt_i32_f64_e32 v22, v[12:13]
.LBB175_10:
	s_or_b64 exec, exec, s[0:1]
                                        ; implicit-def: $vgpr23
                                        ; implicit-def: $vgpr12_vgpr13
                                        ; implicit-def: $vgpr14_vgpr15
	s_and_saveexec_b64 s[0:1], s[2:3]
	s_xor_b64 s[2:3], exec, s[0:1]
	s_cbranch_execz .LBB175_12
; %bb.11:
	s_mov_b32 s0, 0
	s_mov_b32 s1, 0x7b000000
	s_movk_i32 s8, 0xff80
	v_and_b32_e32 v14, 0x7fffffff, v1
	v_ldexp_f64 v[12:13], |v[0:1]|, s8
	v_cmp_ge_f64_e64 vcc, |v[0:1]|, s[0:1]
	s_mov_b32 s0, 0
	s_mov_b32 s1, 0x7ff00000
	v_cndmask_b32_e32 v13, v14, v13, vcc
	v_cndmask_b32_e32 v12, v0, v12, vcc
	v_mul_f64 v[24:25], v[20:21], v[12:13]
	v_mul_f64 v[14:15], v[18:19], v[12:13]
	v_fma_f64 v[20:21], v[20:21], v[12:13], -v[24:25]
	v_add_f64 v[26:27], v[14:15], v[20:21]
	v_add_f64 v[34:35], v[26:27], -v[14:15]
	v_add_f64 v[20:21], v[20:21], -v[34:35]
	;; [unrolled: 1-line block ×4, first 2 shown]
	v_fma_f64 v[14:15], v[18:19], v[12:13], -v[14:15]
	v_mul_f64 v[18:19], v[16:17], v[12:13]
	v_add_f64 v[20:21], v[20:21], v[34:35]
	v_add_f64 v[34:35], v[18:19], v[14:15]
	;; [unrolled: 1-line block ×4, first 2 shown]
	v_ldexp_f64 v[30:31], v[28:29], -2
	v_add_f64 v[24:25], v[28:29], -v[24:25]
	v_add_f64 v[28:29], v[36:37], -v[34:35]
	;; [unrolled: 1-line block ×5, first 2 shown]
	v_add_f64 v[20:21], v[20:21], v[28:29]
	v_add_f64 v[28:29], v[34:35], -v[18:19]
	v_add_f64 v[14:15], v[14:15], -v[28:29]
	;; [unrolled: 1-line block ×4, first 2 shown]
	v_add_f64 v[14:15], v[14:15], v[28:29]
	v_fract_f64_e32 v[32:33], v[30:31]
	v_add_f64 v[14:15], v[14:15], v[20:21]
	v_fma_f64 v[12:13], v[16:17], v[12:13], -v[18:19]
	v_add_f64 v[24:25], v[26:27], -v[24:25]
	v_add_f64 v[12:13], v[12:13], v[14:15]
	v_ldexp_f64 v[14:15], v[32:33], 2
	v_cmp_neq_f64_e64 vcc, |v[30:31]|, s[0:1]
	v_add_f64 v[26:27], v[24:25], v[36:37]
	v_mov_b32_e32 v18, 0x40100000
	v_cndmask_b32_e32 v15, 0, v15, vcc
	v_cndmask_b32_e32 v14, 0, v14, vcc
	v_add_f64 v[16:17], v[26:27], v[14:15]
	v_cmp_gt_f64_e32 vcc, 0, v[16:17]
	v_mov_b32_e32 v16, 0
	v_add_f64 v[24:25], v[26:27], -v[24:25]
	v_cndmask_b32_e32 v17, 0, v18, vcc
	v_add_f64 v[14:15], v[14:15], v[16:17]
	v_add_f64 v[18:19], v[26:27], v[14:15]
	v_cvt_i32_f64_e32 v17, v[18:19]
	v_cvt_f64_i32_e32 v[18:19], v17
	v_add_f64 v[14:15], v[14:15], -v[18:19]
	v_add_f64 v[18:19], v[26:27], v[14:15]
	v_add_f64 v[24:25], v[36:37], -v[24:25]
	v_add_f64 v[14:15], v[18:19], -v[14:15]
	v_add_f64 v[12:13], v[24:25], v[12:13]
	v_add_f64 v[14:15], v[26:27], -v[14:15]
	v_add_f64 v[12:13], v[12:13], v[14:15]
	v_cmp_le_f64_e32 vcc, 0.5, v[18:19]
	v_mov_b32_e32 v14, 0x3ff00000
	s_mov_b32 s8, 0x33145c07
	v_addc_co_u32_e64 v23, s[0:1], 0, v17, vcc
	v_cndmask_b32_e32 v17, 0, v14, vcc
	v_add_f64 v[14:15], v[18:19], -v[16:17]
	v_add_f64 v[16:17], v[14:15], v[12:13]
	s_mov_b32 s0, 0x54442d18
	v_add_f64 v[14:15], v[16:17], -v[14:15]
	s_mov_b32 s1, 0x3ff921fb
	v_add_f64 v[12:13], v[12:13], -v[14:15]
	v_mul_f64 v[14:15], v[16:17], s[0:1]
	v_fma_f64 v[18:19], v[16:17], s[0:1], -v[14:15]
	s_mov_b32 s9, 0x3c91a626
	v_fmac_f64_e32 v[18:19], s[8:9], v[16:17]
	v_fmac_f64_e32 v[18:19], s[0:1], v[12:13]
	v_add_f64 v[12:13], v[14:15], v[18:19]
	v_add_f64 v[14:15], v[12:13], -v[14:15]
	v_add_f64 v[14:15], v[18:19], -v[14:15]
	s_andn2_saveexec_b64 s[0:1], s[2:3]
	s_cbranch_execnz .LBB175_13
	s_branch .LBB175_14
.LBB175_12:
	s_andn2_saveexec_b64 s[0:1], s[2:3]
	s_cbranch_execz .LBB175_14
.LBB175_13:
	s_mov_b32 s2, 0x6dc9c883
	s_mov_b32 s3, 0x3fe45f30
	v_mul_f64 v[12:13], |v[0:1]|, s[2:3]
	s_mov_b32 s2, 0x54442d18
	v_rndne_f64_e32 v[16:17], v[12:13]
	s_mov_b32 s3, 0xbff921fb
	v_fma_f64 v[12:13], v[16:17], s[2:3], |v[0:1]|
	s_mov_b32 s3, 0xbc91a626
	s_mov_b32 s2, 0x33145c00
	v_mul_f64 v[18:19], v[16:17], s[2:3]
	v_add_f64 v[24:25], v[12:13], v[18:19]
	v_fma_f64 v[14:15], s[2:3], v[16:17], v[12:13]
	s_mov_b32 s3, 0x3c91a626
	v_add_f64 v[12:13], v[12:13], -v[24:25]
	v_fma_f64 v[20:21], s[2:3], v[16:17], v[18:19]
	v_add_f64 v[12:13], v[12:13], v[18:19]
	v_add_f64 v[18:19], v[24:25], -v[14:15]
	v_add_f64 v[12:13], v[18:19], v[12:13]
	s_mov_b32 s2, 0x252049c0
	v_add_f64 v[18:19], v[12:13], -v[20:21]
	s_mov_b32 s3, 0xb97b839a
	v_fmac_f64_e32 v[18:19], s[2:3], v[16:17]
	v_add_f64 v[12:13], v[14:15], v[18:19]
	v_add_f64 v[14:15], v[12:13], -v[14:15]
	v_add_f64 v[14:15], v[18:19], -v[14:15]
	v_cvt_i32_f64_e32 v23, v[16:17]
.LBB175_14:
	s_or_b64 exec, exec, s[0:1]
	s_mov_b32 s0, 0x652b82fe
	v_add_f64 v[10:11], v[10:11], -v[4:5]
	s_mov_b32 s1, 0x3ff71547
	v_mul_f64 v[16:17], v[10:11], s[0:1]
	v_rndne_f64_e32 v[16:17], v[16:17]
	s_mov_b32 s13, 0xbfe62e42
	s_mov_b32 s12, 0xfefa39ef
	v_fma_f64 v[18:19], s[12:13], v[16:17], v[10:11]
	s_mov_b32 s15, 0xbc7abc9e
	s_mov_b32 s14, 0x3b39803f
	s_mov_b32 s0, 0x6a5dcb37
	v_fmac_f64_e32 v[18:19], s[14:15], v[16:17]
	v_mov_b32_e32 v20, 0xfca7ab0c
	v_mov_b32_e32 v21, 0x3e928af3
	s_mov_b32 s1, 0x3e5ade15
	v_fmac_f64_e32 v[20:21], s[0:1], v[18:19]
	v_mov_b32_e32 v24, 0x623fde64
	v_mov_b32_e32 v25, 0x3ec71dee
	v_fmac_f64_e32 v[24:25], v[18:19], v[20:21]
	v_mov_b32_e32 v20, 0x7c89e6b0
	v_mov_b32_e32 v21, 0x3efa0199
	;; [unrolled: 3-line block ×8, first 2 shown]
	v_fmac_f64_e32 v[20:21], v[18:19], v[24:25]
	s_mov_b32 s0, 0
	v_fma_f64 v[20:21], v[18:19], v[20:21], 1.0
	s_mov_b32 s1, 0x40900000
	v_fma_f64 v[18:19], v[18:19], v[20:21], 1.0
	v_cvt_i32_f64_e32 v16, v[16:17]
	v_cmp_nlt_f64_e32 vcc, s[0:1], v[10:11]
	s_mov_b32 s0, 0
	v_ldexp_f64 v[16:17], v[18:19], v16
	v_mov_b32_e32 v19, 0x7ff00000
	s_mov_b32 s1, 0xc090cc00
	v_cndmask_b32_e32 v17, v19, v17, vcc
	v_cmp_ngt_f64_e64 s[0:1], s[0:1], v[10:11]
	s_and_b64 vcc, s[0:1], vcc
	s_mov_b32 s8, 0x46cc5e42
	v_cndmask_b32_e64 v17, 0, v17, s[0:1]
	s_mov_b32 s0, 0x9037ab78
	s_mov_b32 s1, 0x3e21eeb6
	v_mul_f64 v[10:11], v[2:3], v[2:3]
	s_mov_b32 s9, 0xbda907db
	v_mov_b64_e32 v[28:29], s[0:1]
	s_mov_b32 s0, 0xa17f65f6
	v_mul_f64 v[20:21], v[10:11], 0.5
	v_fma_f64 v[30:31], s[8:9], v[10:11], v[28:29]
	s_mov_b32 s1, 0xbe927e4f
	s_mov_b32 s10, 0x19f4ec90
	v_add_f64 v[24:25], -v[20:21], 1.0
	v_fma_f64 v[30:31], v[10:11], v[30:31], s[0:1]
	s_mov_b32 s11, 0x3efa01a0
	s_mov_b32 s18, 0x16c16967
	v_fma_f64 v[30:31], v[10:11], v[30:31], s[10:11]
	s_mov_b32 s19, 0xbf56c16c
	v_add_f64 v[32:33], -v[24:25], 1.0
	s_mov_b32 s17, 0x3fa55555
	v_fma_f64 v[30:31], v[10:11], v[30:31], s[18:19]
	s_mov_b32 s16, 0x55555555
	v_add_f64 v[20:21], v[32:33], -v[20:21]
	s_mov_b32 s20, 0xb42fdfa7
	v_mul_f64 v[26:27], v[10:11], v[10:11]
	v_fma_f64 v[30:31], v[10:11], v[30:31], s[16:17]
	v_fma_f64 v[20:21], v[2:3], -v[8:9], v[20:21]
	s_mov_b32 s21, 0xbe5ae600
	s_mov_b32 s22, 0xf9a43bb8
	v_fmac_f64_e32 v[20:21], v[26:27], v[30:31]
	s_mov_b32 s23, 0x3de5e0b2
	v_mov_b64_e32 v[26:27], s[20:21]
	s_mov_b32 s20, 0x796cde01
	v_fma_f64 v[30:31], s[22:23], v[10:11], v[26:27]
	s_mov_b32 s21, 0x3ec71de3
	s_mov_b32 s24, 0x19e83e5c
	;; [unrolled: 1-line block ×3, first 2 shown]
	v_fma_f64 v[30:31], v[10:11], v[30:31], s[20:21]
	s_mov_b32 s25, 0xbf2a01a0
	s_mov_b32 s3, 0x3f811111
	v_fma_f64 v[30:31], v[10:11], v[30:31], s[24:25]
	v_add_f64 v[20:21], v[24:25], v[20:21]
	v_mul_f64 v[24:25], v[2:3], -v[10:11]
	v_fma_f64 v[30:31], v[10:11], v[30:31], s[2:3]
	v_mul_f64 v[32:33], v[8:9], 0.5
	v_fmac_f64_e32 v[32:33], v[24:25], v[30:31]
	v_fma_f64 v[8:9], v[10:11], v[32:33], -v[8:9]
	s_mov_b32 s27, 0xbfc55555
	s_mov_b32 s26, s16
	v_fmac_f64_e32 v[8:9], s[26:27], v[24:25]
	v_and_b32_e32 v18, 1, v22
	v_add_f64 v[2:3], v[2:3], -v[8:9]
	v_cndmask_b32_e32 v16, 0, v16, vcc
	v_xor_b32_e32 v3, 0x80000000, v3
	v_cmp_eq_u32_e32 vcc, 0, v18
	s_brev_b32 s15, 1
	v_lshlrev_b32_e32 v8, 30, v22
	v_cndmask_b32_e32 v3, v3, v21, vcc
	v_bitop3_b32 v3, v3, v8, s15 bitop3:0x78
	v_mul_f64 v[8:9], v[12:13], v[12:13]
	v_cndmask_b32_e32 v2, v2, v20, vcc
	v_mul_f64 v[20:21], v[8:9], 0.5
	v_fmac_f64_e32 v[28:29], s[8:9], v[8:9]
	v_add_f64 v[24:25], -v[20:21], 1.0
	v_fma_f64 v[28:29], v[8:9], v[28:29], s[0:1]
	v_add_f64 v[30:31], -v[24:25], 1.0
	v_fma_f64 v[28:29], v[8:9], v[28:29], s[10:11]
	v_add_f64 v[20:21], v[30:31], -v[20:21]
	v_fma_f64 v[28:29], v[8:9], v[28:29], s[18:19]
	v_mul_f64 v[30:31], v[8:9], v[8:9]
	v_fma_f64 v[28:29], v[8:9], v[28:29], s[16:17]
	v_fma_f64 v[20:21], v[12:13], -v[14:15], v[20:21]
	v_fmac_f64_e32 v[20:21], v[30:31], v[28:29]
	v_fmac_f64_e32 v[26:27], s[22:23], v[8:9]
	v_add_f64 v[20:21], v[24:25], v[20:21]
	v_fma_f64 v[24:25], v[8:9], v[26:27], s[20:21]
	v_fma_f64 v[24:25], v[8:9], v[24:25], s[24:25]
	;; [unrolled: 1-line block ×3, first 2 shown]
	v_mul_f64 v[26:27], v[12:13], -v[8:9]
	v_mul_f64 v[28:29], v[14:15], 0.5
	v_fmac_f64_e32 v[28:29], v[26:27], v[24:25]
	s_movk_i32 s13, 0x1f8
	v_fma_f64 v[8:9], v[8:9], v[28:29], -v[14:15]
	v_cmp_class_f64_e64 vcc, v[0:1], s13
	v_fmac_f64_e32 v[8:9], s[26:27], v[26:27]
	v_and_b32_e32 v0, 1, v23
	v_add_f64 v[8:9], v[12:13], -v[8:9]
	v_cmp_eq_u32_e64 s[0:1], 0, v0
	v_mov_b32_e32 v18, 0x7ff80000
	v_cndmask_b32_e32 v2, 0, v2, vcc
	v_cndmask_b32_e64 v0, v20, v8, s[0:1]
	v_cndmask_b32_e64 v8, v21, v9, s[0:1]
	v_lshlrev_b32_e32 v9, 30, v23
	v_xor_b32_e32 v1, v9, v1
	v_bitop3_b32 v1, v8, v1, s15 bitop3:0x78
	v_cndmask_b32_e32 v3, v18, v3, vcc
	v_cndmask_b32_e32 v0, 0, v0, vcc
	;; [unrolled: 1-line block ×3, first 2 shown]
	v_mul_f64 v[10:11], v[16:17], v[2:3]
	v_mul_f64 v[0:1], v[16:17], v[0:1]
	v_max_f64 v[8:9], |v[10:11]|, |v[0:1]|
	v_frexp_exp_i32_f64_e32 v22, v[8:9]
	v_sub_u32_e32 v12, 0, v22
	v_ldexp_f64 v[8:9], |v[10:11]|, v12
	v_ldexp_f64 v[12:13], |v[0:1]|, v12
	v_mul_f64 v[12:13], v[12:13], v[12:13]
	v_fmac_f64_e32 v[12:13], v[8:9], v[8:9]
	v_rsq_f64_e32 v[8:9], v[12:13]
	v_cmp_eq_f64_e32 vcc, 0, v[12:13]
	s_movk_i32 s18, 0x204
	v_cmp_class_f64_e64 s[0:1], v[10:11], s18
	v_mul_f64 v[14:15], v[12:13], v[8:9]
	v_mul_f64 v[8:9], v[8:9], 0.5
	v_fma_f64 v[20:21], -v[8:9], v[14:15], 0.5
	v_fmac_f64_e32 v[14:15], v[14:15], v[20:21]
	v_fmac_f64_e32 v[8:9], v[8:9], v[20:21]
	v_fma_f64 v[20:21], -v[14:15], v[14:15], v[12:13]
	v_fmac_f64_e32 v[14:15], v[20:21], v[8:9]
	v_cndmask_b32_e32 v9, v15, v13, vcc
	v_cndmask_b32_e32 v8, v14, v12, vcc
	v_cmp_class_f64_e64 s[8:9], v[0:1], s18
	v_ldexp_f64 v[12:13], v[8:9], v22
	v_cmp_u_f64_e32 vcc, v[10:11], v[0:1]
	s_or_b64 s[20:21], s[0:1], s[8:9]
	v_fma_f64 v[2:3], v[16:17], v[2:3], 1.0
	v_cmp_ngt_f64_e64 s[2:3], 0.5, v[12:13]
	s_or_b64 s[20:21], s[20:21], vcc
	v_max_f64 v[8:9], |v[2:3]|, |v[0:1]|
	v_cmp_u_f64_e64 s[0:1], v[2:3], v[0:1]
	v_cmp_class_f64_e64 s[10:11], v[2:3], s18
	s_or_b64 s[2:3], s[20:21], s[2:3]
	s_and_saveexec_b64 s[20:21], s[2:3]
	s_xor_b64 s[2:3], exec, s[20:21]
	s_cbranch_execz .LBB175_16
; %bb.15:
	v_frexp_exp_i32_f64_e32 v20, v[8:9]
	v_sub_u32_e32 v12, 0, v20
	v_ldexp_f64 v[10:11], |v[2:3]|, v12
	v_ldexp_f64 v[12:13], |v[0:1]|, v12
	v_mul_f64 v[12:13], v[12:13], v[12:13]
	v_fmac_f64_e32 v[12:13], v[10:11], v[10:11]
	v_rsq_f64_e32 v[10:11], v[12:13]
	v_cmp_eq_f64_e32 vcc, 0, v[12:13]
	s_mov_b32 s17, 0x3fe55555
	s_mov_b32 s13, 0x3fe62e42
	v_mul_f64 v[14:15], v[12:13], v[10:11]
	v_mul_f64 v[10:11], v[10:11], 0.5
	v_fma_f64 v[16:17], -v[10:11], v[14:15], 0.5
	v_fmac_f64_e32 v[14:15], v[14:15], v[16:17]
	v_fmac_f64_e32 v[10:11], v[10:11], v[16:17]
	v_fma_f64 v[16:17], -v[14:15], v[14:15], v[12:13]
	v_fmac_f64_e32 v[14:15], v[16:17], v[10:11]
	v_cndmask_b32_e32 v11, v15, v13, vcc
	v_cndmask_b32_e32 v10, v14, v12, vcc
	v_ldexp_f64 v[10:11], v[10:11], v20
	s_or_b64 vcc, s[10:11], s[8:9]
	v_cndmask_b32_e64 v11, v11, v18, s[0:1]
	s_or_b64 s[20:21], vcc, s[0:1]
	v_cndmask_b32_e32 v13, v11, v19, vcc
	v_cndmask_b32_e64 v12, v10, 0, s[20:21]
	v_frexp_mant_f64_e32 v[10:11], v[12:13]
	v_cmp_gt_f64_e32 vcc, s[16:17], v[10:11]
	v_frexp_exp_i32_f64_e32 v14, v[12:13]
	s_mov_b32 s16, 0xbf559e2b
	v_cndmask_b32_e64 v15, 0, 1, vcc
	v_ldexp_f64 v[10:11], v[10:11], v15
	v_subbrev_co_u32_e32 v19, vcc, 0, v14, vcc
	v_add_f64 v[14:15], v[10:11], 1.0
	v_rcp_f64_e32 v[16:17], v[14:15]
	v_add_f64 v[22:23], v[14:15], -1.0
	v_add_f64 v[20:21], v[10:11], -1.0
	v_add_f64 v[10:11], v[10:11], -v[22:23]
	v_fma_f64 v[22:23], -v[14:15], v[16:17], 1.0
	v_fmac_f64_e32 v[16:17], v[22:23], v[16:17]
	v_fma_f64 v[22:23], -v[14:15], v[16:17], 1.0
	v_fmac_f64_e32 v[16:17], v[22:23], v[16:17]
	v_mul_f64 v[22:23], v[20:21], v[16:17]
	v_mul_f64 v[24:25], v[14:15], v[22:23]
	v_fma_f64 v[14:15], v[22:23], v[14:15], -v[24:25]
	v_fmac_f64_e32 v[14:15], v[22:23], v[10:11]
	v_add_f64 v[10:11], v[24:25], v[14:15]
	v_add_f64 v[26:27], v[20:21], -v[10:11]
	v_add_f64 v[24:25], v[10:11], -v[24:25]
	;; [unrolled: 1-line block ×5, first 2 shown]
	v_add_f64 v[10:11], v[14:15], v[10:11]
	v_add_f64 v[10:11], v[26:27], v[10:11]
	v_mul_f64 v[10:11], v[16:17], v[10:11]
	v_add_f64 v[14:15], v[22:23], v[10:11]
	v_add_f64 v[16:17], v[14:15], -v[22:23]
	v_add_f64 v[10:11], v[10:11], -v[16:17]
	v_mul_f64 v[16:17], v[14:15], v[14:15]
	v_mov_b32_e32 v20, 0x6b47b09a
	v_mov_b32_e32 v21, 0x3fc38538
	s_mov_b32 s17, 0x3fc3ab76
	v_fmac_f64_e32 v[20:21], s[16:17], v[16:17]
	v_mov_b32_e32 v22, 0xd7f4df2e
	v_mov_b32_e32 v23, 0x3fc7474d
	v_fmac_f64_e32 v[22:23], v[16:17], v[20:21]
	v_mov_b32_e32 v20, 0x16291751
	v_mov_b32_e32 v21, 0x3fcc71c0
	;; [unrolled: 3-line block ×5, first 2 shown]
	v_fmac_f64_e32 v[22:23], v[16:17], v[20:21]
	v_ldexp_f64 v[20:21], v[14:15], 1
	v_mul_f64 v[14:15], v[14:15], v[16:17]
	v_mul_f64 v[14:15], v[14:15], v[22:23]
	v_add_f64 v[16:17], v[20:21], v[14:15]
	v_add_f64 v[20:21], v[16:17], -v[20:21]
	v_ldexp_f64 v[10:11], v[10:11], 1
	v_add_f64 v[14:15], v[14:15], -v[20:21]
	v_add_f64 v[10:11], v[10:11], v[14:15]
	v_add_f64 v[14:15], v[16:17], v[10:11]
	v_add_f64 v[16:17], v[14:15], -v[16:17]
	v_add_f64 v[10:11], v[10:11], -v[16:17]
	v_cvt_f64_i32_e32 v[16:17], v19
	v_mul_f64 v[20:21], v[16:17], s[12:13]
	v_fma_f64 v[22:23], v[16:17], s[12:13], -v[20:21]
	s_mov_b32 s15, 0x3c7abc9e
	v_fmac_f64_e32 v[22:23], s[14:15], v[16:17]
	v_add_f64 v[16:17], v[20:21], v[22:23]
	v_add_f64 v[20:21], v[16:17], -v[20:21]
	v_add_f64 v[20:21], v[22:23], -v[20:21]
	v_add_f64 v[22:23], v[16:17], v[14:15]
	v_add_f64 v[24:25], v[22:23], -v[16:17]
	v_add_f64 v[26:27], v[22:23], -v[24:25]
	;; [unrolled: 1-line block ×4, first 2 shown]
	v_add_f64 v[14:15], v[14:15], v[16:17]
	v_add_f64 v[16:17], v[20:21], v[10:11]
	v_add_f64 v[24:25], v[16:17], -v[20:21]
	v_add_f64 v[26:27], v[16:17], -v[24:25]
	v_add_f64 v[14:15], v[16:17], v[14:15]
	v_add_f64 v[20:21], v[20:21], -v[26:27]
	v_add_f64 v[10:11], v[10:11], -v[24:25]
	v_add_f64 v[16:17], v[22:23], v[14:15]
	v_add_f64 v[10:11], v[10:11], v[20:21]
	v_add_f64 v[20:21], v[16:17], -v[22:23]
	v_add_f64 v[14:15], v[14:15], -v[20:21]
	v_add_f64 v[10:11], v[10:11], v[14:15]
	v_add_f64 v[10:11], v[16:17], v[10:11]
	v_cmp_class_f64_e64 vcc, v[12:13], s18
	v_mov_b32_e32 v14, 0xfff00000
	s_nop 0
	v_cndmask_b32_e32 v10, v10, v12, vcc
	v_cndmask_b32_e32 v11, v11, v13, vcc
	v_cmp_ngt_f64_e32 vcc, 0, v[12:13]
	s_nop 1
	v_cndmask_b32_e32 v11, v18, v11, vcc
	v_cmp_nge_f64_e32 vcc, 0, v[12:13]
	s_nop 1
	v_cndmask_b32_e32 v10, 0, v10, vcc
	v_cmp_neq_f64_e32 vcc, 0, v[12:13]
	s_nop 1
	v_cndmask_b32_e32 v11, v14, v11, vcc
.LBB175_16:
	s_andn2_saveexec_b64 s[12:13], s[2:3]
	s_cbranch_execz .LBB175_20
; %bb.17:
	v_add_f64 v[14:15], v[10:11], 2.0
	v_mul_f64 v[12:13], v[0:1], v[0:1]
	v_fmac_f64_e32 v[12:13], v[10:11], v[14:15]
	v_cmp_neq_f64_e32 vcc, 0, v[12:13]
	s_and_saveexec_b64 s[14:15], vcc
	s_cbranch_execz .LBB175_19
; %bb.18:
	v_add_f64 v[10:11], v[12:13], 1.0
	v_add_f64 v[14:15], v[10:11], -1.0
	v_add_f64 v[16:17], v[14:15], -v[10:11]
	v_add_f64 v[16:17], v[16:17], 1.0
	v_add_f64 v[14:15], v[12:13], -v[14:15]
	s_mov_b32 s2, 0x55555555
	v_add_f64 v[14:15], v[14:15], v[16:17]
	v_frexp_mant_f64_e32 v[16:17], v[10:11]
	s_mov_b32 s3, 0x3fe55555
	v_frexp_exp_i32_f64_e32 v18, v[10:11]
	v_cmp_gt_f64_e32 vcc, s[2:3], v[16:17]
	s_mov_b32 s2, 0xbf559e2b
	s_mov_b32 s3, 0x3fc3ab76
	v_subbrev_co_u32_e32 v32, vcc, 0, v18, vcc
	v_sub_u32_e32 v16, 0, v32
	v_ldexp_f64 v[10:11], v[10:11], v16
	v_ldexp_f64 v[14:15], v[14:15], v16
	v_add_f64 v[16:17], v[10:11], -1.0
	v_add_f64 v[22:23], v[10:11], 1.0
	v_add_f64 v[18:19], v[16:17], 1.0
	v_add_f64 v[24:25], v[22:23], -1.0
	v_add_f64 v[18:19], v[10:11], -v[18:19]
	v_add_f64 v[10:11], v[10:11], -v[24:25]
	v_add_f64 v[10:11], v[14:15], v[10:11]
	v_add_f64 v[18:19], v[14:15], v[18:19]
	;; [unrolled: 1-line block ×3, first 2 shown]
	v_rcp_f64_e32 v[24:25], v[14:15]
	v_add_f64 v[20:21], v[16:17], v[18:19]
	v_add_f64 v[16:17], v[20:21], -v[16:17]
	v_add_f64 v[16:17], v[18:19], -v[16:17]
	;; [unrolled: 1-line block ×4, first 2 shown]
	v_fma_f64 v[18:19], -v[14:15], v[24:25], 1.0
	v_fmac_f64_e32 v[24:25], v[18:19], v[24:25]
	v_fma_f64 v[18:19], -v[14:15], v[24:25], 1.0
	v_fmac_f64_e32 v[24:25], v[18:19], v[24:25]
	v_mul_f64 v[18:19], v[20:21], v[24:25]
	v_mul_f64 v[22:23], v[14:15], v[18:19]
	v_fma_f64 v[26:27], v[18:19], v[14:15], -v[22:23]
	v_fmac_f64_e32 v[26:27], v[18:19], v[10:11]
	v_add_f64 v[28:29], v[22:23], v[26:27]
	v_add_f64 v[30:31], v[20:21], -v[28:29]
	v_add_f64 v[20:21], v[20:21], -v[30:31]
	;; [unrolled: 1-line block ×4, first 2 shown]
	v_add_f64 v[16:17], v[16:17], v[20:21]
	v_add_f64 v[20:21], v[22:23], -v[26:27]
	v_add_f64 v[16:17], v[20:21], v[16:17]
	v_add_f64 v[20:21], v[30:31], v[16:17]
	v_add_f64 v[22:23], v[30:31], -v[20:21]
	v_add_f64 v[16:17], v[16:17], v[22:23]
	v_mul_f64 v[22:23], v[24:25], v[20:21]
	v_mul_f64 v[26:27], v[14:15], v[22:23]
	v_fma_f64 v[14:15], v[22:23], v[14:15], -v[26:27]
	v_fmac_f64_e32 v[14:15], v[22:23], v[10:11]
	v_add_f64 v[10:11], v[26:27], v[14:15]
	v_add_f64 v[28:29], v[20:21], -v[10:11]
	v_add_f64 v[20:21], v[20:21], -v[28:29]
	;; [unrolled: 1-line block ×4, first 2 shown]
	v_add_f64 v[10:11], v[16:17], v[10:11]
	v_add_f64 v[14:15], v[26:27], -v[14:15]
	v_add_f64 v[10:11], v[14:15], v[10:11]
	v_add_f64 v[14:15], v[18:19], v[22:23]
	;; [unrolled: 1-line block ×3, first 2 shown]
	v_add_f64 v[16:17], v[14:15], -v[18:19]
	v_mul_f64 v[10:11], v[24:25], v[10:11]
	v_add_f64 v[16:17], v[22:23], -v[16:17]
	v_add_f64 v[10:11], v[16:17], v[10:11]
	v_add_f64 v[16:17], v[14:15], v[10:11]
	v_add_f64 v[14:15], v[16:17], -v[14:15]
	v_add_f64 v[10:11], v[10:11], -v[14:15]
	v_mul_f64 v[14:15], v[16:17], v[16:17]
	v_mov_b32_e32 v18, 0x6b47b09a
	v_mov_b32_e32 v19, 0x3fc38538
	v_fmac_f64_e32 v[18:19], s[2:3], v[14:15]
	v_mov_b32_e32 v20, 0xd7f4df2e
	v_mov_b32_e32 v21, 0x3fc7474d
	v_fmac_f64_e32 v[20:21], v[14:15], v[18:19]
	;; [unrolled: 3-line block ×5, first 2 shown]
	v_mov_b32_e32 v20, 0x55555780
	v_mov_b32_e32 v21, 0x3fe55555
	s_mov_b32 s2, 0xfefa39ef
	v_fmac_f64_e32 v[20:21], v[14:15], v[18:19]
	v_cvt_f64_i32_e32 v[18:19], v32
	s_mov_b32 s3, 0x3fe62e42
	v_mul_f64 v[22:23], v[18:19], s[2:3]
	v_fma_f64 v[24:25], v[18:19], s[2:3], -v[22:23]
	s_mov_b32 s2, 0x3b39803f
	s_mov_b32 s3, 0x3c7abc9e
	v_fmac_f64_e32 v[24:25], s[2:3], v[18:19]
	v_add_f64 v[18:19], v[22:23], v[24:25]
	v_add_f64 v[22:23], v[18:19], -v[22:23]
	v_mul_f64 v[14:15], v[16:17], v[14:15]
	v_add_f64 v[22:23], v[24:25], -v[22:23]
	v_ldexp_f64 v[24:25], v[16:17], 1
	v_mul_f64 v[14:15], v[14:15], v[20:21]
	v_add_f64 v[16:17], v[24:25], v[14:15]
	v_add_f64 v[20:21], v[16:17], -v[24:25]
	v_ldexp_f64 v[10:11], v[10:11], 1
	v_add_f64 v[14:15], v[14:15], -v[20:21]
	v_add_f64 v[10:11], v[10:11], v[14:15]
	v_add_f64 v[14:15], v[16:17], v[10:11]
	v_add_f64 v[16:17], v[14:15], -v[16:17]
	v_add_f64 v[10:11], v[10:11], -v[16:17]
	v_add_f64 v[16:17], v[18:19], v[14:15]
	v_add_f64 v[20:21], v[16:17], -v[18:19]
	v_add_f64 v[24:25], v[16:17], -v[20:21]
	;; [unrolled: 1-line block ×4, first 2 shown]
	v_add_f64 v[14:15], v[14:15], v[18:19]
	v_add_f64 v[18:19], v[22:23], v[10:11]
	v_add_f64 v[20:21], v[18:19], -v[22:23]
	v_add_f64 v[14:15], v[18:19], v[14:15]
	v_add_f64 v[24:25], v[18:19], -v[20:21]
	;; [unrolled: 2-line block ×3, first 2 shown]
	v_add_f64 v[10:11], v[10:11], -v[20:21]
	v_add_f64 v[16:17], v[18:19], -v[16:17]
	v_add_f64 v[10:11], v[10:11], v[22:23]
	v_add_f64 v[14:15], v[14:15], -v[16:17]
	v_add_f64 v[10:11], v[10:11], v[14:15]
	s_mov_b32 s2, 0
	v_add_f64 v[10:11], v[18:19], v[10:11]
	s_mov_b32 s3, 0x7ff00000
	v_mul_f64 v[10:11], v[10:11], 0.5
	v_mov_b32_e32 v14, 0x7ff00000
	v_cmp_neq_f64_e32 vcc, s[2:3], v[12:13]
	v_cmp_ngt_f64_e64 s[2:3], -1.0, v[12:13]
	s_nop 0
	v_cndmask_b32_e32 v11, v14, v11, vcc
	v_mov_b32_e32 v14, 0x7ff80000
	v_cndmask_b32_e64 v11, v14, v11, s[2:3]
	v_cmp_nge_f64_e64 s[2:3], -1.0, v[12:13]
	s_and_b64 vcc, s[2:3], vcc
	v_cndmask_b32_e32 v10, 0, v10, vcc
	v_mov_b32_e32 v14, 0xfff00000
	v_cmp_neq_f64_e32 vcc, -1.0, v[12:13]
	s_nop 1
	v_cndmask_b32_e32 v11, v14, v11, vcc
.LBB175_19:
	s_or_b64 exec, exec, s[14:15]
.LBB175_20:
	s_or_b64 exec, exec, s[12:13]
	v_mov_b32_e32 v12, 0x54442d18
	v_mov_b32_e32 v13, 0x7f3321d2
	v_cmp_gt_i32_e64 s[2:3], 0, v3
	v_max_f64 v[14:15], |v[2:3]|, |v[2:3]|
	v_ashrrev_i32_e32 v18, 31, v3
	v_cndmask_b32_e64 v22, v12, v13, s[2:3]
	v_mov_b32_e32 v12, 0x3fe921fb
	v_mov_b32_e32 v13, 0x4002d97c
	v_cndmask_b32_e64 v23, v12, v13, s[2:3]
	v_max_f64 v[12:13], |v[0:1]|, |v[0:1]|
	v_min_f64 v[12:13], v[14:15], v[12:13]
	v_div_scale_f64 v[14:15], s[14:15], v[8:9], v[8:9], v[12:13]
	v_rcp_f64_e32 v[16:17], v[14:15]
	v_and_b32_e32 v24, 0x400921fb, v18
	v_and_b32_e32 v25, 0x54442d18, v18
	s_mov_b32 s14, 0xb5e68a13
	v_fma_f64 v[18:19], -v[14:15], v[16:17], 1.0
	v_fmac_f64_e32 v[16:17], v[16:17], v[18:19]
	v_fma_f64 v[18:19], -v[14:15], v[16:17], 1.0
	v_fmac_f64_e32 v[16:17], v[16:17], v[18:19]
	v_div_scale_f64 v[18:19], vcc, v[12:13], v[8:9], v[12:13]
	v_mul_f64 v[20:21], v[18:19], v[16:17]
	v_fma_f64 v[14:15], -v[14:15], v[20:21], v[18:19]
	s_mov_b32 s15, 0x3eeba404
	s_nop 0
	v_div_fmas_f64 v[14:15], v[14:15], v[16:17], v[20:21]
	v_div_fixup_f64 v[8:9], v[14:15], v[8:9], v[12:13]
	v_mul_f64 v[12:13], v[8:9], v[8:9]
	v_mov_b32_e32 v14, 0xbd3237f4
	v_mov_b32_e32 v15, 0xbf23e260
	v_fmac_f64_e32 v[14:15], s[14:15], v[12:13]
	v_mov_b32_e32 v16, 0x69efb384
	v_mov_b32_e32 v17, 0x3f4b2bb0
	v_fmac_f64_e32 v[16:17], v[12:13], v[14:15]
	;; [unrolled: 3-line block ×19, first 2 shown]
	v_mul_f64 v[12:13], v[12:13], v[14:15]
	s_mov_b32 s12, 0x54442d18
	v_fmac_f64_e32 v[8:9], v[8:9], v[12:13]
	s_mov_b32 s13, 0x3ff921fb
	s_mov_b32 s16, 0x400921fb
	v_add_f64 v[12:13], -v[8:9], s[12:13]
	v_cmp_lt_f64_e64 vcc, |v[2:3]|, |v[0:1]|
	s_mov_b32 s13, s16
	v_add_f64 v[10:11], v[4:5], v[10:11]
	v_cndmask_b32_e32 v3, v9, v13, vcc
	v_cndmask_b32_e32 v2, v8, v12, vcc
	v_add_f64 v[8:9], -v[2:3], s[12:13]
	v_cndmask_b32_e64 v3, v3, v9, s[2:3]
	v_cndmask_b32_e64 v2, v2, v8, s[2:3]
	v_cmp_eq_f64_e32 vcc, 0, v[0:1]
	s_nop 1
	v_cndmask_b32_e32 v0, v2, v25, vcc
	v_cndmask_b32_e32 v2, v3, v24, vcc
	s_and_b64 vcc, s[10:11], s[8:9]
	v_cndmask_b32_e32 v2, v2, v23, vcc
	v_cndmask_b32_e32 v0, v0, v22, vcc
	v_mov_b32_e32 v3, 0x7ff80000
	v_cndmask_b32_e64 v0, v0, 0, s[0:1]
	v_cndmask_b32_e64 v2, v2, v3, s[0:1]
	s_brev_b32 s0, -2
	v_bfi_b32 v1, s0, v2, v1
	v_add_f64 v[8:9], v[6:7], v[0:1]
                                        ; implicit-def: $vgpr6_vgpr7
.LBB175_21:
	s_andn2_saveexec_b64 s[6:7], s[6:7]
	s_cbranch_execz .LBB175_47
; %bb.22:
	v_cmp_ngt_f64_e32 vcc, 0, v[10:11]
	s_and_saveexec_b64 s[8:9], vcc
	s_cbranch_execz .LBB175_46
; %bb.23:
	s_mov_b32 s0, 0
	s_mov_b32 s1, 0x41d00000
	v_cmp_nlt_f64_e64 s[2:3], |v[8:9]|, s[0:1]
	v_trig_preop_f64 v[16:17], |v[8:9]|, 0
	v_trig_preop_f64 v[14:15], |v[8:9]|, 1
	;; [unrolled: 1-line block ×3, first 2 shown]
                                        ; implicit-def: $vgpr26
                                        ; implicit-def: $vgpr0_vgpr1
                                        ; implicit-def: $vgpr2_vgpr3
	s_and_saveexec_b64 s[0:1], s[2:3]
	s_xor_b64 s[10:11], exec, s[0:1]
	s_cbranch_execz .LBB175_25
; %bb.24:
	s_mov_b32 s0, 0
	s_mov_b32 s1, 0x7b000000
	s_movk_i32 s12, 0xff80
	v_and_b32_e32 v2, 0x7fffffff, v9
	v_ldexp_f64 v[0:1], |v[8:9]|, s12
	v_cmp_ge_f64_e64 vcc, |v[8:9]|, s[0:1]
	s_mov_b32 s0, 0
	s_mov_b32 s1, 0x7ff00000
	v_cndmask_b32_e32 v1, v2, v1, vcc
	v_cndmask_b32_e32 v0, v8, v0, vcc
	v_mul_f64 v[4:5], v[16:17], v[0:1]
	v_mul_f64 v[2:3], v[14:15], v[0:1]
	v_fma_f64 v[10:11], v[16:17], v[0:1], -v[4:5]
	v_add_f64 v[18:19], v[2:3], v[10:11]
	v_add_f64 v[26:27], v[18:19], -v[2:3]
	v_add_f64 v[10:11], v[10:11], -v[26:27]
	;; [unrolled: 1-line block ×4, first 2 shown]
	v_add_f64 v[10:11], v[10:11], v[26:27]
	v_fma_f64 v[2:3], v[14:15], v[0:1], -v[2:3]
	v_mul_f64 v[26:27], v[12:13], v[0:1]
	v_add_f64 v[28:29], v[26:27], v[2:3]
	v_add_f64 v[20:21], v[4:5], v[18:19]
	;; [unrolled: 1-line block ×3, first 2 shown]
	v_ldexp_f64 v[22:23], v[20:21], -2
	v_add_f64 v[4:5], v[20:21], -v[4:5]
	v_add_f64 v[20:21], v[30:31], -v[28:29]
	;; [unrolled: 1-line block ×5, first 2 shown]
	v_add_f64 v[10:11], v[10:11], v[20:21]
	v_add_f64 v[20:21], v[28:29], -v[26:27]
	v_add_f64 v[2:3], v[2:3], -v[20:21]
	;; [unrolled: 1-line block ×5, first 2 shown]
	v_add_f64 v[2:3], v[2:3], v[20:21]
	v_fract_f64_e32 v[24:25], v[22:23]
	v_add_f64 v[18:19], v[4:5], v[30:31]
	v_add_f64 v[2:3], v[2:3], v[10:11]
	v_fma_f64 v[0:1], v[12:13], v[0:1], -v[26:27]
	v_add_f64 v[4:5], v[18:19], -v[4:5]
	v_add_f64 v[0:1], v[0:1], v[2:3]
	v_ldexp_f64 v[2:3], v[24:25], 2
	v_cmp_neq_f64_e64 vcc, |v[22:23]|, s[0:1]
	v_add_f64 v[4:5], v[30:31], -v[4:5]
	v_add_f64 v[0:1], v[4:5], v[0:1]
	v_cndmask_b32_e32 v3, 0, v3, vcc
	v_cndmask_b32_e32 v2, 0, v2, vcc
	v_add_f64 v[4:5], v[18:19], v[2:3]
	v_mov_b32_e32 v10, 0x40100000
	v_cmp_gt_f64_e32 vcc, 0, v[4:5]
	v_mov_b32_e32 v4, 0
	s_mov_b32 s12, 0x33145c07
	v_cndmask_b32_e32 v5, 0, v10, vcc
	v_add_f64 v[2:3], v[2:3], v[4:5]
	v_add_f64 v[10:11], v[18:19], v[2:3]
	v_cvt_i32_f64_e32 v5, v[10:11]
	v_cvt_f64_i32_e32 v[10:11], v5
	v_add_f64 v[2:3], v[2:3], -v[10:11]
	v_add_f64 v[10:11], v[18:19], v[2:3]
	v_add_f64 v[2:3], v[10:11], -v[2:3]
	v_add_f64 v[2:3], v[18:19], -v[2:3]
	v_add_f64 v[0:1], v[0:1], v[2:3]
	v_cmp_le_f64_e32 vcc, 0.5, v[10:11]
	v_mov_b32_e32 v2, 0x3ff00000
	s_mov_b32 s13, 0x3c91a626
	v_addc_co_u32_e64 v26, s[0:1], 0, v5, vcc
	v_cndmask_b32_e32 v5, 0, v2, vcc
	v_add_f64 v[2:3], v[10:11], -v[4:5]
	v_add_f64 v[4:5], v[2:3], v[0:1]
	s_mov_b32 s0, 0x54442d18
	v_add_f64 v[2:3], v[4:5], -v[2:3]
	s_mov_b32 s1, 0x3ff921fb
	v_add_f64 v[0:1], v[0:1], -v[2:3]
	v_mul_f64 v[2:3], v[4:5], s[0:1]
	v_fma_f64 v[10:11], v[4:5], s[0:1], -v[2:3]
	v_fmac_f64_e32 v[10:11], s[12:13], v[4:5]
	v_fmac_f64_e32 v[10:11], s[0:1], v[0:1]
	v_add_f64 v[0:1], v[2:3], v[10:11]
	v_add_f64 v[2:3], v[0:1], -v[2:3]
	v_add_f64 v[2:3], v[10:11], -v[2:3]
	s_andn2_saveexec_b64 s[0:1], s[10:11]
	s_cbranch_execz .LBB175_27
	s_branch .LBB175_26
.LBB175_25:
	s_andn2_saveexec_b64 s[0:1], s[10:11]
	s_cbranch_execz .LBB175_27
.LBB175_26:
	s_mov_b32 s10, 0x6dc9c883
	s_mov_b32 s11, 0x3fe45f30
	v_mul_f64 v[0:1], |v[8:9]|, s[10:11]
	s_mov_b32 s10, 0x54442d18
	v_rndne_f64_e32 v[4:5], v[0:1]
	s_mov_b32 s11, 0xbff921fb
	v_fma_f64 v[0:1], v[4:5], s[10:11], |v[8:9]|
	s_mov_b32 s11, 0xbc91a626
	s_mov_b32 s10, 0x33145c00
	v_mul_f64 v[10:11], v[4:5], s[10:11]
	v_add_f64 v[20:21], v[0:1], v[10:11]
	v_fma_f64 v[2:3], s[10:11], v[4:5], v[0:1]
	s_mov_b32 s11, 0x3c91a626
	v_add_f64 v[0:1], v[0:1], -v[20:21]
	v_fma_f64 v[18:19], s[10:11], v[4:5], v[10:11]
	v_add_f64 v[0:1], v[0:1], v[10:11]
	v_add_f64 v[10:11], v[20:21], -v[2:3]
	v_add_f64 v[0:1], v[10:11], v[0:1]
	s_mov_b32 s10, 0x252049c0
	v_add_f64 v[10:11], v[0:1], -v[18:19]
	s_mov_b32 s11, 0xb97b839a
	v_fmac_f64_e32 v[10:11], s[10:11], v[4:5]
	v_add_f64 v[0:1], v[2:3], v[10:11]
	v_add_f64 v[2:3], v[0:1], -v[2:3]
	v_add_f64 v[2:3], v[10:11], -v[2:3]
	v_cvt_i32_f64_e32 v26, v[4:5]
.LBB175_27:
	s_or_b64 exec, exec, s[0:1]
                                        ; implicit-def: $vgpr27
                                        ; implicit-def: $vgpr4_vgpr5
                                        ; implicit-def: $vgpr10_vgpr11
	s_and_saveexec_b64 s[0:1], s[2:3]
	s_xor_b64 s[2:3], exec, s[0:1]
	s_cbranch_execz .LBB175_29
; %bb.28:
	s_mov_b32 s0, 0
	s_mov_b32 s1, 0x7b000000
	s_movk_i32 s10, 0xff80
	v_and_b32_e32 v10, 0x7fffffff, v9
	v_ldexp_f64 v[4:5], |v[8:9]|, s10
	v_cmp_ge_f64_e64 vcc, |v[8:9]|, s[0:1]
	s_mov_b32 s0, 0
	s_mov_b32 s1, 0x7ff00000
	v_cndmask_b32_e32 v5, v10, v5, vcc
	v_cndmask_b32_e32 v4, v8, v4, vcc
	v_mul_f64 v[18:19], v[16:17], v[4:5]
	v_mul_f64 v[10:11], v[14:15], v[4:5]
	v_fma_f64 v[16:17], v[16:17], v[4:5], -v[18:19]
	v_add_f64 v[20:21], v[10:11], v[16:17]
	v_add_f64 v[30:31], v[20:21], -v[10:11]
	v_add_f64 v[16:17], v[16:17], -v[30:31]
	;; [unrolled: 1-line block ×4, first 2 shown]
	v_fma_f64 v[10:11], v[14:15], v[4:5], -v[10:11]
	v_mul_f64 v[14:15], v[12:13], v[4:5]
	v_add_f64 v[16:17], v[16:17], v[30:31]
	v_add_f64 v[30:31], v[14:15], v[10:11]
	;; [unrolled: 1-line block ×4, first 2 shown]
	v_ldexp_f64 v[24:25], v[22:23], -2
	v_add_f64 v[18:19], v[22:23], -v[18:19]
	v_add_f64 v[22:23], v[32:33], -v[30:31]
	;; [unrolled: 1-line block ×5, first 2 shown]
	v_add_f64 v[16:17], v[16:17], v[22:23]
	v_add_f64 v[22:23], v[30:31], -v[14:15]
	v_add_f64 v[10:11], v[10:11], -v[22:23]
	;; [unrolled: 1-line block ×4, first 2 shown]
	v_add_f64 v[10:11], v[10:11], v[22:23]
	v_fract_f64_e32 v[28:29], v[24:25]
	v_add_f64 v[10:11], v[10:11], v[16:17]
	v_fma_f64 v[4:5], v[12:13], v[4:5], -v[14:15]
	v_add_f64 v[18:19], v[20:21], -v[18:19]
	v_add_f64 v[4:5], v[4:5], v[10:11]
	v_ldexp_f64 v[10:11], v[28:29], 2
	v_cmp_neq_f64_e64 vcc, |v[24:25]|, s[0:1]
	v_add_f64 v[20:21], v[18:19], v[32:33]
	v_mov_b32_e32 v14, 0x40100000
	v_cndmask_b32_e32 v11, 0, v11, vcc
	v_cndmask_b32_e32 v10, 0, v10, vcc
	v_add_f64 v[12:13], v[20:21], v[10:11]
	v_cmp_gt_f64_e32 vcc, 0, v[12:13]
	v_mov_b32_e32 v12, 0
	v_add_f64 v[18:19], v[20:21], -v[18:19]
	v_cndmask_b32_e32 v13, 0, v14, vcc
	v_add_f64 v[10:11], v[10:11], v[12:13]
	v_add_f64 v[14:15], v[20:21], v[10:11]
	v_cvt_i32_f64_e32 v13, v[14:15]
	v_cvt_f64_i32_e32 v[14:15], v13
	v_add_f64 v[10:11], v[10:11], -v[14:15]
	v_add_f64 v[14:15], v[20:21], v[10:11]
	v_add_f64 v[18:19], v[32:33], -v[18:19]
	v_add_f64 v[10:11], v[14:15], -v[10:11]
	v_add_f64 v[4:5], v[18:19], v[4:5]
	v_add_f64 v[10:11], v[20:21], -v[10:11]
	v_add_f64 v[4:5], v[4:5], v[10:11]
	v_cmp_le_f64_e32 vcc, 0.5, v[14:15]
	v_mov_b32_e32 v10, 0x3ff00000
	s_mov_b32 s10, 0x33145c07
	v_addc_co_u32_e64 v27, s[0:1], 0, v13, vcc
	v_cndmask_b32_e32 v13, 0, v10, vcc
	v_add_f64 v[10:11], v[14:15], -v[12:13]
	v_add_f64 v[12:13], v[10:11], v[4:5]
	s_mov_b32 s0, 0x54442d18
	v_add_f64 v[10:11], v[12:13], -v[10:11]
	s_mov_b32 s1, 0x3ff921fb
	v_add_f64 v[4:5], v[4:5], -v[10:11]
	v_mul_f64 v[10:11], v[12:13], s[0:1]
	v_fma_f64 v[14:15], v[12:13], s[0:1], -v[10:11]
	s_mov_b32 s11, 0x3c91a626
	v_fmac_f64_e32 v[14:15], s[10:11], v[12:13]
	v_fmac_f64_e32 v[14:15], s[0:1], v[4:5]
	v_add_f64 v[4:5], v[10:11], v[14:15]
	v_add_f64 v[10:11], v[4:5], -v[10:11]
	v_add_f64 v[10:11], v[14:15], -v[10:11]
	s_andn2_saveexec_b64 s[0:1], s[2:3]
	s_cbranch_execnz .LBB175_30
	s_branch .LBB175_31
.LBB175_29:
	s_andn2_saveexec_b64 s[0:1], s[2:3]
	s_cbranch_execz .LBB175_31
.LBB175_30:
	s_mov_b32 s2, 0x6dc9c883
	s_mov_b32 s3, 0x3fe45f30
	v_mul_f64 v[4:5], |v[8:9]|, s[2:3]
	s_mov_b32 s2, 0x54442d18
	v_rndne_f64_e32 v[12:13], v[4:5]
	s_mov_b32 s3, 0xbff921fb
	v_fma_f64 v[4:5], v[12:13], s[2:3], |v[8:9]|
	s_mov_b32 s3, 0xbc91a626
	s_mov_b32 s2, 0x33145c00
	v_mul_f64 v[14:15], v[12:13], s[2:3]
	v_add_f64 v[18:19], v[4:5], v[14:15]
	v_fma_f64 v[10:11], s[2:3], v[12:13], v[4:5]
	s_mov_b32 s3, 0x3c91a626
	v_add_f64 v[4:5], v[4:5], -v[18:19]
	v_fma_f64 v[16:17], s[2:3], v[12:13], v[14:15]
	v_add_f64 v[4:5], v[4:5], v[14:15]
	v_add_f64 v[14:15], v[18:19], -v[10:11]
	v_add_f64 v[4:5], v[14:15], v[4:5]
	s_mov_b32 s2, 0x252049c0
	v_add_f64 v[14:15], v[4:5], -v[16:17]
	s_mov_b32 s3, 0xb97b839a
	v_fmac_f64_e32 v[14:15], s[2:3], v[12:13]
	v_add_f64 v[4:5], v[10:11], v[14:15]
	v_add_f64 v[10:11], v[4:5], -v[10:11]
	v_add_f64 v[10:11], v[14:15], -v[10:11]
	v_cvt_i32_f64_e32 v27, v[12:13]
.LBB175_31:
	s_or_b64 exec, exec, s[0:1]
	s_mov_b32 s0, 0
	s_mov_b32 s1, 0x41d00000
	v_cmp_nlt_f64_e64 s[2:3], |v[6:7]|, s[0:1]
	v_trig_preop_f64 v[24:25], |v[6:7]|, 0
	v_trig_preop_f64 v[22:23], |v[6:7]|, 1
	v_trig_preop_f64 v[20:21], |v[6:7]|, 2
                                        ; implicit-def: $vgpr28
                                        ; implicit-def: $vgpr12_vgpr13
                                        ; implicit-def: $vgpr14_vgpr15
	s_and_saveexec_b64 s[0:1], s[2:3]
	s_xor_b64 s[10:11], exec, s[0:1]
	s_cbranch_execz .LBB175_33
; %bb.32:
	s_mov_b32 s0, 0
	s_mov_b32 s1, 0x7b000000
	s_movk_i32 s12, 0xff80
	v_and_b32_e32 v14, 0x7fffffff, v7
	v_ldexp_f64 v[12:13], |v[6:7]|, s12
	v_cmp_ge_f64_e64 vcc, |v[6:7]|, s[0:1]
	s_mov_b32 s0, 0
	s_mov_b32 s1, 0x7ff00000
	v_cndmask_b32_e32 v13, v14, v13, vcc
	v_cndmask_b32_e32 v12, v6, v12, vcc
	v_mul_f64 v[16:17], v[24:25], v[12:13]
	v_mul_f64 v[14:15], v[22:23], v[12:13]
	v_fma_f64 v[18:19], v[24:25], v[12:13], -v[16:17]
	v_add_f64 v[28:29], v[14:15], v[18:19]
	v_add_f64 v[36:37], v[28:29], -v[14:15]
	v_add_f64 v[18:19], v[18:19], -v[36:37]
	;; [unrolled: 1-line block ×4, first 2 shown]
	v_add_f64 v[18:19], v[18:19], v[36:37]
	v_fma_f64 v[14:15], v[22:23], v[12:13], -v[14:15]
	v_mul_f64 v[36:37], v[20:21], v[12:13]
	v_add_f64 v[38:39], v[36:37], v[14:15]
	v_add_f64 v[30:31], v[16:17], v[28:29]
	v_add_f64 v[48:49], v[38:39], v[18:19]
	v_ldexp_f64 v[32:33], v[30:31], -2
	v_add_f64 v[16:17], v[30:31], -v[16:17]
	v_add_f64 v[30:31], v[48:49], -v[38:39]
	v_add_f64 v[18:19], v[18:19], -v[30:31]
	v_add_f64 v[30:31], v[48:49], -v[30:31]
	v_add_f64 v[30:31], v[38:39], -v[30:31]
	v_add_f64 v[18:19], v[18:19], v[30:31]
	v_add_f64 v[30:31], v[38:39], -v[36:37]
	v_add_f64 v[14:15], v[14:15], -v[30:31]
	v_add_f64 v[30:31], v[38:39], -v[30:31]
	v_add_f64 v[30:31], v[36:37], -v[30:31]
	v_add_f64 v[16:17], v[28:29], -v[16:17]
	v_add_f64 v[14:15], v[14:15], v[30:31]
	v_fract_f64_e32 v[34:35], v[32:33]
	v_add_f64 v[28:29], v[16:17], v[48:49]
	v_add_f64 v[14:15], v[14:15], v[18:19]
	v_fma_f64 v[12:13], v[20:21], v[12:13], -v[36:37]
	v_add_f64 v[16:17], v[28:29], -v[16:17]
	v_add_f64 v[12:13], v[12:13], v[14:15]
	v_ldexp_f64 v[14:15], v[34:35], 2
	v_cmp_neq_f64_e64 vcc, |v[32:33]|, s[0:1]
	v_add_f64 v[16:17], v[48:49], -v[16:17]
	v_add_f64 v[12:13], v[16:17], v[12:13]
	v_cndmask_b32_e32 v15, 0, v15, vcc
	v_cndmask_b32_e32 v14, 0, v14, vcc
	v_add_f64 v[16:17], v[28:29], v[14:15]
	v_mov_b32_e32 v18, 0x40100000
	v_cmp_gt_f64_e32 vcc, 0, v[16:17]
	v_mov_b32_e32 v16, 0
	s_mov_b32 s12, 0x33145c07
	v_cndmask_b32_e32 v17, 0, v18, vcc
	v_add_f64 v[14:15], v[14:15], v[16:17]
	v_add_f64 v[18:19], v[28:29], v[14:15]
	v_cvt_i32_f64_e32 v17, v[18:19]
	v_cvt_f64_i32_e32 v[18:19], v17
	v_add_f64 v[14:15], v[14:15], -v[18:19]
	v_add_f64 v[18:19], v[28:29], v[14:15]
	v_add_f64 v[14:15], v[18:19], -v[14:15]
	v_add_f64 v[14:15], v[28:29], -v[14:15]
	v_add_f64 v[12:13], v[12:13], v[14:15]
	v_cmp_le_f64_e32 vcc, 0.5, v[18:19]
	v_mov_b32_e32 v14, 0x3ff00000
	s_mov_b32 s13, 0x3c91a626
	v_addc_co_u32_e64 v28, s[0:1], 0, v17, vcc
	v_cndmask_b32_e32 v17, 0, v14, vcc
	v_add_f64 v[14:15], v[18:19], -v[16:17]
	v_add_f64 v[16:17], v[14:15], v[12:13]
	s_mov_b32 s0, 0x54442d18
	v_add_f64 v[14:15], v[16:17], -v[14:15]
	s_mov_b32 s1, 0x3ff921fb
	v_add_f64 v[12:13], v[12:13], -v[14:15]
	v_mul_f64 v[14:15], v[16:17], s[0:1]
	v_fma_f64 v[18:19], v[16:17], s[0:1], -v[14:15]
	v_fmac_f64_e32 v[18:19], s[12:13], v[16:17]
	v_fmac_f64_e32 v[18:19], s[0:1], v[12:13]
	v_add_f64 v[12:13], v[14:15], v[18:19]
	v_add_f64 v[14:15], v[12:13], -v[14:15]
	v_add_f64 v[14:15], v[18:19], -v[14:15]
	s_andn2_saveexec_b64 s[0:1], s[10:11]
	s_cbranch_execz .LBB175_35
	s_branch .LBB175_34
.LBB175_33:
	s_andn2_saveexec_b64 s[0:1], s[10:11]
	s_cbranch_execz .LBB175_35
.LBB175_34:
	s_mov_b32 s10, 0x6dc9c883
	s_mov_b32 s11, 0x3fe45f30
	v_mul_f64 v[12:13], |v[6:7]|, s[10:11]
	s_mov_b32 s10, 0x54442d18
	v_rndne_f64_e32 v[16:17], v[12:13]
	s_mov_b32 s11, 0xbff921fb
	v_fma_f64 v[12:13], v[16:17], s[10:11], |v[6:7]|
	s_mov_b32 s11, 0xbc91a626
	s_mov_b32 s10, 0x33145c00
	v_mul_f64 v[18:19], v[16:17], s[10:11]
	v_add_f64 v[30:31], v[12:13], v[18:19]
	v_fma_f64 v[14:15], s[10:11], v[16:17], v[12:13]
	s_mov_b32 s11, 0x3c91a626
	v_add_f64 v[12:13], v[12:13], -v[30:31]
	v_fma_f64 v[28:29], s[10:11], v[16:17], v[18:19]
	v_add_f64 v[12:13], v[12:13], v[18:19]
	v_add_f64 v[18:19], v[30:31], -v[14:15]
	v_add_f64 v[12:13], v[18:19], v[12:13]
	s_mov_b32 s10, 0x252049c0
	v_add_f64 v[18:19], v[12:13], -v[28:29]
	s_mov_b32 s11, 0xb97b839a
	v_fmac_f64_e32 v[18:19], s[10:11], v[16:17]
	v_add_f64 v[12:13], v[14:15], v[18:19]
	v_add_f64 v[14:15], v[12:13], -v[14:15]
	v_add_f64 v[14:15], v[18:19], -v[14:15]
	v_cvt_i32_f64_e32 v28, v[16:17]
.LBB175_35:
	s_or_b64 exec, exec, s[0:1]
                                        ; implicit-def: $vgpr29
                                        ; implicit-def: $vgpr16_vgpr17
                                        ; implicit-def: $vgpr18_vgpr19
	s_and_saveexec_b64 s[0:1], s[2:3]
	s_xor_b64 s[2:3], exec, s[0:1]
	s_cbranch_execz .LBB175_37
; %bb.36:
	s_mov_b32 s0, 0
	s_mov_b32 s1, 0x7b000000
	s_movk_i32 s10, 0xff80
	v_and_b32_e32 v18, 0x7fffffff, v7
	v_ldexp_f64 v[16:17], |v[6:7]|, s10
	v_cmp_ge_f64_e64 vcc, |v[6:7]|, s[0:1]
	s_mov_b32 s0, 0
	s_mov_b32 s1, 0x7ff00000
	v_cndmask_b32_e32 v17, v18, v17, vcc
	v_cndmask_b32_e32 v16, v6, v16, vcc
	v_mul_f64 v[30:31], v[24:25], v[16:17]
	v_mul_f64 v[18:19], v[22:23], v[16:17]
	v_fma_f64 v[24:25], v[24:25], v[16:17], -v[30:31]
	v_add_f64 v[32:33], v[18:19], v[24:25]
	v_add_f64 v[48:49], v[32:33], -v[18:19]
	v_add_f64 v[24:25], v[24:25], -v[48:49]
	;; [unrolled: 1-line block ×4, first 2 shown]
	v_fma_f64 v[18:19], v[22:23], v[16:17], -v[18:19]
	v_mul_f64 v[22:23], v[20:21], v[16:17]
	v_add_f64 v[24:25], v[24:25], v[48:49]
	v_add_f64 v[48:49], v[22:23], v[18:19]
	;; [unrolled: 1-line block ×4, first 2 shown]
	v_ldexp_f64 v[36:37], v[34:35], -2
	v_add_f64 v[30:31], v[34:35], -v[30:31]
	v_add_f64 v[34:35], v[50:51], -v[48:49]
	;; [unrolled: 1-line block ×5, first 2 shown]
	v_add_f64 v[24:25], v[24:25], v[34:35]
	v_add_f64 v[34:35], v[48:49], -v[22:23]
	v_add_f64 v[18:19], v[18:19], -v[34:35]
	;; [unrolled: 1-line block ×4, first 2 shown]
	v_add_f64 v[18:19], v[18:19], v[34:35]
	v_fract_f64_e32 v[38:39], v[36:37]
	v_add_f64 v[18:19], v[18:19], v[24:25]
	v_fma_f64 v[16:17], v[20:21], v[16:17], -v[22:23]
	v_add_f64 v[30:31], v[32:33], -v[30:31]
	v_add_f64 v[16:17], v[16:17], v[18:19]
	v_ldexp_f64 v[18:19], v[38:39], 2
	v_cmp_neq_f64_e64 vcc, |v[36:37]|, s[0:1]
	v_add_f64 v[32:33], v[30:31], v[50:51]
	v_mov_b32_e32 v22, 0x40100000
	v_cndmask_b32_e32 v19, 0, v19, vcc
	v_cndmask_b32_e32 v18, 0, v18, vcc
	v_add_f64 v[20:21], v[32:33], v[18:19]
	v_cmp_gt_f64_e32 vcc, 0, v[20:21]
	v_mov_b32_e32 v20, 0
	v_add_f64 v[30:31], v[32:33], -v[30:31]
	v_cndmask_b32_e32 v21, 0, v22, vcc
	v_add_f64 v[18:19], v[18:19], v[20:21]
	v_add_f64 v[22:23], v[32:33], v[18:19]
	v_cvt_i32_f64_e32 v21, v[22:23]
	v_cvt_f64_i32_e32 v[22:23], v21
	v_add_f64 v[18:19], v[18:19], -v[22:23]
	v_add_f64 v[22:23], v[32:33], v[18:19]
	v_add_f64 v[30:31], v[50:51], -v[30:31]
	v_add_f64 v[18:19], v[22:23], -v[18:19]
	v_add_f64 v[16:17], v[30:31], v[16:17]
	v_add_f64 v[18:19], v[32:33], -v[18:19]
	v_add_f64 v[16:17], v[16:17], v[18:19]
	v_cmp_le_f64_e32 vcc, 0.5, v[22:23]
	v_mov_b32_e32 v18, 0x3ff00000
	s_mov_b32 s10, 0x33145c07
	v_addc_co_u32_e64 v29, s[0:1], 0, v21, vcc
	v_cndmask_b32_e32 v21, 0, v18, vcc
	v_add_f64 v[18:19], v[22:23], -v[20:21]
	v_add_f64 v[20:21], v[18:19], v[16:17]
	s_mov_b32 s0, 0x54442d18
	v_add_f64 v[18:19], v[20:21], -v[18:19]
	s_mov_b32 s1, 0x3ff921fb
	v_add_f64 v[16:17], v[16:17], -v[18:19]
	v_mul_f64 v[18:19], v[20:21], s[0:1]
	v_fma_f64 v[22:23], v[20:21], s[0:1], -v[18:19]
	s_mov_b32 s11, 0x3c91a626
	v_fmac_f64_e32 v[22:23], s[10:11], v[20:21]
	v_fmac_f64_e32 v[22:23], s[0:1], v[16:17]
	v_add_f64 v[16:17], v[18:19], v[22:23]
	v_add_f64 v[18:19], v[16:17], -v[18:19]
	v_add_f64 v[18:19], v[22:23], -v[18:19]
	s_andn2_saveexec_b64 s[0:1], s[2:3]
	s_cbranch_execnz .LBB175_38
	s_branch .LBB175_39
.LBB175_37:
	s_andn2_saveexec_b64 s[0:1], s[2:3]
	s_cbranch_execz .LBB175_39
.LBB175_38:
	s_mov_b32 s2, 0x6dc9c883
	s_mov_b32 s3, 0x3fe45f30
	v_mul_f64 v[16:17], |v[6:7]|, s[2:3]
	s_mov_b32 s2, 0x54442d18
	v_rndne_f64_e32 v[20:21], v[16:17]
	s_mov_b32 s3, 0xbff921fb
	v_fma_f64 v[16:17], v[20:21], s[2:3], |v[6:7]|
	s_mov_b32 s3, 0xbc91a626
	s_mov_b32 s2, 0x33145c00
	v_mul_f64 v[22:23], v[20:21], s[2:3]
	v_add_f64 v[30:31], v[16:17], v[22:23]
	v_fma_f64 v[18:19], s[2:3], v[20:21], v[16:17]
	s_mov_b32 s3, 0x3c91a626
	v_add_f64 v[16:17], v[16:17], -v[30:31]
	v_fma_f64 v[24:25], s[2:3], v[20:21], v[22:23]
	v_add_f64 v[16:17], v[16:17], v[22:23]
	v_add_f64 v[22:23], v[30:31], -v[18:19]
	v_add_f64 v[16:17], v[22:23], v[16:17]
	s_mov_b32 s2, 0x252049c0
	v_add_f64 v[22:23], v[16:17], -v[24:25]
	s_mov_b32 s3, 0xb97b839a
	v_fmac_f64_e32 v[22:23], s[2:3], v[20:21]
	v_add_f64 v[16:17], v[18:19], v[22:23]
	v_add_f64 v[18:19], v[16:17], -v[18:19]
	v_add_f64 v[18:19], v[22:23], -v[18:19]
	v_cvt_i32_f64_e32 v29, v[20:21]
.LBB175_39:
	s_or_b64 exec, exec, s[0:1]
	s_mov_b32 s0, 0xb42fdfa7
	s_mov_b32 s1, 0xbe5ae600
	;; [unrolled: 1-line block ×3, first 2 shown]
	v_mul_f64 v[24:25], v[0:1], v[0:1]
	s_mov_b32 s3, 0x3de5e0b2
	v_mov_b64_e32 v[20:21], s[0:1]
	s_mov_b32 s10, 0x796cde01
	v_fma_f64 v[30:31], s[2:3], v[24:25], v[20:21]
	s_mov_b32 s11, 0x3ec71de3
	s_mov_b32 s12, 0x19e83e5c
	v_fma_f64 v[30:31], v[24:25], v[30:31], s[10:11]
	s_mov_b32 s13, 0xbf2a01a0
	;; [unrolled: 3-line block ×3, first 2 shown]
	v_mul_f64 v[22:23], v[0:1], -v[24:25]
	v_fma_f64 v[30:31], v[24:25], v[30:31], s[16:17]
	v_mul_f64 v[32:33], v[2:3], 0.5
	v_fmac_f64_e32 v[32:33], v[22:23], v[30:31]
	s_mov_b32 s0, 0x9037ab78
	v_fma_f64 v[30:31], v[24:25], v[32:33], -v[2:3]
	s_mov_b32 s15, 0xbfc55555
	s_mov_b32 s14, 0x55555555
	;; [unrolled: 1-line block ×4, first 2 shown]
	v_fmac_f64_e32 v[30:31], s[14:15], v[22:23]
	s_mov_b32 s19, 0xbda907db
	v_mov_b64_e32 v[22:23], s[0:1]
	s_mov_b32 s20, 0xa17f65f6
	v_fma_f64 v[38:39], s[18:19], v[24:25], v[22:23]
	s_mov_b32 s21, 0xbe927e4f
	s_mov_b32 s22, 0x19f4ec90
	v_fma_f64 v[38:39], v[24:25], v[38:39], s[20:21]
	s_mov_b32 s23, 0x3efa01a0
	s_mov_b32 s24, 0x16c16967
	v_mul_f64 v[32:33], v[24:25], 0.5
	v_fma_f64 v[38:39], v[24:25], v[38:39], s[22:23]
	s_mov_b32 s25, 0xbf56c16c
	v_add_f64 v[34:35], -v[32:33], 1.0
	v_fma_f64 v[38:39], v[24:25], v[38:39], s[24:25]
	s_mov_b32 s27, 0x3fa55555
	s_mov_b32 s26, s14
	v_mul_f64 v[36:37], v[24:25], v[24:25]
	v_fma_f64 v[24:25], v[24:25], v[38:39], s[26:27]
	v_add_f64 v[38:39], -v[34:35], 1.0
	v_add_f64 v[32:33], v[38:39], -v[32:33]
	v_add_f64 v[30:31], v[0:1], -v[30:31]
	v_fma_f64 v[0:1], v[0:1], -v[2:3], v[32:33]
	v_and_b32_e32 v48, 1, v26
	v_fmac_f64_e32 v[0:1], v[36:37], v[24:25]
	v_add_f64 v[0:1], v[34:35], v[0:1]
	v_cmp_eq_u32_e32 vcc, 0, v48
	v_lshlrev_b32_e32 v2, 30, v26
	v_xor_b32_e32 v2, v2, v9
	v_cndmask_b32_e32 v1, v1, v31, vcc
	s_brev_b32 s41, 1
	s_movk_i32 s40, 0x1f8
	v_bitop3_b32 v1, v1, v2, s41 bitop3:0x78
	v_mul_f64 v[2:3], v[4:5], v[4:5]
	v_cndmask_b32_e32 v0, v0, v30, vcc
	v_cmp_class_f64_e64 vcc, v[8:9], s40
	v_mul_f64 v[8:9], v[2:3], 0.5
	v_fma_f64 v[34:35], s[18:19], v[2:3], v[22:23]
	v_add_f64 v[30:31], -v[8:9], 1.0
	v_fma_f64 v[34:35], v[2:3], v[34:35], s[20:21]
	v_add_f64 v[32:33], -v[30:31], 1.0
	v_fma_f64 v[34:35], v[2:3], v[34:35], s[22:23]
	v_add_f64 v[8:9], v[32:33], -v[8:9]
	v_fma_f64 v[34:35], v[2:3], v[34:35], s[24:25]
	v_mul_f64 v[32:33], v[2:3], v[2:3]
	v_fma_f64 v[34:35], v[2:3], v[34:35], s[26:27]
	v_fma_f64 v[8:9], v[4:5], -v[10:11], v[8:9]
	v_fmac_f64_e32 v[8:9], v[32:33], v[34:35]
	v_add_f64 v[8:9], v[30:31], v[8:9]
	v_fma_f64 v[30:31], s[2:3], v[2:3], v[20:21]
	v_fma_f64 v[30:31], v[2:3], v[30:31], s[10:11]
	v_fma_f64 v[30:31], v[2:3], v[30:31], s[12:13]
	v_fma_f64 v[30:31], v[2:3], v[30:31], s[16:17]
	v_mul_f64 v[32:33], v[4:5], -v[2:3]
	v_mul_f64 v[34:35], v[10:11], 0.5
	v_fmac_f64_e32 v[34:35], v[32:33], v[30:31]
	v_fma_f64 v[2:3], v[2:3], v[34:35], -v[10:11]
	v_fmac_f64_e32 v[2:3], s[14:15], v[32:33]
	v_add_f64 v[2:3], v[4:5], -v[2:3]
	v_and_b32_e32 v4, 1, v27
	v_xor_b32_e32 v3, 0x80000000, v3
	v_cmp_eq_u32_e64 s[0:1], 0, v4
	v_lshlrev_b32_e32 v4, 30, v27
	v_mov_b32_e32 v24, 0x7ff80000
	v_cndmask_b32_e64 v3, v3, v9, s[0:1]
	v_cndmask_b32_e64 v2, v2, v8, s[0:1]
	v_bitop3_b32 v3, v3, v4, s41 bitop3:0x78
	s_mov_b32 s28, 0
	v_cndmask_b32_e32 v2, 0, v2, vcc
	v_cndmask_b32_e32 v3, v24, v3, vcc
	s_mov_b32 s29, 0x7ff00000
	v_cndmask_b32_e32 v0, 0, v0, vcc
	v_cndmask_b32_e32 v1, v24, v1, vcc
	v_mul_f64 v[4:5], v[2:3], s[28:29]
	v_cmp_neq_f64_e32 vcc, 0, v[2:3]
	v_mul_f64 v[26:27], v[14:15], 0.5
	v_and_b32_e32 v25, 1, v28
	v_cndmask_b32_e32 v3, 0, v5, vcc
	v_cndmask_b32_e32 v2, 0, v4, vcc
	v_mul_f64 v[4:5], v[0:1], s[28:29]
	v_cmp_neq_f64_e32 vcc, 0, v[0:1]
	s_nop 1
	v_cndmask_b32_e32 v1, 0, v5, vcc
	v_cndmask_b32_e32 v0, 0, v4, vcc
	v_mul_f64 v[4:5], v[12:13], v[12:13]
	v_fma_f64 v[10:11], s[2:3], v[4:5], v[20:21]
	v_fma_f64 v[10:11], v[4:5], v[10:11], s[10:11]
	;; [unrolled: 1-line block ×3, first 2 shown]
	v_mul_f64 v[8:9], v[12:13], -v[4:5]
	v_fma_f64 v[10:11], v[4:5], v[10:11], s[16:17]
	v_fmac_f64_e32 v[26:27], v[8:9], v[10:11]
	v_fma_f64 v[10:11], v[4:5], v[26:27], -v[14:15]
	v_fma_f64 v[32:33], s[18:19], v[4:5], v[22:23]
	v_fmac_f64_e32 v[10:11], s[14:15], v[8:9]
	v_fma_f64 v[32:33], v[4:5], v[32:33], s[20:21]
	v_add_f64 v[8:9], v[12:13], -v[10:11]
	v_mul_f64 v[10:11], v[4:5], 0.5
	v_fma_f64 v[32:33], v[4:5], v[32:33], s[22:23]
	v_add_f64 v[26:27], -v[10:11], 1.0
	v_fma_f64 v[32:33], v[4:5], v[32:33], s[24:25]
	v_mul_f64 v[30:31], v[4:5], v[4:5]
	v_fma_f64 v[4:5], v[4:5], v[32:33], s[26:27]
	v_add_f64 v[32:33], -v[26:27], 1.0
	v_add_f64 v[10:11], v[32:33], -v[10:11]
	v_fma_f64 v[10:11], v[12:13], -v[14:15], v[10:11]
	v_fmac_f64_e32 v[10:11], v[30:31], v[4:5]
	v_add_f64 v[4:5], v[26:27], v[10:11]
	v_cmp_eq_u32_e32 vcc, 0, v25
	s_nop 1
	v_cndmask_b32_e32 v4, v4, v8, vcc
	v_lshlrev_b32_e32 v8, 30, v28
	v_cndmask_b32_e32 v5, v5, v9, vcc
	v_xor_b32_e32 v8, v8, v7
	v_cmp_class_f64_e64 vcc, v[6:7], s40
	v_mul_f64 v[6:7], v[16:17], v[16:17]
	v_bitop3_b32 v5, v5, v8, s41 bitop3:0x78
	v_mul_f64 v[8:9], v[6:7], 0.5
	v_fmac_f64_e32 v[22:23], s[18:19], v[6:7]
	v_add_f64 v[10:11], -v[8:9], 1.0
	v_fma_f64 v[14:15], v[6:7], v[22:23], s[20:21]
	v_add_f64 v[12:13], -v[10:11], 1.0
	v_fma_f64 v[14:15], v[6:7], v[14:15], s[22:23]
	v_add_f64 v[8:9], v[12:13], -v[8:9]
	v_fma_f64 v[14:15], v[6:7], v[14:15], s[24:25]
	v_mul_f64 v[12:13], v[6:7], v[6:7]
	v_fma_f64 v[14:15], v[6:7], v[14:15], s[26:27]
	v_fma_f64 v[8:9], v[16:17], -v[18:19], v[8:9]
	v_fmac_f64_e32 v[8:9], v[12:13], v[14:15]
	v_fmac_f64_e32 v[20:21], s[2:3], v[6:7]
	v_add_f64 v[8:9], v[10:11], v[8:9]
	v_fma_f64 v[10:11], v[6:7], v[20:21], s[10:11]
	v_fma_f64 v[10:11], v[6:7], v[10:11], s[12:13]
	;; [unrolled: 1-line block ×3, first 2 shown]
	v_mul_f64 v[12:13], v[16:17], -v[6:7]
	v_mul_f64 v[14:15], v[18:19], 0.5
	v_fmac_f64_e32 v[14:15], v[12:13], v[10:11]
	v_fma_f64 v[6:7], v[6:7], v[14:15], -v[18:19]
	v_fmac_f64_e32 v[6:7], s[14:15], v[12:13]
	v_add_f64 v[6:7], v[16:17], -v[6:7]
	v_and_b32_e32 v10, 1, v29
	v_xor_b32_e32 v7, 0x80000000, v7
	v_cmp_eq_u32_e64 s[0:1], 0, v10
	v_cndmask_b32_e32 v4, 0, v4, vcc
	v_cndmask_b32_e32 v5, v24, v5, vcc
	v_cndmask_b32_e64 v6, v6, v8, s[0:1]
	v_cndmask_b32_e64 v7, v7, v9, s[0:1]
	v_lshlrev_b32_e32 v8, 30, v29
	v_bitop3_b32 v7, v7, v8, s41 bitop3:0x78
	v_cndmask_b32_e32 v6, 0, v6, vcc
	v_cndmask_b32_e32 v7, v24, v7, vcc
	v_mul_f64 v[8:9], v[6:7], s[28:29]
	v_cmp_neq_f64_e32 vcc, 0, v[6:7]
	s_movk_i32 s16, 0x204
	s_nop 0
	v_cndmask_b32_e32 v7, 0, v9, vcc
	v_cndmask_b32_e32 v6, 0, v8, vcc
	v_mul_f64 v[8:9], v[4:5], s[28:29]
	v_cmp_neq_f64_e32 vcc, 0, v[4:5]
	v_add_f64 v[2:3], v[2:3], v[6:7]
	v_add_f64 v[10:11], v[2:3], -1.0
	v_cndmask_b32_e32 v5, 0, v9, vcc
	v_cndmask_b32_e32 v4, 0, v8, vcc
	v_add_f64 v[0:1], v[0:1], v[4:5]
	v_max_f64 v[4:5], |v[0:1]|, |v[0:1]|
	v_max_f64 v[2:3], |v[10:11]|, v[4:5]
	v_frexp_exp_i32_f64_e32 v14, v[2:3]
	v_sub_u32_e32 v6, 0, v14
	v_ldexp_f64 v[2:3], |v[10:11]|, v6
	v_ldexp_f64 v[6:7], |v[0:1]|, v6
	v_mul_f64 v[6:7], v[6:7], v[6:7]
	v_fmac_f64_e32 v[6:7], v[2:3], v[2:3]
	v_rsq_f64_e32 v[2:3], v[6:7]
	v_cmp_eq_f64_e32 vcc, 0, v[6:7]
	v_cmp_class_f64_e64 s[0:1], v[10:11], s16
	v_cmp_class_f64_e64 s[10:11], v[0:1], s16
	v_mul_f64 v[8:9], v[6:7], v[2:3]
	v_mul_f64 v[2:3], v[2:3], 0.5
	v_fma_f64 v[12:13], -v[2:3], v[8:9], 0.5
	v_fmac_f64_e32 v[8:9], v[8:9], v[12:13]
	v_fmac_f64_e32 v[2:3], v[2:3], v[12:13]
	v_fma_f64 v[12:13], -v[8:9], v[8:9], v[6:7]
	v_fmac_f64_e32 v[8:9], v[12:13], v[2:3]
	v_cndmask_b32_e32 v3, v9, v7, vcc
	v_cndmask_b32_e32 v2, v8, v6, vcc
	v_ldexp_f64 v[8:9], v[2:3], v14
	v_cmp_u_f64_e32 vcc, v[10:11], v[0:1]
	s_or_b64 s[18:19], s[10:11], s[0:1]
	v_add_f64 v[2:3], v[10:11], 1.0
	v_cmp_ngt_f64_e64 s[2:3], 0.5, v[8:9]
	s_or_b64 s[18:19], s[18:19], vcc
	v_max_f64 v[6:7], |v[2:3]|, v[4:5]
	v_cmp_u_f64_e64 s[0:1], v[2:3], v[0:1]
	v_cmp_class_f64_e64 s[12:13], v[2:3], s16
	s_or_b64 s[2:3], s[18:19], s[2:3]
	s_and_saveexec_b64 s[18:19], s[2:3]
	s_xor_b64 s[2:3], exec, s[18:19]
	s_cbranch_execz .LBB175_41
; %bb.40:
	v_frexp_exp_i32_f64_e32 v16, v[6:7]
	v_sub_u32_e32 v10, 0, v16
	v_ldexp_f64 v[8:9], |v[2:3]|, v10
	v_ldexp_f64 v[10:11], |v[0:1]|, v10
	v_mul_f64 v[10:11], v[10:11], v[10:11]
	v_fmac_f64_e32 v[10:11], v[8:9], v[8:9]
	v_rsq_f64_e32 v[8:9], v[10:11]
	v_cmp_eq_f64_e32 vcc, 0, v[10:11]
	s_mov_b32 s15, 0x3fe55555
	v_mul_f64 v[12:13], v[10:11], v[8:9]
	v_mul_f64 v[8:9], v[8:9], 0.5
	v_fma_f64 v[14:15], -v[8:9], v[12:13], 0.5
	v_fmac_f64_e32 v[12:13], v[12:13], v[14:15]
	v_fmac_f64_e32 v[8:9], v[8:9], v[14:15]
	v_fma_f64 v[14:15], -v[12:13], v[12:13], v[10:11]
	v_fmac_f64_e32 v[12:13], v[14:15], v[8:9]
	v_cndmask_b32_e32 v9, v13, v11, vcc
	v_cndmask_b32_e32 v8, v12, v10, vcc
	v_ldexp_f64 v[8:9], v[8:9], v16
	s_or_b64 vcc, s[10:11], s[12:13]
	v_cndmask_b32_e64 v9, v9, v24, s[0:1]
	v_mov_b32_e32 v10, 0x7ff00000
	s_or_b64 s[18:19], vcc, s[0:1]
	v_cndmask_b32_e32 v9, v9, v10, vcc
	v_cndmask_b32_e64 v8, v8, 0, s[18:19]
	v_frexp_mant_f64_e32 v[10:11], v[8:9]
	v_cmp_gt_f64_e32 vcc, s[14:15], v[10:11]
	v_frexp_exp_i32_f64_e32 v12, v[8:9]
	s_mov_b32 s14, 0xbf559e2b
	v_cndmask_b32_e64 v13, 0, 1, vcc
	v_ldexp_f64 v[10:11], v[10:11], v13
	v_subbrev_co_u32_e32 v25, vcc, 0, v12, vcc
	v_add_f64 v[12:13], v[10:11], 1.0
	v_rcp_f64_e32 v[14:15], v[12:13]
	v_add_f64 v[18:19], v[12:13], -1.0
	v_add_f64 v[16:17], v[10:11], -1.0
	v_add_f64 v[10:11], v[10:11], -v[18:19]
	v_fma_f64 v[18:19], -v[12:13], v[14:15], 1.0
	v_fmac_f64_e32 v[14:15], v[18:19], v[14:15]
	v_fma_f64 v[18:19], -v[12:13], v[14:15], 1.0
	v_fmac_f64_e32 v[14:15], v[18:19], v[14:15]
	v_mul_f64 v[18:19], v[16:17], v[14:15]
	v_mul_f64 v[20:21], v[12:13], v[18:19]
	v_fma_f64 v[12:13], v[18:19], v[12:13], -v[20:21]
	v_fmac_f64_e32 v[12:13], v[18:19], v[10:11]
	v_add_f64 v[10:11], v[20:21], v[12:13]
	v_add_f64 v[22:23], v[16:17], -v[10:11]
	v_add_f64 v[20:21], v[10:11], -v[20:21]
	;; [unrolled: 1-line block ×5, first 2 shown]
	v_add_f64 v[10:11], v[12:13], v[10:11]
	v_add_f64 v[10:11], v[22:23], v[10:11]
	v_mul_f64 v[10:11], v[14:15], v[10:11]
	v_add_f64 v[12:13], v[18:19], v[10:11]
	v_add_f64 v[14:15], v[12:13], -v[18:19]
	v_add_f64 v[10:11], v[10:11], -v[14:15]
	v_mul_f64 v[14:15], v[12:13], v[12:13]
	v_mov_b32_e32 v16, 0x6b47b09a
	v_mov_b32_e32 v17, 0x3fc38538
	s_mov_b32 s15, 0x3fc3ab76
	v_fmac_f64_e32 v[16:17], s[14:15], v[14:15]
	v_mov_b32_e32 v18, 0xd7f4df2e
	v_mov_b32_e32 v19, 0x3fc7474d
	v_fmac_f64_e32 v[18:19], v[14:15], v[16:17]
	v_mov_b32_e32 v16, 0x16291751
	v_mov_b32_e32 v17, 0x3fcc71c0
	;; [unrolled: 3-line block ×5, first 2 shown]
	v_fmac_f64_e32 v[18:19], v[14:15], v[16:17]
	v_ldexp_f64 v[16:17], v[12:13], 1
	v_mul_f64 v[12:13], v[12:13], v[14:15]
	v_mul_f64 v[12:13], v[12:13], v[18:19]
	v_add_f64 v[14:15], v[16:17], v[12:13]
	v_add_f64 v[16:17], v[14:15], -v[16:17]
	v_ldexp_f64 v[10:11], v[10:11], 1
	v_add_f64 v[12:13], v[12:13], -v[16:17]
	v_add_f64 v[10:11], v[10:11], v[12:13]
	v_add_f64 v[12:13], v[14:15], v[10:11]
	v_add_f64 v[14:15], v[12:13], -v[14:15]
	s_mov_b32 s14, 0xfefa39ef
	v_add_f64 v[10:11], v[10:11], -v[14:15]
	v_cvt_f64_i32_e32 v[14:15], v25
	s_mov_b32 s15, 0x3fe62e42
	v_mul_f64 v[16:17], v[14:15], s[14:15]
	v_fma_f64 v[18:19], v[14:15], s[14:15], -v[16:17]
	s_mov_b32 s14, 0x3b39803f
	s_mov_b32 s15, 0x3c7abc9e
	v_fmac_f64_e32 v[18:19], s[14:15], v[14:15]
	v_add_f64 v[14:15], v[16:17], v[18:19]
	v_add_f64 v[16:17], v[14:15], -v[16:17]
	v_add_f64 v[16:17], v[18:19], -v[16:17]
	v_add_f64 v[18:19], v[14:15], v[12:13]
	v_add_f64 v[20:21], v[18:19], -v[14:15]
	v_add_f64 v[22:23], v[18:19], -v[20:21]
	;; [unrolled: 1-line block ×4, first 2 shown]
	v_add_f64 v[12:13], v[12:13], v[14:15]
	v_add_f64 v[14:15], v[16:17], v[10:11]
	v_add_f64 v[20:21], v[14:15], -v[16:17]
	v_add_f64 v[22:23], v[14:15], -v[20:21]
	v_add_f64 v[12:13], v[14:15], v[12:13]
	v_add_f64 v[16:17], v[16:17], -v[22:23]
	v_add_f64 v[10:11], v[10:11], -v[20:21]
	v_add_f64 v[14:15], v[18:19], v[12:13]
	v_add_f64 v[10:11], v[10:11], v[16:17]
	v_add_f64 v[16:17], v[14:15], -v[18:19]
	v_add_f64 v[12:13], v[12:13], -v[16:17]
	v_add_f64 v[10:11], v[10:11], v[12:13]
	v_add_f64 v[10:11], v[14:15], v[10:11]
	v_cmp_class_f64_e64 vcc, v[8:9], s16
	v_mov_b32_e32 v12, 0xfff00000
	s_nop 0
	v_cndmask_b32_e32 v10, v10, v8, vcc
	v_cndmask_b32_e32 v11, v11, v9, vcc
	v_cmp_ngt_f64_e32 vcc, 0, v[8:9]
	s_nop 1
	v_cndmask_b32_e32 v11, v24, v11, vcc
	v_cmp_nge_f64_e32 vcc, 0, v[8:9]
	s_nop 1
	v_cndmask_b32_e32 v10, 0, v10, vcc
	v_cmp_neq_f64_e32 vcc, 0, v[8:9]
	s_nop 1
	v_cndmask_b32_e32 v11, v12, v11, vcc
.LBB175_41:
	s_andn2_saveexec_b64 s[14:15], s[2:3]
	s_cbranch_execz .LBB175_45
; %bb.42:
	v_add_f64 v[8:9], v[10:11], 2.0
	v_mul_f64 v[8:9], v[10:11], v[8:9]
	v_fmac_f64_e32 v[8:9], v[0:1], v[0:1]
	v_cmp_neq_f64_e32 vcc, 0, v[8:9]
	s_and_saveexec_b64 s[16:17], vcc
	s_cbranch_execz .LBB175_44
; %bb.43:
	v_add_f64 v[10:11], v[8:9], 1.0
	v_add_f64 v[12:13], v[10:11], -1.0
	v_add_f64 v[14:15], v[12:13], -v[10:11]
	v_add_f64 v[14:15], v[14:15], 1.0
	v_add_f64 v[12:13], v[8:9], -v[12:13]
	s_mov_b32 s2, 0x55555555
	v_add_f64 v[12:13], v[12:13], v[14:15]
	v_frexp_mant_f64_e32 v[14:15], v[10:11]
	s_mov_b32 s3, 0x3fe55555
	v_frexp_exp_i32_f64_e32 v16, v[10:11]
	v_cmp_gt_f64_e32 vcc, s[2:3], v[14:15]
	s_mov_b32 s2, 0xbf559e2b
	s_mov_b32 s3, 0x3fc3ab76
	v_subbrev_co_u32_e32 v30, vcc, 0, v16, vcc
	v_sub_u32_e32 v14, 0, v30
	v_ldexp_f64 v[10:11], v[10:11], v14
	v_ldexp_f64 v[12:13], v[12:13], v14
	v_add_f64 v[14:15], v[10:11], -1.0
	v_add_f64 v[20:21], v[10:11], 1.0
	v_add_f64 v[16:17], v[14:15], 1.0
	v_add_f64 v[22:23], v[20:21], -1.0
	v_add_f64 v[16:17], v[10:11], -v[16:17]
	v_add_f64 v[10:11], v[10:11], -v[22:23]
	v_add_f64 v[10:11], v[12:13], v[10:11]
	v_add_f64 v[16:17], v[12:13], v[16:17]
	;; [unrolled: 1-line block ×3, first 2 shown]
	v_rcp_f64_e32 v[22:23], v[12:13]
	v_add_f64 v[18:19], v[14:15], v[16:17]
	v_add_f64 v[14:15], v[18:19], -v[14:15]
	v_add_f64 v[14:15], v[16:17], -v[14:15]
	;; [unrolled: 1-line block ×4, first 2 shown]
	v_fma_f64 v[16:17], -v[12:13], v[22:23], 1.0
	v_fmac_f64_e32 v[22:23], v[16:17], v[22:23]
	v_fma_f64 v[16:17], -v[12:13], v[22:23], 1.0
	v_fmac_f64_e32 v[22:23], v[16:17], v[22:23]
	v_mul_f64 v[16:17], v[18:19], v[22:23]
	v_mul_f64 v[20:21], v[12:13], v[16:17]
	v_fma_f64 v[24:25], v[16:17], v[12:13], -v[20:21]
	v_fmac_f64_e32 v[24:25], v[16:17], v[10:11]
	v_add_f64 v[26:27], v[20:21], v[24:25]
	v_add_f64 v[28:29], v[18:19], -v[26:27]
	v_add_f64 v[18:19], v[18:19], -v[28:29]
	;; [unrolled: 1-line block ×4, first 2 shown]
	v_add_f64 v[14:15], v[14:15], v[18:19]
	v_add_f64 v[18:19], v[20:21], -v[24:25]
	v_add_f64 v[14:15], v[18:19], v[14:15]
	v_add_f64 v[18:19], v[28:29], v[14:15]
	v_add_f64 v[20:21], v[28:29], -v[18:19]
	v_add_f64 v[14:15], v[14:15], v[20:21]
	v_mul_f64 v[20:21], v[22:23], v[18:19]
	v_mul_f64 v[24:25], v[12:13], v[20:21]
	v_fma_f64 v[12:13], v[20:21], v[12:13], -v[24:25]
	v_fmac_f64_e32 v[12:13], v[20:21], v[10:11]
	v_add_f64 v[10:11], v[24:25], v[12:13]
	v_add_f64 v[26:27], v[18:19], -v[10:11]
	v_add_f64 v[18:19], v[18:19], -v[26:27]
	;; [unrolled: 1-line block ×4, first 2 shown]
	v_add_f64 v[10:11], v[14:15], v[10:11]
	v_add_f64 v[12:13], v[24:25], -v[12:13]
	v_add_f64 v[10:11], v[12:13], v[10:11]
	v_add_f64 v[12:13], v[16:17], v[20:21]
	;; [unrolled: 1-line block ×3, first 2 shown]
	v_add_f64 v[14:15], v[12:13], -v[16:17]
	v_mul_f64 v[10:11], v[22:23], v[10:11]
	v_add_f64 v[14:15], v[20:21], -v[14:15]
	v_add_f64 v[10:11], v[14:15], v[10:11]
	v_add_f64 v[14:15], v[12:13], v[10:11]
	v_add_f64 v[12:13], v[14:15], -v[12:13]
	v_add_f64 v[10:11], v[10:11], -v[12:13]
	v_mul_f64 v[12:13], v[14:15], v[14:15]
	v_mov_b32_e32 v16, 0x6b47b09a
	v_mov_b32_e32 v17, 0x3fc38538
	v_fmac_f64_e32 v[16:17], s[2:3], v[12:13]
	v_mov_b32_e32 v18, 0xd7f4df2e
	v_mov_b32_e32 v19, 0x3fc7474d
	v_fmac_f64_e32 v[18:19], v[12:13], v[16:17]
	;; [unrolled: 3-line block ×5, first 2 shown]
	v_mov_b32_e32 v18, 0x55555780
	v_mov_b32_e32 v19, 0x3fe55555
	s_mov_b32 s2, 0xfefa39ef
	v_fmac_f64_e32 v[18:19], v[12:13], v[16:17]
	v_cvt_f64_i32_e32 v[16:17], v30
	s_mov_b32 s3, 0x3fe62e42
	v_mul_f64 v[20:21], v[16:17], s[2:3]
	v_fma_f64 v[22:23], v[16:17], s[2:3], -v[20:21]
	s_mov_b32 s2, 0x3b39803f
	s_mov_b32 s3, 0x3c7abc9e
	v_fmac_f64_e32 v[22:23], s[2:3], v[16:17]
	v_add_f64 v[16:17], v[20:21], v[22:23]
	v_add_f64 v[20:21], v[16:17], -v[20:21]
	v_mul_f64 v[12:13], v[14:15], v[12:13]
	v_add_f64 v[20:21], v[22:23], -v[20:21]
	v_ldexp_f64 v[22:23], v[14:15], 1
	v_mul_f64 v[12:13], v[12:13], v[18:19]
	v_add_f64 v[14:15], v[22:23], v[12:13]
	v_add_f64 v[18:19], v[14:15], -v[22:23]
	v_ldexp_f64 v[10:11], v[10:11], 1
	v_add_f64 v[12:13], v[12:13], -v[18:19]
	v_add_f64 v[10:11], v[10:11], v[12:13]
	v_add_f64 v[12:13], v[14:15], v[10:11]
	v_add_f64 v[14:15], v[12:13], -v[14:15]
	v_add_f64 v[10:11], v[10:11], -v[14:15]
	v_add_f64 v[14:15], v[16:17], v[12:13]
	v_add_f64 v[18:19], v[14:15], -v[16:17]
	v_add_f64 v[22:23], v[14:15], -v[18:19]
	;; [unrolled: 1-line block ×4, first 2 shown]
	v_add_f64 v[12:13], v[12:13], v[16:17]
	v_add_f64 v[16:17], v[20:21], v[10:11]
	v_add_f64 v[18:19], v[16:17], -v[20:21]
	v_add_f64 v[12:13], v[16:17], v[12:13]
	v_add_f64 v[22:23], v[16:17], -v[18:19]
	;; [unrolled: 2-line block ×3, first 2 shown]
	v_add_f64 v[10:11], v[10:11], -v[18:19]
	v_add_f64 v[14:15], v[16:17], -v[14:15]
	v_add_f64 v[10:11], v[10:11], v[20:21]
	v_add_f64 v[12:13], v[12:13], -v[14:15]
	v_add_f64 v[10:11], v[10:11], v[12:13]
	s_mov_b32 s2, 0
	v_add_f64 v[10:11], v[16:17], v[10:11]
	s_mov_b32 s3, 0x7ff00000
	v_mul_f64 v[10:11], v[10:11], 0.5
	v_mov_b32_e32 v12, 0x7ff00000
	v_cmp_neq_f64_e32 vcc, s[2:3], v[8:9]
	v_cmp_ngt_f64_e64 s[2:3], -1.0, v[8:9]
	s_nop 0
	v_cndmask_b32_e32 v11, v12, v11, vcc
	v_mov_b32_e32 v12, 0x7ff80000
	v_cndmask_b32_e64 v11, v12, v11, s[2:3]
	v_cmp_nge_f64_e64 s[2:3], -1.0, v[8:9]
	s_and_b64 vcc, s[2:3], vcc
	v_cndmask_b32_e32 v10, 0, v10, vcc
	v_mov_b32_e32 v12, 0xfff00000
	v_cmp_neq_f64_e32 vcc, -1.0, v[8:9]
	s_nop 1
	v_cndmask_b32_e32 v11, v12, v11, vcc
.LBB175_44:
	s_or_b64 exec, exec, s[16:17]
.LBB175_45:
	s_or_b64 exec, exec, s[14:15]
	v_mov_b32_e32 v8, 0x54442d18
	v_mov_b32_e32 v9, 0x7f3321d2
	v_cmp_gt_i32_e64 s[2:3], 0, v3
	v_ashrrev_i32_e32 v14, 31, v3
	v_and_b32_e32 v20, 0x400921fb, v14
	v_cndmask_b32_e64 v18, v8, v9, s[2:3]
	v_mov_b32_e32 v8, 0x3fe921fb
	v_mov_b32_e32 v9, 0x4002d97c
	v_cndmask_b32_e64 v19, v8, v9, s[2:3]
	v_max_f64 v[8:9], |v[2:3]|, |v[2:3]|
	v_min_f64 v[4:5], v[8:9], v[4:5]
	v_div_scale_f64 v[8:9], s[16:17], v[6:7], v[6:7], v[4:5]
	v_rcp_f64_e32 v[12:13], v[8:9]
	v_and_b32_e32 v21, 0x54442d18, v14
	s_mov_b32 s16, 0xb5e68a13
	s_mov_b32 s17, 0x3eeba404
	v_fma_f64 v[14:15], -v[8:9], v[12:13], 1.0
	v_fmac_f64_e32 v[12:13], v[12:13], v[14:15]
	v_fma_f64 v[14:15], -v[8:9], v[12:13], 1.0
	v_fmac_f64_e32 v[12:13], v[12:13], v[14:15]
	v_div_scale_f64 v[14:15], vcc, v[4:5], v[6:7], v[4:5]
	v_mul_f64 v[16:17], v[14:15], v[12:13]
	v_fma_f64 v[8:9], -v[8:9], v[16:17], v[14:15]
	s_mov_b32 s14, 0x54442d18
	s_nop 0
	v_div_fmas_f64 v[8:9], v[8:9], v[12:13], v[16:17]
	v_div_fixup_f64 v[4:5], v[8:9], v[6:7], v[4:5]
	v_mul_f64 v[6:7], v[4:5], v[4:5]
	v_mov_b32_e32 v8, 0xbd3237f4
	v_mov_b32_e32 v9, 0xbf23e260
	v_fmac_f64_e32 v[8:9], s[16:17], v[6:7]
	v_mov_b32_e32 v12, 0x69efb384
	v_mov_b32_e32 v13, 0x3f4b2bb0
	v_fmac_f64_e32 v[12:13], v[6:7], v[8:9]
	;; [unrolled: 3-line block ×19, first 2 shown]
	v_mul_f64 v[6:7], v[6:7], v[8:9]
	v_fmac_f64_e32 v[4:5], v[4:5], v[6:7]
	s_mov_b32 s15, 0x3ff921fb
	s_mov_b32 s18, 0x400921fb
	v_add_f64 v[6:7], -v[4:5], s[14:15]
	v_cmp_lt_f64_e64 vcc, |v[2:3]|, |v[0:1]|
	s_mov_b32 s15, s18
	s_nop 0
	v_cndmask_b32_e32 v3, v5, v7, vcc
	v_cndmask_b32_e32 v2, v4, v6, vcc
	v_add_f64 v[4:5], -v[2:3], s[14:15]
	v_cndmask_b32_e64 v3, v3, v5, s[2:3]
	v_cndmask_b32_e64 v2, v2, v4, s[2:3]
	v_cmp_eq_f64_e32 vcc, 0, v[0:1]
	s_nop 1
	v_cndmask_b32_e32 v0, v2, v21, vcc
	v_cndmask_b32_e32 v2, v3, v20, vcc
	s_and_b64 vcc, s[10:11], s[12:13]
	v_cndmask_b32_e32 v0, v0, v18, vcc
	v_cndmask_b32_e32 v2, v2, v19, vcc
	v_cndmask_b32_e64 v8, v0, 0, s[0:1]
	v_mov_b32_e32 v0, 0x7ff80000
	v_cndmask_b32_e64 v0, v2, v0, s[0:1]
	s_brev_b32 s0, -2
	v_bfi_b32 v9, s0, v0, v1
.LBB175_46:
	s_or_b64 exec, exec, s[8:9]
.LBB175_47:
	s_or_b64 exec, exec, s[6:7]
	v_mov_b64_e32 v[0:1], v[10:11]
	v_mov_b64_e32 v[2:3], v[8:9]
.LBB175_48:
	s_or_b64 exec, exec, s[4:5]
	s_setpc_b64 s[30:31]
.Lfunc_end175:
	.size	_ZZZZN2at6native31launch_logcumsumexp_cuda_kernelERKNS_10TensorBaseES3_lENKUlvE_clEvENKUlvE1_clEvENKUlN3c107complexIdEES8_E_clES8_S8_, .Lfunc_end175-_ZZZZN2at6native31launch_logcumsumexp_cuda_kernelERKNS_10TensorBaseES3_lENKUlvE_clEvENKUlvE1_clEvENKUlN3c107complexIdEES8_E_clES8_S8_
                                        ; -- End function
	.set .L_ZZZZN2at6native31launch_logcumsumexp_cuda_kernelERKNS_10TensorBaseES3_lENKUlvE_clEvENKUlvE1_clEvENKUlN3c107complexIdEES8_E_clES8_S8_.num_vgpr, 52
	.set .L_ZZZZN2at6native31launch_logcumsumexp_cuda_kernelERKNS_10TensorBaseES3_lENKUlvE_clEvENKUlvE1_clEvENKUlN3c107complexIdEES8_E_clES8_S8_.num_agpr, 0
	.set .L_ZZZZN2at6native31launch_logcumsumexp_cuda_kernelERKNS_10TensorBaseES3_lENKUlvE_clEvENKUlvE1_clEvENKUlN3c107complexIdEES8_E_clES8_S8_.numbered_sgpr, 42
	.set .L_ZZZZN2at6native31launch_logcumsumexp_cuda_kernelERKNS_10TensorBaseES3_lENKUlvE_clEvENKUlvE1_clEvENKUlN3c107complexIdEES8_E_clES8_S8_.num_named_barrier, 0
	.set .L_ZZZZN2at6native31launch_logcumsumexp_cuda_kernelERKNS_10TensorBaseES3_lENKUlvE_clEvENKUlvE1_clEvENKUlN3c107complexIdEES8_E_clES8_S8_.private_seg_size, 0
	.set .L_ZZZZN2at6native31launch_logcumsumexp_cuda_kernelERKNS_10TensorBaseES3_lENKUlvE_clEvENKUlvE1_clEvENKUlN3c107complexIdEES8_E_clES8_S8_.uses_vcc, 1
	.set .L_ZZZZN2at6native31launch_logcumsumexp_cuda_kernelERKNS_10TensorBaseES3_lENKUlvE_clEvENKUlvE1_clEvENKUlN3c107complexIdEES8_E_clES8_S8_.uses_flat_scratch, 0
	.set .L_ZZZZN2at6native31launch_logcumsumexp_cuda_kernelERKNS_10TensorBaseES3_lENKUlvE_clEvENKUlvE1_clEvENKUlN3c107complexIdEES8_E_clES8_S8_.has_dyn_sized_stack, 0
	.set .L_ZZZZN2at6native31launch_logcumsumexp_cuda_kernelERKNS_10TensorBaseES3_lENKUlvE_clEvENKUlvE1_clEvENKUlN3c107complexIdEES8_E_clES8_S8_.has_recursion, 0
	.set .L_ZZZZN2at6native31launch_logcumsumexp_cuda_kernelERKNS_10TensorBaseES3_lENKUlvE_clEvENKUlvE1_clEvENKUlN3c107complexIdEES8_E_clES8_S8_.has_indirect_call, 0
	.section	.AMDGPU.csdata,"",@progbits
; Function info:
; codeLenInByte = 13480
; TotalNumSgprs: 48
; NumVgprs: 52
; NumAgprs: 0
; TotalNumVgprs: 52
; ScratchSize: 0
; MemoryBound: 0
	.section	.text._ZN7rocprim17ROCPRIM_400000_NS6detail17trampoline_kernelINS0_14default_configENS1_20scan_config_selectorIN3c107complexIdEEEEZZNS1_9scan_implILNS1_25lookback_scan_determinismE0ELb0ELb0ES3_PKS7_PS7_S7_ZZZN2at6native31launch_logcumsumexp_cuda_kernelERKNSE_10TensorBaseESI_lENKUlvE_clEvENKUlvE1_clEvEUlS7_S7_E_S7_EEDaPvRmT3_T4_T5_mT6_P12ihipStream_tbENKUlT_T0_E_clISt17integral_constantIbLb0EESZ_EEDaSU_SV_EUlSU_E_NS1_11comp_targetILNS1_3genE0ELNS1_11target_archE4294967295ELNS1_3gpuE0ELNS1_3repE0EEENS1_30default_config_static_selectorELNS0_4arch9wavefront6targetE1EEEvT1_,"axG",@progbits,_ZN7rocprim17ROCPRIM_400000_NS6detail17trampoline_kernelINS0_14default_configENS1_20scan_config_selectorIN3c107complexIdEEEEZZNS1_9scan_implILNS1_25lookback_scan_determinismE0ELb0ELb0ES3_PKS7_PS7_S7_ZZZN2at6native31launch_logcumsumexp_cuda_kernelERKNSE_10TensorBaseESI_lENKUlvE_clEvENKUlvE1_clEvEUlS7_S7_E_S7_EEDaPvRmT3_T4_T5_mT6_P12ihipStream_tbENKUlT_T0_E_clISt17integral_constantIbLb0EESZ_EEDaSU_SV_EUlSU_E_NS1_11comp_targetILNS1_3genE0ELNS1_11target_archE4294967295ELNS1_3gpuE0ELNS1_3repE0EEENS1_30default_config_static_selectorELNS0_4arch9wavefront6targetE1EEEvT1_,comdat
	.globl	_ZN7rocprim17ROCPRIM_400000_NS6detail17trampoline_kernelINS0_14default_configENS1_20scan_config_selectorIN3c107complexIdEEEEZZNS1_9scan_implILNS1_25lookback_scan_determinismE0ELb0ELb0ES3_PKS7_PS7_S7_ZZZN2at6native31launch_logcumsumexp_cuda_kernelERKNSE_10TensorBaseESI_lENKUlvE_clEvENKUlvE1_clEvEUlS7_S7_E_S7_EEDaPvRmT3_T4_T5_mT6_P12ihipStream_tbENKUlT_T0_E_clISt17integral_constantIbLb0EESZ_EEDaSU_SV_EUlSU_E_NS1_11comp_targetILNS1_3genE0ELNS1_11target_archE4294967295ELNS1_3gpuE0ELNS1_3repE0EEENS1_30default_config_static_selectorELNS0_4arch9wavefront6targetE1EEEvT1_ ; -- Begin function _ZN7rocprim17ROCPRIM_400000_NS6detail17trampoline_kernelINS0_14default_configENS1_20scan_config_selectorIN3c107complexIdEEEEZZNS1_9scan_implILNS1_25lookback_scan_determinismE0ELb0ELb0ES3_PKS7_PS7_S7_ZZZN2at6native31launch_logcumsumexp_cuda_kernelERKNSE_10TensorBaseESI_lENKUlvE_clEvENKUlvE1_clEvEUlS7_S7_E_S7_EEDaPvRmT3_T4_T5_mT6_P12ihipStream_tbENKUlT_T0_E_clISt17integral_constantIbLb0EESZ_EEDaSU_SV_EUlSU_E_NS1_11comp_targetILNS1_3genE0ELNS1_11target_archE4294967295ELNS1_3gpuE0ELNS1_3repE0EEENS1_30default_config_static_selectorELNS0_4arch9wavefront6targetE1EEEvT1_
	.p2align	8
	.type	_ZN7rocprim17ROCPRIM_400000_NS6detail17trampoline_kernelINS0_14default_configENS1_20scan_config_selectorIN3c107complexIdEEEEZZNS1_9scan_implILNS1_25lookback_scan_determinismE0ELb0ELb0ES3_PKS7_PS7_S7_ZZZN2at6native31launch_logcumsumexp_cuda_kernelERKNSE_10TensorBaseESI_lENKUlvE_clEvENKUlvE1_clEvEUlS7_S7_E_S7_EEDaPvRmT3_T4_T5_mT6_P12ihipStream_tbENKUlT_T0_E_clISt17integral_constantIbLb0EESZ_EEDaSU_SV_EUlSU_E_NS1_11comp_targetILNS1_3genE0ELNS1_11target_archE4294967295ELNS1_3gpuE0ELNS1_3repE0EEENS1_30default_config_static_selectorELNS0_4arch9wavefront6targetE1EEEvT1_,@function
_ZN7rocprim17ROCPRIM_400000_NS6detail17trampoline_kernelINS0_14default_configENS1_20scan_config_selectorIN3c107complexIdEEEEZZNS1_9scan_implILNS1_25lookback_scan_determinismE0ELb0ELb0ES3_PKS7_PS7_S7_ZZZN2at6native31launch_logcumsumexp_cuda_kernelERKNSE_10TensorBaseESI_lENKUlvE_clEvENKUlvE1_clEvEUlS7_S7_E_S7_EEDaPvRmT3_T4_T5_mT6_P12ihipStream_tbENKUlT_T0_E_clISt17integral_constantIbLb0EESZ_EEDaSU_SV_EUlSU_E_NS1_11comp_targetILNS1_3genE0ELNS1_11target_archE4294967295ELNS1_3gpuE0ELNS1_3repE0EEENS1_30default_config_static_selectorELNS0_4arch9wavefront6targetE1EEEvT1_: ; @_ZN7rocprim17ROCPRIM_400000_NS6detail17trampoline_kernelINS0_14default_configENS1_20scan_config_selectorIN3c107complexIdEEEEZZNS1_9scan_implILNS1_25lookback_scan_determinismE0ELb0ELb0ES3_PKS7_PS7_S7_ZZZN2at6native31launch_logcumsumexp_cuda_kernelERKNSE_10TensorBaseESI_lENKUlvE_clEvENKUlvE1_clEvEUlS7_S7_E_S7_EEDaPvRmT3_T4_T5_mT6_P12ihipStream_tbENKUlT_T0_E_clISt17integral_constantIbLb0EESZ_EEDaSU_SV_EUlSU_E_NS1_11comp_targetILNS1_3genE0ELNS1_11target_archE4294967295ELNS1_3gpuE0ELNS1_3repE0EEENS1_30default_config_static_selectorELNS0_4arch9wavefront6targetE1EEEvT1_
; %bb.0:
	s_mov_b64 s[34:35], s[0:1]
	s_load_dwordx8 s[44:51], s[0:1], 0x0
	s_nop 0
	s_load_dword s0, s[0:1], 0x50
	s_nop 0
	s_load_dwordx4 s[60:63], s[34:35], 0x38
	s_load_dwordx2 s[64:65], s[34:35], 0x48
	s_mov_b32 s33, s2
	s_waitcnt lgkmcnt(0)
	s_lshl_b64 s[42:43], s[46:47], 4
	s_add_u32 s2, s44, s42
	s_addc_u32 s3, s45, s43
	s_add_i32 s4, s0, -1
	s_mul_i32 s5, s4, 0x500
	s_sub_u32 s66, s50, s5
	s_subb_u32 s67, s51, 0
	s_mov_b32 s1, 0
	s_mul_i32 s0, s33, 0x500
	s_cmp_lg_u32 s33, s4
	s_cselect_b64 s[44:45], -1, 0
	s_lshl_b64 s[46:47], s[0:1], 4
	v_mov_b32_e32 v56, v0
	s_add_u32 s2, s2, s46
	s_addc_u32 s3, s3, s47
	s_mov_b64 s[0:1], -1
	s_and_b64 vcc, exec, s[44:45]
	v_lshlrev_b32_e32 v130, 4, v56
	s_mov_b32 s32, 0
	s_cbranch_vccz .LBB176_2
; %bb.1:
	v_mov_b32_e32 v131, 0
	v_lshl_add_u64 v[32:33], s[2:3], 0, v[130:131]
	v_add_co_u32_e32 v16, vcc, 0x1000, v32
	global_load_dwordx4 v[0:3], v130, s[2:3]
	global_load_dwordx4 v[4:7], v130, s[2:3] offset:2048
	v_addc_co_u32_e32 v17, vcc, 0, v33, vcc
	v_add_co_u32_e32 v24, vcc, 0x2000, v32
	global_load_dwordx4 v[8:11], v[16:17], off
	global_load_dwordx4 v[12:15], v[16:17], off offset:2048
	v_addc_co_u32_e32 v25, vcc, 0, v33, vcc
	v_add_co_u32_e32 v34, vcc, 0x3000, v32
	global_load_dwordx4 v[16:19], v[24:25], off
	global_load_dwordx4 v[20:23], v[24:25], off offset:2048
	v_addc_co_u32_e32 v35, vcc, 0, v33, vcc
	v_add_co_u32_e32 v40, vcc, 0x4000, v32
	global_load_dwordx4 v[24:27], v[34:35], off
	global_load_dwordx4 v[28:31], v[34:35], off offset:2048
	v_addc_co_u32_e32 v41, vcc, 0, v33, vcc
	global_load_dwordx4 v[32:35], v[40:41], off
	global_load_dwordx4 v[36:39], v[40:41], off offset:2048
	s_mov_b64 s[0:1], 0
	s_waitcnt vmcnt(9)
	ds_write_b128 v130, v[0:3]
	s_waitcnt vmcnt(8)
	ds_write_b128 v130, v[4:7] offset:2048
	s_waitcnt vmcnt(7)
	ds_write_b128 v130, v[8:11] offset:4096
	;; [unrolled: 2-line block ×9, first 2 shown]
	s_waitcnt lgkmcnt(0)
	s_barrier
.LBB176_2:
	s_andn2_b64 vcc, exec, s[0:1]
	v_cmp_gt_u32_e64 s[0:1], s66, v56
	s_cbranch_vccnz .LBB176_24
; %bb.3:
	s_load_dwordx4 s[4:7], s[2:3], 0x0
	s_waitcnt lgkmcnt(0)
	v_mov_b64_e32 v[4:5], s[6:7]
	v_mov_b64_e32 v[2:3], s[4:5]
	s_and_saveexec_b64 s[8:9], s[0:1]
	s_cbranch_execz .LBB176_5
; %bb.4:
	global_load_dwordx4 v[2:5], v130, s[2:3]
.LBB176_5:
	s_or_b64 exec, exec, s[8:9]
	v_or_b32_e32 v0, 0x80, v56
	v_cmp_gt_u32_e32 vcc, s66, v0
	v_mov_b64_e32 v[8:9], s[6:7]
	v_mov_b64_e32 v[6:7], s[4:5]
	s_and_saveexec_b64 s[0:1], vcc
	s_cbranch_execz .LBB176_7
; %bb.6:
	global_load_dwordx4 v[6:9], v130, s[2:3] offset:2048
.LBB176_7:
	s_or_b64 exec, exec, s[0:1]
	v_or_b32_e32 v0, 0x100, v56
	v_cmp_gt_u32_e32 vcc, s66, v0
	v_mov_b64_e32 v[12:13], s[6:7]
	v_mov_b64_e32 v[10:11], s[4:5]
	s_and_saveexec_b64 s[0:1], vcc
	s_cbranch_execz .LBB176_9
; %bb.8:
	v_lshlrev_b32_e32 v0, 4, v0
	global_load_dwordx4 v[10:13], v0, s[2:3]
.LBB176_9:
	s_or_b64 exec, exec, s[0:1]
	v_or_b32_e32 v0, 0x180, v56
	v_cmp_gt_u32_e32 vcc, s66, v0
	v_mov_b64_e32 v[16:17], s[6:7]
	v_mov_b64_e32 v[14:15], s[4:5]
	s_and_saveexec_b64 s[0:1], vcc
	s_cbranch_execz .LBB176_11
; %bb.10:
	v_lshlrev_b32_e32 v0, 4, v0
	global_load_dwordx4 v[14:17], v0, s[2:3]
.LBB176_11:
	s_or_b64 exec, exec, s[0:1]
	v_or_b32_e32 v0, 0x200, v56
	v_cmp_gt_u32_e32 vcc, s66, v0
	v_mov_b64_e32 v[20:21], s[6:7]
	v_mov_b64_e32 v[18:19], s[4:5]
	s_and_saveexec_b64 s[0:1], vcc
	s_cbranch_execz .LBB176_13
; %bb.12:
	v_lshlrev_b32_e32 v0, 4, v0
	global_load_dwordx4 v[18:21], v0, s[2:3]
.LBB176_13:
	s_or_b64 exec, exec, s[0:1]
	v_or_b32_e32 v0, 0x280, v56
	v_cmp_gt_u32_e32 vcc, s66, v0
	v_mov_b64_e32 v[24:25], s[6:7]
	v_mov_b64_e32 v[22:23], s[4:5]
	s_and_saveexec_b64 s[0:1], vcc
	s_cbranch_execz .LBB176_15
; %bb.14:
	v_lshlrev_b32_e32 v0, 4, v0
	global_load_dwordx4 v[22:25], v0, s[2:3]
.LBB176_15:
	s_or_b64 exec, exec, s[0:1]
	v_or_b32_e32 v0, 0x300, v56
	v_cmp_gt_u32_e32 vcc, s66, v0
	v_mov_b64_e32 v[28:29], s[6:7]
	v_mov_b64_e32 v[26:27], s[4:5]
	s_and_saveexec_b64 s[0:1], vcc
	s_cbranch_execz .LBB176_17
; %bb.16:
	v_lshlrev_b32_e32 v0, 4, v0
	global_load_dwordx4 v[26:29], v0, s[2:3]
.LBB176_17:
	s_or_b64 exec, exec, s[0:1]
	v_or_b32_e32 v0, 0x380, v56
	v_cmp_gt_u32_e32 vcc, s66, v0
	v_mov_b64_e32 v[32:33], s[6:7]
	v_mov_b64_e32 v[30:31], s[4:5]
	s_and_saveexec_b64 s[0:1], vcc
	s_cbranch_execz .LBB176_19
; %bb.18:
	v_lshlrev_b32_e32 v0, 4, v0
	global_load_dwordx4 v[30:33], v0, s[2:3]
.LBB176_19:
	s_or_b64 exec, exec, s[0:1]
	v_or_b32_e32 v0, 0x400, v56
	v_cmp_gt_u32_e32 vcc, s66, v0
	v_mov_b64_e32 v[36:37], s[6:7]
	v_mov_b64_e32 v[34:35], s[4:5]
	s_and_saveexec_b64 s[0:1], vcc
	s_cbranch_execz .LBB176_21
; %bb.20:
	v_lshlrev_b32_e32 v0, 4, v0
	global_load_dwordx4 v[34:37], v0, s[2:3]
.LBB176_21:
	s_or_b64 exec, exec, s[0:1]
	v_or_b32_e32 v0, 0x480, v56
	v_cmp_gt_u32_e32 vcc, s66, v0
	v_mov_b64_e32 v[40:41], s[6:7]
	v_mov_b64_e32 v[38:39], s[4:5]
	s_and_saveexec_b64 s[0:1], vcc
	s_cbranch_execz .LBB176_23
; %bb.22:
	v_lshlrev_b32_e32 v0, 4, v0
	global_load_dwordx4 v[38:41], v0, s[2:3]
.LBB176_23:
	s_or_b64 exec, exec, s[0:1]
	s_waitcnt vmcnt(0)
	ds_write_b128 v130, v[2:5]
	ds_write_b128 v130, v[6:9] offset:2048
	ds_write_b128 v130, v[10:13] offset:4096
	;; [unrolled: 1-line block ×9, first 2 shown]
	s_waitcnt lgkmcnt(0)
	s_barrier
.LBB176_24:
	v_mul_u32_u24_e32 v57, 0xa0, v56
	ds_read_b128 v[58:61], v57
	ds_read_b128 v[94:97], v57 offset:16
	ds_read_b128 v[90:93], v57 offset:32
	;; [unrolled: 1-line block ×9, first 2 shown]
	s_cmp_lg_u32 s33, 0
	s_waitcnt lgkmcnt(0)
	s_barrier
	s_cbranch_scc0 .LBB176_84
; %bb.25:
	s_getpc_b64 s[36:37]
	s_add_u32 s36, s36, _ZZZZN2at6native31launch_logcumsumexp_cuda_kernelERKNS_10TensorBaseES3_lENKUlvE_clEvENKUlvE1_clEvENKUlN3c107complexIdEES8_E_clES8_S8_@rel32@lo+4
	s_addc_u32 s37, s37, _ZZZZN2at6native31launch_logcumsumexp_cuda_kernelERKNS_10TensorBaseES3_lENKUlvE_clEvENKUlvE1_clEvENKUlN3c107complexIdEES8_E_clES8_S8_@rel32@hi+12
	v_mov_b32_e32 v0, v58
	v_mov_b32_e32 v1, v59
	;; [unrolled: 1-line block ×8, first 2 shown]
	s_swappc_b64 s[30:31], s[36:37]
	v_mov_b32_e32 v4, v90
	v_mov_b32_e32 v5, v91
	v_mov_b32_e32 v6, v92
	v_mov_b32_e32 v7, v93
	s_swappc_b64 s[30:31], s[36:37]
	v_mov_b32_e32 v4, v86
	v_mov_b32_e32 v5, v87
	v_mov_b32_e32 v6, v88
	v_mov_b32_e32 v7, v89
	;; [unrolled: 5-line block ×8, first 2 shown]
	s_swappc_b64 s[30:31], s[36:37]
	v_mov_b32_e32 v44, v0
	v_mbcnt_lo_u32_b32 v0, -1, 0
	v_mbcnt_hi_u32_b32 v52, -1, v0
	v_mov_b32_e32 v45, v1
	v_mov_b32_e32 v46, v2
	v_mov_b32_e32 v47, v3
	v_and_b32_e32 v40, 15, v52
	v_mov_b32_dpp v0, v44 row_shr:1 row_mask:0xf bank_mask:0xf
	v_mov_b32_dpp v1, v45 row_shr:1 row_mask:0xf bank_mask:0xf
	;; [unrolled: 1-line block ×4, first 2 shown]
	v_cmp_ne_u32_e32 vcc, 0, v40
	s_and_saveexec_b64 s[38:39], vcc
	s_cbranch_execz .LBB176_27
; %bb.26:
	v_mov_b32_e32 v4, v44
	v_mov_b32_e32 v5, v45
	;; [unrolled: 1-line block ×4, first 2 shown]
	s_swappc_b64 s[30:31], s[36:37]
	v_mov_b32_e32 v44, v0
	v_mov_b32_e32 v45, v1
	;; [unrolled: 1-line block ×4, first 2 shown]
.LBB176_27:
	s_or_b64 exec, exec, s[38:39]
	v_mov_b32_dpp v0, v44 row_shr:2 row_mask:0xf bank_mask:0xf
	v_mov_b32_dpp v1, v45 row_shr:2 row_mask:0xf bank_mask:0xf
	v_mov_b32_dpp v2, v46 row_shr:2 row_mask:0xf bank_mask:0xf
	v_mov_b32_dpp v3, v47 row_shr:2 row_mask:0xf bank_mask:0xf
	v_cmp_lt_u32_e32 vcc, 1, v40
	s_and_saveexec_b64 s[36:37], vcc
	s_cbranch_execz .LBB176_29
; %bb.28:
	s_getpc_b64 s[0:1]
	s_add_u32 s0, s0, _ZZZZN2at6native31launch_logcumsumexp_cuda_kernelERKNS_10TensorBaseES3_lENKUlvE_clEvENKUlvE1_clEvENKUlN3c107complexIdEES8_E_clES8_S8_@rel32@lo+4
	s_addc_u32 s1, s1, _ZZZZN2at6native31launch_logcumsumexp_cuda_kernelERKNS_10TensorBaseES3_lENKUlvE_clEvENKUlvE1_clEvENKUlN3c107complexIdEES8_E_clES8_S8_@rel32@hi+12
	v_mov_b32_e32 v4, v44
	v_mov_b32_e32 v5, v45
	v_mov_b32_e32 v6, v46
	v_mov_b32_e32 v7, v47
	s_swappc_b64 s[30:31], s[0:1]
	v_mov_b32_e32 v44, v0
	v_mov_b32_e32 v45, v1
	v_mov_b32_e32 v46, v2
	v_mov_b32_e32 v47, v3
.LBB176_29:
	s_or_b64 exec, exec, s[36:37]
	v_mov_b32_dpp v0, v44 row_shr:4 row_mask:0xf bank_mask:0xf
	v_mov_b32_dpp v1, v45 row_shr:4 row_mask:0xf bank_mask:0xf
	v_mov_b32_dpp v2, v46 row_shr:4 row_mask:0xf bank_mask:0xf
	v_mov_b32_dpp v3, v47 row_shr:4 row_mask:0xf bank_mask:0xf
	v_cmp_lt_u32_e32 vcc, 3, v40
	s_and_saveexec_b64 s[36:37], vcc
	s_cbranch_execz .LBB176_31
; %bb.30:
	s_getpc_b64 s[0:1]
	s_add_u32 s0, s0, _ZZZZN2at6native31launch_logcumsumexp_cuda_kernelERKNS_10TensorBaseES3_lENKUlvE_clEvENKUlvE1_clEvENKUlN3c107complexIdEES8_E_clES8_S8_@rel32@lo+4
	s_addc_u32 s1, s1, _ZZZZN2at6native31launch_logcumsumexp_cuda_kernelERKNS_10TensorBaseES3_lENKUlvE_clEvENKUlvE1_clEvENKUlN3c107complexIdEES8_E_clES8_S8_@rel32@hi+12
	v_mov_b32_e32 v4, v44
	v_mov_b32_e32 v5, v45
	v_mov_b32_e32 v6, v46
	v_mov_b32_e32 v7, v47
	s_swappc_b64 s[30:31], s[0:1]
	v_mov_b32_e32 v44, v0
	v_mov_b32_e32 v45, v1
	v_mov_b32_e32 v46, v2
	v_mov_b32_e32 v47, v3
.LBB176_31:
	;; [unrolled: 22-line block ×3, first 2 shown]
	s_or_b64 exec, exec, s[36:37]
	v_and_b32_e32 v4, 16, v52
	v_mov_b32_dpp v0, v44 row_bcast:15 row_mask:0xf bank_mask:0xf
	v_mov_b32_dpp v1, v45 row_bcast:15 row_mask:0xf bank_mask:0xf
	v_mov_b32_dpp v2, v46 row_bcast:15 row_mask:0xf bank_mask:0xf
	v_mov_b32_dpp v3, v47 row_bcast:15 row_mask:0xf bank_mask:0xf
	v_cmp_ne_u32_e32 vcc, 0, v4
	s_and_saveexec_b64 s[36:37], vcc
	s_cbranch_execz .LBB176_35
; %bb.34:
	s_getpc_b64 s[0:1]
	s_add_u32 s0, s0, _ZZZZN2at6native31launch_logcumsumexp_cuda_kernelERKNS_10TensorBaseES3_lENKUlvE_clEvENKUlvE1_clEvENKUlN3c107complexIdEES8_E_clES8_S8_@rel32@lo+4
	s_addc_u32 s1, s1, _ZZZZN2at6native31launch_logcumsumexp_cuda_kernelERKNS_10TensorBaseES3_lENKUlvE_clEvENKUlvE1_clEvENKUlN3c107complexIdEES8_E_clES8_S8_@rel32@hi+12
	v_mov_b32_e32 v4, v44
	v_mov_b32_e32 v5, v45
	;; [unrolled: 1-line block ×4, first 2 shown]
	s_swappc_b64 s[30:31], s[0:1]
	v_mov_b32_e32 v44, v0
	v_mov_b32_e32 v45, v1
	;; [unrolled: 1-line block ×4, first 2 shown]
.LBB176_35:
	s_or_b64 exec, exec, s[36:37]
	v_mov_b32_dpp v0, v44 row_bcast:31 row_mask:0xf bank_mask:0xf
	v_mov_b32_dpp v1, v45 row_bcast:31 row_mask:0xf bank_mask:0xf
	;; [unrolled: 1-line block ×4, first 2 shown]
	v_cmp_lt_u32_e32 vcc, 31, v52
	s_and_saveexec_b64 s[36:37], vcc
	s_cbranch_execz .LBB176_37
; %bb.36:
	s_getpc_b64 s[0:1]
	s_add_u32 s0, s0, _ZZZZN2at6native31launch_logcumsumexp_cuda_kernelERKNS_10TensorBaseES3_lENKUlvE_clEvENKUlvE1_clEvENKUlN3c107complexIdEES8_E_clES8_S8_@rel32@lo+4
	s_addc_u32 s1, s1, _ZZZZN2at6native31launch_logcumsumexp_cuda_kernelERKNS_10TensorBaseES3_lENKUlvE_clEvENKUlvE1_clEvENKUlN3c107complexIdEES8_E_clES8_S8_@rel32@hi+12
	v_mov_b32_e32 v4, v44
	v_mov_b32_e32 v5, v45
	;; [unrolled: 1-line block ×4, first 2 shown]
	s_swappc_b64 s[30:31], s[0:1]
	v_mov_b32_e32 v44, v0
	v_mov_b32_e32 v45, v1
	;; [unrolled: 1-line block ×4, first 2 shown]
.LBB176_37:
	s_or_b64 exec, exec, s[36:37]
	v_or_b32_e32 v0, 63, v56
	v_lshrrev_b32_e32 v53, 6, v56
	v_cmp_eq_u32_e32 vcc, v56, v0
	s_and_saveexec_b64 s[0:1], vcc
; %bb.38:
	v_lshlrev_b32_e32 v0, 4, v53
	ds_write_b128 v0, v[44:47]
; %bb.39:
	s_or_b64 exec, exec, s[0:1]
	v_cmp_gt_u32_e32 vcc, 2, v56
	s_waitcnt lgkmcnt(0)
	s_barrier
	s_and_saveexec_b64 s[36:37], vcc
	s_cbranch_execz .LBB176_43
; %bb.40:
	ds_read_b128 v[4:7], v130
	v_and_b32_e32 v8, 1, v52
	v_cmp_eq_u32_e32 vcc, 1, v8
	s_waitcnt lgkmcnt(0)
	v_mov_b32_dpp v0, v4 row_shr:1 row_mask:0xf bank_mask:0xf
	v_mov_b32_dpp v1, v5 row_shr:1 row_mask:0xf bank_mask:0xf
	;; [unrolled: 1-line block ×4, first 2 shown]
	s_and_saveexec_b64 s[38:39], vcc
	s_cbranch_execz .LBB176_42
; %bb.41:
	s_getpc_b64 s[0:1]
	s_add_u32 s0, s0, _ZZZZN2at6native31launch_logcumsumexp_cuda_kernelERKNS_10TensorBaseES3_lENKUlvE_clEvENKUlvE1_clEvENKUlN3c107complexIdEES8_E_clES8_S8_@rel32@lo+4
	s_addc_u32 s1, s1, _ZZZZN2at6native31launch_logcumsumexp_cuda_kernelERKNS_10TensorBaseES3_lENKUlvE_clEvENKUlvE1_clEvENKUlN3c107complexIdEES8_E_clES8_S8_@rel32@hi+12
	s_swappc_b64 s[30:31], s[0:1]
	v_mov_b32_e32 v4, v0
	v_mov_b32_e32 v5, v1
	;; [unrolled: 1-line block ×4, first 2 shown]
.LBB176_42:
	s_or_b64 exec, exec, s[38:39]
	ds_write_b128 v130, v[4:7]
.LBB176_43:
	s_or_b64 exec, exec, s[36:37]
	v_cmp_gt_u32_e64 s[38:39], 64, v56
	v_cmp_lt_u32_e32 vcc, 63, v56
	v_mov_b64_e32 v[42:43], 0
	v_mov_b64_e32 v[40:41], 0
	s_waitcnt lgkmcnt(0)
	s_barrier
	s_and_saveexec_b64 s[36:37], vcc
	s_cbranch_execz .LBB176_45
; %bb.44:
	v_lshl_add_u32 v0, v53, 4, -16
	ds_read_b128 v[40:43], v0
	s_getpc_b64 s[0:1]
	s_add_u32 s0, s0, _ZZZZN2at6native31launch_logcumsumexp_cuda_kernelERKNS_10TensorBaseES3_lENKUlvE_clEvENKUlvE1_clEvENKUlN3c107complexIdEES8_E_clES8_S8_@rel32@lo+4
	s_addc_u32 s1, s1, _ZZZZN2at6native31launch_logcumsumexp_cuda_kernelERKNS_10TensorBaseES3_lENKUlvE_clEvENKUlvE1_clEvENKUlN3c107complexIdEES8_E_clES8_S8_@rel32@hi+12
	v_mov_b32_e32 v4, v44
	v_mov_b32_e32 v5, v45
	;; [unrolled: 1-line block ×3, first 2 shown]
	s_waitcnt lgkmcnt(0)
	v_mov_b32_e32 v0, v40
	v_mov_b32_e32 v1, v41
	;; [unrolled: 1-line block ×5, first 2 shown]
	s_swappc_b64 s[30:31], s[0:1]
	v_mov_b32_e32 v44, v0
	v_mov_b32_e32 v45, v1
	;; [unrolled: 1-line block ×4, first 2 shown]
.LBB176_45:
	s_or_b64 exec, exec, s[36:37]
	v_subrev_co_u32_e64 v0, s[36:37], 1, v52
	v_and_b32_e32 v1, 64, v52
	v_cmp_lt_i32_e32 vcc, v0, v1
	s_nop 1
	v_cndmask_b32_e32 v0, v0, v52, vcc
	v_lshlrev_b32_e32 v0, 2, v0
	ds_bpermute_b32 v102, v0, v44
	ds_bpermute_b32 v103, v0, v45
	;; [unrolled: 1-line block ×4, first 2 shown]
	s_and_saveexec_b64 s[50:51], s[38:39]
	s_cbranch_execz .LBB176_89
; %bb.46:
	v_mov_b32_e32 v1, 0
	ds_read_b128 v[44:47], v1 offset:16
	s_and_saveexec_b64 s[0:1], s[36:37]
	s_cbranch_execz .LBB176_48
; %bb.47:
	s_add_i32 s2, s33, 64
	s_mov_b32 s3, 0
	s_lshl_b64 s[4:5], s[2:3], 4
	s_add_u32 s4, s60, s4
	s_addc_u32 s5, s61, s5
	v_mov_b32_e32 v0, 1
	v_mov_b32_e32 v2, s2
	s_waitcnt lgkmcnt(0)
	global_store_dword v1, v44, s[4:5] sc1
	global_store_dword v1, v45, s[4:5] offset:4 sc1
	global_store_dword v1, v46, s[4:5] offset:8 sc1
	;; [unrolled: 1-line block ×3, first 2 shown]
	s_waitcnt vmcnt(0)
	global_store_byte v2, v0, s[64:65] sc1
.LBB176_48:
	s_or_b64 exec, exec, s[0:1]
	v_xad_u32 v98, v52, -1, s33
	v_add_u32_e32 v0, 64, v98
	global_load_ubyte v106, v0, s[64:65] sc1
	s_waitcnt vmcnt(0)
	v_cmp_eq_u16_e32 vcc, 0, v106
	s_and_saveexec_b64 s[0:1], vcc
	s_cbranch_execz .LBB176_52
; %bb.49:
	v_lshl_add_u64 v[2:3], s[64:65], 0, v[0:1]
	s_mov_b64 s[2:3], 0
.LBB176_50:                             ; =>This Inner Loop Header: Depth=1
	global_load_ubyte v106, v[2:3], off sc1
	s_waitcnt vmcnt(0)
	v_cmp_ne_u16_e32 vcc, 0, v106
	s_or_b64 s[2:3], vcc, s[2:3]
	s_andn2_b64 exec, exec, s[2:3]
	s_cbranch_execnz .LBB176_50
; %bb.51:
	s_or_b64 exec, exec, s[2:3]
.LBB176_52:
	s_or_b64 exec, exec, s[0:1]
	v_mov_b32_e32 v2, s63
	v_mov_b32_e32 v3, s61
	v_cmp_eq_u16_e32 vcc, 1, v106
	v_mov_b32_e32 v4, s60
	s_waitcnt vmcnt(0)
	v_cndmask_b32_e32 v3, v2, v3, vcc
	v_mov_b32_e32 v2, s62
	v_cndmask_b32_e32 v2, v2, v4, vcc
	v_lshl_add_u64 v[0:1], v[0:1], 4, v[2:3]
	s_waitcnt lgkmcnt(0)
	global_load_dword v4, v[0:1], off sc1
	global_load_dword v5, v[0:1], off offset:4 sc1
	global_load_dword v6, v[0:1], off offset:8 sc1
	;; [unrolled: 1-line block ×3, first 2 shown]
	v_cmp_eq_u16_e32 vcc, 2, v106
	v_lshlrev_b64 v[100:101], v52, -1
	v_and_b32_e32 v107, 63, v52
	v_and_b32_e32 v0, vcc_hi, v101
	v_and_b32_e32 v8, vcc_lo, v100
	v_cmp_ne_u32_e32 vcc, 63, v107
	v_or_b32_e32 v0, 0x80000000, v0
	v_ffbl_b32_e32 v9, v0
	v_addc_co_u32_e32 v1, vcc, 0, v52, vcc
	v_lshlrev_b32_e32 v108, 2, v1
	v_add_u32_e32 v9, 32, v9
	v_ffbl_b32_e32 v8, v8
	v_min_u32_e32 v53, v8, v9
	v_cmp_lt_u32_e32 vcc, v107, v53
	s_waitcnt vmcnt(3)
	ds_bpermute_b32 v0, v108, v4
	s_waitcnt vmcnt(2)
	ds_bpermute_b32 v1, v108, v5
	s_waitcnt vmcnt(1)
	ds_bpermute_b32 v2, v108, v6
	s_waitcnt vmcnt(0)
	ds_bpermute_b32 v3, v108, v7
	s_and_saveexec_b64 s[38:39], vcc
	s_cbranch_execz .LBB176_54
; %bb.53:
	s_getpc_b64 s[0:1]
	s_add_u32 s0, s0, _ZZZZN2at6native31launch_logcumsumexp_cuda_kernelERKNS_10TensorBaseES3_lENKUlvE_clEvENKUlvE1_clEvENKUlN3c107complexIdEES8_E_clES8_S8_@rel32@lo+4
	s_addc_u32 s1, s1, _ZZZZN2at6native31launch_logcumsumexp_cuda_kernelERKNS_10TensorBaseES3_lENKUlvE_clEvENKUlvE1_clEvENKUlN3c107complexIdEES8_E_clES8_S8_@rel32@hi+12
	s_swappc_b64 s[30:31], s[0:1]
	v_mov_b32_e32 v4, v0
	v_mov_b32_e32 v5, v1
	v_mov_b32_e32 v6, v2
	v_mov_b32_e32 v7, v3
.LBB176_54:
	s_or_b64 exec, exec, s[38:39]
	v_cmp_gt_u32_e32 vcc, 62, v107
	v_add_u32_e32 v110, 2, v107
	s_waitcnt lgkmcnt(3)
	v_cndmask_b32_e64 v0, 0, 2, vcc
	v_add_lshl_u32 v109, v0, v52, 2
	ds_bpermute_b32 v0, v109, v4
	s_waitcnt lgkmcnt(3)
	ds_bpermute_b32 v1, v109, v5
	s_waitcnt lgkmcnt(3)
	ds_bpermute_b32 v2, v109, v6
	s_waitcnt lgkmcnt(3)
	ds_bpermute_b32 v3, v109, v7
	v_cmp_le_u32_e32 vcc, v110, v53
	s_and_saveexec_b64 s[38:39], vcc
	s_cbranch_execz .LBB176_56
; %bb.55:
	s_getpc_b64 s[0:1]
	s_add_u32 s0, s0, _ZZZZN2at6native31launch_logcumsumexp_cuda_kernelERKNS_10TensorBaseES3_lENKUlvE_clEvENKUlvE1_clEvENKUlN3c107complexIdEES8_E_clES8_S8_@rel32@lo+4
	s_addc_u32 s1, s1, _ZZZZN2at6native31launch_logcumsumexp_cuda_kernelERKNS_10TensorBaseES3_lENKUlvE_clEvENKUlvE1_clEvENKUlN3c107complexIdEES8_E_clES8_S8_@rel32@hi+12
	s_swappc_b64 s[30:31], s[0:1]
	v_mov_b32_e32 v4, v0
	v_mov_b32_e32 v5, v1
	v_mov_b32_e32 v6, v2
	v_mov_b32_e32 v7, v3
.LBB176_56:
	s_or_b64 exec, exec, s[38:39]
	v_cmp_gt_u32_e32 vcc, 60, v107
	v_add_u32_e32 v112, 4, v107
	s_waitcnt lgkmcnt(3)
	v_cndmask_b32_e64 v0, 0, 4, vcc
	v_add_lshl_u32 v111, v0, v52, 2
	ds_bpermute_b32 v0, v111, v4
	s_waitcnt lgkmcnt(3)
	ds_bpermute_b32 v1, v111, v5
	s_waitcnt lgkmcnt(3)
	ds_bpermute_b32 v2, v111, v6
	s_waitcnt lgkmcnt(3)
	ds_bpermute_b32 v3, v111, v7
	v_cmp_le_u32_e32 vcc, v112, v53
	;; [unrolled: 26-line block ×4, first 2 shown]
	s_and_saveexec_b64 s[38:39], vcc
	s_cbranch_execz .LBB176_62
; %bb.61:
	s_getpc_b64 s[0:1]
	s_add_u32 s0, s0, _ZZZZN2at6native31launch_logcumsumexp_cuda_kernelERKNS_10TensorBaseES3_lENKUlvE_clEvENKUlvE1_clEvENKUlN3c107complexIdEES8_E_clES8_S8_@rel32@lo+4
	s_addc_u32 s1, s1, _ZZZZN2at6native31launch_logcumsumexp_cuda_kernelERKNS_10TensorBaseES3_lENKUlvE_clEvENKUlvE1_clEvENKUlN3c107complexIdEES8_E_clES8_S8_@rel32@hi+12
	s_swappc_b64 s[30:31], s[0:1]
	v_mov_b32_e32 v4, v0
	v_mov_b32_e32 v5, v1
	;; [unrolled: 1-line block ×4, first 2 shown]
.LBB176_62:
	s_or_b64 exec, exec, s[38:39]
	s_waitcnt lgkmcnt(3)
	v_mov_b32_e32 v0, 0x80
	v_lshl_or_b32 v117, v52, 2, v0
	ds_bpermute_b32 v0, v117, v4
	s_waitcnt lgkmcnt(3)
	ds_bpermute_b32 v1, v117, v5
	s_waitcnt lgkmcnt(3)
	;; [unrolled: 2-line block ×3, first 2 shown]
	ds_bpermute_b32 v3, v117, v7
	v_add_u32_e32 v118, 32, v107
	v_cmp_le_u32_e32 vcc, v118, v53
	s_and_saveexec_b64 s[38:39], vcc
	s_cbranch_execz .LBB176_64
; %bb.63:
	s_getpc_b64 s[0:1]
	s_add_u32 s0, s0, _ZZZZN2at6native31launch_logcumsumexp_cuda_kernelERKNS_10TensorBaseES3_lENKUlvE_clEvENKUlvE1_clEvENKUlN3c107complexIdEES8_E_clES8_S8_@rel32@lo+4
	s_addc_u32 s1, s1, _ZZZZN2at6native31launch_logcumsumexp_cuda_kernelERKNS_10TensorBaseES3_lENKUlvE_clEvENKUlvE1_clEvENKUlN3c107complexIdEES8_E_clES8_S8_@rel32@hi+12
	s_swappc_b64 s[30:31], s[0:1]
	v_mov_b32_e32 v4, v0
	v_mov_b32_e32 v5, v1
	;; [unrolled: 1-line block ×4, first 2 shown]
.LBB176_64:
	s_or_b64 exec, exec, s[38:39]
	v_mov_b32_e32 v99, 0
	v_mov_b32_e32 v119, 2
	s_branch .LBB176_67
.LBB176_65:                             ;   in Loop: Header=BB176_67 Depth=1
	s_or_b64 exec, exec, s[38:39]
	s_getpc_b64 s[0:1]
	s_add_u32 s0, s0, _ZZZZN2at6native31launch_logcumsumexp_cuda_kernelERKNS_10TensorBaseES3_lENKUlvE_clEvENKUlvE1_clEvENKUlN3c107complexIdEES8_E_clES8_S8_@rel32@lo+4
	s_addc_u32 s1, s1, _ZZZZN2at6native31launch_logcumsumexp_cuda_kernelERKNS_10TensorBaseES3_lENKUlvE_clEvENKUlvE1_clEvENKUlN3c107complexIdEES8_E_clES8_S8_@rel32@hi+12
	s_waitcnt lgkmcnt(3)
	v_mov_b32_e32 v0, v4
	s_waitcnt lgkmcnt(2)
	v_mov_b32_e32 v1, v5
	;; [unrolled: 2-line block ×4, first 2 shown]
	v_mov_b32_e32 v4, v52
	v_mov_b32_e32 v5, v53
	;; [unrolled: 1-line block ×4, first 2 shown]
	v_subrev_u32_e32 v98, 64, v98
	s_swappc_b64 s[30:31], s[0:1]
	v_mov_b32_e32 v4, v0
	v_mov_b32_e32 v5, v1
	;; [unrolled: 1-line block ×4, first 2 shown]
	s_mov_b64 s[0:1], 0
.LBB176_66:                             ;   in Loop: Header=BB176_67 Depth=1
	s_and_b64 vcc, exec, s[0:1]
	s_cbranch_vccnz .LBB176_85
.LBB176_67:                             ; =>This Loop Header: Depth=1
                                        ;     Child Loop BB176_70 Depth 2
	v_cmp_ne_u16_sdwa s[0:1], v106, v119 src0_sel:BYTE_0 src1_sel:DWORD
	v_mov_b64_e32 v[54:55], v[6:7]
	v_mov_b64_e32 v[52:53], v[4:5]
	s_cmp_lg_u64 s[0:1], exec
	s_mov_b64 s[0:1], -1
                                        ; implicit-def: $vgpr6_vgpr7
                                        ; implicit-def: $vgpr4_vgpr5
                                        ; implicit-def: $vgpr106
	s_cbranch_scc1 .LBB176_66
; %bb.68:                               ;   in Loop: Header=BB176_67 Depth=1
	global_load_ubyte v106, v98, s[64:65] sc1
	s_waitcnt vmcnt(0)
	v_cmp_eq_u16_e32 vcc, 0, v106
	s_and_saveexec_b64 s[0:1], vcc
	s_cbranch_execz .LBB176_72
; %bb.69:                               ;   in Loop: Header=BB176_67 Depth=1
	s_waitcnt lgkmcnt(2)
	v_lshl_add_u64 v[0:1], s[64:65], 0, v[98:99]
	s_mov_b64 s[2:3], 0
.LBB176_70:                             ;   Parent Loop BB176_67 Depth=1
                                        ; =>  This Inner Loop Header: Depth=2
	global_load_ubyte v106, v[0:1], off sc1
	s_waitcnt vmcnt(0)
	v_cmp_ne_u16_e32 vcc, 0, v106
	s_or_b64 s[2:3], vcc, s[2:3]
	s_andn2_b64 exec, exec, s[2:3]
	s_cbranch_execnz .LBB176_70
; %bb.71:                               ;   in Loop: Header=BB176_67 Depth=1
	s_or_b64 exec, exec, s[2:3]
.LBB176_72:                             ;   in Loop: Header=BB176_67 Depth=1
	s_or_b64 exec, exec, s[0:1]
	s_waitcnt lgkmcnt(3)
	v_mov_b32_e32 v0, s63
	s_waitcnt lgkmcnt(2)
	v_mov_b32_e32 v1, s61
	v_cmp_eq_u16_e32 vcc, 1, v106
	s_waitcnt lgkmcnt(1)
	v_mov_b32_e32 v2, s60
	s_waitcnt vmcnt(0)
	v_cndmask_b32_e32 v1, v0, v1, vcc
	v_mov_b32_e32 v0, s62
	v_cndmask_b32_e32 v0, v0, v2, vcc
	v_lshl_add_u64 v[0:1], v[98:99], 4, v[0:1]
	s_waitcnt lgkmcnt(0)
	global_load_dword v4, v[0:1], off sc1
	global_load_dword v5, v[0:1], off offset:4 sc1
	global_load_dword v6, v[0:1], off offset:8 sc1
	;; [unrolled: 1-line block ×3, first 2 shown]
	v_cmp_eq_u16_e32 vcc, 2, v106
	s_waitcnt vmcnt(2)
	ds_bpermute_b32 v1, v108, v5
	v_and_b32_e32 v0, vcc_hi, v101
	v_or_b32_e32 v0, 0x80000000, v0
	v_ffbl_b32_e32 v9, v0
	ds_bpermute_b32 v0, v108, v4
	s_waitcnt vmcnt(1)
	ds_bpermute_b32 v2, v108, v6
	s_waitcnt vmcnt(0)
	ds_bpermute_b32 v3, v108, v7
	v_and_b32_e32 v8, vcc_lo, v100
	v_add_u32_e32 v9, 32, v9
	v_ffbl_b32_e32 v8, v8
	v_min_u32_e32 v120, v8, v9
	v_cmp_lt_u32_e32 vcc, v107, v120
	s_and_saveexec_b64 s[38:39], vcc
	s_cbranch_execz .LBB176_74
; %bb.73:                               ;   in Loop: Header=BB176_67 Depth=1
	s_getpc_b64 s[0:1]
	s_add_u32 s0, s0, _ZZZZN2at6native31launch_logcumsumexp_cuda_kernelERKNS_10TensorBaseES3_lENKUlvE_clEvENKUlvE1_clEvENKUlN3c107complexIdEES8_E_clES8_S8_@rel32@lo+4
	s_addc_u32 s1, s1, _ZZZZN2at6native31launch_logcumsumexp_cuda_kernelERKNS_10TensorBaseES3_lENKUlvE_clEvENKUlvE1_clEvENKUlN3c107complexIdEES8_E_clES8_S8_@rel32@hi+12
	s_swappc_b64 s[30:31], s[0:1]
	v_mov_b32_e32 v4, v0
	v_mov_b32_e32 v5, v1
	;; [unrolled: 1-line block ×4, first 2 shown]
.LBB176_74:                             ;   in Loop: Header=BB176_67 Depth=1
	s_or_b64 exec, exec, s[38:39]
	s_waitcnt lgkmcnt(2)
	ds_bpermute_b32 v0, v109, v4
	ds_bpermute_b32 v1, v109, v5
	s_waitcnt lgkmcnt(3)
	ds_bpermute_b32 v2, v109, v6
	s_waitcnt lgkmcnt(3)
	ds_bpermute_b32 v3, v109, v7
	v_cmp_le_u32_e32 vcc, v110, v120
	s_and_saveexec_b64 s[38:39], vcc
	s_cbranch_execz .LBB176_76
; %bb.75:                               ;   in Loop: Header=BB176_67 Depth=1
	s_getpc_b64 s[0:1]
	s_add_u32 s0, s0, _ZZZZN2at6native31launch_logcumsumexp_cuda_kernelERKNS_10TensorBaseES3_lENKUlvE_clEvENKUlvE1_clEvENKUlN3c107complexIdEES8_E_clES8_S8_@rel32@lo+4
	s_addc_u32 s1, s1, _ZZZZN2at6native31launch_logcumsumexp_cuda_kernelERKNS_10TensorBaseES3_lENKUlvE_clEvENKUlvE1_clEvENKUlN3c107complexIdEES8_E_clES8_S8_@rel32@hi+12
	s_swappc_b64 s[30:31], s[0:1]
	v_mov_b32_e32 v4, v0
	v_mov_b32_e32 v5, v1
	v_mov_b32_e32 v6, v2
	v_mov_b32_e32 v7, v3
.LBB176_76:                             ;   in Loop: Header=BB176_67 Depth=1
	s_or_b64 exec, exec, s[38:39]
	s_waitcnt lgkmcnt(3)
	ds_bpermute_b32 v0, v111, v4
	s_waitcnt lgkmcnt(3)
	ds_bpermute_b32 v1, v111, v5
	s_waitcnt lgkmcnt(3)
	ds_bpermute_b32 v2, v111, v6
	s_waitcnt lgkmcnt(3)
	ds_bpermute_b32 v3, v111, v7
	v_cmp_le_u32_e32 vcc, v112, v120
	s_and_saveexec_b64 s[38:39], vcc
	s_cbranch_execz .LBB176_78
; %bb.77:                               ;   in Loop: Header=BB176_67 Depth=1
	s_getpc_b64 s[0:1]
	s_add_u32 s0, s0, _ZZZZN2at6native31launch_logcumsumexp_cuda_kernelERKNS_10TensorBaseES3_lENKUlvE_clEvENKUlvE1_clEvENKUlN3c107complexIdEES8_E_clES8_S8_@rel32@lo+4
	s_addc_u32 s1, s1, _ZZZZN2at6native31launch_logcumsumexp_cuda_kernelERKNS_10TensorBaseES3_lENKUlvE_clEvENKUlvE1_clEvENKUlN3c107complexIdEES8_E_clES8_S8_@rel32@hi+12
	s_swappc_b64 s[30:31], s[0:1]
	v_mov_b32_e32 v4, v0
	v_mov_b32_e32 v5, v1
	v_mov_b32_e32 v6, v2
	v_mov_b32_e32 v7, v3
.LBB176_78:                             ;   in Loop: Header=BB176_67 Depth=1
	s_or_b64 exec, exec, s[38:39]
	s_waitcnt lgkmcnt(3)
	ds_bpermute_b32 v0, v113, v4
	s_waitcnt lgkmcnt(3)
	;; [unrolled: 22-line block ×4, first 2 shown]
	ds_bpermute_b32 v1, v117, v5
	s_waitcnt lgkmcnt(3)
	ds_bpermute_b32 v2, v117, v6
	s_waitcnt lgkmcnt(3)
	ds_bpermute_b32 v3, v117, v7
	v_cmp_le_u32_e32 vcc, v118, v120
	s_and_saveexec_b64 s[38:39], vcc
	s_cbranch_execz .LBB176_65
; %bb.83:                               ;   in Loop: Header=BB176_67 Depth=1
	s_getpc_b64 s[0:1]
	s_add_u32 s0, s0, _ZZZZN2at6native31launch_logcumsumexp_cuda_kernelERKNS_10TensorBaseES3_lENKUlvE_clEvENKUlvE1_clEvENKUlN3c107complexIdEES8_E_clES8_S8_@rel32@lo+4
	s_addc_u32 s1, s1, _ZZZZN2at6native31launch_logcumsumexp_cuda_kernelERKNS_10TensorBaseES3_lENKUlvE_clEvENKUlvE1_clEvENKUlN3c107complexIdEES8_E_clES8_S8_@rel32@hi+12
	s_swappc_b64 s[30:31], s[0:1]
	v_mov_b32_e32 v4, v0
	v_mov_b32_e32 v5, v1
	v_mov_b32_e32 v6, v2
	v_mov_b32_e32 v7, v3
	s_branch .LBB176_65
.LBB176_84:
                                        ; implicit-def: $vgpr44_vgpr45
                                        ; implicit-def: $vgpr98_vgpr99
                                        ; implicit-def: $vgpr102_vgpr103
                                        ; implicit-def: $vgpr106_vgpr107
                                        ; implicit-def: $vgpr110_vgpr111
                                        ; implicit-def: $vgpr114_vgpr115
                                        ; implicit-def: $vgpr118_vgpr119
                                        ; implicit-def: $vgpr122_vgpr123
                                        ; implicit-def: $vgpr126_vgpr127
                                        ; implicit-def: $vgpr40_vgpr41
	s_load_dwordx8 s[52:59], s[34:35], 0x58
	s_cbranch_execnz .LBB176_92
	s_branch .LBB176_119
.LBB176_85:
	s_and_saveexec_b64 s[38:39], s[36:37]
	s_cbranch_execz .LBB176_87
; %bb.86:
	s_getpc_b64 s[0:1]
	s_add_u32 s0, s0, _ZZZZN2at6native31launch_logcumsumexp_cuda_kernelERKNS_10TensorBaseES3_lENKUlvE_clEvENKUlvE1_clEvENKUlN3c107complexIdEES8_E_clES8_S8_@rel32@lo+4
	s_addc_u32 s1, s1, _ZZZZN2at6native31launch_logcumsumexp_cuda_kernelERKNS_10TensorBaseES3_lENKUlvE_clEvENKUlvE1_clEvENKUlN3c107complexIdEES8_E_clES8_S8_@rel32@hi+12
	s_waitcnt lgkmcnt(3)
	v_mov_b32_e32 v0, v52
	s_waitcnt lgkmcnt(2)
	v_mov_b32_e32 v1, v53
	s_waitcnt lgkmcnt(1)
	v_mov_b32_e32 v2, v54
	s_waitcnt lgkmcnt(0)
	v_mov_b32_e32 v3, v55
	v_mov_b32_e32 v4, v44
	v_mov_b32_e32 v5, v45
	;; [unrolled: 1-line block ×4, first 2 shown]
	s_swappc_b64 s[30:31], s[0:1]
	s_add_i32 s0, s33, 64
	s_mov_b32 s1, 0
	s_lshl_b64 s[2:3], s[0:1], 4
	s_add_u32 s2, s62, s2
	s_addc_u32 s3, s63, s3
	v_mov_b32_e32 v4, 0
	global_store_dword v4, v0, s[2:3] sc1
	global_store_dword v4, v1, s[2:3] offset:4 sc1
	global_store_dword v4, v2, s[2:3] offset:8 sc1
	;; [unrolled: 1-line block ×3, first 2 shown]
	v_mov_b32_e32 v0, 2
	v_mov_b32_e32 v1, s0
	s_waitcnt vmcnt(0)
	global_store_byte v1, v0, s[64:65] sc1
.LBB176_87:
	s_or_b64 exec, exec, s[38:39]
	v_cmp_eq_u32_e32 vcc, 0, v56
	s_and_b64 exec, exec, vcc
	s_cbranch_execz .LBB176_89
; %bb.88:
	s_waitcnt lgkmcnt(3)
	v_mov_b32_e32 v0, 0
	ds_write_b128 v0, v[52:55] offset:16
.LBB176_89:
	s_or_b64 exec, exec, s[50:51]
	s_waitcnt lgkmcnt(3)
	v_mov_b32_e32 v0, 0
	s_waitcnt lgkmcnt(0)
	s_barrier
	ds_read_b128 v[8:11], v0 offset:16
	v_cmp_ne_u32_e32 vcc, 0, v56
	v_mov_b64_e32 v[6:7], v[60:61]
	v_mov_b64_e32 v[4:5], v[58:59]
	s_and_saveexec_b64 s[38:39], vcc
	s_cbranch_execz .LBB176_91
; %bb.90:
	v_cndmask_b32_e64 v2, v104, v42, s[36:37]
	v_cndmask_b32_e64 v3, v105, v43, s[36:37]
	;; [unrolled: 1-line block ×4, first 2 shown]
	s_getpc_b64 s[0:1]
	s_add_u32 s0, s0, _ZZZZN2at6native31launch_logcumsumexp_cuda_kernelERKNS_10TensorBaseES3_lENKUlvE_clEvENKUlvE1_clEvENKUlN3c107complexIdEES8_E_clES8_S8_@rel32@lo+4
	s_addc_u32 s1, s1, _ZZZZN2at6native31launch_logcumsumexp_cuda_kernelERKNS_10TensorBaseES3_lENKUlvE_clEvENKUlvE1_clEvENKUlN3c107complexIdEES8_E_clES8_S8_@rel32@hi+12
	s_waitcnt lgkmcnt(0)
	v_mov_b64_e32 v[42:43], v[10:11]
	v_mov_b32_e32 v4, v58
	v_mov_b32_e32 v5, v59
	;; [unrolled: 1-line block ×4, first 2 shown]
	v_mov_b64_e32 v[40:41], v[8:9]
	s_swappc_b64 s[30:31], s[0:1]
	v_mov_b64_e32 v[8:9], v[40:41]
	v_mov_b32_e32 v4, v0
	v_mov_b32_e32 v5, v1
	;; [unrolled: 1-line block ×4, first 2 shown]
	v_mov_b64_e32 v[10:11], v[42:43]
.LBB176_91:
	s_or_b64 exec, exec, s[38:39]
	s_waitcnt lgkmcnt(0)
	v_mov_b64_e32 v[0:1], v[8:9]
	s_getpc_b64 s[36:37]
	s_add_u32 s36, s36, _ZZZZN2at6native31launch_logcumsumexp_cuda_kernelERKNS_10TensorBaseES3_lENKUlvE_clEvENKUlvE1_clEvENKUlN3c107complexIdEES8_E_clES8_S8_@rel32@lo+4
	s_addc_u32 s37, s37, _ZZZZN2at6native31launch_logcumsumexp_cuda_kernelERKNS_10TensorBaseES3_lENKUlvE_clEvENKUlvE1_clEvENKUlN3c107complexIdEES8_E_clES8_S8_@rel32@hi+12
	v_mov_b64_e32 v[2:3], v[10:11]
	s_swappc_b64 s[30:31], s[36:37]
	v_mov_b32_e32 v4, v94
	v_mov_b32_e32 v5, v95
	v_mov_b32_e32 v6, v96
	v_mov_b32_e32 v7, v97
	v_mov_b32_e32 v44, v0
	v_mov_b32_e32 v45, v1
	v_mov_b32_e32 v46, v2
	v_mov_b32_e32 v47, v3
	s_swappc_b64 s[30:31], s[36:37]
	v_mov_b32_e32 v4, v90
	v_mov_b32_e32 v5, v91
	v_mov_b32_e32 v6, v92
	v_mov_b32_e32 v7, v93
	v_mov_b32_e32 v98, v0
	v_mov_b32_e32 v99, v1
	v_mov_b32_e32 v100, v2
	v_mov_b32_e32 v101, v3
	;; [unrolled: 9-line block ×9, first 2 shown]
	s_swappc_b64 s[30:31], s[36:37]
	v_mov_b32_e32 v40, v0
	v_mov_b32_e32 v41, v1
	;; [unrolled: 1-line block ×4, first 2 shown]
	s_load_dwordx8 s[52:59], s[34:35], 0x58
	s_branch .LBB176_119
.LBB176_92:
	s_waitcnt lgkmcnt(0)
	s_cmp_lg_u64 s[56:57], 0
	s_cselect_b64 s[0:1], -1, 0
	v_cmp_eq_u32_e32 vcc, 0, v56
	v_cmp_ne_u32_e64 s[34:35], 0, v56
	s_and_b64 s[0:1], vcc, s[0:1]
	s_and_saveexec_b64 s[36:37], s[0:1]
	s_cbranch_execz .LBB176_94
; %bb.93:
	v_mov_b32_e32 v0, 0
	global_load_dwordx4 v[0:3], v0, s[52:53]
	s_getpc_b64 s[0:1]
	s_add_u32 s0, s0, _ZZZZN2at6native31launch_logcumsumexp_cuda_kernelERKNS_10TensorBaseES3_lENKUlvE_clEvENKUlvE1_clEvENKUlN3c107complexIdEES8_E_clES8_S8_@rel32@lo+4
	s_addc_u32 s1, s1, _ZZZZN2at6native31launch_logcumsumexp_cuda_kernelERKNS_10TensorBaseES3_lENKUlvE_clEvENKUlvE1_clEvENKUlN3c107complexIdEES8_E_clES8_S8_@rel32@hi+12
	v_mov_b32_e32 v4, v58
	v_mov_b32_e32 v5, v59
	;; [unrolled: 1-line block ×4, first 2 shown]
	s_swappc_b64 s[30:31], s[0:1]
	v_mov_b32_e32 v58, v0
	v_mov_b32_e32 v59, v1
	;; [unrolled: 1-line block ×4, first 2 shown]
.LBB176_94:
	s_or_b64 exec, exec, s[36:37]
	s_getpc_b64 s[36:37]
	s_add_u32 s36, s36, _ZZZZN2at6native31launch_logcumsumexp_cuda_kernelERKNS_10TensorBaseES3_lENKUlvE_clEvENKUlvE1_clEvENKUlN3c107complexIdEES8_E_clES8_S8_@rel32@lo+4
	s_addc_u32 s37, s37, _ZZZZN2at6native31launch_logcumsumexp_cuda_kernelERKNS_10TensorBaseES3_lENKUlvE_clEvENKUlvE1_clEvENKUlN3c107complexIdEES8_E_clES8_S8_@rel32@hi+12
	v_mov_b32_e32 v0, v58
	v_mov_b32_e32 v1, v59
	v_mov_b32_e32 v2, v60
	v_mov_b32_e32 v3, v61
	v_mov_b32_e32 v4, v94
	v_mov_b32_e32 v5, v95
	v_mov_b32_e32 v6, v96
	v_mov_b32_e32 v7, v97
	s_swappc_b64 s[30:31], s[36:37]
	v_mov_b32_e32 v4, v90
	v_mov_b32_e32 v5, v91
	v_mov_b32_e32 v6, v92
	v_mov_b32_e32 v7, v93
	v_mov_b32_e32 v98, v0
	v_mov_b32_e32 v99, v1
	v_mov_b32_e32 v100, v2
	v_mov_b32_e32 v101, v3
	s_swappc_b64 s[30:31], s[36:37]
	;; [unrolled: 9-line block ×9, first 2 shown]
	v_mov_b32_e32 v40, v0
	v_mbcnt_lo_u32_b32 v0, -1, 0
	v_mbcnt_hi_u32_b32 v131, -1, v0
	v_mov_b32_e32 v41, v1
	v_mov_b32_e32 v42, v2
	;; [unrolled: 1-line block ×3, first 2 shown]
	v_and_b32_e32 v52, 15, v131
	v_mov_b32_dpp v4, v40 row_shr:1 row_mask:0xf bank_mask:0xf
	v_mov_b32_dpp v5, v41 row_shr:1 row_mask:0xf bank_mask:0xf
	;; [unrolled: 1-line block ×4, first 2 shown]
	v_cmp_ne_u32_e32 vcc, 0, v52
	v_mov_b64_e32 v[46:47], v[42:43]
	v_mov_b64_e32 v[44:45], v[40:41]
	v_mov_b32_e32 v0, v40
	s_and_saveexec_b64 s[38:39], vcc
	s_cbranch_execz .LBB176_96
; %bb.95:
	v_mov_b32_e32 v0, v4
	v_mov_b32_e32 v1, v5
	;; [unrolled: 1-line block ×8, first 2 shown]
	s_swappc_b64 s[30:31], s[36:37]
	v_mov_b32_e32 v44, v0
	v_mov_b32_e32 v45, v1
	;; [unrolled: 1-line block ×4, first 2 shown]
.LBB176_96:
	s_or_b64 exec, exec, s[38:39]
	v_mov_b32_dpp v4, v0 row_shr:2 row_mask:0xf bank_mask:0xf
	v_mov_b32_dpp v5, v1 row_shr:2 row_mask:0xf bank_mask:0xf
	v_mov_b32_dpp v6, v2 row_shr:2 row_mask:0xf bank_mask:0xf
	v_mov_b32_dpp v7, v3 row_shr:2 row_mask:0xf bank_mask:0xf
	v_cmp_lt_u32_e32 vcc, 1, v52
	s_and_saveexec_b64 s[36:37], vcc
	s_cbranch_execz .LBB176_98
; %bb.97:
	s_getpc_b64 s[0:1]
	s_add_u32 s0, s0, _ZZZZN2at6native31launch_logcumsumexp_cuda_kernelERKNS_10TensorBaseES3_lENKUlvE_clEvENKUlvE1_clEvENKUlN3c107complexIdEES8_E_clES8_S8_@rel32@lo+4
	s_addc_u32 s1, s1, _ZZZZN2at6native31launch_logcumsumexp_cuda_kernelERKNS_10TensorBaseES3_lENKUlvE_clEvENKUlvE1_clEvENKUlN3c107complexIdEES8_E_clES8_S8_@rel32@hi+12
	v_mov_b32_e32 v0, v4
	v_mov_b32_e32 v1, v5
	v_mov_b32_e32 v2, v6
	v_mov_b32_e32 v3, v7
	v_mov_b32_e32 v4, v44
	v_mov_b32_e32 v5, v45
	v_mov_b32_e32 v6, v46
	v_mov_b32_e32 v7, v47
	s_swappc_b64 s[30:31], s[0:1]
	v_mov_b64_e32 v[46:47], v[2:3]
	v_mov_b64_e32 v[44:45], v[0:1]
.LBB176_98:
	s_or_b64 exec, exec, s[36:37]
	v_mov_b32_dpp v4, v0 row_shr:4 row_mask:0xf bank_mask:0xf
	v_mov_b32_dpp v5, v1 row_shr:4 row_mask:0xf bank_mask:0xf
	v_mov_b32_dpp v6, v2 row_shr:4 row_mask:0xf bank_mask:0xf
	v_mov_b32_dpp v7, v3 row_shr:4 row_mask:0xf bank_mask:0xf
	v_cmp_lt_u32_e32 vcc, 3, v52
	s_and_saveexec_b64 s[36:37], vcc
	s_cbranch_execz .LBB176_100
; %bb.99:
	s_getpc_b64 s[0:1]
	s_add_u32 s0, s0, _ZZZZN2at6native31launch_logcumsumexp_cuda_kernelERKNS_10TensorBaseES3_lENKUlvE_clEvENKUlvE1_clEvENKUlN3c107complexIdEES8_E_clES8_S8_@rel32@lo+4
	s_addc_u32 s1, s1, _ZZZZN2at6native31launch_logcumsumexp_cuda_kernelERKNS_10TensorBaseES3_lENKUlvE_clEvENKUlvE1_clEvENKUlN3c107complexIdEES8_E_clES8_S8_@rel32@hi+12
	v_mov_b32_e32 v0, v4
	v_mov_b32_e32 v1, v5
	v_mov_b32_e32 v2, v6
	v_mov_b32_e32 v3, v7
	v_mov_b32_e32 v4, v44
	v_mov_b32_e32 v5, v45
	v_mov_b32_e32 v6, v46
	v_mov_b32_e32 v7, v47
	s_swappc_b64 s[30:31], s[0:1]
	v_mov_b64_e32 v[46:47], v[2:3]
	v_mov_b64_e32 v[44:45], v[0:1]
.LBB176_100:
	;; [unrolled: 24-line block ×3, first 2 shown]
	s_or_b64 exec, exec, s[36:37]
	v_and_b32_e32 v8, 16, v131
	v_mov_b32_dpp v4, v0 row_bcast:15 row_mask:0xf bank_mask:0xf
	v_mov_b32_dpp v5, v1 row_bcast:15 row_mask:0xf bank_mask:0xf
	;; [unrolled: 1-line block ×4, first 2 shown]
	v_cmp_ne_u32_e32 vcc, 0, v8
	s_and_saveexec_b64 s[36:37], vcc
	s_cbranch_execz .LBB176_104
; %bb.103:
	s_getpc_b64 s[0:1]
	s_add_u32 s0, s0, _ZZZZN2at6native31launch_logcumsumexp_cuda_kernelERKNS_10TensorBaseES3_lENKUlvE_clEvENKUlvE1_clEvENKUlN3c107complexIdEES8_E_clES8_S8_@rel32@lo+4
	s_addc_u32 s1, s1, _ZZZZN2at6native31launch_logcumsumexp_cuda_kernelERKNS_10TensorBaseES3_lENKUlvE_clEvENKUlvE1_clEvENKUlN3c107complexIdEES8_E_clES8_S8_@rel32@hi+12
	v_mov_b32_e32 v0, v4
	v_mov_b32_e32 v1, v5
	;; [unrolled: 1-line block ×8, first 2 shown]
	s_swappc_b64 s[30:31], s[0:1]
	v_mov_b32_e32 v44, v0
	v_mov_b32_e32 v45, v1
	;; [unrolled: 1-line block ×4, first 2 shown]
.LBB176_104:
	s_or_b64 exec, exec, s[36:37]
	v_mov_b32_dpp v0, v0 row_bcast:31 row_mask:0xf bank_mask:0xf
	v_mov_b32_dpp v1, v1 row_bcast:31 row_mask:0xf bank_mask:0xf
	;; [unrolled: 1-line block ×4, first 2 shown]
	v_cmp_lt_u32_e32 vcc, 31, v131
	s_and_saveexec_b64 s[36:37], vcc
	s_cbranch_execz .LBB176_106
; %bb.105:
	s_getpc_b64 s[0:1]
	s_add_u32 s0, s0, _ZZZZN2at6native31launch_logcumsumexp_cuda_kernelERKNS_10TensorBaseES3_lENKUlvE_clEvENKUlvE1_clEvENKUlN3c107complexIdEES8_E_clES8_S8_@rel32@lo+4
	s_addc_u32 s1, s1, _ZZZZN2at6native31launch_logcumsumexp_cuda_kernelERKNS_10TensorBaseES3_lENKUlvE_clEvENKUlvE1_clEvENKUlN3c107complexIdEES8_E_clES8_S8_@rel32@hi+12
	v_mov_b32_e32 v4, v44
	v_mov_b32_e32 v5, v45
	;; [unrolled: 1-line block ×4, first 2 shown]
	s_swappc_b64 s[30:31], s[0:1]
	v_mov_b32_e32 v44, v0
	v_mov_b32_e32 v45, v1
	;; [unrolled: 1-line block ×4, first 2 shown]
.LBB176_106:
	s_or_b64 exec, exec, s[36:37]
	v_or_b32_e32 v0, 63, v56
	v_lshrrev_b32_e32 v132, 6, v56
	v_cmp_eq_u32_e32 vcc, v56, v0
	s_and_saveexec_b64 s[0:1], vcc
; %bb.107:
	v_lshlrev_b32_e32 v0, 4, v132
	ds_write_b128 v0, v[44:47]
; %bb.108:
	s_or_b64 exec, exec, s[0:1]
	v_cmp_gt_u32_e32 vcc, 2, v56
	s_waitcnt lgkmcnt(0)
	s_barrier
	s_and_saveexec_b64 s[36:37], vcc
	s_cbranch_execz .LBB176_112
; %bb.109:
	s_movk_i32 s0, 0xff70
	v_mad_i32_i24 v0, v56, s0, v57
	ds_read_b128 v[4:7], v0
	v_and_b32_e32 v8, 1, v131
	v_mul_i32_i24_e32 v52, 0xffffff70, v56
	v_cmp_eq_u32_e32 vcc, 1, v8
	s_waitcnt lgkmcnt(0)
	v_mov_b32_dpp v0, v4 row_shr:1 row_mask:0xf bank_mask:0xf
	v_mov_b32_dpp v1, v5 row_shr:1 row_mask:0xf bank_mask:0xf
	;; [unrolled: 1-line block ×4, first 2 shown]
	s_and_saveexec_b64 s[38:39], vcc
	s_cbranch_execz .LBB176_111
; %bb.110:
	s_getpc_b64 s[0:1]
	s_add_u32 s0, s0, _ZZZZN2at6native31launch_logcumsumexp_cuda_kernelERKNS_10TensorBaseES3_lENKUlvE_clEvENKUlvE1_clEvENKUlN3c107complexIdEES8_E_clES8_S8_@rel32@lo+4
	s_addc_u32 s1, s1, _ZZZZN2at6native31launch_logcumsumexp_cuda_kernelERKNS_10TensorBaseES3_lENKUlvE_clEvENKUlvE1_clEvENKUlN3c107complexIdEES8_E_clES8_S8_@rel32@hi+12
	s_swappc_b64 s[30:31], s[0:1]
	v_mov_b32_e32 v4, v0
	v_mov_b32_e32 v5, v1
	;; [unrolled: 1-line block ×4, first 2 shown]
.LBB176_111:
	s_or_b64 exec, exec, s[38:39]
	v_add_u32_e32 v0, v57, v52
	ds_write_b128 v0, v[4:7]
.LBB176_112:
	s_or_b64 exec, exec, s[36:37]
	v_cmp_lt_u32_e32 vcc, 63, v56
	v_mov_b64_e32 v[54:55], 0
	v_mov_b64_e32 v[52:53], 0
	s_waitcnt lgkmcnt(0)
	s_barrier
	s_and_saveexec_b64 s[36:37], vcc
	s_cbranch_execz .LBB176_114
; %bb.113:
	v_lshl_add_u32 v0, v132, 4, -16
	ds_read_b128 v[52:55], v0
	s_getpc_b64 s[0:1]
	s_add_u32 s0, s0, _ZZZZN2at6native31launch_logcumsumexp_cuda_kernelERKNS_10TensorBaseES3_lENKUlvE_clEvENKUlvE1_clEvENKUlN3c107complexIdEES8_E_clES8_S8_@rel32@lo+4
	s_addc_u32 s1, s1, _ZZZZN2at6native31launch_logcumsumexp_cuda_kernelERKNS_10TensorBaseES3_lENKUlvE_clEvENKUlvE1_clEvENKUlN3c107complexIdEES8_E_clES8_S8_@rel32@hi+12
	v_mov_b32_e32 v4, v44
	v_mov_b32_e32 v5, v45
	;; [unrolled: 1-line block ×3, first 2 shown]
	s_waitcnt lgkmcnt(0)
	v_mov_b32_e32 v0, v52
	v_mov_b32_e32 v1, v53
	;; [unrolled: 1-line block ×5, first 2 shown]
	s_swappc_b64 s[30:31], s[0:1]
	v_mov_b32_e32 v44, v0
	v_mov_b32_e32 v45, v1
	;; [unrolled: 1-line block ×4, first 2 shown]
.LBB176_114:
	s_or_b64 exec, exec, s[36:37]
	v_add_u32_e32 v0, -1, v131
	v_and_b32_e32 v1, 64, v131
	v_cmp_lt_i32_e32 vcc, v0, v1
	s_nop 1
	v_cndmask_b32_e32 v0, v0, v131, vcc
	v_lshlrev_b32_e32 v3, 2, v0
	ds_bpermute_b32 v0, v3, v44
	ds_bpermute_b32 v1, v3, v45
	;; [unrolled: 1-line block ×4, first 2 shown]
	s_and_saveexec_b64 s[36:37], s[34:35]
	s_cbranch_execz .LBB176_116
; %bb.115:
	v_cmp_eq_u32_e32 vcc, 0, v131
	s_getpc_b64 s[34:35]
	s_add_u32 s34, s34, _ZZZZN2at6native31launch_logcumsumexp_cuda_kernelERKNS_10TensorBaseES3_lENKUlvE_clEvENKUlvE1_clEvENKUlN3c107complexIdEES8_E_clES8_S8_@rel32@lo+4
	s_addc_u32 s35, s35, _ZZZZN2at6native31launch_logcumsumexp_cuda_kernelERKNS_10TensorBaseES3_lENKUlvE_clEvENKUlvE1_clEvENKUlN3c107complexIdEES8_E_clES8_S8_@rel32@hi+12
	s_waitcnt lgkmcnt(3)
	v_cndmask_b32_e32 v0, v0, v52, vcc
	s_waitcnt lgkmcnt(2)
	v_cndmask_b32_e32 v1, v1, v53, vcc
	;; [unrolled: 2-line block ×4, first 2 shown]
	v_mov_b32_e32 v4, v58
	v_mov_b32_e32 v5, v59
	;; [unrolled: 1-line block ×4, first 2 shown]
	s_swappc_b64 s[30:31], s[34:35]
	v_mov_b32_e32 v4, v94
	v_mov_b32_e32 v5, v95
	;; [unrolled: 1-line block ×8, first 2 shown]
	;;#ASMSTART
	;;#ASMEND
	s_swappc_b64 s[30:31], s[34:35]
	v_mov_b32_e32 v4, v90
	v_mov_b32_e32 v5, v91
	v_mov_b32_e32 v6, v92
	v_mov_b32_e32 v7, v93
	v_mov_b32_e32 v98, v0
	v_mov_b32_e32 v99, v1
	v_mov_b32_e32 v100, v2
	v_mov_b32_e32 v101, v3
	s_swappc_b64 s[30:31], s[34:35]
	v_mov_b32_e32 v4, v86
	v_mov_b32_e32 v5, v87
	v_mov_b32_e32 v6, v88
	v_mov_b32_e32 v7, v89
	v_mov_b32_e32 v102, v0
	v_mov_b32_e32 v103, v1
	v_mov_b32_e32 v104, v2
	v_mov_b32_e32 v105, v3
	;; [unrolled: 9-line block ×8, first 2 shown]
	s_swappc_b64 s[30:31], s[34:35]
	v_mov_b32_e32 v40, v0
	v_mov_b32_e32 v41, v1
	;; [unrolled: 1-line block ×4, first 2 shown]
.LBB176_116:
	s_or_b64 exec, exec, s[36:37]
	s_movk_i32 s0, 0x7f
	v_cmp_eq_u32_e32 vcc, s0, v56
	s_and_saveexec_b64 s[0:1], vcc
	s_cbranch_execz .LBB176_118
; %bb.117:
	s_waitcnt lgkmcnt(3)
	v_mov_b32_e32 v0, 0
	s_waitcnt lgkmcnt(2)
	v_mov_b32_e32 v1, 2
	global_store_dword v0, v40, s[62:63] offset:1024 sc1
	global_store_dword v0, v41, s[62:63] offset:1028 sc1
	global_store_dword v0, v42, s[62:63] offset:1032 sc1
	global_store_dword v0, v43, s[62:63] offset:1036 sc1
	s_waitcnt vmcnt(0) lgkmcnt(0)
	global_store_byte v0, v1, s[64:65] offset:64 sc1
.LBB176_118:
	s_or_b64 exec, exec, s[0:1]
	v_mov_b64_e32 v[44:45], v[58:59]
	v_mov_b64_e32 v[46:47], v[60:61]
.LBB176_119:
	s_add_u32 s0, s48, s42
	s_addc_u32 s1, s49, s43
	s_add_u32 s0, s0, s46
	s_addc_u32 s1, s1, s47
	s_mov_b64 s[2:3], -1
	s_and_b64 vcc, exec, s[44:45]
	s_waitcnt lgkmcnt(0)
	s_barrier
	s_cbranch_vccz .LBB176_121
; %bb.120:
	v_mov_b32_e32 v131, 0
	ds_write_b128 v57, v[44:47]
	ds_write_b128 v57, v[98:101] offset:16
	ds_write_b128 v57, v[102:105] offset:32
	;; [unrolled: 1-line block ×9, first 2 shown]
	s_waitcnt lgkmcnt(0)
	s_barrier
	ds_read_b128 v[0:3], v130
	ds_read_b128 v[4:7], v130 offset:2048
	ds_read_b128 v[8:11], v130 offset:4096
	;; [unrolled: 1-line block ×9, first 2 shown]
	v_lshl_add_u64 v[48:49], s[0:1], 0, v[130:131]
	s_movk_i32 s2, 0x1000
	s_waitcnt lgkmcnt(9)
	global_store_dwordx4 v130, v[0:3], s[0:1]
	s_waitcnt lgkmcnt(8)
	global_store_dwordx4 v130, v[4:7], s[0:1] offset:2048
	v_add_co_u32_e32 v0, vcc, s2, v48
	s_movk_i32 s2, 0x2000
	s_nop 0
	v_addc_co_u32_e32 v1, vcc, 0, v49, vcc
	v_add_co_u32_e32 v2, vcc, s2, v48
	s_mov_b64 s[2:3], 0
	s_nop 0
	v_addc_co_u32_e32 v3, vcc, 0, v49, vcc
	s_waitcnt lgkmcnt(7)
	global_store_dwordx4 v[2:3], v[8:11], off offset:-4096
	s_waitcnt lgkmcnt(6)
	global_store_dwordx4 v[0:1], v[12:15], off offset:2048
	s_waitcnt lgkmcnt(5)
	global_store_dwordx4 v[2:3], v[16:19], off
	s_waitcnt lgkmcnt(4)
	global_store_dwordx4 v[2:3], v[20:23], off offset:2048
	v_add_co_u32_e32 v0, vcc, 0x3000, v48
	s_nop 1
	v_addc_co_u32_e32 v1, vcc, 0, v49, vcc
	s_waitcnt lgkmcnt(3)
	global_store_dwordx4 v[0:1], v[24:27], off
	s_waitcnt lgkmcnt(2)
	global_store_dwordx4 v[0:1], v[28:31], off offset:2048
	v_add_co_u32_e32 v0, vcc, 0x4000, v48
	s_nop 1
	v_addc_co_u32_e32 v1, vcc, 0, v49, vcc
	s_waitcnt lgkmcnt(1)
	global_store_dwordx4 v[0:1], v[32:35], off
	s_waitcnt lgkmcnt(0)
	global_store_dwordx4 v[0:1], v[36:39], off offset:2048
.LBB176_121:
	s_andn2_b64 vcc, exec, s[2:3]
	s_cbranch_vccnz .LBB176_177
; %bb.122:
	s_movk_i32 s2, 0xff70
	v_mad_i32_i24 v0, v56, s2, v57
	ds_write_b128 v57, v[44:47]
	ds_write_b128 v57, v[98:101] offset:16
	ds_write_b128 v57, v[102:105] offset:32
	ds_write_b128 v57, v[106:109] offset:48
	ds_write_b128 v57, v[110:113] offset:64
	ds_write_b128 v57, v[114:117] offset:80
	ds_write_b128 v57, v[118:121] offset:96
	ds_write_b128 v57, v[122:125] offset:112
	ds_write_b128 v57, v[126:129] offset:128
	ds_write_b128 v57, v[40:43] offset:144
	s_waitcnt lgkmcnt(0)
	s_barrier
	ds_read_b128 v[6:9], v0
	ds_read_b128 v[2:5], v0 offset:2048
	ds_read_b128 v[10:13], v0 offset:4096
	ds_read_b128 v[14:17], v0 offset:6144
	ds_read_b128 v[22:25], v0 offset:8192
	ds_read_b128 v[18:21], v0 offset:10240
	ds_read_b128 v[30:33], v0 offset:12288
	ds_read_b128 v[34:37], v0 offset:14336
	ds_read_b128 v[26:29], v0 offset:16384
	ds_read_b128 v[38:41], v0 offset:18432
	v_mov_b32_e32 v131, 0
	v_lshl_add_u64 v[0:1], s[0:1], 0, v[130:131]
	v_cmp_gt_u32_e32 vcc, s66, v56
	s_and_saveexec_b64 s[0:1], vcc
	s_cbranch_execz .LBB176_124
; %bb.123:
	s_waitcnt lgkmcnt(9)
	global_store_dwordx4 v[0:1], v[6:9], off
.LBB176_124:
	s_or_b64 exec, exec, s[0:1]
	v_or_b32_e32 v42, 0x80, v56
	v_cmp_gt_u32_e32 vcc, s66, v42
	s_and_saveexec_b64 s[0:1], vcc
	s_cbranch_execz .LBB176_126
; %bb.125:
	s_waitcnt lgkmcnt(8)
	global_store_dwordx4 v[0:1], v[2:5], off offset:2048
.LBB176_126:
	s_or_b64 exec, exec, s[0:1]
	v_or_b32_e32 v42, 0x100, v56
	v_cmp_gt_u32_e32 vcc, s66, v42
	s_and_saveexec_b64 s[0:1], vcc
	s_cbranch_execz .LBB176_128
; %bb.127:
	v_add_co_u32_e32 v42, vcc, 0x1000, v0
	s_nop 1
	v_addc_co_u32_e32 v43, vcc, 0, v1, vcc
	s_waitcnt lgkmcnt(7)
	global_store_dwordx4 v[42:43], v[10:13], off
.LBB176_128:
	s_or_b64 exec, exec, s[0:1]
	v_or_b32_e32 v42, 0x180, v56
	v_cmp_gt_u32_e32 vcc, s66, v42
	s_and_saveexec_b64 s[0:1], vcc
	s_cbranch_execz .LBB176_130
; %bb.129:
	v_add_co_u32_e32 v42, vcc, 0x1000, v0
	s_nop 1
	v_addc_co_u32_e32 v43, vcc, 0, v1, vcc
	s_waitcnt lgkmcnt(6)
	global_store_dwordx4 v[42:43], v[14:17], off offset:2048
.LBB176_130:
	s_or_b64 exec, exec, s[0:1]
	v_or_b32_e32 v42, 0x200, v56
	v_cmp_gt_u32_e32 vcc, s66, v42
	s_and_saveexec_b64 s[0:1], vcc
	s_cbranch_execz .LBB176_132
; %bb.131:
	v_add_co_u32_e32 v42, vcc, 0x2000, v0
	s_nop 1
	v_addc_co_u32_e32 v43, vcc, 0, v1, vcc
	s_waitcnt lgkmcnt(5)
	global_store_dwordx4 v[42:43], v[22:25], off
.LBB176_132:
	s_or_b64 exec, exec, s[0:1]
	v_or_b32_e32 v42, 0x280, v56
	v_cmp_gt_u32_e32 vcc, s66, v42
	s_and_saveexec_b64 s[0:1], vcc
	s_cbranch_execz .LBB176_134
; %bb.133:
	v_add_co_u32_e32 v42, vcc, 0x2000, v0
	s_nop 1
	v_addc_co_u32_e32 v43, vcc, 0, v1, vcc
	s_waitcnt lgkmcnt(4)
	global_store_dwordx4 v[42:43], v[18:21], off offset:2048
.LBB176_134:
	;; [unrolled: 24-line block ×4, first 2 shown]
	s_or_b64 exec, exec, s[0:1]
	v_cmp_lt_u64_e64 s[0:1], s[58:59], 2
	s_and_b64 vcc, exec, s[0:1]
	s_cbranch_vccnz .LBB176_177
; %bb.143:
	s_add_u32 s0, s66, -1
	s_addc_u32 s1, s67, -1
	s_mul_i32 s5, s1, 0xcccccccd
	s_mul_hi_u32 s6, s0, 0xcccccccd
	s_mul_hi_u32 s4, s1, 0xcccccccd
	s_add_u32 s5, s5, s6
	s_mul_i32 s3, s0, 0xcccccccc
	s_addc_u32 s4, s4, 0
	s_mul_hi_u32 s2, s0, 0xcccccccc
	s_add_u32 s3, s3, s5
	s_addc_u32 s2, s2, 0
	s_add_u32 s2, s4, s2
	s_addc_u32 s3, 0, 0
	s_mul_i32 s5, s1, 0xcccccccc
	s_mul_hi_u32 s4, s1, 0xcccccccc
	s_add_u32 s2, s5, s2
	s_addc_u32 s3, s4, s3
	v_mov_b32_e32 v57, v131
	s_lshr_b64 s[2:3], s[2:3], 3
	v_cmp_eq_u64_e32 vcc, s[2:3], v[56:57]
	s_and_saveexec_b64 s[2:3], vcc
	s_cbranch_execz .LBB176_177
; %bb.144:
	v_mul_u32_u24_e32 v0, 10, v56
	v_mul_hi_u32_u24_e32 v1, 10, v56
	v_mov_b32_e32 v42, s1
	v_sub_co_u32_e32 v0, vcc, s0, v0
	s_nop 1
	v_subb_co_u32_e32 v1, vcc, v42, v1, vcc
	v_cmp_lt_i64_e32 vcc, 4, v[0:1]
	s_and_saveexec_b64 s[0:1], vcc
	s_xor_b64 s[0:1], exec, s[0:1]
	s_cbranch_execz .LBB176_162
; %bb.145:
	v_cmp_lt_i64_e32 vcc, 6, v[0:1]
	s_and_saveexec_b64 s[2:3], vcc
	s_xor_b64 s[2:3], exec, s[2:3]
	s_cbranch_execz .LBB176_155
; %bb.146:
	v_cmp_lt_i64_e32 vcc, 7, v[0:1]
	s_and_saveexec_b64 s[4:5], vcc
	s_xor_b64 s[4:5], exec, s[4:5]
	s_cbranch_execz .LBB176_152
; %bb.147:
	v_cmp_lt_i64_e32 vcc, 8, v[0:1]
	s_and_saveexec_b64 s[6:7], vcc
	s_xor_b64 s[6:7], exec, s[6:7]
	s_cbranch_execz .LBB176_149
; %bb.148:
	v_mov_b32_e32 v0, 0
	s_waitcnt lgkmcnt(0)
	global_store_dwordx4 v0, v[38:41], s[54:55]
                                        ; implicit-def: $vgpr26_vgpr27_vgpr28_vgpr29
.LBB176_149:
	s_andn2_saveexec_b64 s[6:7], s[6:7]
	s_cbranch_execz .LBB176_151
; %bb.150:
	v_mov_b32_e32 v0, 0
	s_waitcnt lgkmcnt(1)
	global_store_dwordx4 v0, v[26:29], s[54:55]
.LBB176_151:
	s_or_b64 exec, exec, s[6:7]
                                        ; implicit-def: $vgpr34_vgpr35_vgpr36_vgpr37
.LBB176_152:
	s_andn2_saveexec_b64 s[4:5], s[4:5]
	s_cbranch_execz .LBB176_154
; %bb.153:
	v_mov_b32_e32 v0, 0
	s_waitcnt lgkmcnt(2)
	global_store_dwordx4 v0, v[34:37], s[54:55]
.LBB176_154:
	s_or_b64 exec, exec, s[4:5]
                                        ; implicit-def: $vgpr18_vgpr19_vgpr20_vgpr21
                                        ; implicit-def: $vgpr0_vgpr1
                                        ; implicit-def: $vgpr30_vgpr31_vgpr32_vgpr33
.LBB176_155:
	s_andn2_saveexec_b64 s[2:3], s[2:3]
	s_cbranch_execz .LBB176_161
; %bb.156:
	v_cmp_lt_i64_e32 vcc, 5, v[0:1]
	s_and_saveexec_b64 s[4:5], vcc
	s_xor_b64 s[4:5], exec, s[4:5]
	s_cbranch_execz .LBB176_158
; %bb.157:
	v_mov_b32_e32 v0, 0
	s_waitcnt lgkmcnt(3)
	global_store_dwordx4 v0, v[30:33], s[54:55]
                                        ; implicit-def: $vgpr18_vgpr19_vgpr20_vgpr21
.LBB176_158:
	s_andn2_saveexec_b64 s[4:5], s[4:5]
	s_cbranch_execz .LBB176_160
; %bb.159:
	v_mov_b32_e32 v0, 0
	s_waitcnt lgkmcnt(4)
	global_store_dwordx4 v0, v[18:21], s[54:55]
.LBB176_160:
	s_or_b64 exec, exec, s[4:5]
.LBB176_161:
	s_or_b64 exec, exec, s[2:3]
                                        ; implicit-def: $vgpr0_vgpr1
                                        ; implicit-def: $vgpr14_vgpr15_vgpr16_vgpr17
                                        ; implicit-def: $vgpr10_vgpr11_vgpr12_vgpr13
                                        ; implicit-def: $vgpr2_vgpr3_vgpr4_vgpr5
                                        ; implicit-def: $vgpr22_vgpr23_vgpr24_vgpr25
                                        ; implicit-def: $vgpr6_vgpr7_vgpr8_vgpr9
.LBB176_162:
	s_andn2_saveexec_b64 s[0:1], s[0:1]
	s_cbranch_execz .LBB176_177
; %bb.163:
	v_cmp_lt_i64_e32 vcc, 2, v[0:1]
	s_and_saveexec_b64 s[0:1], vcc
	s_xor_b64 s[0:1], exec, s[0:1]
	s_cbranch_execz .LBB176_169
; %bb.164:
	v_cmp_lt_i64_e32 vcc, 3, v[0:1]
	s_and_saveexec_b64 s[2:3], vcc
	s_xor_b64 s[2:3], exec, s[2:3]
	s_cbranch_execz .LBB176_166
; %bb.165:
	v_mov_b32_e32 v0, 0
	s_waitcnt lgkmcnt(5)
	global_store_dwordx4 v0, v[22:25], s[54:55]
                                        ; implicit-def: $vgpr14_vgpr15_vgpr16_vgpr17
.LBB176_166:
	s_andn2_saveexec_b64 s[2:3], s[2:3]
	s_cbranch_execz .LBB176_168
; %bb.167:
	v_mov_b32_e32 v0, 0
	s_waitcnt lgkmcnt(6)
	global_store_dwordx4 v0, v[14:17], s[54:55]
.LBB176_168:
	s_or_b64 exec, exec, s[2:3]
                                        ; implicit-def: $vgpr0_vgpr1
                                        ; implicit-def: $vgpr10_vgpr11_vgpr12_vgpr13
                                        ; implicit-def: $vgpr2_vgpr3_vgpr4_vgpr5
                                        ; implicit-def: $vgpr6_vgpr7_vgpr8_vgpr9
.LBB176_169:
	s_andn2_saveexec_b64 s[0:1], s[0:1]
	s_cbranch_execz .LBB176_177
; %bb.170:
	v_cmp_lt_i64_e32 vcc, 1, v[0:1]
	s_and_saveexec_b64 s[0:1], vcc
	s_xor_b64 s[0:1], exec, s[0:1]
	s_cbranch_execz .LBB176_172
; %bb.171:
	v_mov_b32_e32 v0, 0
	s_waitcnt lgkmcnt(7)
	global_store_dwordx4 v0, v[10:13], s[54:55]
                                        ; implicit-def: $vgpr2_vgpr3_vgpr4_vgpr5
                                        ; implicit-def: $vgpr0_vgpr1
                                        ; implicit-def: $vgpr6_vgpr7_vgpr8_vgpr9
.LBB176_172:
	s_andn2_saveexec_b64 s[0:1], s[0:1]
	s_cbranch_execz .LBB176_177
; %bb.173:
	v_cmp_ne_u64_e32 vcc, 1, v[0:1]
	s_and_saveexec_b64 s[0:1], vcc
	s_xor_b64 s[0:1], exec, s[0:1]
	s_cbranch_execz .LBB176_175
; %bb.174:
	v_mov_b32_e32 v0, 0
	s_waitcnt lgkmcnt(9)
	global_store_dwordx4 v0, v[6:9], s[54:55]
                                        ; implicit-def: $vgpr2_vgpr3_vgpr4_vgpr5
.LBB176_175:
	s_andn2_saveexec_b64 s[0:1], s[0:1]
	s_cbranch_execz .LBB176_177
; %bb.176:
	v_mov_b32_e32 v0, 0
	s_waitcnt lgkmcnt(8)
	global_store_dwordx4 v0, v[2:5], s[54:55]
.LBB176_177:
	s_endpgm
	.section	.rodata,"a",@progbits
	.p2align	6, 0x0
	.amdhsa_kernel _ZN7rocprim17ROCPRIM_400000_NS6detail17trampoline_kernelINS0_14default_configENS1_20scan_config_selectorIN3c107complexIdEEEEZZNS1_9scan_implILNS1_25lookback_scan_determinismE0ELb0ELb0ES3_PKS7_PS7_S7_ZZZN2at6native31launch_logcumsumexp_cuda_kernelERKNSE_10TensorBaseESI_lENKUlvE_clEvENKUlvE1_clEvEUlS7_S7_E_S7_EEDaPvRmT3_T4_T5_mT6_P12ihipStream_tbENKUlT_T0_E_clISt17integral_constantIbLb0EESZ_EEDaSU_SV_EUlSU_E_NS1_11comp_targetILNS1_3genE0ELNS1_11target_archE4294967295ELNS1_3gpuE0ELNS1_3repE0EEENS1_30default_config_static_selectorELNS0_4arch9wavefront6targetE1EEEvT1_
		.amdhsa_group_segment_fixed_size 20480
		.amdhsa_private_segment_fixed_size 0
		.amdhsa_kernarg_size 128
		.amdhsa_user_sgpr_count 2
		.amdhsa_user_sgpr_dispatch_ptr 0
		.amdhsa_user_sgpr_queue_ptr 0
		.amdhsa_user_sgpr_kernarg_segment_ptr 1
		.amdhsa_user_sgpr_dispatch_id 0
		.amdhsa_user_sgpr_kernarg_preload_length 0
		.amdhsa_user_sgpr_kernarg_preload_offset 0
		.amdhsa_user_sgpr_private_segment_size 0
		.amdhsa_uses_dynamic_stack 0
		.amdhsa_enable_private_segment 0
		.amdhsa_system_sgpr_workgroup_id_x 1
		.amdhsa_system_sgpr_workgroup_id_y 0
		.amdhsa_system_sgpr_workgroup_id_z 0
		.amdhsa_system_sgpr_workgroup_info 0
		.amdhsa_system_vgpr_workitem_id 0
		.amdhsa_next_free_vgpr 133
		.amdhsa_next_free_sgpr 96
		.amdhsa_accum_offset 136
		.amdhsa_reserve_vcc 1
		.amdhsa_float_round_mode_32 0
		.amdhsa_float_round_mode_16_64 0
		.amdhsa_float_denorm_mode_32 3
		.amdhsa_float_denorm_mode_16_64 3
		.amdhsa_dx10_clamp 1
		.amdhsa_ieee_mode 1
		.amdhsa_fp16_overflow 0
		.amdhsa_tg_split 0
		.amdhsa_exception_fp_ieee_invalid_op 0
		.amdhsa_exception_fp_denorm_src 0
		.amdhsa_exception_fp_ieee_div_zero 0
		.amdhsa_exception_fp_ieee_overflow 0
		.amdhsa_exception_fp_ieee_underflow 0
		.amdhsa_exception_fp_ieee_inexact 0
		.amdhsa_exception_int_div_zero 0
	.end_amdhsa_kernel
	.section	.text._ZN7rocprim17ROCPRIM_400000_NS6detail17trampoline_kernelINS0_14default_configENS1_20scan_config_selectorIN3c107complexIdEEEEZZNS1_9scan_implILNS1_25lookback_scan_determinismE0ELb0ELb0ES3_PKS7_PS7_S7_ZZZN2at6native31launch_logcumsumexp_cuda_kernelERKNSE_10TensorBaseESI_lENKUlvE_clEvENKUlvE1_clEvEUlS7_S7_E_S7_EEDaPvRmT3_T4_T5_mT6_P12ihipStream_tbENKUlT_T0_E_clISt17integral_constantIbLb0EESZ_EEDaSU_SV_EUlSU_E_NS1_11comp_targetILNS1_3genE0ELNS1_11target_archE4294967295ELNS1_3gpuE0ELNS1_3repE0EEENS1_30default_config_static_selectorELNS0_4arch9wavefront6targetE1EEEvT1_,"axG",@progbits,_ZN7rocprim17ROCPRIM_400000_NS6detail17trampoline_kernelINS0_14default_configENS1_20scan_config_selectorIN3c107complexIdEEEEZZNS1_9scan_implILNS1_25lookback_scan_determinismE0ELb0ELb0ES3_PKS7_PS7_S7_ZZZN2at6native31launch_logcumsumexp_cuda_kernelERKNSE_10TensorBaseESI_lENKUlvE_clEvENKUlvE1_clEvEUlS7_S7_E_S7_EEDaPvRmT3_T4_T5_mT6_P12ihipStream_tbENKUlT_T0_E_clISt17integral_constantIbLb0EESZ_EEDaSU_SV_EUlSU_E_NS1_11comp_targetILNS1_3genE0ELNS1_11target_archE4294967295ELNS1_3gpuE0ELNS1_3repE0EEENS1_30default_config_static_selectorELNS0_4arch9wavefront6targetE1EEEvT1_,comdat
.Lfunc_end176:
	.size	_ZN7rocprim17ROCPRIM_400000_NS6detail17trampoline_kernelINS0_14default_configENS1_20scan_config_selectorIN3c107complexIdEEEEZZNS1_9scan_implILNS1_25lookback_scan_determinismE0ELb0ELb0ES3_PKS7_PS7_S7_ZZZN2at6native31launch_logcumsumexp_cuda_kernelERKNSE_10TensorBaseESI_lENKUlvE_clEvENKUlvE1_clEvEUlS7_S7_E_S7_EEDaPvRmT3_T4_T5_mT6_P12ihipStream_tbENKUlT_T0_E_clISt17integral_constantIbLb0EESZ_EEDaSU_SV_EUlSU_E_NS1_11comp_targetILNS1_3genE0ELNS1_11target_archE4294967295ELNS1_3gpuE0ELNS1_3repE0EEENS1_30default_config_static_selectorELNS0_4arch9wavefront6targetE1EEEvT1_, .Lfunc_end176-_ZN7rocprim17ROCPRIM_400000_NS6detail17trampoline_kernelINS0_14default_configENS1_20scan_config_selectorIN3c107complexIdEEEEZZNS1_9scan_implILNS1_25lookback_scan_determinismE0ELb0ELb0ES3_PKS7_PS7_S7_ZZZN2at6native31launch_logcumsumexp_cuda_kernelERKNSE_10TensorBaseESI_lENKUlvE_clEvENKUlvE1_clEvEUlS7_S7_E_S7_EEDaPvRmT3_T4_T5_mT6_P12ihipStream_tbENKUlT_T0_E_clISt17integral_constantIbLb0EESZ_EEDaSU_SV_EUlSU_E_NS1_11comp_targetILNS1_3genE0ELNS1_11target_archE4294967295ELNS1_3gpuE0ELNS1_3repE0EEENS1_30default_config_static_selectorELNS0_4arch9wavefront6targetE1EEEvT1_
                                        ; -- End function
	.set _ZN7rocprim17ROCPRIM_400000_NS6detail17trampoline_kernelINS0_14default_configENS1_20scan_config_selectorIN3c107complexIdEEEEZZNS1_9scan_implILNS1_25lookback_scan_determinismE0ELb0ELb0ES3_PKS7_PS7_S7_ZZZN2at6native31launch_logcumsumexp_cuda_kernelERKNSE_10TensorBaseESI_lENKUlvE_clEvENKUlvE1_clEvEUlS7_S7_E_S7_EEDaPvRmT3_T4_T5_mT6_P12ihipStream_tbENKUlT_T0_E_clISt17integral_constantIbLb0EESZ_EEDaSU_SV_EUlSU_E_NS1_11comp_targetILNS1_3genE0ELNS1_11target_archE4294967295ELNS1_3gpuE0ELNS1_3repE0EEENS1_30default_config_static_selectorELNS0_4arch9wavefront6targetE1EEEvT1_.num_vgpr, max(133, .L_ZZZZN2at6native31launch_logcumsumexp_cuda_kernelERKNS_10TensorBaseES3_lENKUlvE_clEvENKUlvE1_clEvENKUlN3c107complexIdEES8_E_clES8_S8_.num_vgpr)
	.set _ZN7rocprim17ROCPRIM_400000_NS6detail17trampoline_kernelINS0_14default_configENS1_20scan_config_selectorIN3c107complexIdEEEEZZNS1_9scan_implILNS1_25lookback_scan_determinismE0ELb0ELb0ES3_PKS7_PS7_S7_ZZZN2at6native31launch_logcumsumexp_cuda_kernelERKNSE_10TensorBaseESI_lENKUlvE_clEvENKUlvE1_clEvEUlS7_S7_E_S7_EEDaPvRmT3_T4_T5_mT6_P12ihipStream_tbENKUlT_T0_E_clISt17integral_constantIbLb0EESZ_EEDaSU_SV_EUlSU_E_NS1_11comp_targetILNS1_3genE0ELNS1_11target_archE4294967295ELNS1_3gpuE0ELNS1_3repE0EEENS1_30default_config_static_selectorELNS0_4arch9wavefront6targetE1EEEvT1_.num_agpr, max(0, .L_ZZZZN2at6native31launch_logcumsumexp_cuda_kernelERKNS_10TensorBaseES3_lENKUlvE_clEvENKUlvE1_clEvENKUlN3c107complexIdEES8_E_clES8_S8_.num_agpr)
	.set _ZN7rocprim17ROCPRIM_400000_NS6detail17trampoline_kernelINS0_14default_configENS1_20scan_config_selectorIN3c107complexIdEEEEZZNS1_9scan_implILNS1_25lookback_scan_determinismE0ELb0ELb0ES3_PKS7_PS7_S7_ZZZN2at6native31launch_logcumsumexp_cuda_kernelERKNSE_10TensorBaseESI_lENKUlvE_clEvENKUlvE1_clEvEUlS7_S7_E_S7_EEDaPvRmT3_T4_T5_mT6_P12ihipStream_tbENKUlT_T0_E_clISt17integral_constantIbLb0EESZ_EEDaSU_SV_EUlSU_E_NS1_11comp_targetILNS1_3genE0ELNS1_11target_archE4294967295ELNS1_3gpuE0ELNS1_3repE0EEENS1_30default_config_static_selectorELNS0_4arch9wavefront6targetE1EEEvT1_.numbered_sgpr, max(68, .L_ZZZZN2at6native31launch_logcumsumexp_cuda_kernelERKNS_10TensorBaseES3_lENKUlvE_clEvENKUlvE1_clEvENKUlN3c107complexIdEES8_E_clES8_S8_.numbered_sgpr)
	.set _ZN7rocprim17ROCPRIM_400000_NS6detail17trampoline_kernelINS0_14default_configENS1_20scan_config_selectorIN3c107complexIdEEEEZZNS1_9scan_implILNS1_25lookback_scan_determinismE0ELb0ELb0ES3_PKS7_PS7_S7_ZZZN2at6native31launch_logcumsumexp_cuda_kernelERKNSE_10TensorBaseESI_lENKUlvE_clEvENKUlvE1_clEvEUlS7_S7_E_S7_EEDaPvRmT3_T4_T5_mT6_P12ihipStream_tbENKUlT_T0_E_clISt17integral_constantIbLb0EESZ_EEDaSU_SV_EUlSU_E_NS1_11comp_targetILNS1_3genE0ELNS1_11target_archE4294967295ELNS1_3gpuE0ELNS1_3repE0EEENS1_30default_config_static_selectorELNS0_4arch9wavefront6targetE1EEEvT1_.num_named_barrier, max(0, .L_ZZZZN2at6native31launch_logcumsumexp_cuda_kernelERKNS_10TensorBaseES3_lENKUlvE_clEvENKUlvE1_clEvENKUlN3c107complexIdEES8_E_clES8_S8_.num_named_barrier)
	.set _ZN7rocprim17ROCPRIM_400000_NS6detail17trampoline_kernelINS0_14default_configENS1_20scan_config_selectorIN3c107complexIdEEEEZZNS1_9scan_implILNS1_25lookback_scan_determinismE0ELb0ELb0ES3_PKS7_PS7_S7_ZZZN2at6native31launch_logcumsumexp_cuda_kernelERKNSE_10TensorBaseESI_lENKUlvE_clEvENKUlvE1_clEvEUlS7_S7_E_S7_EEDaPvRmT3_T4_T5_mT6_P12ihipStream_tbENKUlT_T0_E_clISt17integral_constantIbLb0EESZ_EEDaSU_SV_EUlSU_E_NS1_11comp_targetILNS1_3genE0ELNS1_11target_archE4294967295ELNS1_3gpuE0ELNS1_3repE0EEENS1_30default_config_static_selectorELNS0_4arch9wavefront6targetE1EEEvT1_.private_seg_size, 0+max(.L_ZZZZN2at6native31launch_logcumsumexp_cuda_kernelERKNS_10TensorBaseES3_lENKUlvE_clEvENKUlvE1_clEvENKUlN3c107complexIdEES8_E_clES8_S8_.private_seg_size)
	.set _ZN7rocprim17ROCPRIM_400000_NS6detail17trampoline_kernelINS0_14default_configENS1_20scan_config_selectorIN3c107complexIdEEEEZZNS1_9scan_implILNS1_25lookback_scan_determinismE0ELb0ELb0ES3_PKS7_PS7_S7_ZZZN2at6native31launch_logcumsumexp_cuda_kernelERKNSE_10TensorBaseESI_lENKUlvE_clEvENKUlvE1_clEvEUlS7_S7_E_S7_EEDaPvRmT3_T4_T5_mT6_P12ihipStream_tbENKUlT_T0_E_clISt17integral_constantIbLb0EESZ_EEDaSU_SV_EUlSU_E_NS1_11comp_targetILNS1_3genE0ELNS1_11target_archE4294967295ELNS1_3gpuE0ELNS1_3repE0EEENS1_30default_config_static_selectorELNS0_4arch9wavefront6targetE1EEEvT1_.uses_vcc, or(1, .L_ZZZZN2at6native31launch_logcumsumexp_cuda_kernelERKNS_10TensorBaseES3_lENKUlvE_clEvENKUlvE1_clEvENKUlN3c107complexIdEES8_E_clES8_S8_.uses_vcc)
	.set _ZN7rocprim17ROCPRIM_400000_NS6detail17trampoline_kernelINS0_14default_configENS1_20scan_config_selectorIN3c107complexIdEEEEZZNS1_9scan_implILNS1_25lookback_scan_determinismE0ELb0ELb0ES3_PKS7_PS7_S7_ZZZN2at6native31launch_logcumsumexp_cuda_kernelERKNSE_10TensorBaseESI_lENKUlvE_clEvENKUlvE1_clEvEUlS7_S7_E_S7_EEDaPvRmT3_T4_T5_mT6_P12ihipStream_tbENKUlT_T0_E_clISt17integral_constantIbLb0EESZ_EEDaSU_SV_EUlSU_E_NS1_11comp_targetILNS1_3genE0ELNS1_11target_archE4294967295ELNS1_3gpuE0ELNS1_3repE0EEENS1_30default_config_static_selectorELNS0_4arch9wavefront6targetE1EEEvT1_.uses_flat_scratch, or(0, .L_ZZZZN2at6native31launch_logcumsumexp_cuda_kernelERKNS_10TensorBaseES3_lENKUlvE_clEvENKUlvE1_clEvENKUlN3c107complexIdEES8_E_clES8_S8_.uses_flat_scratch)
	.set _ZN7rocprim17ROCPRIM_400000_NS6detail17trampoline_kernelINS0_14default_configENS1_20scan_config_selectorIN3c107complexIdEEEEZZNS1_9scan_implILNS1_25lookback_scan_determinismE0ELb0ELb0ES3_PKS7_PS7_S7_ZZZN2at6native31launch_logcumsumexp_cuda_kernelERKNSE_10TensorBaseESI_lENKUlvE_clEvENKUlvE1_clEvEUlS7_S7_E_S7_EEDaPvRmT3_T4_T5_mT6_P12ihipStream_tbENKUlT_T0_E_clISt17integral_constantIbLb0EESZ_EEDaSU_SV_EUlSU_E_NS1_11comp_targetILNS1_3genE0ELNS1_11target_archE4294967295ELNS1_3gpuE0ELNS1_3repE0EEENS1_30default_config_static_selectorELNS0_4arch9wavefront6targetE1EEEvT1_.has_dyn_sized_stack, or(0, .L_ZZZZN2at6native31launch_logcumsumexp_cuda_kernelERKNS_10TensorBaseES3_lENKUlvE_clEvENKUlvE1_clEvENKUlN3c107complexIdEES8_E_clES8_S8_.has_dyn_sized_stack)
	.set _ZN7rocprim17ROCPRIM_400000_NS6detail17trampoline_kernelINS0_14default_configENS1_20scan_config_selectorIN3c107complexIdEEEEZZNS1_9scan_implILNS1_25lookback_scan_determinismE0ELb0ELb0ES3_PKS7_PS7_S7_ZZZN2at6native31launch_logcumsumexp_cuda_kernelERKNSE_10TensorBaseESI_lENKUlvE_clEvENKUlvE1_clEvEUlS7_S7_E_S7_EEDaPvRmT3_T4_T5_mT6_P12ihipStream_tbENKUlT_T0_E_clISt17integral_constantIbLb0EESZ_EEDaSU_SV_EUlSU_E_NS1_11comp_targetILNS1_3genE0ELNS1_11target_archE4294967295ELNS1_3gpuE0ELNS1_3repE0EEENS1_30default_config_static_selectorELNS0_4arch9wavefront6targetE1EEEvT1_.has_recursion, or(0, .L_ZZZZN2at6native31launch_logcumsumexp_cuda_kernelERKNS_10TensorBaseES3_lENKUlvE_clEvENKUlvE1_clEvENKUlN3c107complexIdEES8_E_clES8_S8_.has_recursion)
	.set _ZN7rocprim17ROCPRIM_400000_NS6detail17trampoline_kernelINS0_14default_configENS1_20scan_config_selectorIN3c107complexIdEEEEZZNS1_9scan_implILNS1_25lookback_scan_determinismE0ELb0ELb0ES3_PKS7_PS7_S7_ZZZN2at6native31launch_logcumsumexp_cuda_kernelERKNSE_10TensorBaseESI_lENKUlvE_clEvENKUlvE1_clEvEUlS7_S7_E_S7_EEDaPvRmT3_T4_T5_mT6_P12ihipStream_tbENKUlT_T0_E_clISt17integral_constantIbLb0EESZ_EEDaSU_SV_EUlSU_E_NS1_11comp_targetILNS1_3genE0ELNS1_11target_archE4294967295ELNS1_3gpuE0ELNS1_3repE0EEENS1_30default_config_static_selectorELNS0_4arch9wavefront6targetE1EEEvT1_.has_indirect_call, or(0, .L_ZZZZN2at6native31launch_logcumsumexp_cuda_kernelERKNS_10TensorBaseES3_lENKUlvE_clEvENKUlvE1_clEvENKUlN3c107complexIdEES8_E_clES8_S8_.has_indirect_call)
	.section	.AMDGPU.csdata,"",@progbits
; Kernel info:
; codeLenInByte = 8752
; TotalNumSgprs: 74
; NumVgprs: 133
; NumAgprs: 0
; TotalNumVgprs: 133
; ScratchSize: 0
; MemoryBound: 1
; FloatMode: 240
; IeeeMode: 1
; LDSByteSize: 20480 bytes/workgroup (compile time only)
; SGPRBlocks: 12
; VGPRBlocks: 16
; NumSGPRsForWavesPerEU: 102
; NumVGPRsForWavesPerEU: 133
; AccumOffset: 136
; Occupancy: 3
; WaveLimiterHint : 1
; COMPUTE_PGM_RSRC2:SCRATCH_EN: 0
; COMPUTE_PGM_RSRC2:USER_SGPR: 2
; COMPUTE_PGM_RSRC2:TRAP_HANDLER: 0
; COMPUTE_PGM_RSRC2:TGID_X_EN: 1
; COMPUTE_PGM_RSRC2:TGID_Y_EN: 0
; COMPUTE_PGM_RSRC2:TGID_Z_EN: 0
; COMPUTE_PGM_RSRC2:TIDIG_COMP_CNT: 0
; COMPUTE_PGM_RSRC3_GFX90A:ACCUM_OFFSET: 33
; COMPUTE_PGM_RSRC3_GFX90A:TG_SPLIT: 0
	.section	.text._ZN7rocprim17ROCPRIM_400000_NS6detail17trampoline_kernelINS0_14default_configENS1_20scan_config_selectorIN3c107complexIdEEEEZZNS1_9scan_implILNS1_25lookback_scan_determinismE0ELb0ELb0ES3_PKS7_PS7_S7_ZZZN2at6native31launch_logcumsumexp_cuda_kernelERKNSE_10TensorBaseESI_lENKUlvE_clEvENKUlvE1_clEvEUlS7_S7_E_S7_EEDaPvRmT3_T4_T5_mT6_P12ihipStream_tbENKUlT_T0_E_clISt17integral_constantIbLb0EESZ_EEDaSU_SV_EUlSU_E_NS1_11comp_targetILNS1_3genE5ELNS1_11target_archE942ELNS1_3gpuE9ELNS1_3repE0EEENS1_30default_config_static_selectorELNS0_4arch9wavefront6targetE1EEEvT1_,"axG",@progbits,_ZN7rocprim17ROCPRIM_400000_NS6detail17trampoline_kernelINS0_14default_configENS1_20scan_config_selectorIN3c107complexIdEEEEZZNS1_9scan_implILNS1_25lookback_scan_determinismE0ELb0ELb0ES3_PKS7_PS7_S7_ZZZN2at6native31launch_logcumsumexp_cuda_kernelERKNSE_10TensorBaseESI_lENKUlvE_clEvENKUlvE1_clEvEUlS7_S7_E_S7_EEDaPvRmT3_T4_T5_mT6_P12ihipStream_tbENKUlT_T0_E_clISt17integral_constantIbLb0EESZ_EEDaSU_SV_EUlSU_E_NS1_11comp_targetILNS1_3genE5ELNS1_11target_archE942ELNS1_3gpuE9ELNS1_3repE0EEENS1_30default_config_static_selectorELNS0_4arch9wavefront6targetE1EEEvT1_,comdat
	.globl	_ZN7rocprim17ROCPRIM_400000_NS6detail17trampoline_kernelINS0_14default_configENS1_20scan_config_selectorIN3c107complexIdEEEEZZNS1_9scan_implILNS1_25lookback_scan_determinismE0ELb0ELb0ES3_PKS7_PS7_S7_ZZZN2at6native31launch_logcumsumexp_cuda_kernelERKNSE_10TensorBaseESI_lENKUlvE_clEvENKUlvE1_clEvEUlS7_S7_E_S7_EEDaPvRmT3_T4_T5_mT6_P12ihipStream_tbENKUlT_T0_E_clISt17integral_constantIbLb0EESZ_EEDaSU_SV_EUlSU_E_NS1_11comp_targetILNS1_3genE5ELNS1_11target_archE942ELNS1_3gpuE9ELNS1_3repE0EEENS1_30default_config_static_selectorELNS0_4arch9wavefront6targetE1EEEvT1_ ; -- Begin function _ZN7rocprim17ROCPRIM_400000_NS6detail17trampoline_kernelINS0_14default_configENS1_20scan_config_selectorIN3c107complexIdEEEEZZNS1_9scan_implILNS1_25lookback_scan_determinismE0ELb0ELb0ES3_PKS7_PS7_S7_ZZZN2at6native31launch_logcumsumexp_cuda_kernelERKNSE_10TensorBaseESI_lENKUlvE_clEvENKUlvE1_clEvEUlS7_S7_E_S7_EEDaPvRmT3_T4_T5_mT6_P12ihipStream_tbENKUlT_T0_E_clISt17integral_constantIbLb0EESZ_EEDaSU_SV_EUlSU_E_NS1_11comp_targetILNS1_3genE5ELNS1_11target_archE942ELNS1_3gpuE9ELNS1_3repE0EEENS1_30default_config_static_selectorELNS0_4arch9wavefront6targetE1EEEvT1_
	.p2align	8
	.type	_ZN7rocprim17ROCPRIM_400000_NS6detail17trampoline_kernelINS0_14default_configENS1_20scan_config_selectorIN3c107complexIdEEEEZZNS1_9scan_implILNS1_25lookback_scan_determinismE0ELb0ELb0ES3_PKS7_PS7_S7_ZZZN2at6native31launch_logcumsumexp_cuda_kernelERKNSE_10TensorBaseESI_lENKUlvE_clEvENKUlvE1_clEvEUlS7_S7_E_S7_EEDaPvRmT3_T4_T5_mT6_P12ihipStream_tbENKUlT_T0_E_clISt17integral_constantIbLb0EESZ_EEDaSU_SV_EUlSU_E_NS1_11comp_targetILNS1_3genE5ELNS1_11target_archE942ELNS1_3gpuE9ELNS1_3repE0EEENS1_30default_config_static_selectorELNS0_4arch9wavefront6targetE1EEEvT1_,@function
_ZN7rocprim17ROCPRIM_400000_NS6detail17trampoline_kernelINS0_14default_configENS1_20scan_config_selectorIN3c107complexIdEEEEZZNS1_9scan_implILNS1_25lookback_scan_determinismE0ELb0ELb0ES3_PKS7_PS7_S7_ZZZN2at6native31launch_logcumsumexp_cuda_kernelERKNSE_10TensorBaseESI_lENKUlvE_clEvENKUlvE1_clEvEUlS7_S7_E_S7_EEDaPvRmT3_T4_T5_mT6_P12ihipStream_tbENKUlT_T0_E_clISt17integral_constantIbLb0EESZ_EEDaSU_SV_EUlSU_E_NS1_11comp_targetILNS1_3genE5ELNS1_11target_archE942ELNS1_3gpuE9ELNS1_3repE0EEENS1_30default_config_static_selectorELNS0_4arch9wavefront6targetE1EEEvT1_: ; @_ZN7rocprim17ROCPRIM_400000_NS6detail17trampoline_kernelINS0_14default_configENS1_20scan_config_selectorIN3c107complexIdEEEEZZNS1_9scan_implILNS1_25lookback_scan_determinismE0ELb0ELb0ES3_PKS7_PS7_S7_ZZZN2at6native31launch_logcumsumexp_cuda_kernelERKNSE_10TensorBaseESI_lENKUlvE_clEvENKUlvE1_clEvEUlS7_S7_E_S7_EEDaPvRmT3_T4_T5_mT6_P12ihipStream_tbENKUlT_T0_E_clISt17integral_constantIbLb0EESZ_EEDaSU_SV_EUlSU_E_NS1_11comp_targetILNS1_3genE5ELNS1_11target_archE942ELNS1_3gpuE9ELNS1_3repE0EEENS1_30default_config_static_selectorELNS0_4arch9wavefront6targetE1EEEvT1_
; %bb.0:
	.section	.rodata,"a",@progbits
	.p2align	6, 0x0
	.amdhsa_kernel _ZN7rocprim17ROCPRIM_400000_NS6detail17trampoline_kernelINS0_14default_configENS1_20scan_config_selectorIN3c107complexIdEEEEZZNS1_9scan_implILNS1_25lookback_scan_determinismE0ELb0ELb0ES3_PKS7_PS7_S7_ZZZN2at6native31launch_logcumsumexp_cuda_kernelERKNSE_10TensorBaseESI_lENKUlvE_clEvENKUlvE1_clEvEUlS7_S7_E_S7_EEDaPvRmT3_T4_T5_mT6_P12ihipStream_tbENKUlT_T0_E_clISt17integral_constantIbLb0EESZ_EEDaSU_SV_EUlSU_E_NS1_11comp_targetILNS1_3genE5ELNS1_11target_archE942ELNS1_3gpuE9ELNS1_3repE0EEENS1_30default_config_static_selectorELNS0_4arch9wavefront6targetE1EEEvT1_
		.amdhsa_group_segment_fixed_size 0
		.amdhsa_private_segment_fixed_size 0
		.amdhsa_kernarg_size 128
		.amdhsa_user_sgpr_count 2
		.amdhsa_user_sgpr_dispatch_ptr 0
		.amdhsa_user_sgpr_queue_ptr 0
		.amdhsa_user_sgpr_kernarg_segment_ptr 1
		.amdhsa_user_sgpr_dispatch_id 0
		.amdhsa_user_sgpr_kernarg_preload_length 0
		.amdhsa_user_sgpr_kernarg_preload_offset 0
		.amdhsa_user_sgpr_private_segment_size 0
		.amdhsa_uses_dynamic_stack 0
		.amdhsa_enable_private_segment 0
		.amdhsa_system_sgpr_workgroup_id_x 1
		.amdhsa_system_sgpr_workgroup_id_y 0
		.amdhsa_system_sgpr_workgroup_id_z 0
		.amdhsa_system_sgpr_workgroup_info 0
		.amdhsa_system_vgpr_workitem_id 0
		.amdhsa_next_free_vgpr 1
		.amdhsa_next_free_sgpr 0
		.amdhsa_accum_offset 4
		.amdhsa_reserve_vcc 0
		.amdhsa_float_round_mode_32 0
		.amdhsa_float_round_mode_16_64 0
		.amdhsa_float_denorm_mode_32 3
		.amdhsa_float_denorm_mode_16_64 3
		.amdhsa_dx10_clamp 1
		.amdhsa_ieee_mode 1
		.amdhsa_fp16_overflow 0
		.amdhsa_tg_split 0
		.amdhsa_exception_fp_ieee_invalid_op 0
		.amdhsa_exception_fp_denorm_src 0
		.amdhsa_exception_fp_ieee_div_zero 0
		.amdhsa_exception_fp_ieee_overflow 0
		.amdhsa_exception_fp_ieee_underflow 0
		.amdhsa_exception_fp_ieee_inexact 0
		.amdhsa_exception_int_div_zero 0
	.end_amdhsa_kernel
	.section	.text._ZN7rocprim17ROCPRIM_400000_NS6detail17trampoline_kernelINS0_14default_configENS1_20scan_config_selectorIN3c107complexIdEEEEZZNS1_9scan_implILNS1_25lookback_scan_determinismE0ELb0ELb0ES3_PKS7_PS7_S7_ZZZN2at6native31launch_logcumsumexp_cuda_kernelERKNSE_10TensorBaseESI_lENKUlvE_clEvENKUlvE1_clEvEUlS7_S7_E_S7_EEDaPvRmT3_T4_T5_mT6_P12ihipStream_tbENKUlT_T0_E_clISt17integral_constantIbLb0EESZ_EEDaSU_SV_EUlSU_E_NS1_11comp_targetILNS1_3genE5ELNS1_11target_archE942ELNS1_3gpuE9ELNS1_3repE0EEENS1_30default_config_static_selectorELNS0_4arch9wavefront6targetE1EEEvT1_,"axG",@progbits,_ZN7rocprim17ROCPRIM_400000_NS6detail17trampoline_kernelINS0_14default_configENS1_20scan_config_selectorIN3c107complexIdEEEEZZNS1_9scan_implILNS1_25lookback_scan_determinismE0ELb0ELb0ES3_PKS7_PS7_S7_ZZZN2at6native31launch_logcumsumexp_cuda_kernelERKNSE_10TensorBaseESI_lENKUlvE_clEvENKUlvE1_clEvEUlS7_S7_E_S7_EEDaPvRmT3_T4_T5_mT6_P12ihipStream_tbENKUlT_T0_E_clISt17integral_constantIbLb0EESZ_EEDaSU_SV_EUlSU_E_NS1_11comp_targetILNS1_3genE5ELNS1_11target_archE942ELNS1_3gpuE9ELNS1_3repE0EEENS1_30default_config_static_selectorELNS0_4arch9wavefront6targetE1EEEvT1_,comdat
.Lfunc_end177:
	.size	_ZN7rocprim17ROCPRIM_400000_NS6detail17trampoline_kernelINS0_14default_configENS1_20scan_config_selectorIN3c107complexIdEEEEZZNS1_9scan_implILNS1_25lookback_scan_determinismE0ELb0ELb0ES3_PKS7_PS7_S7_ZZZN2at6native31launch_logcumsumexp_cuda_kernelERKNSE_10TensorBaseESI_lENKUlvE_clEvENKUlvE1_clEvEUlS7_S7_E_S7_EEDaPvRmT3_T4_T5_mT6_P12ihipStream_tbENKUlT_T0_E_clISt17integral_constantIbLb0EESZ_EEDaSU_SV_EUlSU_E_NS1_11comp_targetILNS1_3genE5ELNS1_11target_archE942ELNS1_3gpuE9ELNS1_3repE0EEENS1_30default_config_static_selectorELNS0_4arch9wavefront6targetE1EEEvT1_, .Lfunc_end177-_ZN7rocprim17ROCPRIM_400000_NS6detail17trampoline_kernelINS0_14default_configENS1_20scan_config_selectorIN3c107complexIdEEEEZZNS1_9scan_implILNS1_25lookback_scan_determinismE0ELb0ELb0ES3_PKS7_PS7_S7_ZZZN2at6native31launch_logcumsumexp_cuda_kernelERKNSE_10TensorBaseESI_lENKUlvE_clEvENKUlvE1_clEvEUlS7_S7_E_S7_EEDaPvRmT3_T4_T5_mT6_P12ihipStream_tbENKUlT_T0_E_clISt17integral_constantIbLb0EESZ_EEDaSU_SV_EUlSU_E_NS1_11comp_targetILNS1_3genE5ELNS1_11target_archE942ELNS1_3gpuE9ELNS1_3repE0EEENS1_30default_config_static_selectorELNS0_4arch9wavefront6targetE1EEEvT1_
                                        ; -- End function
	.set _ZN7rocprim17ROCPRIM_400000_NS6detail17trampoline_kernelINS0_14default_configENS1_20scan_config_selectorIN3c107complexIdEEEEZZNS1_9scan_implILNS1_25lookback_scan_determinismE0ELb0ELb0ES3_PKS7_PS7_S7_ZZZN2at6native31launch_logcumsumexp_cuda_kernelERKNSE_10TensorBaseESI_lENKUlvE_clEvENKUlvE1_clEvEUlS7_S7_E_S7_EEDaPvRmT3_T4_T5_mT6_P12ihipStream_tbENKUlT_T0_E_clISt17integral_constantIbLb0EESZ_EEDaSU_SV_EUlSU_E_NS1_11comp_targetILNS1_3genE5ELNS1_11target_archE942ELNS1_3gpuE9ELNS1_3repE0EEENS1_30default_config_static_selectorELNS0_4arch9wavefront6targetE1EEEvT1_.num_vgpr, 0
	.set _ZN7rocprim17ROCPRIM_400000_NS6detail17trampoline_kernelINS0_14default_configENS1_20scan_config_selectorIN3c107complexIdEEEEZZNS1_9scan_implILNS1_25lookback_scan_determinismE0ELb0ELb0ES3_PKS7_PS7_S7_ZZZN2at6native31launch_logcumsumexp_cuda_kernelERKNSE_10TensorBaseESI_lENKUlvE_clEvENKUlvE1_clEvEUlS7_S7_E_S7_EEDaPvRmT3_T4_T5_mT6_P12ihipStream_tbENKUlT_T0_E_clISt17integral_constantIbLb0EESZ_EEDaSU_SV_EUlSU_E_NS1_11comp_targetILNS1_3genE5ELNS1_11target_archE942ELNS1_3gpuE9ELNS1_3repE0EEENS1_30default_config_static_selectorELNS0_4arch9wavefront6targetE1EEEvT1_.num_agpr, 0
	.set _ZN7rocprim17ROCPRIM_400000_NS6detail17trampoline_kernelINS0_14default_configENS1_20scan_config_selectorIN3c107complexIdEEEEZZNS1_9scan_implILNS1_25lookback_scan_determinismE0ELb0ELb0ES3_PKS7_PS7_S7_ZZZN2at6native31launch_logcumsumexp_cuda_kernelERKNSE_10TensorBaseESI_lENKUlvE_clEvENKUlvE1_clEvEUlS7_S7_E_S7_EEDaPvRmT3_T4_T5_mT6_P12ihipStream_tbENKUlT_T0_E_clISt17integral_constantIbLb0EESZ_EEDaSU_SV_EUlSU_E_NS1_11comp_targetILNS1_3genE5ELNS1_11target_archE942ELNS1_3gpuE9ELNS1_3repE0EEENS1_30default_config_static_selectorELNS0_4arch9wavefront6targetE1EEEvT1_.numbered_sgpr, 0
	.set _ZN7rocprim17ROCPRIM_400000_NS6detail17trampoline_kernelINS0_14default_configENS1_20scan_config_selectorIN3c107complexIdEEEEZZNS1_9scan_implILNS1_25lookback_scan_determinismE0ELb0ELb0ES3_PKS7_PS7_S7_ZZZN2at6native31launch_logcumsumexp_cuda_kernelERKNSE_10TensorBaseESI_lENKUlvE_clEvENKUlvE1_clEvEUlS7_S7_E_S7_EEDaPvRmT3_T4_T5_mT6_P12ihipStream_tbENKUlT_T0_E_clISt17integral_constantIbLb0EESZ_EEDaSU_SV_EUlSU_E_NS1_11comp_targetILNS1_3genE5ELNS1_11target_archE942ELNS1_3gpuE9ELNS1_3repE0EEENS1_30default_config_static_selectorELNS0_4arch9wavefront6targetE1EEEvT1_.num_named_barrier, 0
	.set _ZN7rocprim17ROCPRIM_400000_NS6detail17trampoline_kernelINS0_14default_configENS1_20scan_config_selectorIN3c107complexIdEEEEZZNS1_9scan_implILNS1_25lookback_scan_determinismE0ELb0ELb0ES3_PKS7_PS7_S7_ZZZN2at6native31launch_logcumsumexp_cuda_kernelERKNSE_10TensorBaseESI_lENKUlvE_clEvENKUlvE1_clEvEUlS7_S7_E_S7_EEDaPvRmT3_T4_T5_mT6_P12ihipStream_tbENKUlT_T0_E_clISt17integral_constantIbLb0EESZ_EEDaSU_SV_EUlSU_E_NS1_11comp_targetILNS1_3genE5ELNS1_11target_archE942ELNS1_3gpuE9ELNS1_3repE0EEENS1_30default_config_static_selectorELNS0_4arch9wavefront6targetE1EEEvT1_.private_seg_size, 0
	.set _ZN7rocprim17ROCPRIM_400000_NS6detail17trampoline_kernelINS0_14default_configENS1_20scan_config_selectorIN3c107complexIdEEEEZZNS1_9scan_implILNS1_25lookback_scan_determinismE0ELb0ELb0ES3_PKS7_PS7_S7_ZZZN2at6native31launch_logcumsumexp_cuda_kernelERKNSE_10TensorBaseESI_lENKUlvE_clEvENKUlvE1_clEvEUlS7_S7_E_S7_EEDaPvRmT3_T4_T5_mT6_P12ihipStream_tbENKUlT_T0_E_clISt17integral_constantIbLb0EESZ_EEDaSU_SV_EUlSU_E_NS1_11comp_targetILNS1_3genE5ELNS1_11target_archE942ELNS1_3gpuE9ELNS1_3repE0EEENS1_30default_config_static_selectorELNS0_4arch9wavefront6targetE1EEEvT1_.uses_vcc, 0
	.set _ZN7rocprim17ROCPRIM_400000_NS6detail17trampoline_kernelINS0_14default_configENS1_20scan_config_selectorIN3c107complexIdEEEEZZNS1_9scan_implILNS1_25lookback_scan_determinismE0ELb0ELb0ES3_PKS7_PS7_S7_ZZZN2at6native31launch_logcumsumexp_cuda_kernelERKNSE_10TensorBaseESI_lENKUlvE_clEvENKUlvE1_clEvEUlS7_S7_E_S7_EEDaPvRmT3_T4_T5_mT6_P12ihipStream_tbENKUlT_T0_E_clISt17integral_constantIbLb0EESZ_EEDaSU_SV_EUlSU_E_NS1_11comp_targetILNS1_3genE5ELNS1_11target_archE942ELNS1_3gpuE9ELNS1_3repE0EEENS1_30default_config_static_selectorELNS0_4arch9wavefront6targetE1EEEvT1_.uses_flat_scratch, 0
	.set _ZN7rocprim17ROCPRIM_400000_NS6detail17trampoline_kernelINS0_14default_configENS1_20scan_config_selectorIN3c107complexIdEEEEZZNS1_9scan_implILNS1_25lookback_scan_determinismE0ELb0ELb0ES3_PKS7_PS7_S7_ZZZN2at6native31launch_logcumsumexp_cuda_kernelERKNSE_10TensorBaseESI_lENKUlvE_clEvENKUlvE1_clEvEUlS7_S7_E_S7_EEDaPvRmT3_T4_T5_mT6_P12ihipStream_tbENKUlT_T0_E_clISt17integral_constantIbLb0EESZ_EEDaSU_SV_EUlSU_E_NS1_11comp_targetILNS1_3genE5ELNS1_11target_archE942ELNS1_3gpuE9ELNS1_3repE0EEENS1_30default_config_static_selectorELNS0_4arch9wavefront6targetE1EEEvT1_.has_dyn_sized_stack, 0
	.set _ZN7rocprim17ROCPRIM_400000_NS6detail17trampoline_kernelINS0_14default_configENS1_20scan_config_selectorIN3c107complexIdEEEEZZNS1_9scan_implILNS1_25lookback_scan_determinismE0ELb0ELb0ES3_PKS7_PS7_S7_ZZZN2at6native31launch_logcumsumexp_cuda_kernelERKNSE_10TensorBaseESI_lENKUlvE_clEvENKUlvE1_clEvEUlS7_S7_E_S7_EEDaPvRmT3_T4_T5_mT6_P12ihipStream_tbENKUlT_T0_E_clISt17integral_constantIbLb0EESZ_EEDaSU_SV_EUlSU_E_NS1_11comp_targetILNS1_3genE5ELNS1_11target_archE942ELNS1_3gpuE9ELNS1_3repE0EEENS1_30default_config_static_selectorELNS0_4arch9wavefront6targetE1EEEvT1_.has_recursion, 0
	.set _ZN7rocprim17ROCPRIM_400000_NS6detail17trampoline_kernelINS0_14default_configENS1_20scan_config_selectorIN3c107complexIdEEEEZZNS1_9scan_implILNS1_25lookback_scan_determinismE0ELb0ELb0ES3_PKS7_PS7_S7_ZZZN2at6native31launch_logcumsumexp_cuda_kernelERKNSE_10TensorBaseESI_lENKUlvE_clEvENKUlvE1_clEvEUlS7_S7_E_S7_EEDaPvRmT3_T4_T5_mT6_P12ihipStream_tbENKUlT_T0_E_clISt17integral_constantIbLb0EESZ_EEDaSU_SV_EUlSU_E_NS1_11comp_targetILNS1_3genE5ELNS1_11target_archE942ELNS1_3gpuE9ELNS1_3repE0EEENS1_30default_config_static_selectorELNS0_4arch9wavefront6targetE1EEEvT1_.has_indirect_call, 0
	.section	.AMDGPU.csdata,"",@progbits
; Kernel info:
; codeLenInByte = 0
; TotalNumSgprs: 6
; NumVgprs: 0
; NumAgprs: 0
; TotalNumVgprs: 0
; ScratchSize: 0
; MemoryBound: 0
; FloatMode: 240
; IeeeMode: 1
; LDSByteSize: 0 bytes/workgroup (compile time only)
; SGPRBlocks: 0
; VGPRBlocks: 0
; NumSGPRsForWavesPerEU: 6
; NumVGPRsForWavesPerEU: 1
; AccumOffset: 4
; Occupancy: 8
; WaveLimiterHint : 0
; COMPUTE_PGM_RSRC2:SCRATCH_EN: 0
; COMPUTE_PGM_RSRC2:USER_SGPR: 2
; COMPUTE_PGM_RSRC2:TRAP_HANDLER: 0
; COMPUTE_PGM_RSRC2:TGID_X_EN: 1
; COMPUTE_PGM_RSRC2:TGID_Y_EN: 0
; COMPUTE_PGM_RSRC2:TGID_Z_EN: 0
; COMPUTE_PGM_RSRC2:TIDIG_COMP_CNT: 0
; COMPUTE_PGM_RSRC3_GFX90A:ACCUM_OFFSET: 0
; COMPUTE_PGM_RSRC3_GFX90A:TG_SPLIT: 0
	.section	.text._ZN7rocprim17ROCPRIM_400000_NS6detail17trampoline_kernelINS0_14default_configENS1_20scan_config_selectorIN3c107complexIdEEEEZZNS1_9scan_implILNS1_25lookback_scan_determinismE0ELb0ELb0ES3_PKS7_PS7_S7_ZZZN2at6native31launch_logcumsumexp_cuda_kernelERKNSE_10TensorBaseESI_lENKUlvE_clEvENKUlvE1_clEvEUlS7_S7_E_S7_EEDaPvRmT3_T4_T5_mT6_P12ihipStream_tbENKUlT_T0_E_clISt17integral_constantIbLb0EESZ_EEDaSU_SV_EUlSU_E_NS1_11comp_targetILNS1_3genE4ELNS1_11target_archE910ELNS1_3gpuE8ELNS1_3repE0EEENS1_30default_config_static_selectorELNS0_4arch9wavefront6targetE1EEEvT1_,"axG",@progbits,_ZN7rocprim17ROCPRIM_400000_NS6detail17trampoline_kernelINS0_14default_configENS1_20scan_config_selectorIN3c107complexIdEEEEZZNS1_9scan_implILNS1_25lookback_scan_determinismE0ELb0ELb0ES3_PKS7_PS7_S7_ZZZN2at6native31launch_logcumsumexp_cuda_kernelERKNSE_10TensorBaseESI_lENKUlvE_clEvENKUlvE1_clEvEUlS7_S7_E_S7_EEDaPvRmT3_T4_T5_mT6_P12ihipStream_tbENKUlT_T0_E_clISt17integral_constantIbLb0EESZ_EEDaSU_SV_EUlSU_E_NS1_11comp_targetILNS1_3genE4ELNS1_11target_archE910ELNS1_3gpuE8ELNS1_3repE0EEENS1_30default_config_static_selectorELNS0_4arch9wavefront6targetE1EEEvT1_,comdat
	.globl	_ZN7rocprim17ROCPRIM_400000_NS6detail17trampoline_kernelINS0_14default_configENS1_20scan_config_selectorIN3c107complexIdEEEEZZNS1_9scan_implILNS1_25lookback_scan_determinismE0ELb0ELb0ES3_PKS7_PS7_S7_ZZZN2at6native31launch_logcumsumexp_cuda_kernelERKNSE_10TensorBaseESI_lENKUlvE_clEvENKUlvE1_clEvEUlS7_S7_E_S7_EEDaPvRmT3_T4_T5_mT6_P12ihipStream_tbENKUlT_T0_E_clISt17integral_constantIbLb0EESZ_EEDaSU_SV_EUlSU_E_NS1_11comp_targetILNS1_3genE4ELNS1_11target_archE910ELNS1_3gpuE8ELNS1_3repE0EEENS1_30default_config_static_selectorELNS0_4arch9wavefront6targetE1EEEvT1_ ; -- Begin function _ZN7rocprim17ROCPRIM_400000_NS6detail17trampoline_kernelINS0_14default_configENS1_20scan_config_selectorIN3c107complexIdEEEEZZNS1_9scan_implILNS1_25lookback_scan_determinismE0ELb0ELb0ES3_PKS7_PS7_S7_ZZZN2at6native31launch_logcumsumexp_cuda_kernelERKNSE_10TensorBaseESI_lENKUlvE_clEvENKUlvE1_clEvEUlS7_S7_E_S7_EEDaPvRmT3_T4_T5_mT6_P12ihipStream_tbENKUlT_T0_E_clISt17integral_constantIbLb0EESZ_EEDaSU_SV_EUlSU_E_NS1_11comp_targetILNS1_3genE4ELNS1_11target_archE910ELNS1_3gpuE8ELNS1_3repE0EEENS1_30default_config_static_selectorELNS0_4arch9wavefront6targetE1EEEvT1_
	.p2align	8
	.type	_ZN7rocprim17ROCPRIM_400000_NS6detail17trampoline_kernelINS0_14default_configENS1_20scan_config_selectorIN3c107complexIdEEEEZZNS1_9scan_implILNS1_25lookback_scan_determinismE0ELb0ELb0ES3_PKS7_PS7_S7_ZZZN2at6native31launch_logcumsumexp_cuda_kernelERKNSE_10TensorBaseESI_lENKUlvE_clEvENKUlvE1_clEvEUlS7_S7_E_S7_EEDaPvRmT3_T4_T5_mT6_P12ihipStream_tbENKUlT_T0_E_clISt17integral_constantIbLb0EESZ_EEDaSU_SV_EUlSU_E_NS1_11comp_targetILNS1_3genE4ELNS1_11target_archE910ELNS1_3gpuE8ELNS1_3repE0EEENS1_30default_config_static_selectorELNS0_4arch9wavefront6targetE1EEEvT1_,@function
_ZN7rocprim17ROCPRIM_400000_NS6detail17trampoline_kernelINS0_14default_configENS1_20scan_config_selectorIN3c107complexIdEEEEZZNS1_9scan_implILNS1_25lookback_scan_determinismE0ELb0ELb0ES3_PKS7_PS7_S7_ZZZN2at6native31launch_logcumsumexp_cuda_kernelERKNSE_10TensorBaseESI_lENKUlvE_clEvENKUlvE1_clEvEUlS7_S7_E_S7_EEDaPvRmT3_T4_T5_mT6_P12ihipStream_tbENKUlT_T0_E_clISt17integral_constantIbLb0EESZ_EEDaSU_SV_EUlSU_E_NS1_11comp_targetILNS1_3genE4ELNS1_11target_archE910ELNS1_3gpuE8ELNS1_3repE0EEENS1_30default_config_static_selectorELNS0_4arch9wavefront6targetE1EEEvT1_: ; @_ZN7rocprim17ROCPRIM_400000_NS6detail17trampoline_kernelINS0_14default_configENS1_20scan_config_selectorIN3c107complexIdEEEEZZNS1_9scan_implILNS1_25lookback_scan_determinismE0ELb0ELb0ES3_PKS7_PS7_S7_ZZZN2at6native31launch_logcumsumexp_cuda_kernelERKNSE_10TensorBaseESI_lENKUlvE_clEvENKUlvE1_clEvEUlS7_S7_E_S7_EEDaPvRmT3_T4_T5_mT6_P12ihipStream_tbENKUlT_T0_E_clISt17integral_constantIbLb0EESZ_EEDaSU_SV_EUlSU_E_NS1_11comp_targetILNS1_3genE4ELNS1_11target_archE910ELNS1_3gpuE8ELNS1_3repE0EEENS1_30default_config_static_selectorELNS0_4arch9wavefront6targetE1EEEvT1_
; %bb.0:
	.section	.rodata,"a",@progbits
	.p2align	6, 0x0
	.amdhsa_kernel _ZN7rocprim17ROCPRIM_400000_NS6detail17trampoline_kernelINS0_14default_configENS1_20scan_config_selectorIN3c107complexIdEEEEZZNS1_9scan_implILNS1_25lookback_scan_determinismE0ELb0ELb0ES3_PKS7_PS7_S7_ZZZN2at6native31launch_logcumsumexp_cuda_kernelERKNSE_10TensorBaseESI_lENKUlvE_clEvENKUlvE1_clEvEUlS7_S7_E_S7_EEDaPvRmT3_T4_T5_mT6_P12ihipStream_tbENKUlT_T0_E_clISt17integral_constantIbLb0EESZ_EEDaSU_SV_EUlSU_E_NS1_11comp_targetILNS1_3genE4ELNS1_11target_archE910ELNS1_3gpuE8ELNS1_3repE0EEENS1_30default_config_static_selectorELNS0_4arch9wavefront6targetE1EEEvT1_
		.amdhsa_group_segment_fixed_size 0
		.amdhsa_private_segment_fixed_size 0
		.amdhsa_kernarg_size 128
		.amdhsa_user_sgpr_count 2
		.amdhsa_user_sgpr_dispatch_ptr 0
		.amdhsa_user_sgpr_queue_ptr 0
		.amdhsa_user_sgpr_kernarg_segment_ptr 1
		.amdhsa_user_sgpr_dispatch_id 0
		.amdhsa_user_sgpr_kernarg_preload_length 0
		.amdhsa_user_sgpr_kernarg_preload_offset 0
		.amdhsa_user_sgpr_private_segment_size 0
		.amdhsa_uses_dynamic_stack 0
		.amdhsa_enable_private_segment 0
		.amdhsa_system_sgpr_workgroup_id_x 1
		.amdhsa_system_sgpr_workgroup_id_y 0
		.amdhsa_system_sgpr_workgroup_id_z 0
		.amdhsa_system_sgpr_workgroup_info 0
		.amdhsa_system_vgpr_workitem_id 0
		.amdhsa_next_free_vgpr 1
		.amdhsa_next_free_sgpr 0
		.amdhsa_accum_offset 4
		.amdhsa_reserve_vcc 0
		.amdhsa_float_round_mode_32 0
		.amdhsa_float_round_mode_16_64 0
		.amdhsa_float_denorm_mode_32 3
		.amdhsa_float_denorm_mode_16_64 3
		.amdhsa_dx10_clamp 1
		.amdhsa_ieee_mode 1
		.amdhsa_fp16_overflow 0
		.amdhsa_tg_split 0
		.amdhsa_exception_fp_ieee_invalid_op 0
		.amdhsa_exception_fp_denorm_src 0
		.amdhsa_exception_fp_ieee_div_zero 0
		.amdhsa_exception_fp_ieee_overflow 0
		.amdhsa_exception_fp_ieee_underflow 0
		.amdhsa_exception_fp_ieee_inexact 0
		.amdhsa_exception_int_div_zero 0
	.end_amdhsa_kernel
	.section	.text._ZN7rocprim17ROCPRIM_400000_NS6detail17trampoline_kernelINS0_14default_configENS1_20scan_config_selectorIN3c107complexIdEEEEZZNS1_9scan_implILNS1_25lookback_scan_determinismE0ELb0ELb0ES3_PKS7_PS7_S7_ZZZN2at6native31launch_logcumsumexp_cuda_kernelERKNSE_10TensorBaseESI_lENKUlvE_clEvENKUlvE1_clEvEUlS7_S7_E_S7_EEDaPvRmT3_T4_T5_mT6_P12ihipStream_tbENKUlT_T0_E_clISt17integral_constantIbLb0EESZ_EEDaSU_SV_EUlSU_E_NS1_11comp_targetILNS1_3genE4ELNS1_11target_archE910ELNS1_3gpuE8ELNS1_3repE0EEENS1_30default_config_static_selectorELNS0_4arch9wavefront6targetE1EEEvT1_,"axG",@progbits,_ZN7rocprim17ROCPRIM_400000_NS6detail17trampoline_kernelINS0_14default_configENS1_20scan_config_selectorIN3c107complexIdEEEEZZNS1_9scan_implILNS1_25lookback_scan_determinismE0ELb0ELb0ES3_PKS7_PS7_S7_ZZZN2at6native31launch_logcumsumexp_cuda_kernelERKNSE_10TensorBaseESI_lENKUlvE_clEvENKUlvE1_clEvEUlS7_S7_E_S7_EEDaPvRmT3_T4_T5_mT6_P12ihipStream_tbENKUlT_T0_E_clISt17integral_constantIbLb0EESZ_EEDaSU_SV_EUlSU_E_NS1_11comp_targetILNS1_3genE4ELNS1_11target_archE910ELNS1_3gpuE8ELNS1_3repE0EEENS1_30default_config_static_selectorELNS0_4arch9wavefront6targetE1EEEvT1_,comdat
.Lfunc_end178:
	.size	_ZN7rocprim17ROCPRIM_400000_NS6detail17trampoline_kernelINS0_14default_configENS1_20scan_config_selectorIN3c107complexIdEEEEZZNS1_9scan_implILNS1_25lookback_scan_determinismE0ELb0ELb0ES3_PKS7_PS7_S7_ZZZN2at6native31launch_logcumsumexp_cuda_kernelERKNSE_10TensorBaseESI_lENKUlvE_clEvENKUlvE1_clEvEUlS7_S7_E_S7_EEDaPvRmT3_T4_T5_mT6_P12ihipStream_tbENKUlT_T0_E_clISt17integral_constantIbLb0EESZ_EEDaSU_SV_EUlSU_E_NS1_11comp_targetILNS1_3genE4ELNS1_11target_archE910ELNS1_3gpuE8ELNS1_3repE0EEENS1_30default_config_static_selectorELNS0_4arch9wavefront6targetE1EEEvT1_, .Lfunc_end178-_ZN7rocprim17ROCPRIM_400000_NS6detail17trampoline_kernelINS0_14default_configENS1_20scan_config_selectorIN3c107complexIdEEEEZZNS1_9scan_implILNS1_25lookback_scan_determinismE0ELb0ELb0ES3_PKS7_PS7_S7_ZZZN2at6native31launch_logcumsumexp_cuda_kernelERKNSE_10TensorBaseESI_lENKUlvE_clEvENKUlvE1_clEvEUlS7_S7_E_S7_EEDaPvRmT3_T4_T5_mT6_P12ihipStream_tbENKUlT_T0_E_clISt17integral_constantIbLb0EESZ_EEDaSU_SV_EUlSU_E_NS1_11comp_targetILNS1_3genE4ELNS1_11target_archE910ELNS1_3gpuE8ELNS1_3repE0EEENS1_30default_config_static_selectorELNS0_4arch9wavefront6targetE1EEEvT1_
                                        ; -- End function
	.set _ZN7rocprim17ROCPRIM_400000_NS6detail17trampoline_kernelINS0_14default_configENS1_20scan_config_selectorIN3c107complexIdEEEEZZNS1_9scan_implILNS1_25lookback_scan_determinismE0ELb0ELb0ES3_PKS7_PS7_S7_ZZZN2at6native31launch_logcumsumexp_cuda_kernelERKNSE_10TensorBaseESI_lENKUlvE_clEvENKUlvE1_clEvEUlS7_S7_E_S7_EEDaPvRmT3_T4_T5_mT6_P12ihipStream_tbENKUlT_T0_E_clISt17integral_constantIbLb0EESZ_EEDaSU_SV_EUlSU_E_NS1_11comp_targetILNS1_3genE4ELNS1_11target_archE910ELNS1_3gpuE8ELNS1_3repE0EEENS1_30default_config_static_selectorELNS0_4arch9wavefront6targetE1EEEvT1_.num_vgpr, 0
	.set _ZN7rocprim17ROCPRIM_400000_NS6detail17trampoline_kernelINS0_14default_configENS1_20scan_config_selectorIN3c107complexIdEEEEZZNS1_9scan_implILNS1_25lookback_scan_determinismE0ELb0ELb0ES3_PKS7_PS7_S7_ZZZN2at6native31launch_logcumsumexp_cuda_kernelERKNSE_10TensorBaseESI_lENKUlvE_clEvENKUlvE1_clEvEUlS7_S7_E_S7_EEDaPvRmT3_T4_T5_mT6_P12ihipStream_tbENKUlT_T0_E_clISt17integral_constantIbLb0EESZ_EEDaSU_SV_EUlSU_E_NS1_11comp_targetILNS1_3genE4ELNS1_11target_archE910ELNS1_3gpuE8ELNS1_3repE0EEENS1_30default_config_static_selectorELNS0_4arch9wavefront6targetE1EEEvT1_.num_agpr, 0
	.set _ZN7rocprim17ROCPRIM_400000_NS6detail17trampoline_kernelINS0_14default_configENS1_20scan_config_selectorIN3c107complexIdEEEEZZNS1_9scan_implILNS1_25lookback_scan_determinismE0ELb0ELb0ES3_PKS7_PS7_S7_ZZZN2at6native31launch_logcumsumexp_cuda_kernelERKNSE_10TensorBaseESI_lENKUlvE_clEvENKUlvE1_clEvEUlS7_S7_E_S7_EEDaPvRmT3_T4_T5_mT6_P12ihipStream_tbENKUlT_T0_E_clISt17integral_constantIbLb0EESZ_EEDaSU_SV_EUlSU_E_NS1_11comp_targetILNS1_3genE4ELNS1_11target_archE910ELNS1_3gpuE8ELNS1_3repE0EEENS1_30default_config_static_selectorELNS0_4arch9wavefront6targetE1EEEvT1_.numbered_sgpr, 0
	.set _ZN7rocprim17ROCPRIM_400000_NS6detail17trampoline_kernelINS0_14default_configENS1_20scan_config_selectorIN3c107complexIdEEEEZZNS1_9scan_implILNS1_25lookback_scan_determinismE0ELb0ELb0ES3_PKS7_PS7_S7_ZZZN2at6native31launch_logcumsumexp_cuda_kernelERKNSE_10TensorBaseESI_lENKUlvE_clEvENKUlvE1_clEvEUlS7_S7_E_S7_EEDaPvRmT3_T4_T5_mT6_P12ihipStream_tbENKUlT_T0_E_clISt17integral_constantIbLb0EESZ_EEDaSU_SV_EUlSU_E_NS1_11comp_targetILNS1_3genE4ELNS1_11target_archE910ELNS1_3gpuE8ELNS1_3repE0EEENS1_30default_config_static_selectorELNS0_4arch9wavefront6targetE1EEEvT1_.num_named_barrier, 0
	.set _ZN7rocprim17ROCPRIM_400000_NS6detail17trampoline_kernelINS0_14default_configENS1_20scan_config_selectorIN3c107complexIdEEEEZZNS1_9scan_implILNS1_25lookback_scan_determinismE0ELb0ELb0ES3_PKS7_PS7_S7_ZZZN2at6native31launch_logcumsumexp_cuda_kernelERKNSE_10TensorBaseESI_lENKUlvE_clEvENKUlvE1_clEvEUlS7_S7_E_S7_EEDaPvRmT3_T4_T5_mT6_P12ihipStream_tbENKUlT_T0_E_clISt17integral_constantIbLb0EESZ_EEDaSU_SV_EUlSU_E_NS1_11comp_targetILNS1_3genE4ELNS1_11target_archE910ELNS1_3gpuE8ELNS1_3repE0EEENS1_30default_config_static_selectorELNS0_4arch9wavefront6targetE1EEEvT1_.private_seg_size, 0
	.set _ZN7rocprim17ROCPRIM_400000_NS6detail17trampoline_kernelINS0_14default_configENS1_20scan_config_selectorIN3c107complexIdEEEEZZNS1_9scan_implILNS1_25lookback_scan_determinismE0ELb0ELb0ES3_PKS7_PS7_S7_ZZZN2at6native31launch_logcumsumexp_cuda_kernelERKNSE_10TensorBaseESI_lENKUlvE_clEvENKUlvE1_clEvEUlS7_S7_E_S7_EEDaPvRmT3_T4_T5_mT6_P12ihipStream_tbENKUlT_T0_E_clISt17integral_constantIbLb0EESZ_EEDaSU_SV_EUlSU_E_NS1_11comp_targetILNS1_3genE4ELNS1_11target_archE910ELNS1_3gpuE8ELNS1_3repE0EEENS1_30default_config_static_selectorELNS0_4arch9wavefront6targetE1EEEvT1_.uses_vcc, 0
	.set _ZN7rocprim17ROCPRIM_400000_NS6detail17trampoline_kernelINS0_14default_configENS1_20scan_config_selectorIN3c107complexIdEEEEZZNS1_9scan_implILNS1_25lookback_scan_determinismE0ELb0ELb0ES3_PKS7_PS7_S7_ZZZN2at6native31launch_logcumsumexp_cuda_kernelERKNSE_10TensorBaseESI_lENKUlvE_clEvENKUlvE1_clEvEUlS7_S7_E_S7_EEDaPvRmT3_T4_T5_mT6_P12ihipStream_tbENKUlT_T0_E_clISt17integral_constantIbLb0EESZ_EEDaSU_SV_EUlSU_E_NS1_11comp_targetILNS1_3genE4ELNS1_11target_archE910ELNS1_3gpuE8ELNS1_3repE0EEENS1_30default_config_static_selectorELNS0_4arch9wavefront6targetE1EEEvT1_.uses_flat_scratch, 0
	.set _ZN7rocprim17ROCPRIM_400000_NS6detail17trampoline_kernelINS0_14default_configENS1_20scan_config_selectorIN3c107complexIdEEEEZZNS1_9scan_implILNS1_25lookback_scan_determinismE0ELb0ELb0ES3_PKS7_PS7_S7_ZZZN2at6native31launch_logcumsumexp_cuda_kernelERKNSE_10TensorBaseESI_lENKUlvE_clEvENKUlvE1_clEvEUlS7_S7_E_S7_EEDaPvRmT3_T4_T5_mT6_P12ihipStream_tbENKUlT_T0_E_clISt17integral_constantIbLb0EESZ_EEDaSU_SV_EUlSU_E_NS1_11comp_targetILNS1_3genE4ELNS1_11target_archE910ELNS1_3gpuE8ELNS1_3repE0EEENS1_30default_config_static_selectorELNS0_4arch9wavefront6targetE1EEEvT1_.has_dyn_sized_stack, 0
	.set _ZN7rocprim17ROCPRIM_400000_NS6detail17trampoline_kernelINS0_14default_configENS1_20scan_config_selectorIN3c107complexIdEEEEZZNS1_9scan_implILNS1_25lookback_scan_determinismE0ELb0ELb0ES3_PKS7_PS7_S7_ZZZN2at6native31launch_logcumsumexp_cuda_kernelERKNSE_10TensorBaseESI_lENKUlvE_clEvENKUlvE1_clEvEUlS7_S7_E_S7_EEDaPvRmT3_T4_T5_mT6_P12ihipStream_tbENKUlT_T0_E_clISt17integral_constantIbLb0EESZ_EEDaSU_SV_EUlSU_E_NS1_11comp_targetILNS1_3genE4ELNS1_11target_archE910ELNS1_3gpuE8ELNS1_3repE0EEENS1_30default_config_static_selectorELNS0_4arch9wavefront6targetE1EEEvT1_.has_recursion, 0
	.set _ZN7rocprim17ROCPRIM_400000_NS6detail17trampoline_kernelINS0_14default_configENS1_20scan_config_selectorIN3c107complexIdEEEEZZNS1_9scan_implILNS1_25lookback_scan_determinismE0ELb0ELb0ES3_PKS7_PS7_S7_ZZZN2at6native31launch_logcumsumexp_cuda_kernelERKNSE_10TensorBaseESI_lENKUlvE_clEvENKUlvE1_clEvEUlS7_S7_E_S7_EEDaPvRmT3_T4_T5_mT6_P12ihipStream_tbENKUlT_T0_E_clISt17integral_constantIbLb0EESZ_EEDaSU_SV_EUlSU_E_NS1_11comp_targetILNS1_3genE4ELNS1_11target_archE910ELNS1_3gpuE8ELNS1_3repE0EEENS1_30default_config_static_selectorELNS0_4arch9wavefront6targetE1EEEvT1_.has_indirect_call, 0
	.section	.AMDGPU.csdata,"",@progbits
; Kernel info:
; codeLenInByte = 0
; TotalNumSgprs: 6
; NumVgprs: 0
; NumAgprs: 0
; TotalNumVgprs: 0
; ScratchSize: 0
; MemoryBound: 0
; FloatMode: 240
; IeeeMode: 1
; LDSByteSize: 0 bytes/workgroup (compile time only)
; SGPRBlocks: 0
; VGPRBlocks: 0
; NumSGPRsForWavesPerEU: 6
; NumVGPRsForWavesPerEU: 1
; AccumOffset: 4
; Occupancy: 8
; WaveLimiterHint : 0
; COMPUTE_PGM_RSRC2:SCRATCH_EN: 0
; COMPUTE_PGM_RSRC2:USER_SGPR: 2
; COMPUTE_PGM_RSRC2:TRAP_HANDLER: 0
; COMPUTE_PGM_RSRC2:TGID_X_EN: 1
; COMPUTE_PGM_RSRC2:TGID_Y_EN: 0
; COMPUTE_PGM_RSRC2:TGID_Z_EN: 0
; COMPUTE_PGM_RSRC2:TIDIG_COMP_CNT: 0
; COMPUTE_PGM_RSRC3_GFX90A:ACCUM_OFFSET: 0
; COMPUTE_PGM_RSRC3_GFX90A:TG_SPLIT: 0
	.section	.text._ZN7rocprim17ROCPRIM_400000_NS6detail17trampoline_kernelINS0_14default_configENS1_20scan_config_selectorIN3c107complexIdEEEEZZNS1_9scan_implILNS1_25lookback_scan_determinismE0ELb0ELb0ES3_PKS7_PS7_S7_ZZZN2at6native31launch_logcumsumexp_cuda_kernelERKNSE_10TensorBaseESI_lENKUlvE_clEvENKUlvE1_clEvEUlS7_S7_E_S7_EEDaPvRmT3_T4_T5_mT6_P12ihipStream_tbENKUlT_T0_E_clISt17integral_constantIbLb0EESZ_EEDaSU_SV_EUlSU_E_NS1_11comp_targetILNS1_3genE3ELNS1_11target_archE908ELNS1_3gpuE7ELNS1_3repE0EEENS1_30default_config_static_selectorELNS0_4arch9wavefront6targetE1EEEvT1_,"axG",@progbits,_ZN7rocprim17ROCPRIM_400000_NS6detail17trampoline_kernelINS0_14default_configENS1_20scan_config_selectorIN3c107complexIdEEEEZZNS1_9scan_implILNS1_25lookback_scan_determinismE0ELb0ELb0ES3_PKS7_PS7_S7_ZZZN2at6native31launch_logcumsumexp_cuda_kernelERKNSE_10TensorBaseESI_lENKUlvE_clEvENKUlvE1_clEvEUlS7_S7_E_S7_EEDaPvRmT3_T4_T5_mT6_P12ihipStream_tbENKUlT_T0_E_clISt17integral_constantIbLb0EESZ_EEDaSU_SV_EUlSU_E_NS1_11comp_targetILNS1_3genE3ELNS1_11target_archE908ELNS1_3gpuE7ELNS1_3repE0EEENS1_30default_config_static_selectorELNS0_4arch9wavefront6targetE1EEEvT1_,comdat
	.globl	_ZN7rocprim17ROCPRIM_400000_NS6detail17trampoline_kernelINS0_14default_configENS1_20scan_config_selectorIN3c107complexIdEEEEZZNS1_9scan_implILNS1_25lookback_scan_determinismE0ELb0ELb0ES3_PKS7_PS7_S7_ZZZN2at6native31launch_logcumsumexp_cuda_kernelERKNSE_10TensorBaseESI_lENKUlvE_clEvENKUlvE1_clEvEUlS7_S7_E_S7_EEDaPvRmT3_T4_T5_mT6_P12ihipStream_tbENKUlT_T0_E_clISt17integral_constantIbLb0EESZ_EEDaSU_SV_EUlSU_E_NS1_11comp_targetILNS1_3genE3ELNS1_11target_archE908ELNS1_3gpuE7ELNS1_3repE0EEENS1_30default_config_static_selectorELNS0_4arch9wavefront6targetE1EEEvT1_ ; -- Begin function _ZN7rocprim17ROCPRIM_400000_NS6detail17trampoline_kernelINS0_14default_configENS1_20scan_config_selectorIN3c107complexIdEEEEZZNS1_9scan_implILNS1_25lookback_scan_determinismE0ELb0ELb0ES3_PKS7_PS7_S7_ZZZN2at6native31launch_logcumsumexp_cuda_kernelERKNSE_10TensorBaseESI_lENKUlvE_clEvENKUlvE1_clEvEUlS7_S7_E_S7_EEDaPvRmT3_T4_T5_mT6_P12ihipStream_tbENKUlT_T0_E_clISt17integral_constantIbLb0EESZ_EEDaSU_SV_EUlSU_E_NS1_11comp_targetILNS1_3genE3ELNS1_11target_archE908ELNS1_3gpuE7ELNS1_3repE0EEENS1_30default_config_static_selectorELNS0_4arch9wavefront6targetE1EEEvT1_
	.p2align	8
	.type	_ZN7rocprim17ROCPRIM_400000_NS6detail17trampoline_kernelINS0_14default_configENS1_20scan_config_selectorIN3c107complexIdEEEEZZNS1_9scan_implILNS1_25lookback_scan_determinismE0ELb0ELb0ES3_PKS7_PS7_S7_ZZZN2at6native31launch_logcumsumexp_cuda_kernelERKNSE_10TensorBaseESI_lENKUlvE_clEvENKUlvE1_clEvEUlS7_S7_E_S7_EEDaPvRmT3_T4_T5_mT6_P12ihipStream_tbENKUlT_T0_E_clISt17integral_constantIbLb0EESZ_EEDaSU_SV_EUlSU_E_NS1_11comp_targetILNS1_3genE3ELNS1_11target_archE908ELNS1_3gpuE7ELNS1_3repE0EEENS1_30default_config_static_selectorELNS0_4arch9wavefront6targetE1EEEvT1_,@function
_ZN7rocprim17ROCPRIM_400000_NS6detail17trampoline_kernelINS0_14default_configENS1_20scan_config_selectorIN3c107complexIdEEEEZZNS1_9scan_implILNS1_25lookback_scan_determinismE0ELb0ELb0ES3_PKS7_PS7_S7_ZZZN2at6native31launch_logcumsumexp_cuda_kernelERKNSE_10TensorBaseESI_lENKUlvE_clEvENKUlvE1_clEvEUlS7_S7_E_S7_EEDaPvRmT3_T4_T5_mT6_P12ihipStream_tbENKUlT_T0_E_clISt17integral_constantIbLb0EESZ_EEDaSU_SV_EUlSU_E_NS1_11comp_targetILNS1_3genE3ELNS1_11target_archE908ELNS1_3gpuE7ELNS1_3repE0EEENS1_30default_config_static_selectorELNS0_4arch9wavefront6targetE1EEEvT1_: ; @_ZN7rocprim17ROCPRIM_400000_NS6detail17trampoline_kernelINS0_14default_configENS1_20scan_config_selectorIN3c107complexIdEEEEZZNS1_9scan_implILNS1_25lookback_scan_determinismE0ELb0ELb0ES3_PKS7_PS7_S7_ZZZN2at6native31launch_logcumsumexp_cuda_kernelERKNSE_10TensorBaseESI_lENKUlvE_clEvENKUlvE1_clEvEUlS7_S7_E_S7_EEDaPvRmT3_T4_T5_mT6_P12ihipStream_tbENKUlT_T0_E_clISt17integral_constantIbLb0EESZ_EEDaSU_SV_EUlSU_E_NS1_11comp_targetILNS1_3genE3ELNS1_11target_archE908ELNS1_3gpuE7ELNS1_3repE0EEENS1_30default_config_static_selectorELNS0_4arch9wavefront6targetE1EEEvT1_
; %bb.0:
	.section	.rodata,"a",@progbits
	.p2align	6, 0x0
	.amdhsa_kernel _ZN7rocprim17ROCPRIM_400000_NS6detail17trampoline_kernelINS0_14default_configENS1_20scan_config_selectorIN3c107complexIdEEEEZZNS1_9scan_implILNS1_25lookback_scan_determinismE0ELb0ELb0ES3_PKS7_PS7_S7_ZZZN2at6native31launch_logcumsumexp_cuda_kernelERKNSE_10TensorBaseESI_lENKUlvE_clEvENKUlvE1_clEvEUlS7_S7_E_S7_EEDaPvRmT3_T4_T5_mT6_P12ihipStream_tbENKUlT_T0_E_clISt17integral_constantIbLb0EESZ_EEDaSU_SV_EUlSU_E_NS1_11comp_targetILNS1_3genE3ELNS1_11target_archE908ELNS1_3gpuE7ELNS1_3repE0EEENS1_30default_config_static_selectorELNS0_4arch9wavefront6targetE1EEEvT1_
		.amdhsa_group_segment_fixed_size 0
		.amdhsa_private_segment_fixed_size 0
		.amdhsa_kernarg_size 128
		.amdhsa_user_sgpr_count 2
		.amdhsa_user_sgpr_dispatch_ptr 0
		.amdhsa_user_sgpr_queue_ptr 0
		.amdhsa_user_sgpr_kernarg_segment_ptr 1
		.amdhsa_user_sgpr_dispatch_id 0
		.amdhsa_user_sgpr_kernarg_preload_length 0
		.amdhsa_user_sgpr_kernarg_preload_offset 0
		.amdhsa_user_sgpr_private_segment_size 0
		.amdhsa_uses_dynamic_stack 0
		.amdhsa_enable_private_segment 0
		.amdhsa_system_sgpr_workgroup_id_x 1
		.amdhsa_system_sgpr_workgroup_id_y 0
		.amdhsa_system_sgpr_workgroup_id_z 0
		.amdhsa_system_sgpr_workgroup_info 0
		.amdhsa_system_vgpr_workitem_id 0
		.amdhsa_next_free_vgpr 1
		.amdhsa_next_free_sgpr 0
		.amdhsa_accum_offset 4
		.amdhsa_reserve_vcc 0
		.amdhsa_float_round_mode_32 0
		.amdhsa_float_round_mode_16_64 0
		.amdhsa_float_denorm_mode_32 3
		.amdhsa_float_denorm_mode_16_64 3
		.amdhsa_dx10_clamp 1
		.amdhsa_ieee_mode 1
		.amdhsa_fp16_overflow 0
		.amdhsa_tg_split 0
		.amdhsa_exception_fp_ieee_invalid_op 0
		.amdhsa_exception_fp_denorm_src 0
		.amdhsa_exception_fp_ieee_div_zero 0
		.amdhsa_exception_fp_ieee_overflow 0
		.amdhsa_exception_fp_ieee_underflow 0
		.amdhsa_exception_fp_ieee_inexact 0
		.amdhsa_exception_int_div_zero 0
	.end_amdhsa_kernel
	.section	.text._ZN7rocprim17ROCPRIM_400000_NS6detail17trampoline_kernelINS0_14default_configENS1_20scan_config_selectorIN3c107complexIdEEEEZZNS1_9scan_implILNS1_25lookback_scan_determinismE0ELb0ELb0ES3_PKS7_PS7_S7_ZZZN2at6native31launch_logcumsumexp_cuda_kernelERKNSE_10TensorBaseESI_lENKUlvE_clEvENKUlvE1_clEvEUlS7_S7_E_S7_EEDaPvRmT3_T4_T5_mT6_P12ihipStream_tbENKUlT_T0_E_clISt17integral_constantIbLb0EESZ_EEDaSU_SV_EUlSU_E_NS1_11comp_targetILNS1_3genE3ELNS1_11target_archE908ELNS1_3gpuE7ELNS1_3repE0EEENS1_30default_config_static_selectorELNS0_4arch9wavefront6targetE1EEEvT1_,"axG",@progbits,_ZN7rocprim17ROCPRIM_400000_NS6detail17trampoline_kernelINS0_14default_configENS1_20scan_config_selectorIN3c107complexIdEEEEZZNS1_9scan_implILNS1_25lookback_scan_determinismE0ELb0ELb0ES3_PKS7_PS7_S7_ZZZN2at6native31launch_logcumsumexp_cuda_kernelERKNSE_10TensorBaseESI_lENKUlvE_clEvENKUlvE1_clEvEUlS7_S7_E_S7_EEDaPvRmT3_T4_T5_mT6_P12ihipStream_tbENKUlT_T0_E_clISt17integral_constantIbLb0EESZ_EEDaSU_SV_EUlSU_E_NS1_11comp_targetILNS1_3genE3ELNS1_11target_archE908ELNS1_3gpuE7ELNS1_3repE0EEENS1_30default_config_static_selectorELNS0_4arch9wavefront6targetE1EEEvT1_,comdat
.Lfunc_end179:
	.size	_ZN7rocprim17ROCPRIM_400000_NS6detail17trampoline_kernelINS0_14default_configENS1_20scan_config_selectorIN3c107complexIdEEEEZZNS1_9scan_implILNS1_25lookback_scan_determinismE0ELb0ELb0ES3_PKS7_PS7_S7_ZZZN2at6native31launch_logcumsumexp_cuda_kernelERKNSE_10TensorBaseESI_lENKUlvE_clEvENKUlvE1_clEvEUlS7_S7_E_S7_EEDaPvRmT3_T4_T5_mT6_P12ihipStream_tbENKUlT_T0_E_clISt17integral_constantIbLb0EESZ_EEDaSU_SV_EUlSU_E_NS1_11comp_targetILNS1_3genE3ELNS1_11target_archE908ELNS1_3gpuE7ELNS1_3repE0EEENS1_30default_config_static_selectorELNS0_4arch9wavefront6targetE1EEEvT1_, .Lfunc_end179-_ZN7rocprim17ROCPRIM_400000_NS6detail17trampoline_kernelINS0_14default_configENS1_20scan_config_selectorIN3c107complexIdEEEEZZNS1_9scan_implILNS1_25lookback_scan_determinismE0ELb0ELb0ES3_PKS7_PS7_S7_ZZZN2at6native31launch_logcumsumexp_cuda_kernelERKNSE_10TensorBaseESI_lENKUlvE_clEvENKUlvE1_clEvEUlS7_S7_E_S7_EEDaPvRmT3_T4_T5_mT6_P12ihipStream_tbENKUlT_T0_E_clISt17integral_constantIbLb0EESZ_EEDaSU_SV_EUlSU_E_NS1_11comp_targetILNS1_3genE3ELNS1_11target_archE908ELNS1_3gpuE7ELNS1_3repE0EEENS1_30default_config_static_selectorELNS0_4arch9wavefront6targetE1EEEvT1_
                                        ; -- End function
	.set _ZN7rocprim17ROCPRIM_400000_NS6detail17trampoline_kernelINS0_14default_configENS1_20scan_config_selectorIN3c107complexIdEEEEZZNS1_9scan_implILNS1_25lookback_scan_determinismE0ELb0ELb0ES3_PKS7_PS7_S7_ZZZN2at6native31launch_logcumsumexp_cuda_kernelERKNSE_10TensorBaseESI_lENKUlvE_clEvENKUlvE1_clEvEUlS7_S7_E_S7_EEDaPvRmT3_T4_T5_mT6_P12ihipStream_tbENKUlT_T0_E_clISt17integral_constantIbLb0EESZ_EEDaSU_SV_EUlSU_E_NS1_11comp_targetILNS1_3genE3ELNS1_11target_archE908ELNS1_3gpuE7ELNS1_3repE0EEENS1_30default_config_static_selectorELNS0_4arch9wavefront6targetE1EEEvT1_.num_vgpr, 0
	.set _ZN7rocprim17ROCPRIM_400000_NS6detail17trampoline_kernelINS0_14default_configENS1_20scan_config_selectorIN3c107complexIdEEEEZZNS1_9scan_implILNS1_25lookback_scan_determinismE0ELb0ELb0ES3_PKS7_PS7_S7_ZZZN2at6native31launch_logcumsumexp_cuda_kernelERKNSE_10TensorBaseESI_lENKUlvE_clEvENKUlvE1_clEvEUlS7_S7_E_S7_EEDaPvRmT3_T4_T5_mT6_P12ihipStream_tbENKUlT_T0_E_clISt17integral_constantIbLb0EESZ_EEDaSU_SV_EUlSU_E_NS1_11comp_targetILNS1_3genE3ELNS1_11target_archE908ELNS1_3gpuE7ELNS1_3repE0EEENS1_30default_config_static_selectorELNS0_4arch9wavefront6targetE1EEEvT1_.num_agpr, 0
	.set _ZN7rocprim17ROCPRIM_400000_NS6detail17trampoline_kernelINS0_14default_configENS1_20scan_config_selectorIN3c107complexIdEEEEZZNS1_9scan_implILNS1_25lookback_scan_determinismE0ELb0ELb0ES3_PKS7_PS7_S7_ZZZN2at6native31launch_logcumsumexp_cuda_kernelERKNSE_10TensorBaseESI_lENKUlvE_clEvENKUlvE1_clEvEUlS7_S7_E_S7_EEDaPvRmT3_T4_T5_mT6_P12ihipStream_tbENKUlT_T0_E_clISt17integral_constantIbLb0EESZ_EEDaSU_SV_EUlSU_E_NS1_11comp_targetILNS1_3genE3ELNS1_11target_archE908ELNS1_3gpuE7ELNS1_3repE0EEENS1_30default_config_static_selectorELNS0_4arch9wavefront6targetE1EEEvT1_.numbered_sgpr, 0
	.set _ZN7rocprim17ROCPRIM_400000_NS6detail17trampoline_kernelINS0_14default_configENS1_20scan_config_selectorIN3c107complexIdEEEEZZNS1_9scan_implILNS1_25lookback_scan_determinismE0ELb0ELb0ES3_PKS7_PS7_S7_ZZZN2at6native31launch_logcumsumexp_cuda_kernelERKNSE_10TensorBaseESI_lENKUlvE_clEvENKUlvE1_clEvEUlS7_S7_E_S7_EEDaPvRmT3_T4_T5_mT6_P12ihipStream_tbENKUlT_T0_E_clISt17integral_constantIbLb0EESZ_EEDaSU_SV_EUlSU_E_NS1_11comp_targetILNS1_3genE3ELNS1_11target_archE908ELNS1_3gpuE7ELNS1_3repE0EEENS1_30default_config_static_selectorELNS0_4arch9wavefront6targetE1EEEvT1_.num_named_barrier, 0
	.set _ZN7rocprim17ROCPRIM_400000_NS6detail17trampoline_kernelINS0_14default_configENS1_20scan_config_selectorIN3c107complexIdEEEEZZNS1_9scan_implILNS1_25lookback_scan_determinismE0ELb0ELb0ES3_PKS7_PS7_S7_ZZZN2at6native31launch_logcumsumexp_cuda_kernelERKNSE_10TensorBaseESI_lENKUlvE_clEvENKUlvE1_clEvEUlS7_S7_E_S7_EEDaPvRmT3_T4_T5_mT6_P12ihipStream_tbENKUlT_T0_E_clISt17integral_constantIbLb0EESZ_EEDaSU_SV_EUlSU_E_NS1_11comp_targetILNS1_3genE3ELNS1_11target_archE908ELNS1_3gpuE7ELNS1_3repE0EEENS1_30default_config_static_selectorELNS0_4arch9wavefront6targetE1EEEvT1_.private_seg_size, 0
	.set _ZN7rocprim17ROCPRIM_400000_NS6detail17trampoline_kernelINS0_14default_configENS1_20scan_config_selectorIN3c107complexIdEEEEZZNS1_9scan_implILNS1_25lookback_scan_determinismE0ELb0ELb0ES3_PKS7_PS7_S7_ZZZN2at6native31launch_logcumsumexp_cuda_kernelERKNSE_10TensorBaseESI_lENKUlvE_clEvENKUlvE1_clEvEUlS7_S7_E_S7_EEDaPvRmT3_T4_T5_mT6_P12ihipStream_tbENKUlT_T0_E_clISt17integral_constantIbLb0EESZ_EEDaSU_SV_EUlSU_E_NS1_11comp_targetILNS1_3genE3ELNS1_11target_archE908ELNS1_3gpuE7ELNS1_3repE0EEENS1_30default_config_static_selectorELNS0_4arch9wavefront6targetE1EEEvT1_.uses_vcc, 0
	.set _ZN7rocprim17ROCPRIM_400000_NS6detail17trampoline_kernelINS0_14default_configENS1_20scan_config_selectorIN3c107complexIdEEEEZZNS1_9scan_implILNS1_25lookback_scan_determinismE0ELb0ELb0ES3_PKS7_PS7_S7_ZZZN2at6native31launch_logcumsumexp_cuda_kernelERKNSE_10TensorBaseESI_lENKUlvE_clEvENKUlvE1_clEvEUlS7_S7_E_S7_EEDaPvRmT3_T4_T5_mT6_P12ihipStream_tbENKUlT_T0_E_clISt17integral_constantIbLb0EESZ_EEDaSU_SV_EUlSU_E_NS1_11comp_targetILNS1_3genE3ELNS1_11target_archE908ELNS1_3gpuE7ELNS1_3repE0EEENS1_30default_config_static_selectorELNS0_4arch9wavefront6targetE1EEEvT1_.uses_flat_scratch, 0
	.set _ZN7rocprim17ROCPRIM_400000_NS6detail17trampoline_kernelINS0_14default_configENS1_20scan_config_selectorIN3c107complexIdEEEEZZNS1_9scan_implILNS1_25lookback_scan_determinismE0ELb0ELb0ES3_PKS7_PS7_S7_ZZZN2at6native31launch_logcumsumexp_cuda_kernelERKNSE_10TensorBaseESI_lENKUlvE_clEvENKUlvE1_clEvEUlS7_S7_E_S7_EEDaPvRmT3_T4_T5_mT6_P12ihipStream_tbENKUlT_T0_E_clISt17integral_constantIbLb0EESZ_EEDaSU_SV_EUlSU_E_NS1_11comp_targetILNS1_3genE3ELNS1_11target_archE908ELNS1_3gpuE7ELNS1_3repE0EEENS1_30default_config_static_selectorELNS0_4arch9wavefront6targetE1EEEvT1_.has_dyn_sized_stack, 0
	.set _ZN7rocprim17ROCPRIM_400000_NS6detail17trampoline_kernelINS0_14default_configENS1_20scan_config_selectorIN3c107complexIdEEEEZZNS1_9scan_implILNS1_25lookback_scan_determinismE0ELb0ELb0ES3_PKS7_PS7_S7_ZZZN2at6native31launch_logcumsumexp_cuda_kernelERKNSE_10TensorBaseESI_lENKUlvE_clEvENKUlvE1_clEvEUlS7_S7_E_S7_EEDaPvRmT3_T4_T5_mT6_P12ihipStream_tbENKUlT_T0_E_clISt17integral_constantIbLb0EESZ_EEDaSU_SV_EUlSU_E_NS1_11comp_targetILNS1_3genE3ELNS1_11target_archE908ELNS1_3gpuE7ELNS1_3repE0EEENS1_30default_config_static_selectorELNS0_4arch9wavefront6targetE1EEEvT1_.has_recursion, 0
	.set _ZN7rocprim17ROCPRIM_400000_NS6detail17trampoline_kernelINS0_14default_configENS1_20scan_config_selectorIN3c107complexIdEEEEZZNS1_9scan_implILNS1_25lookback_scan_determinismE0ELb0ELb0ES3_PKS7_PS7_S7_ZZZN2at6native31launch_logcumsumexp_cuda_kernelERKNSE_10TensorBaseESI_lENKUlvE_clEvENKUlvE1_clEvEUlS7_S7_E_S7_EEDaPvRmT3_T4_T5_mT6_P12ihipStream_tbENKUlT_T0_E_clISt17integral_constantIbLb0EESZ_EEDaSU_SV_EUlSU_E_NS1_11comp_targetILNS1_3genE3ELNS1_11target_archE908ELNS1_3gpuE7ELNS1_3repE0EEENS1_30default_config_static_selectorELNS0_4arch9wavefront6targetE1EEEvT1_.has_indirect_call, 0
	.section	.AMDGPU.csdata,"",@progbits
; Kernel info:
; codeLenInByte = 0
; TotalNumSgprs: 6
; NumVgprs: 0
; NumAgprs: 0
; TotalNumVgprs: 0
; ScratchSize: 0
; MemoryBound: 0
; FloatMode: 240
; IeeeMode: 1
; LDSByteSize: 0 bytes/workgroup (compile time only)
; SGPRBlocks: 0
; VGPRBlocks: 0
; NumSGPRsForWavesPerEU: 6
; NumVGPRsForWavesPerEU: 1
; AccumOffset: 4
; Occupancy: 8
; WaveLimiterHint : 0
; COMPUTE_PGM_RSRC2:SCRATCH_EN: 0
; COMPUTE_PGM_RSRC2:USER_SGPR: 2
; COMPUTE_PGM_RSRC2:TRAP_HANDLER: 0
; COMPUTE_PGM_RSRC2:TGID_X_EN: 1
; COMPUTE_PGM_RSRC2:TGID_Y_EN: 0
; COMPUTE_PGM_RSRC2:TGID_Z_EN: 0
; COMPUTE_PGM_RSRC2:TIDIG_COMP_CNT: 0
; COMPUTE_PGM_RSRC3_GFX90A:ACCUM_OFFSET: 0
; COMPUTE_PGM_RSRC3_GFX90A:TG_SPLIT: 0
	.section	.text._ZN7rocprim17ROCPRIM_400000_NS6detail17trampoline_kernelINS0_14default_configENS1_20scan_config_selectorIN3c107complexIdEEEEZZNS1_9scan_implILNS1_25lookback_scan_determinismE0ELb0ELb0ES3_PKS7_PS7_S7_ZZZN2at6native31launch_logcumsumexp_cuda_kernelERKNSE_10TensorBaseESI_lENKUlvE_clEvENKUlvE1_clEvEUlS7_S7_E_S7_EEDaPvRmT3_T4_T5_mT6_P12ihipStream_tbENKUlT_T0_E_clISt17integral_constantIbLb0EESZ_EEDaSU_SV_EUlSU_E_NS1_11comp_targetILNS1_3genE2ELNS1_11target_archE906ELNS1_3gpuE6ELNS1_3repE0EEENS1_30default_config_static_selectorELNS0_4arch9wavefront6targetE1EEEvT1_,"axG",@progbits,_ZN7rocprim17ROCPRIM_400000_NS6detail17trampoline_kernelINS0_14default_configENS1_20scan_config_selectorIN3c107complexIdEEEEZZNS1_9scan_implILNS1_25lookback_scan_determinismE0ELb0ELb0ES3_PKS7_PS7_S7_ZZZN2at6native31launch_logcumsumexp_cuda_kernelERKNSE_10TensorBaseESI_lENKUlvE_clEvENKUlvE1_clEvEUlS7_S7_E_S7_EEDaPvRmT3_T4_T5_mT6_P12ihipStream_tbENKUlT_T0_E_clISt17integral_constantIbLb0EESZ_EEDaSU_SV_EUlSU_E_NS1_11comp_targetILNS1_3genE2ELNS1_11target_archE906ELNS1_3gpuE6ELNS1_3repE0EEENS1_30default_config_static_selectorELNS0_4arch9wavefront6targetE1EEEvT1_,comdat
	.globl	_ZN7rocprim17ROCPRIM_400000_NS6detail17trampoline_kernelINS0_14default_configENS1_20scan_config_selectorIN3c107complexIdEEEEZZNS1_9scan_implILNS1_25lookback_scan_determinismE0ELb0ELb0ES3_PKS7_PS7_S7_ZZZN2at6native31launch_logcumsumexp_cuda_kernelERKNSE_10TensorBaseESI_lENKUlvE_clEvENKUlvE1_clEvEUlS7_S7_E_S7_EEDaPvRmT3_T4_T5_mT6_P12ihipStream_tbENKUlT_T0_E_clISt17integral_constantIbLb0EESZ_EEDaSU_SV_EUlSU_E_NS1_11comp_targetILNS1_3genE2ELNS1_11target_archE906ELNS1_3gpuE6ELNS1_3repE0EEENS1_30default_config_static_selectorELNS0_4arch9wavefront6targetE1EEEvT1_ ; -- Begin function _ZN7rocprim17ROCPRIM_400000_NS6detail17trampoline_kernelINS0_14default_configENS1_20scan_config_selectorIN3c107complexIdEEEEZZNS1_9scan_implILNS1_25lookback_scan_determinismE0ELb0ELb0ES3_PKS7_PS7_S7_ZZZN2at6native31launch_logcumsumexp_cuda_kernelERKNSE_10TensorBaseESI_lENKUlvE_clEvENKUlvE1_clEvEUlS7_S7_E_S7_EEDaPvRmT3_T4_T5_mT6_P12ihipStream_tbENKUlT_T0_E_clISt17integral_constantIbLb0EESZ_EEDaSU_SV_EUlSU_E_NS1_11comp_targetILNS1_3genE2ELNS1_11target_archE906ELNS1_3gpuE6ELNS1_3repE0EEENS1_30default_config_static_selectorELNS0_4arch9wavefront6targetE1EEEvT1_
	.p2align	8
	.type	_ZN7rocprim17ROCPRIM_400000_NS6detail17trampoline_kernelINS0_14default_configENS1_20scan_config_selectorIN3c107complexIdEEEEZZNS1_9scan_implILNS1_25lookback_scan_determinismE0ELb0ELb0ES3_PKS7_PS7_S7_ZZZN2at6native31launch_logcumsumexp_cuda_kernelERKNSE_10TensorBaseESI_lENKUlvE_clEvENKUlvE1_clEvEUlS7_S7_E_S7_EEDaPvRmT3_T4_T5_mT6_P12ihipStream_tbENKUlT_T0_E_clISt17integral_constantIbLb0EESZ_EEDaSU_SV_EUlSU_E_NS1_11comp_targetILNS1_3genE2ELNS1_11target_archE906ELNS1_3gpuE6ELNS1_3repE0EEENS1_30default_config_static_selectorELNS0_4arch9wavefront6targetE1EEEvT1_,@function
_ZN7rocprim17ROCPRIM_400000_NS6detail17trampoline_kernelINS0_14default_configENS1_20scan_config_selectorIN3c107complexIdEEEEZZNS1_9scan_implILNS1_25lookback_scan_determinismE0ELb0ELb0ES3_PKS7_PS7_S7_ZZZN2at6native31launch_logcumsumexp_cuda_kernelERKNSE_10TensorBaseESI_lENKUlvE_clEvENKUlvE1_clEvEUlS7_S7_E_S7_EEDaPvRmT3_T4_T5_mT6_P12ihipStream_tbENKUlT_T0_E_clISt17integral_constantIbLb0EESZ_EEDaSU_SV_EUlSU_E_NS1_11comp_targetILNS1_3genE2ELNS1_11target_archE906ELNS1_3gpuE6ELNS1_3repE0EEENS1_30default_config_static_selectorELNS0_4arch9wavefront6targetE1EEEvT1_: ; @_ZN7rocprim17ROCPRIM_400000_NS6detail17trampoline_kernelINS0_14default_configENS1_20scan_config_selectorIN3c107complexIdEEEEZZNS1_9scan_implILNS1_25lookback_scan_determinismE0ELb0ELb0ES3_PKS7_PS7_S7_ZZZN2at6native31launch_logcumsumexp_cuda_kernelERKNSE_10TensorBaseESI_lENKUlvE_clEvENKUlvE1_clEvEUlS7_S7_E_S7_EEDaPvRmT3_T4_T5_mT6_P12ihipStream_tbENKUlT_T0_E_clISt17integral_constantIbLb0EESZ_EEDaSU_SV_EUlSU_E_NS1_11comp_targetILNS1_3genE2ELNS1_11target_archE906ELNS1_3gpuE6ELNS1_3repE0EEENS1_30default_config_static_selectorELNS0_4arch9wavefront6targetE1EEEvT1_
; %bb.0:
	.section	.rodata,"a",@progbits
	.p2align	6, 0x0
	.amdhsa_kernel _ZN7rocprim17ROCPRIM_400000_NS6detail17trampoline_kernelINS0_14default_configENS1_20scan_config_selectorIN3c107complexIdEEEEZZNS1_9scan_implILNS1_25lookback_scan_determinismE0ELb0ELb0ES3_PKS7_PS7_S7_ZZZN2at6native31launch_logcumsumexp_cuda_kernelERKNSE_10TensorBaseESI_lENKUlvE_clEvENKUlvE1_clEvEUlS7_S7_E_S7_EEDaPvRmT3_T4_T5_mT6_P12ihipStream_tbENKUlT_T0_E_clISt17integral_constantIbLb0EESZ_EEDaSU_SV_EUlSU_E_NS1_11comp_targetILNS1_3genE2ELNS1_11target_archE906ELNS1_3gpuE6ELNS1_3repE0EEENS1_30default_config_static_selectorELNS0_4arch9wavefront6targetE1EEEvT1_
		.amdhsa_group_segment_fixed_size 0
		.amdhsa_private_segment_fixed_size 0
		.amdhsa_kernarg_size 128
		.amdhsa_user_sgpr_count 2
		.amdhsa_user_sgpr_dispatch_ptr 0
		.amdhsa_user_sgpr_queue_ptr 0
		.amdhsa_user_sgpr_kernarg_segment_ptr 1
		.amdhsa_user_sgpr_dispatch_id 0
		.amdhsa_user_sgpr_kernarg_preload_length 0
		.amdhsa_user_sgpr_kernarg_preload_offset 0
		.amdhsa_user_sgpr_private_segment_size 0
		.amdhsa_uses_dynamic_stack 0
		.amdhsa_enable_private_segment 0
		.amdhsa_system_sgpr_workgroup_id_x 1
		.amdhsa_system_sgpr_workgroup_id_y 0
		.amdhsa_system_sgpr_workgroup_id_z 0
		.amdhsa_system_sgpr_workgroup_info 0
		.amdhsa_system_vgpr_workitem_id 0
		.amdhsa_next_free_vgpr 1
		.amdhsa_next_free_sgpr 0
		.amdhsa_accum_offset 4
		.amdhsa_reserve_vcc 0
		.amdhsa_float_round_mode_32 0
		.amdhsa_float_round_mode_16_64 0
		.amdhsa_float_denorm_mode_32 3
		.amdhsa_float_denorm_mode_16_64 3
		.amdhsa_dx10_clamp 1
		.amdhsa_ieee_mode 1
		.amdhsa_fp16_overflow 0
		.amdhsa_tg_split 0
		.amdhsa_exception_fp_ieee_invalid_op 0
		.amdhsa_exception_fp_denorm_src 0
		.amdhsa_exception_fp_ieee_div_zero 0
		.amdhsa_exception_fp_ieee_overflow 0
		.amdhsa_exception_fp_ieee_underflow 0
		.amdhsa_exception_fp_ieee_inexact 0
		.amdhsa_exception_int_div_zero 0
	.end_amdhsa_kernel
	.section	.text._ZN7rocprim17ROCPRIM_400000_NS6detail17trampoline_kernelINS0_14default_configENS1_20scan_config_selectorIN3c107complexIdEEEEZZNS1_9scan_implILNS1_25lookback_scan_determinismE0ELb0ELb0ES3_PKS7_PS7_S7_ZZZN2at6native31launch_logcumsumexp_cuda_kernelERKNSE_10TensorBaseESI_lENKUlvE_clEvENKUlvE1_clEvEUlS7_S7_E_S7_EEDaPvRmT3_T4_T5_mT6_P12ihipStream_tbENKUlT_T0_E_clISt17integral_constantIbLb0EESZ_EEDaSU_SV_EUlSU_E_NS1_11comp_targetILNS1_3genE2ELNS1_11target_archE906ELNS1_3gpuE6ELNS1_3repE0EEENS1_30default_config_static_selectorELNS0_4arch9wavefront6targetE1EEEvT1_,"axG",@progbits,_ZN7rocprim17ROCPRIM_400000_NS6detail17trampoline_kernelINS0_14default_configENS1_20scan_config_selectorIN3c107complexIdEEEEZZNS1_9scan_implILNS1_25lookback_scan_determinismE0ELb0ELb0ES3_PKS7_PS7_S7_ZZZN2at6native31launch_logcumsumexp_cuda_kernelERKNSE_10TensorBaseESI_lENKUlvE_clEvENKUlvE1_clEvEUlS7_S7_E_S7_EEDaPvRmT3_T4_T5_mT6_P12ihipStream_tbENKUlT_T0_E_clISt17integral_constantIbLb0EESZ_EEDaSU_SV_EUlSU_E_NS1_11comp_targetILNS1_3genE2ELNS1_11target_archE906ELNS1_3gpuE6ELNS1_3repE0EEENS1_30default_config_static_selectorELNS0_4arch9wavefront6targetE1EEEvT1_,comdat
.Lfunc_end180:
	.size	_ZN7rocprim17ROCPRIM_400000_NS6detail17trampoline_kernelINS0_14default_configENS1_20scan_config_selectorIN3c107complexIdEEEEZZNS1_9scan_implILNS1_25lookback_scan_determinismE0ELb0ELb0ES3_PKS7_PS7_S7_ZZZN2at6native31launch_logcumsumexp_cuda_kernelERKNSE_10TensorBaseESI_lENKUlvE_clEvENKUlvE1_clEvEUlS7_S7_E_S7_EEDaPvRmT3_T4_T5_mT6_P12ihipStream_tbENKUlT_T0_E_clISt17integral_constantIbLb0EESZ_EEDaSU_SV_EUlSU_E_NS1_11comp_targetILNS1_3genE2ELNS1_11target_archE906ELNS1_3gpuE6ELNS1_3repE0EEENS1_30default_config_static_selectorELNS0_4arch9wavefront6targetE1EEEvT1_, .Lfunc_end180-_ZN7rocprim17ROCPRIM_400000_NS6detail17trampoline_kernelINS0_14default_configENS1_20scan_config_selectorIN3c107complexIdEEEEZZNS1_9scan_implILNS1_25lookback_scan_determinismE0ELb0ELb0ES3_PKS7_PS7_S7_ZZZN2at6native31launch_logcumsumexp_cuda_kernelERKNSE_10TensorBaseESI_lENKUlvE_clEvENKUlvE1_clEvEUlS7_S7_E_S7_EEDaPvRmT3_T4_T5_mT6_P12ihipStream_tbENKUlT_T0_E_clISt17integral_constantIbLb0EESZ_EEDaSU_SV_EUlSU_E_NS1_11comp_targetILNS1_3genE2ELNS1_11target_archE906ELNS1_3gpuE6ELNS1_3repE0EEENS1_30default_config_static_selectorELNS0_4arch9wavefront6targetE1EEEvT1_
                                        ; -- End function
	.set _ZN7rocprim17ROCPRIM_400000_NS6detail17trampoline_kernelINS0_14default_configENS1_20scan_config_selectorIN3c107complexIdEEEEZZNS1_9scan_implILNS1_25lookback_scan_determinismE0ELb0ELb0ES3_PKS7_PS7_S7_ZZZN2at6native31launch_logcumsumexp_cuda_kernelERKNSE_10TensorBaseESI_lENKUlvE_clEvENKUlvE1_clEvEUlS7_S7_E_S7_EEDaPvRmT3_T4_T5_mT6_P12ihipStream_tbENKUlT_T0_E_clISt17integral_constantIbLb0EESZ_EEDaSU_SV_EUlSU_E_NS1_11comp_targetILNS1_3genE2ELNS1_11target_archE906ELNS1_3gpuE6ELNS1_3repE0EEENS1_30default_config_static_selectorELNS0_4arch9wavefront6targetE1EEEvT1_.num_vgpr, 0
	.set _ZN7rocprim17ROCPRIM_400000_NS6detail17trampoline_kernelINS0_14default_configENS1_20scan_config_selectorIN3c107complexIdEEEEZZNS1_9scan_implILNS1_25lookback_scan_determinismE0ELb0ELb0ES3_PKS7_PS7_S7_ZZZN2at6native31launch_logcumsumexp_cuda_kernelERKNSE_10TensorBaseESI_lENKUlvE_clEvENKUlvE1_clEvEUlS7_S7_E_S7_EEDaPvRmT3_T4_T5_mT6_P12ihipStream_tbENKUlT_T0_E_clISt17integral_constantIbLb0EESZ_EEDaSU_SV_EUlSU_E_NS1_11comp_targetILNS1_3genE2ELNS1_11target_archE906ELNS1_3gpuE6ELNS1_3repE0EEENS1_30default_config_static_selectorELNS0_4arch9wavefront6targetE1EEEvT1_.num_agpr, 0
	.set _ZN7rocprim17ROCPRIM_400000_NS6detail17trampoline_kernelINS0_14default_configENS1_20scan_config_selectorIN3c107complexIdEEEEZZNS1_9scan_implILNS1_25lookback_scan_determinismE0ELb0ELb0ES3_PKS7_PS7_S7_ZZZN2at6native31launch_logcumsumexp_cuda_kernelERKNSE_10TensorBaseESI_lENKUlvE_clEvENKUlvE1_clEvEUlS7_S7_E_S7_EEDaPvRmT3_T4_T5_mT6_P12ihipStream_tbENKUlT_T0_E_clISt17integral_constantIbLb0EESZ_EEDaSU_SV_EUlSU_E_NS1_11comp_targetILNS1_3genE2ELNS1_11target_archE906ELNS1_3gpuE6ELNS1_3repE0EEENS1_30default_config_static_selectorELNS0_4arch9wavefront6targetE1EEEvT1_.numbered_sgpr, 0
	.set _ZN7rocprim17ROCPRIM_400000_NS6detail17trampoline_kernelINS0_14default_configENS1_20scan_config_selectorIN3c107complexIdEEEEZZNS1_9scan_implILNS1_25lookback_scan_determinismE0ELb0ELb0ES3_PKS7_PS7_S7_ZZZN2at6native31launch_logcumsumexp_cuda_kernelERKNSE_10TensorBaseESI_lENKUlvE_clEvENKUlvE1_clEvEUlS7_S7_E_S7_EEDaPvRmT3_T4_T5_mT6_P12ihipStream_tbENKUlT_T0_E_clISt17integral_constantIbLb0EESZ_EEDaSU_SV_EUlSU_E_NS1_11comp_targetILNS1_3genE2ELNS1_11target_archE906ELNS1_3gpuE6ELNS1_3repE0EEENS1_30default_config_static_selectorELNS0_4arch9wavefront6targetE1EEEvT1_.num_named_barrier, 0
	.set _ZN7rocprim17ROCPRIM_400000_NS6detail17trampoline_kernelINS0_14default_configENS1_20scan_config_selectorIN3c107complexIdEEEEZZNS1_9scan_implILNS1_25lookback_scan_determinismE0ELb0ELb0ES3_PKS7_PS7_S7_ZZZN2at6native31launch_logcumsumexp_cuda_kernelERKNSE_10TensorBaseESI_lENKUlvE_clEvENKUlvE1_clEvEUlS7_S7_E_S7_EEDaPvRmT3_T4_T5_mT6_P12ihipStream_tbENKUlT_T0_E_clISt17integral_constantIbLb0EESZ_EEDaSU_SV_EUlSU_E_NS1_11comp_targetILNS1_3genE2ELNS1_11target_archE906ELNS1_3gpuE6ELNS1_3repE0EEENS1_30default_config_static_selectorELNS0_4arch9wavefront6targetE1EEEvT1_.private_seg_size, 0
	.set _ZN7rocprim17ROCPRIM_400000_NS6detail17trampoline_kernelINS0_14default_configENS1_20scan_config_selectorIN3c107complexIdEEEEZZNS1_9scan_implILNS1_25lookback_scan_determinismE0ELb0ELb0ES3_PKS7_PS7_S7_ZZZN2at6native31launch_logcumsumexp_cuda_kernelERKNSE_10TensorBaseESI_lENKUlvE_clEvENKUlvE1_clEvEUlS7_S7_E_S7_EEDaPvRmT3_T4_T5_mT6_P12ihipStream_tbENKUlT_T0_E_clISt17integral_constantIbLb0EESZ_EEDaSU_SV_EUlSU_E_NS1_11comp_targetILNS1_3genE2ELNS1_11target_archE906ELNS1_3gpuE6ELNS1_3repE0EEENS1_30default_config_static_selectorELNS0_4arch9wavefront6targetE1EEEvT1_.uses_vcc, 0
	.set _ZN7rocprim17ROCPRIM_400000_NS6detail17trampoline_kernelINS0_14default_configENS1_20scan_config_selectorIN3c107complexIdEEEEZZNS1_9scan_implILNS1_25lookback_scan_determinismE0ELb0ELb0ES3_PKS7_PS7_S7_ZZZN2at6native31launch_logcumsumexp_cuda_kernelERKNSE_10TensorBaseESI_lENKUlvE_clEvENKUlvE1_clEvEUlS7_S7_E_S7_EEDaPvRmT3_T4_T5_mT6_P12ihipStream_tbENKUlT_T0_E_clISt17integral_constantIbLb0EESZ_EEDaSU_SV_EUlSU_E_NS1_11comp_targetILNS1_3genE2ELNS1_11target_archE906ELNS1_3gpuE6ELNS1_3repE0EEENS1_30default_config_static_selectorELNS0_4arch9wavefront6targetE1EEEvT1_.uses_flat_scratch, 0
	.set _ZN7rocprim17ROCPRIM_400000_NS6detail17trampoline_kernelINS0_14default_configENS1_20scan_config_selectorIN3c107complexIdEEEEZZNS1_9scan_implILNS1_25lookback_scan_determinismE0ELb0ELb0ES3_PKS7_PS7_S7_ZZZN2at6native31launch_logcumsumexp_cuda_kernelERKNSE_10TensorBaseESI_lENKUlvE_clEvENKUlvE1_clEvEUlS7_S7_E_S7_EEDaPvRmT3_T4_T5_mT6_P12ihipStream_tbENKUlT_T0_E_clISt17integral_constantIbLb0EESZ_EEDaSU_SV_EUlSU_E_NS1_11comp_targetILNS1_3genE2ELNS1_11target_archE906ELNS1_3gpuE6ELNS1_3repE0EEENS1_30default_config_static_selectorELNS0_4arch9wavefront6targetE1EEEvT1_.has_dyn_sized_stack, 0
	.set _ZN7rocprim17ROCPRIM_400000_NS6detail17trampoline_kernelINS0_14default_configENS1_20scan_config_selectorIN3c107complexIdEEEEZZNS1_9scan_implILNS1_25lookback_scan_determinismE0ELb0ELb0ES3_PKS7_PS7_S7_ZZZN2at6native31launch_logcumsumexp_cuda_kernelERKNSE_10TensorBaseESI_lENKUlvE_clEvENKUlvE1_clEvEUlS7_S7_E_S7_EEDaPvRmT3_T4_T5_mT6_P12ihipStream_tbENKUlT_T0_E_clISt17integral_constantIbLb0EESZ_EEDaSU_SV_EUlSU_E_NS1_11comp_targetILNS1_3genE2ELNS1_11target_archE906ELNS1_3gpuE6ELNS1_3repE0EEENS1_30default_config_static_selectorELNS0_4arch9wavefront6targetE1EEEvT1_.has_recursion, 0
	.set _ZN7rocprim17ROCPRIM_400000_NS6detail17trampoline_kernelINS0_14default_configENS1_20scan_config_selectorIN3c107complexIdEEEEZZNS1_9scan_implILNS1_25lookback_scan_determinismE0ELb0ELb0ES3_PKS7_PS7_S7_ZZZN2at6native31launch_logcumsumexp_cuda_kernelERKNSE_10TensorBaseESI_lENKUlvE_clEvENKUlvE1_clEvEUlS7_S7_E_S7_EEDaPvRmT3_T4_T5_mT6_P12ihipStream_tbENKUlT_T0_E_clISt17integral_constantIbLb0EESZ_EEDaSU_SV_EUlSU_E_NS1_11comp_targetILNS1_3genE2ELNS1_11target_archE906ELNS1_3gpuE6ELNS1_3repE0EEENS1_30default_config_static_selectorELNS0_4arch9wavefront6targetE1EEEvT1_.has_indirect_call, 0
	.section	.AMDGPU.csdata,"",@progbits
; Kernel info:
; codeLenInByte = 0
; TotalNumSgprs: 6
; NumVgprs: 0
; NumAgprs: 0
; TotalNumVgprs: 0
; ScratchSize: 0
; MemoryBound: 0
; FloatMode: 240
; IeeeMode: 1
; LDSByteSize: 0 bytes/workgroup (compile time only)
; SGPRBlocks: 0
; VGPRBlocks: 0
; NumSGPRsForWavesPerEU: 6
; NumVGPRsForWavesPerEU: 1
; AccumOffset: 4
; Occupancy: 8
; WaveLimiterHint : 0
; COMPUTE_PGM_RSRC2:SCRATCH_EN: 0
; COMPUTE_PGM_RSRC2:USER_SGPR: 2
; COMPUTE_PGM_RSRC2:TRAP_HANDLER: 0
; COMPUTE_PGM_RSRC2:TGID_X_EN: 1
; COMPUTE_PGM_RSRC2:TGID_Y_EN: 0
; COMPUTE_PGM_RSRC2:TGID_Z_EN: 0
; COMPUTE_PGM_RSRC2:TIDIG_COMP_CNT: 0
; COMPUTE_PGM_RSRC3_GFX90A:ACCUM_OFFSET: 0
; COMPUTE_PGM_RSRC3_GFX90A:TG_SPLIT: 0
	.section	.text._ZN7rocprim17ROCPRIM_400000_NS6detail17trampoline_kernelINS0_14default_configENS1_20scan_config_selectorIN3c107complexIdEEEEZZNS1_9scan_implILNS1_25lookback_scan_determinismE0ELb0ELb0ES3_PKS7_PS7_S7_ZZZN2at6native31launch_logcumsumexp_cuda_kernelERKNSE_10TensorBaseESI_lENKUlvE_clEvENKUlvE1_clEvEUlS7_S7_E_S7_EEDaPvRmT3_T4_T5_mT6_P12ihipStream_tbENKUlT_T0_E_clISt17integral_constantIbLb0EESZ_EEDaSU_SV_EUlSU_E_NS1_11comp_targetILNS1_3genE10ELNS1_11target_archE1201ELNS1_3gpuE5ELNS1_3repE0EEENS1_30default_config_static_selectorELNS0_4arch9wavefront6targetE1EEEvT1_,"axG",@progbits,_ZN7rocprim17ROCPRIM_400000_NS6detail17trampoline_kernelINS0_14default_configENS1_20scan_config_selectorIN3c107complexIdEEEEZZNS1_9scan_implILNS1_25lookback_scan_determinismE0ELb0ELb0ES3_PKS7_PS7_S7_ZZZN2at6native31launch_logcumsumexp_cuda_kernelERKNSE_10TensorBaseESI_lENKUlvE_clEvENKUlvE1_clEvEUlS7_S7_E_S7_EEDaPvRmT3_T4_T5_mT6_P12ihipStream_tbENKUlT_T0_E_clISt17integral_constantIbLb0EESZ_EEDaSU_SV_EUlSU_E_NS1_11comp_targetILNS1_3genE10ELNS1_11target_archE1201ELNS1_3gpuE5ELNS1_3repE0EEENS1_30default_config_static_selectorELNS0_4arch9wavefront6targetE1EEEvT1_,comdat
	.globl	_ZN7rocprim17ROCPRIM_400000_NS6detail17trampoline_kernelINS0_14default_configENS1_20scan_config_selectorIN3c107complexIdEEEEZZNS1_9scan_implILNS1_25lookback_scan_determinismE0ELb0ELb0ES3_PKS7_PS7_S7_ZZZN2at6native31launch_logcumsumexp_cuda_kernelERKNSE_10TensorBaseESI_lENKUlvE_clEvENKUlvE1_clEvEUlS7_S7_E_S7_EEDaPvRmT3_T4_T5_mT6_P12ihipStream_tbENKUlT_T0_E_clISt17integral_constantIbLb0EESZ_EEDaSU_SV_EUlSU_E_NS1_11comp_targetILNS1_3genE10ELNS1_11target_archE1201ELNS1_3gpuE5ELNS1_3repE0EEENS1_30default_config_static_selectorELNS0_4arch9wavefront6targetE1EEEvT1_ ; -- Begin function _ZN7rocprim17ROCPRIM_400000_NS6detail17trampoline_kernelINS0_14default_configENS1_20scan_config_selectorIN3c107complexIdEEEEZZNS1_9scan_implILNS1_25lookback_scan_determinismE0ELb0ELb0ES3_PKS7_PS7_S7_ZZZN2at6native31launch_logcumsumexp_cuda_kernelERKNSE_10TensorBaseESI_lENKUlvE_clEvENKUlvE1_clEvEUlS7_S7_E_S7_EEDaPvRmT3_T4_T5_mT6_P12ihipStream_tbENKUlT_T0_E_clISt17integral_constantIbLb0EESZ_EEDaSU_SV_EUlSU_E_NS1_11comp_targetILNS1_3genE10ELNS1_11target_archE1201ELNS1_3gpuE5ELNS1_3repE0EEENS1_30default_config_static_selectorELNS0_4arch9wavefront6targetE1EEEvT1_
	.p2align	8
	.type	_ZN7rocprim17ROCPRIM_400000_NS6detail17trampoline_kernelINS0_14default_configENS1_20scan_config_selectorIN3c107complexIdEEEEZZNS1_9scan_implILNS1_25lookback_scan_determinismE0ELb0ELb0ES3_PKS7_PS7_S7_ZZZN2at6native31launch_logcumsumexp_cuda_kernelERKNSE_10TensorBaseESI_lENKUlvE_clEvENKUlvE1_clEvEUlS7_S7_E_S7_EEDaPvRmT3_T4_T5_mT6_P12ihipStream_tbENKUlT_T0_E_clISt17integral_constantIbLb0EESZ_EEDaSU_SV_EUlSU_E_NS1_11comp_targetILNS1_3genE10ELNS1_11target_archE1201ELNS1_3gpuE5ELNS1_3repE0EEENS1_30default_config_static_selectorELNS0_4arch9wavefront6targetE1EEEvT1_,@function
_ZN7rocprim17ROCPRIM_400000_NS6detail17trampoline_kernelINS0_14default_configENS1_20scan_config_selectorIN3c107complexIdEEEEZZNS1_9scan_implILNS1_25lookback_scan_determinismE0ELb0ELb0ES3_PKS7_PS7_S7_ZZZN2at6native31launch_logcumsumexp_cuda_kernelERKNSE_10TensorBaseESI_lENKUlvE_clEvENKUlvE1_clEvEUlS7_S7_E_S7_EEDaPvRmT3_T4_T5_mT6_P12ihipStream_tbENKUlT_T0_E_clISt17integral_constantIbLb0EESZ_EEDaSU_SV_EUlSU_E_NS1_11comp_targetILNS1_3genE10ELNS1_11target_archE1201ELNS1_3gpuE5ELNS1_3repE0EEENS1_30default_config_static_selectorELNS0_4arch9wavefront6targetE1EEEvT1_: ; @_ZN7rocprim17ROCPRIM_400000_NS6detail17trampoline_kernelINS0_14default_configENS1_20scan_config_selectorIN3c107complexIdEEEEZZNS1_9scan_implILNS1_25lookback_scan_determinismE0ELb0ELb0ES3_PKS7_PS7_S7_ZZZN2at6native31launch_logcumsumexp_cuda_kernelERKNSE_10TensorBaseESI_lENKUlvE_clEvENKUlvE1_clEvEUlS7_S7_E_S7_EEDaPvRmT3_T4_T5_mT6_P12ihipStream_tbENKUlT_T0_E_clISt17integral_constantIbLb0EESZ_EEDaSU_SV_EUlSU_E_NS1_11comp_targetILNS1_3genE10ELNS1_11target_archE1201ELNS1_3gpuE5ELNS1_3repE0EEENS1_30default_config_static_selectorELNS0_4arch9wavefront6targetE1EEEvT1_
; %bb.0:
	.section	.rodata,"a",@progbits
	.p2align	6, 0x0
	.amdhsa_kernel _ZN7rocprim17ROCPRIM_400000_NS6detail17trampoline_kernelINS0_14default_configENS1_20scan_config_selectorIN3c107complexIdEEEEZZNS1_9scan_implILNS1_25lookback_scan_determinismE0ELb0ELb0ES3_PKS7_PS7_S7_ZZZN2at6native31launch_logcumsumexp_cuda_kernelERKNSE_10TensorBaseESI_lENKUlvE_clEvENKUlvE1_clEvEUlS7_S7_E_S7_EEDaPvRmT3_T4_T5_mT6_P12ihipStream_tbENKUlT_T0_E_clISt17integral_constantIbLb0EESZ_EEDaSU_SV_EUlSU_E_NS1_11comp_targetILNS1_3genE10ELNS1_11target_archE1201ELNS1_3gpuE5ELNS1_3repE0EEENS1_30default_config_static_selectorELNS0_4arch9wavefront6targetE1EEEvT1_
		.amdhsa_group_segment_fixed_size 0
		.amdhsa_private_segment_fixed_size 0
		.amdhsa_kernarg_size 128
		.amdhsa_user_sgpr_count 2
		.amdhsa_user_sgpr_dispatch_ptr 0
		.amdhsa_user_sgpr_queue_ptr 0
		.amdhsa_user_sgpr_kernarg_segment_ptr 1
		.amdhsa_user_sgpr_dispatch_id 0
		.amdhsa_user_sgpr_kernarg_preload_length 0
		.amdhsa_user_sgpr_kernarg_preload_offset 0
		.amdhsa_user_sgpr_private_segment_size 0
		.amdhsa_uses_dynamic_stack 0
		.amdhsa_enable_private_segment 0
		.amdhsa_system_sgpr_workgroup_id_x 1
		.amdhsa_system_sgpr_workgroup_id_y 0
		.amdhsa_system_sgpr_workgroup_id_z 0
		.amdhsa_system_sgpr_workgroup_info 0
		.amdhsa_system_vgpr_workitem_id 0
		.amdhsa_next_free_vgpr 1
		.amdhsa_next_free_sgpr 0
		.amdhsa_accum_offset 4
		.amdhsa_reserve_vcc 0
		.amdhsa_float_round_mode_32 0
		.amdhsa_float_round_mode_16_64 0
		.amdhsa_float_denorm_mode_32 3
		.amdhsa_float_denorm_mode_16_64 3
		.amdhsa_dx10_clamp 1
		.amdhsa_ieee_mode 1
		.amdhsa_fp16_overflow 0
		.amdhsa_tg_split 0
		.amdhsa_exception_fp_ieee_invalid_op 0
		.amdhsa_exception_fp_denorm_src 0
		.amdhsa_exception_fp_ieee_div_zero 0
		.amdhsa_exception_fp_ieee_overflow 0
		.amdhsa_exception_fp_ieee_underflow 0
		.amdhsa_exception_fp_ieee_inexact 0
		.amdhsa_exception_int_div_zero 0
	.end_amdhsa_kernel
	.section	.text._ZN7rocprim17ROCPRIM_400000_NS6detail17trampoline_kernelINS0_14default_configENS1_20scan_config_selectorIN3c107complexIdEEEEZZNS1_9scan_implILNS1_25lookback_scan_determinismE0ELb0ELb0ES3_PKS7_PS7_S7_ZZZN2at6native31launch_logcumsumexp_cuda_kernelERKNSE_10TensorBaseESI_lENKUlvE_clEvENKUlvE1_clEvEUlS7_S7_E_S7_EEDaPvRmT3_T4_T5_mT6_P12ihipStream_tbENKUlT_T0_E_clISt17integral_constantIbLb0EESZ_EEDaSU_SV_EUlSU_E_NS1_11comp_targetILNS1_3genE10ELNS1_11target_archE1201ELNS1_3gpuE5ELNS1_3repE0EEENS1_30default_config_static_selectorELNS0_4arch9wavefront6targetE1EEEvT1_,"axG",@progbits,_ZN7rocprim17ROCPRIM_400000_NS6detail17trampoline_kernelINS0_14default_configENS1_20scan_config_selectorIN3c107complexIdEEEEZZNS1_9scan_implILNS1_25lookback_scan_determinismE0ELb0ELb0ES3_PKS7_PS7_S7_ZZZN2at6native31launch_logcumsumexp_cuda_kernelERKNSE_10TensorBaseESI_lENKUlvE_clEvENKUlvE1_clEvEUlS7_S7_E_S7_EEDaPvRmT3_T4_T5_mT6_P12ihipStream_tbENKUlT_T0_E_clISt17integral_constantIbLb0EESZ_EEDaSU_SV_EUlSU_E_NS1_11comp_targetILNS1_3genE10ELNS1_11target_archE1201ELNS1_3gpuE5ELNS1_3repE0EEENS1_30default_config_static_selectorELNS0_4arch9wavefront6targetE1EEEvT1_,comdat
.Lfunc_end181:
	.size	_ZN7rocprim17ROCPRIM_400000_NS6detail17trampoline_kernelINS0_14default_configENS1_20scan_config_selectorIN3c107complexIdEEEEZZNS1_9scan_implILNS1_25lookback_scan_determinismE0ELb0ELb0ES3_PKS7_PS7_S7_ZZZN2at6native31launch_logcumsumexp_cuda_kernelERKNSE_10TensorBaseESI_lENKUlvE_clEvENKUlvE1_clEvEUlS7_S7_E_S7_EEDaPvRmT3_T4_T5_mT6_P12ihipStream_tbENKUlT_T0_E_clISt17integral_constantIbLb0EESZ_EEDaSU_SV_EUlSU_E_NS1_11comp_targetILNS1_3genE10ELNS1_11target_archE1201ELNS1_3gpuE5ELNS1_3repE0EEENS1_30default_config_static_selectorELNS0_4arch9wavefront6targetE1EEEvT1_, .Lfunc_end181-_ZN7rocprim17ROCPRIM_400000_NS6detail17trampoline_kernelINS0_14default_configENS1_20scan_config_selectorIN3c107complexIdEEEEZZNS1_9scan_implILNS1_25lookback_scan_determinismE0ELb0ELb0ES3_PKS7_PS7_S7_ZZZN2at6native31launch_logcumsumexp_cuda_kernelERKNSE_10TensorBaseESI_lENKUlvE_clEvENKUlvE1_clEvEUlS7_S7_E_S7_EEDaPvRmT3_T4_T5_mT6_P12ihipStream_tbENKUlT_T0_E_clISt17integral_constantIbLb0EESZ_EEDaSU_SV_EUlSU_E_NS1_11comp_targetILNS1_3genE10ELNS1_11target_archE1201ELNS1_3gpuE5ELNS1_3repE0EEENS1_30default_config_static_selectorELNS0_4arch9wavefront6targetE1EEEvT1_
                                        ; -- End function
	.set _ZN7rocprim17ROCPRIM_400000_NS6detail17trampoline_kernelINS0_14default_configENS1_20scan_config_selectorIN3c107complexIdEEEEZZNS1_9scan_implILNS1_25lookback_scan_determinismE0ELb0ELb0ES3_PKS7_PS7_S7_ZZZN2at6native31launch_logcumsumexp_cuda_kernelERKNSE_10TensorBaseESI_lENKUlvE_clEvENKUlvE1_clEvEUlS7_S7_E_S7_EEDaPvRmT3_T4_T5_mT6_P12ihipStream_tbENKUlT_T0_E_clISt17integral_constantIbLb0EESZ_EEDaSU_SV_EUlSU_E_NS1_11comp_targetILNS1_3genE10ELNS1_11target_archE1201ELNS1_3gpuE5ELNS1_3repE0EEENS1_30default_config_static_selectorELNS0_4arch9wavefront6targetE1EEEvT1_.num_vgpr, 0
	.set _ZN7rocprim17ROCPRIM_400000_NS6detail17trampoline_kernelINS0_14default_configENS1_20scan_config_selectorIN3c107complexIdEEEEZZNS1_9scan_implILNS1_25lookback_scan_determinismE0ELb0ELb0ES3_PKS7_PS7_S7_ZZZN2at6native31launch_logcumsumexp_cuda_kernelERKNSE_10TensorBaseESI_lENKUlvE_clEvENKUlvE1_clEvEUlS7_S7_E_S7_EEDaPvRmT3_T4_T5_mT6_P12ihipStream_tbENKUlT_T0_E_clISt17integral_constantIbLb0EESZ_EEDaSU_SV_EUlSU_E_NS1_11comp_targetILNS1_3genE10ELNS1_11target_archE1201ELNS1_3gpuE5ELNS1_3repE0EEENS1_30default_config_static_selectorELNS0_4arch9wavefront6targetE1EEEvT1_.num_agpr, 0
	.set _ZN7rocprim17ROCPRIM_400000_NS6detail17trampoline_kernelINS0_14default_configENS1_20scan_config_selectorIN3c107complexIdEEEEZZNS1_9scan_implILNS1_25lookback_scan_determinismE0ELb0ELb0ES3_PKS7_PS7_S7_ZZZN2at6native31launch_logcumsumexp_cuda_kernelERKNSE_10TensorBaseESI_lENKUlvE_clEvENKUlvE1_clEvEUlS7_S7_E_S7_EEDaPvRmT3_T4_T5_mT6_P12ihipStream_tbENKUlT_T0_E_clISt17integral_constantIbLb0EESZ_EEDaSU_SV_EUlSU_E_NS1_11comp_targetILNS1_3genE10ELNS1_11target_archE1201ELNS1_3gpuE5ELNS1_3repE0EEENS1_30default_config_static_selectorELNS0_4arch9wavefront6targetE1EEEvT1_.numbered_sgpr, 0
	.set _ZN7rocprim17ROCPRIM_400000_NS6detail17trampoline_kernelINS0_14default_configENS1_20scan_config_selectorIN3c107complexIdEEEEZZNS1_9scan_implILNS1_25lookback_scan_determinismE0ELb0ELb0ES3_PKS7_PS7_S7_ZZZN2at6native31launch_logcumsumexp_cuda_kernelERKNSE_10TensorBaseESI_lENKUlvE_clEvENKUlvE1_clEvEUlS7_S7_E_S7_EEDaPvRmT3_T4_T5_mT6_P12ihipStream_tbENKUlT_T0_E_clISt17integral_constantIbLb0EESZ_EEDaSU_SV_EUlSU_E_NS1_11comp_targetILNS1_3genE10ELNS1_11target_archE1201ELNS1_3gpuE5ELNS1_3repE0EEENS1_30default_config_static_selectorELNS0_4arch9wavefront6targetE1EEEvT1_.num_named_barrier, 0
	.set _ZN7rocprim17ROCPRIM_400000_NS6detail17trampoline_kernelINS0_14default_configENS1_20scan_config_selectorIN3c107complexIdEEEEZZNS1_9scan_implILNS1_25lookback_scan_determinismE0ELb0ELb0ES3_PKS7_PS7_S7_ZZZN2at6native31launch_logcumsumexp_cuda_kernelERKNSE_10TensorBaseESI_lENKUlvE_clEvENKUlvE1_clEvEUlS7_S7_E_S7_EEDaPvRmT3_T4_T5_mT6_P12ihipStream_tbENKUlT_T0_E_clISt17integral_constantIbLb0EESZ_EEDaSU_SV_EUlSU_E_NS1_11comp_targetILNS1_3genE10ELNS1_11target_archE1201ELNS1_3gpuE5ELNS1_3repE0EEENS1_30default_config_static_selectorELNS0_4arch9wavefront6targetE1EEEvT1_.private_seg_size, 0
	.set _ZN7rocprim17ROCPRIM_400000_NS6detail17trampoline_kernelINS0_14default_configENS1_20scan_config_selectorIN3c107complexIdEEEEZZNS1_9scan_implILNS1_25lookback_scan_determinismE0ELb0ELb0ES3_PKS7_PS7_S7_ZZZN2at6native31launch_logcumsumexp_cuda_kernelERKNSE_10TensorBaseESI_lENKUlvE_clEvENKUlvE1_clEvEUlS7_S7_E_S7_EEDaPvRmT3_T4_T5_mT6_P12ihipStream_tbENKUlT_T0_E_clISt17integral_constantIbLb0EESZ_EEDaSU_SV_EUlSU_E_NS1_11comp_targetILNS1_3genE10ELNS1_11target_archE1201ELNS1_3gpuE5ELNS1_3repE0EEENS1_30default_config_static_selectorELNS0_4arch9wavefront6targetE1EEEvT1_.uses_vcc, 0
	.set _ZN7rocprim17ROCPRIM_400000_NS6detail17trampoline_kernelINS0_14default_configENS1_20scan_config_selectorIN3c107complexIdEEEEZZNS1_9scan_implILNS1_25lookback_scan_determinismE0ELb0ELb0ES3_PKS7_PS7_S7_ZZZN2at6native31launch_logcumsumexp_cuda_kernelERKNSE_10TensorBaseESI_lENKUlvE_clEvENKUlvE1_clEvEUlS7_S7_E_S7_EEDaPvRmT3_T4_T5_mT6_P12ihipStream_tbENKUlT_T0_E_clISt17integral_constantIbLb0EESZ_EEDaSU_SV_EUlSU_E_NS1_11comp_targetILNS1_3genE10ELNS1_11target_archE1201ELNS1_3gpuE5ELNS1_3repE0EEENS1_30default_config_static_selectorELNS0_4arch9wavefront6targetE1EEEvT1_.uses_flat_scratch, 0
	.set _ZN7rocprim17ROCPRIM_400000_NS6detail17trampoline_kernelINS0_14default_configENS1_20scan_config_selectorIN3c107complexIdEEEEZZNS1_9scan_implILNS1_25lookback_scan_determinismE0ELb0ELb0ES3_PKS7_PS7_S7_ZZZN2at6native31launch_logcumsumexp_cuda_kernelERKNSE_10TensorBaseESI_lENKUlvE_clEvENKUlvE1_clEvEUlS7_S7_E_S7_EEDaPvRmT3_T4_T5_mT6_P12ihipStream_tbENKUlT_T0_E_clISt17integral_constantIbLb0EESZ_EEDaSU_SV_EUlSU_E_NS1_11comp_targetILNS1_3genE10ELNS1_11target_archE1201ELNS1_3gpuE5ELNS1_3repE0EEENS1_30default_config_static_selectorELNS0_4arch9wavefront6targetE1EEEvT1_.has_dyn_sized_stack, 0
	.set _ZN7rocprim17ROCPRIM_400000_NS6detail17trampoline_kernelINS0_14default_configENS1_20scan_config_selectorIN3c107complexIdEEEEZZNS1_9scan_implILNS1_25lookback_scan_determinismE0ELb0ELb0ES3_PKS7_PS7_S7_ZZZN2at6native31launch_logcumsumexp_cuda_kernelERKNSE_10TensorBaseESI_lENKUlvE_clEvENKUlvE1_clEvEUlS7_S7_E_S7_EEDaPvRmT3_T4_T5_mT6_P12ihipStream_tbENKUlT_T0_E_clISt17integral_constantIbLb0EESZ_EEDaSU_SV_EUlSU_E_NS1_11comp_targetILNS1_3genE10ELNS1_11target_archE1201ELNS1_3gpuE5ELNS1_3repE0EEENS1_30default_config_static_selectorELNS0_4arch9wavefront6targetE1EEEvT1_.has_recursion, 0
	.set _ZN7rocprim17ROCPRIM_400000_NS6detail17trampoline_kernelINS0_14default_configENS1_20scan_config_selectorIN3c107complexIdEEEEZZNS1_9scan_implILNS1_25lookback_scan_determinismE0ELb0ELb0ES3_PKS7_PS7_S7_ZZZN2at6native31launch_logcumsumexp_cuda_kernelERKNSE_10TensorBaseESI_lENKUlvE_clEvENKUlvE1_clEvEUlS7_S7_E_S7_EEDaPvRmT3_T4_T5_mT6_P12ihipStream_tbENKUlT_T0_E_clISt17integral_constantIbLb0EESZ_EEDaSU_SV_EUlSU_E_NS1_11comp_targetILNS1_3genE10ELNS1_11target_archE1201ELNS1_3gpuE5ELNS1_3repE0EEENS1_30default_config_static_selectorELNS0_4arch9wavefront6targetE1EEEvT1_.has_indirect_call, 0
	.section	.AMDGPU.csdata,"",@progbits
; Kernel info:
; codeLenInByte = 0
; TotalNumSgprs: 6
; NumVgprs: 0
; NumAgprs: 0
; TotalNumVgprs: 0
; ScratchSize: 0
; MemoryBound: 0
; FloatMode: 240
; IeeeMode: 1
; LDSByteSize: 0 bytes/workgroup (compile time only)
; SGPRBlocks: 0
; VGPRBlocks: 0
; NumSGPRsForWavesPerEU: 6
; NumVGPRsForWavesPerEU: 1
; AccumOffset: 4
; Occupancy: 8
; WaveLimiterHint : 0
; COMPUTE_PGM_RSRC2:SCRATCH_EN: 0
; COMPUTE_PGM_RSRC2:USER_SGPR: 2
; COMPUTE_PGM_RSRC2:TRAP_HANDLER: 0
; COMPUTE_PGM_RSRC2:TGID_X_EN: 1
; COMPUTE_PGM_RSRC2:TGID_Y_EN: 0
; COMPUTE_PGM_RSRC2:TGID_Z_EN: 0
; COMPUTE_PGM_RSRC2:TIDIG_COMP_CNT: 0
; COMPUTE_PGM_RSRC3_GFX90A:ACCUM_OFFSET: 0
; COMPUTE_PGM_RSRC3_GFX90A:TG_SPLIT: 0
	.section	.text._ZN7rocprim17ROCPRIM_400000_NS6detail17trampoline_kernelINS0_14default_configENS1_20scan_config_selectorIN3c107complexIdEEEEZZNS1_9scan_implILNS1_25lookback_scan_determinismE0ELb0ELb0ES3_PKS7_PS7_S7_ZZZN2at6native31launch_logcumsumexp_cuda_kernelERKNSE_10TensorBaseESI_lENKUlvE_clEvENKUlvE1_clEvEUlS7_S7_E_S7_EEDaPvRmT3_T4_T5_mT6_P12ihipStream_tbENKUlT_T0_E_clISt17integral_constantIbLb0EESZ_EEDaSU_SV_EUlSU_E_NS1_11comp_targetILNS1_3genE10ELNS1_11target_archE1200ELNS1_3gpuE4ELNS1_3repE0EEENS1_30default_config_static_selectorELNS0_4arch9wavefront6targetE1EEEvT1_,"axG",@progbits,_ZN7rocprim17ROCPRIM_400000_NS6detail17trampoline_kernelINS0_14default_configENS1_20scan_config_selectorIN3c107complexIdEEEEZZNS1_9scan_implILNS1_25lookback_scan_determinismE0ELb0ELb0ES3_PKS7_PS7_S7_ZZZN2at6native31launch_logcumsumexp_cuda_kernelERKNSE_10TensorBaseESI_lENKUlvE_clEvENKUlvE1_clEvEUlS7_S7_E_S7_EEDaPvRmT3_T4_T5_mT6_P12ihipStream_tbENKUlT_T0_E_clISt17integral_constantIbLb0EESZ_EEDaSU_SV_EUlSU_E_NS1_11comp_targetILNS1_3genE10ELNS1_11target_archE1200ELNS1_3gpuE4ELNS1_3repE0EEENS1_30default_config_static_selectorELNS0_4arch9wavefront6targetE1EEEvT1_,comdat
	.globl	_ZN7rocprim17ROCPRIM_400000_NS6detail17trampoline_kernelINS0_14default_configENS1_20scan_config_selectorIN3c107complexIdEEEEZZNS1_9scan_implILNS1_25lookback_scan_determinismE0ELb0ELb0ES3_PKS7_PS7_S7_ZZZN2at6native31launch_logcumsumexp_cuda_kernelERKNSE_10TensorBaseESI_lENKUlvE_clEvENKUlvE1_clEvEUlS7_S7_E_S7_EEDaPvRmT3_T4_T5_mT6_P12ihipStream_tbENKUlT_T0_E_clISt17integral_constantIbLb0EESZ_EEDaSU_SV_EUlSU_E_NS1_11comp_targetILNS1_3genE10ELNS1_11target_archE1200ELNS1_3gpuE4ELNS1_3repE0EEENS1_30default_config_static_selectorELNS0_4arch9wavefront6targetE1EEEvT1_ ; -- Begin function _ZN7rocprim17ROCPRIM_400000_NS6detail17trampoline_kernelINS0_14default_configENS1_20scan_config_selectorIN3c107complexIdEEEEZZNS1_9scan_implILNS1_25lookback_scan_determinismE0ELb0ELb0ES3_PKS7_PS7_S7_ZZZN2at6native31launch_logcumsumexp_cuda_kernelERKNSE_10TensorBaseESI_lENKUlvE_clEvENKUlvE1_clEvEUlS7_S7_E_S7_EEDaPvRmT3_T4_T5_mT6_P12ihipStream_tbENKUlT_T0_E_clISt17integral_constantIbLb0EESZ_EEDaSU_SV_EUlSU_E_NS1_11comp_targetILNS1_3genE10ELNS1_11target_archE1200ELNS1_3gpuE4ELNS1_3repE0EEENS1_30default_config_static_selectorELNS0_4arch9wavefront6targetE1EEEvT1_
	.p2align	8
	.type	_ZN7rocprim17ROCPRIM_400000_NS6detail17trampoline_kernelINS0_14default_configENS1_20scan_config_selectorIN3c107complexIdEEEEZZNS1_9scan_implILNS1_25lookback_scan_determinismE0ELb0ELb0ES3_PKS7_PS7_S7_ZZZN2at6native31launch_logcumsumexp_cuda_kernelERKNSE_10TensorBaseESI_lENKUlvE_clEvENKUlvE1_clEvEUlS7_S7_E_S7_EEDaPvRmT3_T4_T5_mT6_P12ihipStream_tbENKUlT_T0_E_clISt17integral_constantIbLb0EESZ_EEDaSU_SV_EUlSU_E_NS1_11comp_targetILNS1_3genE10ELNS1_11target_archE1200ELNS1_3gpuE4ELNS1_3repE0EEENS1_30default_config_static_selectorELNS0_4arch9wavefront6targetE1EEEvT1_,@function
_ZN7rocprim17ROCPRIM_400000_NS6detail17trampoline_kernelINS0_14default_configENS1_20scan_config_selectorIN3c107complexIdEEEEZZNS1_9scan_implILNS1_25lookback_scan_determinismE0ELb0ELb0ES3_PKS7_PS7_S7_ZZZN2at6native31launch_logcumsumexp_cuda_kernelERKNSE_10TensorBaseESI_lENKUlvE_clEvENKUlvE1_clEvEUlS7_S7_E_S7_EEDaPvRmT3_T4_T5_mT6_P12ihipStream_tbENKUlT_T0_E_clISt17integral_constantIbLb0EESZ_EEDaSU_SV_EUlSU_E_NS1_11comp_targetILNS1_3genE10ELNS1_11target_archE1200ELNS1_3gpuE4ELNS1_3repE0EEENS1_30default_config_static_selectorELNS0_4arch9wavefront6targetE1EEEvT1_: ; @_ZN7rocprim17ROCPRIM_400000_NS6detail17trampoline_kernelINS0_14default_configENS1_20scan_config_selectorIN3c107complexIdEEEEZZNS1_9scan_implILNS1_25lookback_scan_determinismE0ELb0ELb0ES3_PKS7_PS7_S7_ZZZN2at6native31launch_logcumsumexp_cuda_kernelERKNSE_10TensorBaseESI_lENKUlvE_clEvENKUlvE1_clEvEUlS7_S7_E_S7_EEDaPvRmT3_T4_T5_mT6_P12ihipStream_tbENKUlT_T0_E_clISt17integral_constantIbLb0EESZ_EEDaSU_SV_EUlSU_E_NS1_11comp_targetILNS1_3genE10ELNS1_11target_archE1200ELNS1_3gpuE4ELNS1_3repE0EEENS1_30default_config_static_selectorELNS0_4arch9wavefront6targetE1EEEvT1_
; %bb.0:
	.section	.rodata,"a",@progbits
	.p2align	6, 0x0
	.amdhsa_kernel _ZN7rocprim17ROCPRIM_400000_NS6detail17trampoline_kernelINS0_14default_configENS1_20scan_config_selectorIN3c107complexIdEEEEZZNS1_9scan_implILNS1_25lookback_scan_determinismE0ELb0ELb0ES3_PKS7_PS7_S7_ZZZN2at6native31launch_logcumsumexp_cuda_kernelERKNSE_10TensorBaseESI_lENKUlvE_clEvENKUlvE1_clEvEUlS7_S7_E_S7_EEDaPvRmT3_T4_T5_mT6_P12ihipStream_tbENKUlT_T0_E_clISt17integral_constantIbLb0EESZ_EEDaSU_SV_EUlSU_E_NS1_11comp_targetILNS1_3genE10ELNS1_11target_archE1200ELNS1_3gpuE4ELNS1_3repE0EEENS1_30default_config_static_selectorELNS0_4arch9wavefront6targetE1EEEvT1_
		.amdhsa_group_segment_fixed_size 0
		.amdhsa_private_segment_fixed_size 0
		.amdhsa_kernarg_size 128
		.amdhsa_user_sgpr_count 2
		.amdhsa_user_sgpr_dispatch_ptr 0
		.amdhsa_user_sgpr_queue_ptr 0
		.amdhsa_user_sgpr_kernarg_segment_ptr 1
		.amdhsa_user_sgpr_dispatch_id 0
		.amdhsa_user_sgpr_kernarg_preload_length 0
		.amdhsa_user_sgpr_kernarg_preload_offset 0
		.amdhsa_user_sgpr_private_segment_size 0
		.amdhsa_uses_dynamic_stack 0
		.amdhsa_enable_private_segment 0
		.amdhsa_system_sgpr_workgroup_id_x 1
		.amdhsa_system_sgpr_workgroup_id_y 0
		.amdhsa_system_sgpr_workgroup_id_z 0
		.amdhsa_system_sgpr_workgroup_info 0
		.amdhsa_system_vgpr_workitem_id 0
		.amdhsa_next_free_vgpr 1
		.amdhsa_next_free_sgpr 0
		.amdhsa_accum_offset 4
		.amdhsa_reserve_vcc 0
		.amdhsa_float_round_mode_32 0
		.amdhsa_float_round_mode_16_64 0
		.amdhsa_float_denorm_mode_32 3
		.amdhsa_float_denorm_mode_16_64 3
		.amdhsa_dx10_clamp 1
		.amdhsa_ieee_mode 1
		.amdhsa_fp16_overflow 0
		.amdhsa_tg_split 0
		.amdhsa_exception_fp_ieee_invalid_op 0
		.amdhsa_exception_fp_denorm_src 0
		.amdhsa_exception_fp_ieee_div_zero 0
		.amdhsa_exception_fp_ieee_overflow 0
		.amdhsa_exception_fp_ieee_underflow 0
		.amdhsa_exception_fp_ieee_inexact 0
		.amdhsa_exception_int_div_zero 0
	.end_amdhsa_kernel
	.section	.text._ZN7rocprim17ROCPRIM_400000_NS6detail17trampoline_kernelINS0_14default_configENS1_20scan_config_selectorIN3c107complexIdEEEEZZNS1_9scan_implILNS1_25lookback_scan_determinismE0ELb0ELb0ES3_PKS7_PS7_S7_ZZZN2at6native31launch_logcumsumexp_cuda_kernelERKNSE_10TensorBaseESI_lENKUlvE_clEvENKUlvE1_clEvEUlS7_S7_E_S7_EEDaPvRmT3_T4_T5_mT6_P12ihipStream_tbENKUlT_T0_E_clISt17integral_constantIbLb0EESZ_EEDaSU_SV_EUlSU_E_NS1_11comp_targetILNS1_3genE10ELNS1_11target_archE1200ELNS1_3gpuE4ELNS1_3repE0EEENS1_30default_config_static_selectorELNS0_4arch9wavefront6targetE1EEEvT1_,"axG",@progbits,_ZN7rocprim17ROCPRIM_400000_NS6detail17trampoline_kernelINS0_14default_configENS1_20scan_config_selectorIN3c107complexIdEEEEZZNS1_9scan_implILNS1_25lookback_scan_determinismE0ELb0ELb0ES3_PKS7_PS7_S7_ZZZN2at6native31launch_logcumsumexp_cuda_kernelERKNSE_10TensorBaseESI_lENKUlvE_clEvENKUlvE1_clEvEUlS7_S7_E_S7_EEDaPvRmT3_T4_T5_mT6_P12ihipStream_tbENKUlT_T0_E_clISt17integral_constantIbLb0EESZ_EEDaSU_SV_EUlSU_E_NS1_11comp_targetILNS1_3genE10ELNS1_11target_archE1200ELNS1_3gpuE4ELNS1_3repE0EEENS1_30default_config_static_selectorELNS0_4arch9wavefront6targetE1EEEvT1_,comdat
.Lfunc_end182:
	.size	_ZN7rocprim17ROCPRIM_400000_NS6detail17trampoline_kernelINS0_14default_configENS1_20scan_config_selectorIN3c107complexIdEEEEZZNS1_9scan_implILNS1_25lookback_scan_determinismE0ELb0ELb0ES3_PKS7_PS7_S7_ZZZN2at6native31launch_logcumsumexp_cuda_kernelERKNSE_10TensorBaseESI_lENKUlvE_clEvENKUlvE1_clEvEUlS7_S7_E_S7_EEDaPvRmT3_T4_T5_mT6_P12ihipStream_tbENKUlT_T0_E_clISt17integral_constantIbLb0EESZ_EEDaSU_SV_EUlSU_E_NS1_11comp_targetILNS1_3genE10ELNS1_11target_archE1200ELNS1_3gpuE4ELNS1_3repE0EEENS1_30default_config_static_selectorELNS0_4arch9wavefront6targetE1EEEvT1_, .Lfunc_end182-_ZN7rocprim17ROCPRIM_400000_NS6detail17trampoline_kernelINS0_14default_configENS1_20scan_config_selectorIN3c107complexIdEEEEZZNS1_9scan_implILNS1_25lookback_scan_determinismE0ELb0ELb0ES3_PKS7_PS7_S7_ZZZN2at6native31launch_logcumsumexp_cuda_kernelERKNSE_10TensorBaseESI_lENKUlvE_clEvENKUlvE1_clEvEUlS7_S7_E_S7_EEDaPvRmT3_T4_T5_mT6_P12ihipStream_tbENKUlT_T0_E_clISt17integral_constantIbLb0EESZ_EEDaSU_SV_EUlSU_E_NS1_11comp_targetILNS1_3genE10ELNS1_11target_archE1200ELNS1_3gpuE4ELNS1_3repE0EEENS1_30default_config_static_selectorELNS0_4arch9wavefront6targetE1EEEvT1_
                                        ; -- End function
	.set _ZN7rocprim17ROCPRIM_400000_NS6detail17trampoline_kernelINS0_14default_configENS1_20scan_config_selectorIN3c107complexIdEEEEZZNS1_9scan_implILNS1_25lookback_scan_determinismE0ELb0ELb0ES3_PKS7_PS7_S7_ZZZN2at6native31launch_logcumsumexp_cuda_kernelERKNSE_10TensorBaseESI_lENKUlvE_clEvENKUlvE1_clEvEUlS7_S7_E_S7_EEDaPvRmT3_T4_T5_mT6_P12ihipStream_tbENKUlT_T0_E_clISt17integral_constantIbLb0EESZ_EEDaSU_SV_EUlSU_E_NS1_11comp_targetILNS1_3genE10ELNS1_11target_archE1200ELNS1_3gpuE4ELNS1_3repE0EEENS1_30default_config_static_selectorELNS0_4arch9wavefront6targetE1EEEvT1_.num_vgpr, 0
	.set _ZN7rocprim17ROCPRIM_400000_NS6detail17trampoline_kernelINS0_14default_configENS1_20scan_config_selectorIN3c107complexIdEEEEZZNS1_9scan_implILNS1_25lookback_scan_determinismE0ELb0ELb0ES3_PKS7_PS7_S7_ZZZN2at6native31launch_logcumsumexp_cuda_kernelERKNSE_10TensorBaseESI_lENKUlvE_clEvENKUlvE1_clEvEUlS7_S7_E_S7_EEDaPvRmT3_T4_T5_mT6_P12ihipStream_tbENKUlT_T0_E_clISt17integral_constantIbLb0EESZ_EEDaSU_SV_EUlSU_E_NS1_11comp_targetILNS1_3genE10ELNS1_11target_archE1200ELNS1_3gpuE4ELNS1_3repE0EEENS1_30default_config_static_selectorELNS0_4arch9wavefront6targetE1EEEvT1_.num_agpr, 0
	.set _ZN7rocprim17ROCPRIM_400000_NS6detail17trampoline_kernelINS0_14default_configENS1_20scan_config_selectorIN3c107complexIdEEEEZZNS1_9scan_implILNS1_25lookback_scan_determinismE0ELb0ELb0ES3_PKS7_PS7_S7_ZZZN2at6native31launch_logcumsumexp_cuda_kernelERKNSE_10TensorBaseESI_lENKUlvE_clEvENKUlvE1_clEvEUlS7_S7_E_S7_EEDaPvRmT3_T4_T5_mT6_P12ihipStream_tbENKUlT_T0_E_clISt17integral_constantIbLb0EESZ_EEDaSU_SV_EUlSU_E_NS1_11comp_targetILNS1_3genE10ELNS1_11target_archE1200ELNS1_3gpuE4ELNS1_3repE0EEENS1_30default_config_static_selectorELNS0_4arch9wavefront6targetE1EEEvT1_.numbered_sgpr, 0
	.set _ZN7rocprim17ROCPRIM_400000_NS6detail17trampoline_kernelINS0_14default_configENS1_20scan_config_selectorIN3c107complexIdEEEEZZNS1_9scan_implILNS1_25lookback_scan_determinismE0ELb0ELb0ES3_PKS7_PS7_S7_ZZZN2at6native31launch_logcumsumexp_cuda_kernelERKNSE_10TensorBaseESI_lENKUlvE_clEvENKUlvE1_clEvEUlS7_S7_E_S7_EEDaPvRmT3_T4_T5_mT6_P12ihipStream_tbENKUlT_T0_E_clISt17integral_constantIbLb0EESZ_EEDaSU_SV_EUlSU_E_NS1_11comp_targetILNS1_3genE10ELNS1_11target_archE1200ELNS1_3gpuE4ELNS1_3repE0EEENS1_30default_config_static_selectorELNS0_4arch9wavefront6targetE1EEEvT1_.num_named_barrier, 0
	.set _ZN7rocprim17ROCPRIM_400000_NS6detail17trampoline_kernelINS0_14default_configENS1_20scan_config_selectorIN3c107complexIdEEEEZZNS1_9scan_implILNS1_25lookback_scan_determinismE0ELb0ELb0ES3_PKS7_PS7_S7_ZZZN2at6native31launch_logcumsumexp_cuda_kernelERKNSE_10TensorBaseESI_lENKUlvE_clEvENKUlvE1_clEvEUlS7_S7_E_S7_EEDaPvRmT3_T4_T5_mT6_P12ihipStream_tbENKUlT_T0_E_clISt17integral_constantIbLb0EESZ_EEDaSU_SV_EUlSU_E_NS1_11comp_targetILNS1_3genE10ELNS1_11target_archE1200ELNS1_3gpuE4ELNS1_3repE0EEENS1_30default_config_static_selectorELNS0_4arch9wavefront6targetE1EEEvT1_.private_seg_size, 0
	.set _ZN7rocprim17ROCPRIM_400000_NS6detail17trampoline_kernelINS0_14default_configENS1_20scan_config_selectorIN3c107complexIdEEEEZZNS1_9scan_implILNS1_25lookback_scan_determinismE0ELb0ELb0ES3_PKS7_PS7_S7_ZZZN2at6native31launch_logcumsumexp_cuda_kernelERKNSE_10TensorBaseESI_lENKUlvE_clEvENKUlvE1_clEvEUlS7_S7_E_S7_EEDaPvRmT3_T4_T5_mT6_P12ihipStream_tbENKUlT_T0_E_clISt17integral_constantIbLb0EESZ_EEDaSU_SV_EUlSU_E_NS1_11comp_targetILNS1_3genE10ELNS1_11target_archE1200ELNS1_3gpuE4ELNS1_3repE0EEENS1_30default_config_static_selectorELNS0_4arch9wavefront6targetE1EEEvT1_.uses_vcc, 0
	.set _ZN7rocprim17ROCPRIM_400000_NS6detail17trampoline_kernelINS0_14default_configENS1_20scan_config_selectorIN3c107complexIdEEEEZZNS1_9scan_implILNS1_25lookback_scan_determinismE0ELb0ELb0ES3_PKS7_PS7_S7_ZZZN2at6native31launch_logcumsumexp_cuda_kernelERKNSE_10TensorBaseESI_lENKUlvE_clEvENKUlvE1_clEvEUlS7_S7_E_S7_EEDaPvRmT3_T4_T5_mT6_P12ihipStream_tbENKUlT_T0_E_clISt17integral_constantIbLb0EESZ_EEDaSU_SV_EUlSU_E_NS1_11comp_targetILNS1_3genE10ELNS1_11target_archE1200ELNS1_3gpuE4ELNS1_3repE0EEENS1_30default_config_static_selectorELNS0_4arch9wavefront6targetE1EEEvT1_.uses_flat_scratch, 0
	.set _ZN7rocprim17ROCPRIM_400000_NS6detail17trampoline_kernelINS0_14default_configENS1_20scan_config_selectorIN3c107complexIdEEEEZZNS1_9scan_implILNS1_25lookback_scan_determinismE0ELb0ELb0ES3_PKS7_PS7_S7_ZZZN2at6native31launch_logcumsumexp_cuda_kernelERKNSE_10TensorBaseESI_lENKUlvE_clEvENKUlvE1_clEvEUlS7_S7_E_S7_EEDaPvRmT3_T4_T5_mT6_P12ihipStream_tbENKUlT_T0_E_clISt17integral_constantIbLb0EESZ_EEDaSU_SV_EUlSU_E_NS1_11comp_targetILNS1_3genE10ELNS1_11target_archE1200ELNS1_3gpuE4ELNS1_3repE0EEENS1_30default_config_static_selectorELNS0_4arch9wavefront6targetE1EEEvT1_.has_dyn_sized_stack, 0
	.set _ZN7rocprim17ROCPRIM_400000_NS6detail17trampoline_kernelINS0_14default_configENS1_20scan_config_selectorIN3c107complexIdEEEEZZNS1_9scan_implILNS1_25lookback_scan_determinismE0ELb0ELb0ES3_PKS7_PS7_S7_ZZZN2at6native31launch_logcumsumexp_cuda_kernelERKNSE_10TensorBaseESI_lENKUlvE_clEvENKUlvE1_clEvEUlS7_S7_E_S7_EEDaPvRmT3_T4_T5_mT6_P12ihipStream_tbENKUlT_T0_E_clISt17integral_constantIbLb0EESZ_EEDaSU_SV_EUlSU_E_NS1_11comp_targetILNS1_3genE10ELNS1_11target_archE1200ELNS1_3gpuE4ELNS1_3repE0EEENS1_30default_config_static_selectorELNS0_4arch9wavefront6targetE1EEEvT1_.has_recursion, 0
	.set _ZN7rocprim17ROCPRIM_400000_NS6detail17trampoline_kernelINS0_14default_configENS1_20scan_config_selectorIN3c107complexIdEEEEZZNS1_9scan_implILNS1_25lookback_scan_determinismE0ELb0ELb0ES3_PKS7_PS7_S7_ZZZN2at6native31launch_logcumsumexp_cuda_kernelERKNSE_10TensorBaseESI_lENKUlvE_clEvENKUlvE1_clEvEUlS7_S7_E_S7_EEDaPvRmT3_T4_T5_mT6_P12ihipStream_tbENKUlT_T0_E_clISt17integral_constantIbLb0EESZ_EEDaSU_SV_EUlSU_E_NS1_11comp_targetILNS1_3genE10ELNS1_11target_archE1200ELNS1_3gpuE4ELNS1_3repE0EEENS1_30default_config_static_selectorELNS0_4arch9wavefront6targetE1EEEvT1_.has_indirect_call, 0
	.section	.AMDGPU.csdata,"",@progbits
; Kernel info:
; codeLenInByte = 0
; TotalNumSgprs: 6
; NumVgprs: 0
; NumAgprs: 0
; TotalNumVgprs: 0
; ScratchSize: 0
; MemoryBound: 0
; FloatMode: 240
; IeeeMode: 1
; LDSByteSize: 0 bytes/workgroup (compile time only)
; SGPRBlocks: 0
; VGPRBlocks: 0
; NumSGPRsForWavesPerEU: 6
; NumVGPRsForWavesPerEU: 1
; AccumOffset: 4
; Occupancy: 8
; WaveLimiterHint : 0
; COMPUTE_PGM_RSRC2:SCRATCH_EN: 0
; COMPUTE_PGM_RSRC2:USER_SGPR: 2
; COMPUTE_PGM_RSRC2:TRAP_HANDLER: 0
; COMPUTE_PGM_RSRC2:TGID_X_EN: 1
; COMPUTE_PGM_RSRC2:TGID_Y_EN: 0
; COMPUTE_PGM_RSRC2:TGID_Z_EN: 0
; COMPUTE_PGM_RSRC2:TIDIG_COMP_CNT: 0
; COMPUTE_PGM_RSRC3_GFX90A:ACCUM_OFFSET: 0
; COMPUTE_PGM_RSRC3_GFX90A:TG_SPLIT: 0
	.section	.text._ZN7rocprim17ROCPRIM_400000_NS6detail17trampoline_kernelINS0_14default_configENS1_20scan_config_selectorIN3c107complexIdEEEEZZNS1_9scan_implILNS1_25lookback_scan_determinismE0ELb0ELb0ES3_PKS7_PS7_S7_ZZZN2at6native31launch_logcumsumexp_cuda_kernelERKNSE_10TensorBaseESI_lENKUlvE_clEvENKUlvE1_clEvEUlS7_S7_E_S7_EEDaPvRmT3_T4_T5_mT6_P12ihipStream_tbENKUlT_T0_E_clISt17integral_constantIbLb0EESZ_EEDaSU_SV_EUlSU_E_NS1_11comp_targetILNS1_3genE9ELNS1_11target_archE1100ELNS1_3gpuE3ELNS1_3repE0EEENS1_30default_config_static_selectorELNS0_4arch9wavefront6targetE1EEEvT1_,"axG",@progbits,_ZN7rocprim17ROCPRIM_400000_NS6detail17trampoline_kernelINS0_14default_configENS1_20scan_config_selectorIN3c107complexIdEEEEZZNS1_9scan_implILNS1_25lookback_scan_determinismE0ELb0ELb0ES3_PKS7_PS7_S7_ZZZN2at6native31launch_logcumsumexp_cuda_kernelERKNSE_10TensorBaseESI_lENKUlvE_clEvENKUlvE1_clEvEUlS7_S7_E_S7_EEDaPvRmT3_T4_T5_mT6_P12ihipStream_tbENKUlT_T0_E_clISt17integral_constantIbLb0EESZ_EEDaSU_SV_EUlSU_E_NS1_11comp_targetILNS1_3genE9ELNS1_11target_archE1100ELNS1_3gpuE3ELNS1_3repE0EEENS1_30default_config_static_selectorELNS0_4arch9wavefront6targetE1EEEvT1_,comdat
	.globl	_ZN7rocprim17ROCPRIM_400000_NS6detail17trampoline_kernelINS0_14default_configENS1_20scan_config_selectorIN3c107complexIdEEEEZZNS1_9scan_implILNS1_25lookback_scan_determinismE0ELb0ELb0ES3_PKS7_PS7_S7_ZZZN2at6native31launch_logcumsumexp_cuda_kernelERKNSE_10TensorBaseESI_lENKUlvE_clEvENKUlvE1_clEvEUlS7_S7_E_S7_EEDaPvRmT3_T4_T5_mT6_P12ihipStream_tbENKUlT_T0_E_clISt17integral_constantIbLb0EESZ_EEDaSU_SV_EUlSU_E_NS1_11comp_targetILNS1_3genE9ELNS1_11target_archE1100ELNS1_3gpuE3ELNS1_3repE0EEENS1_30default_config_static_selectorELNS0_4arch9wavefront6targetE1EEEvT1_ ; -- Begin function _ZN7rocprim17ROCPRIM_400000_NS6detail17trampoline_kernelINS0_14default_configENS1_20scan_config_selectorIN3c107complexIdEEEEZZNS1_9scan_implILNS1_25lookback_scan_determinismE0ELb0ELb0ES3_PKS7_PS7_S7_ZZZN2at6native31launch_logcumsumexp_cuda_kernelERKNSE_10TensorBaseESI_lENKUlvE_clEvENKUlvE1_clEvEUlS7_S7_E_S7_EEDaPvRmT3_T4_T5_mT6_P12ihipStream_tbENKUlT_T0_E_clISt17integral_constantIbLb0EESZ_EEDaSU_SV_EUlSU_E_NS1_11comp_targetILNS1_3genE9ELNS1_11target_archE1100ELNS1_3gpuE3ELNS1_3repE0EEENS1_30default_config_static_selectorELNS0_4arch9wavefront6targetE1EEEvT1_
	.p2align	8
	.type	_ZN7rocprim17ROCPRIM_400000_NS6detail17trampoline_kernelINS0_14default_configENS1_20scan_config_selectorIN3c107complexIdEEEEZZNS1_9scan_implILNS1_25lookback_scan_determinismE0ELb0ELb0ES3_PKS7_PS7_S7_ZZZN2at6native31launch_logcumsumexp_cuda_kernelERKNSE_10TensorBaseESI_lENKUlvE_clEvENKUlvE1_clEvEUlS7_S7_E_S7_EEDaPvRmT3_T4_T5_mT6_P12ihipStream_tbENKUlT_T0_E_clISt17integral_constantIbLb0EESZ_EEDaSU_SV_EUlSU_E_NS1_11comp_targetILNS1_3genE9ELNS1_11target_archE1100ELNS1_3gpuE3ELNS1_3repE0EEENS1_30default_config_static_selectorELNS0_4arch9wavefront6targetE1EEEvT1_,@function
_ZN7rocprim17ROCPRIM_400000_NS6detail17trampoline_kernelINS0_14default_configENS1_20scan_config_selectorIN3c107complexIdEEEEZZNS1_9scan_implILNS1_25lookback_scan_determinismE0ELb0ELb0ES3_PKS7_PS7_S7_ZZZN2at6native31launch_logcumsumexp_cuda_kernelERKNSE_10TensorBaseESI_lENKUlvE_clEvENKUlvE1_clEvEUlS7_S7_E_S7_EEDaPvRmT3_T4_T5_mT6_P12ihipStream_tbENKUlT_T0_E_clISt17integral_constantIbLb0EESZ_EEDaSU_SV_EUlSU_E_NS1_11comp_targetILNS1_3genE9ELNS1_11target_archE1100ELNS1_3gpuE3ELNS1_3repE0EEENS1_30default_config_static_selectorELNS0_4arch9wavefront6targetE1EEEvT1_: ; @_ZN7rocprim17ROCPRIM_400000_NS6detail17trampoline_kernelINS0_14default_configENS1_20scan_config_selectorIN3c107complexIdEEEEZZNS1_9scan_implILNS1_25lookback_scan_determinismE0ELb0ELb0ES3_PKS7_PS7_S7_ZZZN2at6native31launch_logcumsumexp_cuda_kernelERKNSE_10TensorBaseESI_lENKUlvE_clEvENKUlvE1_clEvEUlS7_S7_E_S7_EEDaPvRmT3_T4_T5_mT6_P12ihipStream_tbENKUlT_T0_E_clISt17integral_constantIbLb0EESZ_EEDaSU_SV_EUlSU_E_NS1_11comp_targetILNS1_3genE9ELNS1_11target_archE1100ELNS1_3gpuE3ELNS1_3repE0EEENS1_30default_config_static_selectorELNS0_4arch9wavefront6targetE1EEEvT1_
; %bb.0:
	.section	.rodata,"a",@progbits
	.p2align	6, 0x0
	.amdhsa_kernel _ZN7rocprim17ROCPRIM_400000_NS6detail17trampoline_kernelINS0_14default_configENS1_20scan_config_selectorIN3c107complexIdEEEEZZNS1_9scan_implILNS1_25lookback_scan_determinismE0ELb0ELb0ES3_PKS7_PS7_S7_ZZZN2at6native31launch_logcumsumexp_cuda_kernelERKNSE_10TensorBaseESI_lENKUlvE_clEvENKUlvE1_clEvEUlS7_S7_E_S7_EEDaPvRmT3_T4_T5_mT6_P12ihipStream_tbENKUlT_T0_E_clISt17integral_constantIbLb0EESZ_EEDaSU_SV_EUlSU_E_NS1_11comp_targetILNS1_3genE9ELNS1_11target_archE1100ELNS1_3gpuE3ELNS1_3repE0EEENS1_30default_config_static_selectorELNS0_4arch9wavefront6targetE1EEEvT1_
		.amdhsa_group_segment_fixed_size 0
		.amdhsa_private_segment_fixed_size 0
		.amdhsa_kernarg_size 128
		.amdhsa_user_sgpr_count 2
		.amdhsa_user_sgpr_dispatch_ptr 0
		.amdhsa_user_sgpr_queue_ptr 0
		.amdhsa_user_sgpr_kernarg_segment_ptr 1
		.amdhsa_user_sgpr_dispatch_id 0
		.amdhsa_user_sgpr_kernarg_preload_length 0
		.amdhsa_user_sgpr_kernarg_preload_offset 0
		.amdhsa_user_sgpr_private_segment_size 0
		.amdhsa_uses_dynamic_stack 0
		.amdhsa_enable_private_segment 0
		.amdhsa_system_sgpr_workgroup_id_x 1
		.amdhsa_system_sgpr_workgroup_id_y 0
		.amdhsa_system_sgpr_workgroup_id_z 0
		.amdhsa_system_sgpr_workgroup_info 0
		.amdhsa_system_vgpr_workitem_id 0
		.amdhsa_next_free_vgpr 1
		.amdhsa_next_free_sgpr 0
		.amdhsa_accum_offset 4
		.amdhsa_reserve_vcc 0
		.amdhsa_float_round_mode_32 0
		.amdhsa_float_round_mode_16_64 0
		.amdhsa_float_denorm_mode_32 3
		.amdhsa_float_denorm_mode_16_64 3
		.amdhsa_dx10_clamp 1
		.amdhsa_ieee_mode 1
		.amdhsa_fp16_overflow 0
		.amdhsa_tg_split 0
		.amdhsa_exception_fp_ieee_invalid_op 0
		.amdhsa_exception_fp_denorm_src 0
		.amdhsa_exception_fp_ieee_div_zero 0
		.amdhsa_exception_fp_ieee_overflow 0
		.amdhsa_exception_fp_ieee_underflow 0
		.amdhsa_exception_fp_ieee_inexact 0
		.amdhsa_exception_int_div_zero 0
	.end_amdhsa_kernel
	.section	.text._ZN7rocprim17ROCPRIM_400000_NS6detail17trampoline_kernelINS0_14default_configENS1_20scan_config_selectorIN3c107complexIdEEEEZZNS1_9scan_implILNS1_25lookback_scan_determinismE0ELb0ELb0ES3_PKS7_PS7_S7_ZZZN2at6native31launch_logcumsumexp_cuda_kernelERKNSE_10TensorBaseESI_lENKUlvE_clEvENKUlvE1_clEvEUlS7_S7_E_S7_EEDaPvRmT3_T4_T5_mT6_P12ihipStream_tbENKUlT_T0_E_clISt17integral_constantIbLb0EESZ_EEDaSU_SV_EUlSU_E_NS1_11comp_targetILNS1_3genE9ELNS1_11target_archE1100ELNS1_3gpuE3ELNS1_3repE0EEENS1_30default_config_static_selectorELNS0_4arch9wavefront6targetE1EEEvT1_,"axG",@progbits,_ZN7rocprim17ROCPRIM_400000_NS6detail17trampoline_kernelINS0_14default_configENS1_20scan_config_selectorIN3c107complexIdEEEEZZNS1_9scan_implILNS1_25lookback_scan_determinismE0ELb0ELb0ES3_PKS7_PS7_S7_ZZZN2at6native31launch_logcumsumexp_cuda_kernelERKNSE_10TensorBaseESI_lENKUlvE_clEvENKUlvE1_clEvEUlS7_S7_E_S7_EEDaPvRmT3_T4_T5_mT6_P12ihipStream_tbENKUlT_T0_E_clISt17integral_constantIbLb0EESZ_EEDaSU_SV_EUlSU_E_NS1_11comp_targetILNS1_3genE9ELNS1_11target_archE1100ELNS1_3gpuE3ELNS1_3repE0EEENS1_30default_config_static_selectorELNS0_4arch9wavefront6targetE1EEEvT1_,comdat
.Lfunc_end183:
	.size	_ZN7rocprim17ROCPRIM_400000_NS6detail17trampoline_kernelINS0_14default_configENS1_20scan_config_selectorIN3c107complexIdEEEEZZNS1_9scan_implILNS1_25lookback_scan_determinismE0ELb0ELb0ES3_PKS7_PS7_S7_ZZZN2at6native31launch_logcumsumexp_cuda_kernelERKNSE_10TensorBaseESI_lENKUlvE_clEvENKUlvE1_clEvEUlS7_S7_E_S7_EEDaPvRmT3_T4_T5_mT6_P12ihipStream_tbENKUlT_T0_E_clISt17integral_constantIbLb0EESZ_EEDaSU_SV_EUlSU_E_NS1_11comp_targetILNS1_3genE9ELNS1_11target_archE1100ELNS1_3gpuE3ELNS1_3repE0EEENS1_30default_config_static_selectorELNS0_4arch9wavefront6targetE1EEEvT1_, .Lfunc_end183-_ZN7rocprim17ROCPRIM_400000_NS6detail17trampoline_kernelINS0_14default_configENS1_20scan_config_selectorIN3c107complexIdEEEEZZNS1_9scan_implILNS1_25lookback_scan_determinismE0ELb0ELb0ES3_PKS7_PS7_S7_ZZZN2at6native31launch_logcumsumexp_cuda_kernelERKNSE_10TensorBaseESI_lENKUlvE_clEvENKUlvE1_clEvEUlS7_S7_E_S7_EEDaPvRmT3_T4_T5_mT6_P12ihipStream_tbENKUlT_T0_E_clISt17integral_constantIbLb0EESZ_EEDaSU_SV_EUlSU_E_NS1_11comp_targetILNS1_3genE9ELNS1_11target_archE1100ELNS1_3gpuE3ELNS1_3repE0EEENS1_30default_config_static_selectorELNS0_4arch9wavefront6targetE1EEEvT1_
                                        ; -- End function
	.set _ZN7rocprim17ROCPRIM_400000_NS6detail17trampoline_kernelINS0_14default_configENS1_20scan_config_selectorIN3c107complexIdEEEEZZNS1_9scan_implILNS1_25lookback_scan_determinismE0ELb0ELb0ES3_PKS7_PS7_S7_ZZZN2at6native31launch_logcumsumexp_cuda_kernelERKNSE_10TensorBaseESI_lENKUlvE_clEvENKUlvE1_clEvEUlS7_S7_E_S7_EEDaPvRmT3_T4_T5_mT6_P12ihipStream_tbENKUlT_T0_E_clISt17integral_constantIbLb0EESZ_EEDaSU_SV_EUlSU_E_NS1_11comp_targetILNS1_3genE9ELNS1_11target_archE1100ELNS1_3gpuE3ELNS1_3repE0EEENS1_30default_config_static_selectorELNS0_4arch9wavefront6targetE1EEEvT1_.num_vgpr, 0
	.set _ZN7rocprim17ROCPRIM_400000_NS6detail17trampoline_kernelINS0_14default_configENS1_20scan_config_selectorIN3c107complexIdEEEEZZNS1_9scan_implILNS1_25lookback_scan_determinismE0ELb0ELb0ES3_PKS7_PS7_S7_ZZZN2at6native31launch_logcumsumexp_cuda_kernelERKNSE_10TensorBaseESI_lENKUlvE_clEvENKUlvE1_clEvEUlS7_S7_E_S7_EEDaPvRmT3_T4_T5_mT6_P12ihipStream_tbENKUlT_T0_E_clISt17integral_constantIbLb0EESZ_EEDaSU_SV_EUlSU_E_NS1_11comp_targetILNS1_3genE9ELNS1_11target_archE1100ELNS1_3gpuE3ELNS1_3repE0EEENS1_30default_config_static_selectorELNS0_4arch9wavefront6targetE1EEEvT1_.num_agpr, 0
	.set _ZN7rocprim17ROCPRIM_400000_NS6detail17trampoline_kernelINS0_14default_configENS1_20scan_config_selectorIN3c107complexIdEEEEZZNS1_9scan_implILNS1_25lookback_scan_determinismE0ELb0ELb0ES3_PKS7_PS7_S7_ZZZN2at6native31launch_logcumsumexp_cuda_kernelERKNSE_10TensorBaseESI_lENKUlvE_clEvENKUlvE1_clEvEUlS7_S7_E_S7_EEDaPvRmT3_T4_T5_mT6_P12ihipStream_tbENKUlT_T0_E_clISt17integral_constantIbLb0EESZ_EEDaSU_SV_EUlSU_E_NS1_11comp_targetILNS1_3genE9ELNS1_11target_archE1100ELNS1_3gpuE3ELNS1_3repE0EEENS1_30default_config_static_selectorELNS0_4arch9wavefront6targetE1EEEvT1_.numbered_sgpr, 0
	.set _ZN7rocprim17ROCPRIM_400000_NS6detail17trampoline_kernelINS0_14default_configENS1_20scan_config_selectorIN3c107complexIdEEEEZZNS1_9scan_implILNS1_25lookback_scan_determinismE0ELb0ELb0ES3_PKS7_PS7_S7_ZZZN2at6native31launch_logcumsumexp_cuda_kernelERKNSE_10TensorBaseESI_lENKUlvE_clEvENKUlvE1_clEvEUlS7_S7_E_S7_EEDaPvRmT3_T4_T5_mT6_P12ihipStream_tbENKUlT_T0_E_clISt17integral_constantIbLb0EESZ_EEDaSU_SV_EUlSU_E_NS1_11comp_targetILNS1_3genE9ELNS1_11target_archE1100ELNS1_3gpuE3ELNS1_3repE0EEENS1_30default_config_static_selectorELNS0_4arch9wavefront6targetE1EEEvT1_.num_named_barrier, 0
	.set _ZN7rocprim17ROCPRIM_400000_NS6detail17trampoline_kernelINS0_14default_configENS1_20scan_config_selectorIN3c107complexIdEEEEZZNS1_9scan_implILNS1_25lookback_scan_determinismE0ELb0ELb0ES3_PKS7_PS7_S7_ZZZN2at6native31launch_logcumsumexp_cuda_kernelERKNSE_10TensorBaseESI_lENKUlvE_clEvENKUlvE1_clEvEUlS7_S7_E_S7_EEDaPvRmT3_T4_T5_mT6_P12ihipStream_tbENKUlT_T0_E_clISt17integral_constantIbLb0EESZ_EEDaSU_SV_EUlSU_E_NS1_11comp_targetILNS1_3genE9ELNS1_11target_archE1100ELNS1_3gpuE3ELNS1_3repE0EEENS1_30default_config_static_selectorELNS0_4arch9wavefront6targetE1EEEvT1_.private_seg_size, 0
	.set _ZN7rocprim17ROCPRIM_400000_NS6detail17trampoline_kernelINS0_14default_configENS1_20scan_config_selectorIN3c107complexIdEEEEZZNS1_9scan_implILNS1_25lookback_scan_determinismE0ELb0ELb0ES3_PKS7_PS7_S7_ZZZN2at6native31launch_logcumsumexp_cuda_kernelERKNSE_10TensorBaseESI_lENKUlvE_clEvENKUlvE1_clEvEUlS7_S7_E_S7_EEDaPvRmT3_T4_T5_mT6_P12ihipStream_tbENKUlT_T0_E_clISt17integral_constantIbLb0EESZ_EEDaSU_SV_EUlSU_E_NS1_11comp_targetILNS1_3genE9ELNS1_11target_archE1100ELNS1_3gpuE3ELNS1_3repE0EEENS1_30default_config_static_selectorELNS0_4arch9wavefront6targetE1EEEvT1_.uses_vcc, 0
	.set _ZN7rocprim17ROCPRIM_400000_NS6detail17trampoline_kernelINS0_14default_configENS1_20scan_config_selectorIN3c107complexIdEEEEZZNS1_9scan_implILNS1_25lookback_scan_determinismE0ELb0ELb0ES3_PKS7_PS7_S7_ZZZN2at6native31launch_logcumsumexp_cuda_kernelERKNSE_10TensorBaseESI_lENKUlvE_clEvENKUlvE1_clEvEUlS7_S7_E_S7_EEDaPvRmT3_T4_T5_mT6_P12ihipStream_tbENKUlT_T0_E_clISt17integral_constantIbLb0EESZ_EEDaSU_SV_EUlSU_E_NS1_11comp_targetILNS1_3genE9ELNS1_11target_archE1100ELNS1_3gpuE3ELNS1_3repE0EEENS1_30default_config_static_selectorELNS0_4arch9wavefront6targetE1EEEvT1_.uses_flat_scratch, 0
	.set _ZN7rocprim17ROCPRIM_400000_NS6detail17trampoline_kernelINS0_14default_configENS1_20scan_config_selectorIN3c107complexIdEEEEZZNS1_9scan_implILNS1_25lookback_scan_determinismE0ELb0ELb0ES3_PKS7_PS7_S7_ZZZN2at6native31launch_logcumsumexp_cuda_kernelERKNSE_10TensorBaseESI_lENKUlvE_clEvENKUlvE1_clEvEUlS7_S7_E_S7_EEDaPvRmT3_T4_T5_mT6_P12ihipStream_tbENKUlT_T0_E_clISt17integral_constantIbLb0EESZ_EEDaSU_SV_EUlSU_E_NS1_11comp_targetILNS1_3genE9ELNS1_11target_archE1100ELNS1_3gpuE3ELNS1_3repE0EEENS1_30default_config_static_selectorELNS0_4arch9wavefront6targetE1EEEvT1_.has_dyn_sized_stack, 0
	.set _ZN7rocprim17ROCPRIM_400000_NS6detail17trampoline_kernelINS0_14default_configENS1_20scan_config_selectorIN3c107complexIdEEEEZZNS1_9scan_implILNS1_25lookback_scan_determinismE0ELb0ELb0ES3_PKS7_PS7_S7_ZZZN2at6native31launch_logcumsumexp_cuda_kernelERKNSE_10TensorBaseESI_lENKUlvE_clEvENKUlvE1_clEvEUlS7_S7_E_S7_EEDaPvRmT3_T4_T5_mT6_P12ihipStream_tbENKUlT_T0_E_clISt17integral_constantIbLb0EESZ_EEDaSU_SV_EUlSU_E_NS1_11comp_targetILNS1_3genE9ELNS1_11target_archE1100ELNS1_3gpuE3ELNS1_3repE0EEENS1_30default_config_static_selectorELNS0_4arch9wavefront6targetE1EEEvT1_.has_recursion, 0
	.set _ZN7rocprim17ROCPRIM_400000_NS6detail17trampoline_kernelINS0_14default_configENS1_20scan_config_selectorIN3c107complexIdEEEEZZNS1_9scan_implILNS1_25lookback_scan_determinismE0ELb0ELb0ES3_PKS7_PS7_S7_ZZZN2at6native31launch_logcumsumexp_cuda_kernelERKNSE_10TensorBaseESI_lENKUlvE_clEvENKUlvE1_clEvEUlS7_S7_E_S7_EEDaPvRmT3_T4_T5_mT6_P12ihipStream_tbENKUlT_T0_E_clISt17integral_constantIbLb0EESZ_EEDaSU_SV_EUlSU_E_NS1_11comp_targetILNS1_3genE9ELNS1_11target_archE1100ELNS1_3gpuE3ELNS1_3repE0EEENS1_30default_config_static_selectorELNS0_4arch9wavefront6targetE1EEEvT1_.has_indirect_call, 0
	.section	.AMDGPU.csdata,"",@progbits
; Kernel info:
; codeLenInByte = 0
; TotalNumSgprs: 6
; NumVgprs: 0
; NumAgprs: 0
; TotalNumVgprs: 0
; ScratchSize: 0
; MemoryBound: 0
; FloatMode: 240
; IeeeMode: 1
; LDSByteSize: 0 bytes/workgroup (compile time only)
; SGPRBlocks: 0
; VGPRBlocks: 0
; NumSGPRsForWavesPerEU: 6
; NumVGPRsForWavesPerEU: 1
; AccumOffset: 4
; Occupancy: 8
; WaveLimiterHint : 0
; COMPUTE_PGM_RSRC2:SCRATCH_EN: 0
; COMPUTE_PGM_RSRC2:USER_SGPR: 2
; COMPUTE_PGM_RSRC2:TRAP_HANDLER: 0
; COMPUTE_PGM_RSRC2:TGID_X_EN: 1
; COMPUTE_PGM_RSRC2:TGID_Y_EN: 0
; COMPUTE_PGM_RSRC2:TGID_Z_EN: 0
; COMPUTE_PGM_RSRC2:TIDIG_COMP_CNT: 0
; COMPUTE_PGM_RSRC3_GFX90A:ACCUM_OFFSET: 0
; COMPUTE_PGM_RSRC3_GFX90A:TG_SPLIT: 0
	.section	.text._ZN7rocprim17ROCPRIM_400000_NS6detail17trampoline_kernelINS0_14default_configENS1_20scan_config_selectorIN3c107complexIdEEEEZZNS1_9scan_implILNS1_25lookback_scan_determinismE0ELb0ELb0ES3_PKS7_PS7_S7_ZZZN2at6native31launch_logcumsumexp_cuda_kernelERKNSE_10TensorBaseESI_lENKUlvE_clEvENKUlvE1_clEvEUlS7_S7_E_S7_EEDaPvRmT3_T4_T5_mT6_P12ihipStream_tbENKUlT_T0_E_clISt17integral_constantIbLb0EESZ_EEDaSU_SV_EUlSU_E_NS1_11comp_targetILNS1_3genE8ELNS1_11target_archE1030ELNS1_3gpuE2ELNS1_3repE0EEENS1_30default_config_static_selectorELNS0_4arch9wavefront6targetE1EEEvT1_,"axG",@progbits,_ZN7rocprim17ROCPRIM_400000_NS6detail17trampoline_kernelINS0_14default_configENS1_20scan_config_selectorIN3c107complexIdEEEEZZNS1_9scan_implILNS1_25lookback_scan_determinismE0ELb0ELb0ES3_PKS7_PS7_S7_ZZZN2at6native31launch_logcumsumexp_cuda_kernelERKNSE_10TensorBaseESI_lENKUlvE_clEvENKUlvE1_clEvEUlS7_S7_E_S7_EEDaPvRmT3_T4_T5_mT6_P12ihipStream_tbENKUlT_T0_E_clISt17integral_constantIbLb0EESZ_EEDaSU_SV_EUlSU_E_NS1_11comp_targetILNS1_3genE8ELNS1_11target_archE1030ELNS1_3gpuE2ELNS1_3repE0EEENS1_30default_config_static_selectorELNS0_4arch9wavefront6targetE1EEEvT1_,comdat
	.globl	_ZN7rocprim17ROCPRIM_400000_NS6detail17trampoline_kernelINS0_14default_configENS1_20scan_config_selectorIN3c107complexIdEEEEZZNS1_9scan_implILNS1_25lookback_scan_determinismE0ELb0ELb0ES3_PKS7_PS7_S7_ZZZN2at6native31launch_logcumsumexp_cuda_kernelERKNSE_10TensorBaseESI_lENKUlvE_clEvENKUlvE1_clEvEUlS7_S7_E_S7_EEDaPvRmT3_T4_T5_mT6_P12ihipStream_tbENKUlT_T0_E_clISt17integral_constantIbLb0EESZ_EEDaSU_SV_EUlSU_E_NS1_11comp_targetILNS1_3genE8ELNS1_11target_archE1030ELNS1_3gpuE2ELNS1_3repE0EEENS1_30default_config_static_selectorELNS0_4arch9wavefront6targetE1EEEvT1_ ; -- Begin function _ZN7rocprim17ROCPRIM_400000_NS6detail17trampoline_kernelINS0_14default_configENS1_20scan_config_selectorIN3c107complexIdEEEEZZNS1_9scan_implILNS1_25lookback_scan_determinismE0ELb0ELb0ES3_PKS7_PS7_S7_ZZZN2at6native31launch_logcumsumexp_cuda_kernelERKNSE_10TensorBaseESI_lENKUlvE_clEvENKUlvE1_clEvEUlS7_S7_E_S7_EEDaPvRmT3_T4_T5_mT6_P12ihipStream_tbENKUlT_T0_E_clISt17integral_constantIbLb0EESZ_EEDaSU_SV_EUlSU_E_NS1_11comp_targetILNS1_3genE8ELNS1_11target_archE1030ELNS1_3gpuE2ELNS1_3repE0EEENS1_30default_config_static_selectorELNS0_4arch9wavefront6targetE1EEEvT1_
	.p2align	8
	.type	_ZN7rocprim17ROCPRIM_400000_NS6detail17trampoline_kernelINS0_14default_configENS1_20scan_config_selectorIN3c107complexIdEEEEZZNS1_9scan_implILNS1_25lookback_scan_determinismE0ELb0ELb0ES3_PKS7_PS7_S7_ZZZN2at6native31launch_logcumsumexp_cuda_kernelERKNSE_10TensorBaseESI_lENKUlvE_clEvENKUlvE1_clEvEUlS7_S7_E_S7_EEDaPvRmT3_T4_T5_mT6_P12ihipStream_tbENKUlT_T0_E_clISt17integral_constantIbLb0EESZ_EEDaSU_SV_EUlSU_E_NS1_11comp_targetILNS1_3genE8ELNS1_11target_archE1030ELNS1_3gpuE2ELNS1_3repE0EEENS1_30default_config_static_selectorELNS0_4arch9wavefront6targetE1EEEvT1_,@function
_ZN7rocprim17ROCPRIM_400000_NS6detail17trampoline_kernelINS0_14default_configENS1_20scan_config_selectorIN3c107complexIdEEEEZZNS1_9scan_implILNS1_25lookback_scan_determinismE0ELb0ELb0ES3_PKS7_PS7_S7_ZZZN2at6native31launch_logcumsumexp_cuda_kernelERKNSE_10TensorBaseESI_lENKUlvE_clEvENKUlvE1_clEvEUlS7_S7_E_S7_EEDaPvRmT3_T4_T5_mT6_P12ihipStream_tbENKUlT_T0_E_clISt17integral_constantIbLb0EESZ_EEDaSU_SV_EUlSU_E_NS1_11comp_targetILNS1_3genE8ELNS1_11target_archE1030ELNS1_3gpuE2ELNS1_3repE0EEENS1_30default_config_static_selectorELNS0_4arch9wavefront6targetE1EEEvT1_: ; @_ZN7rocprim17ROCPRIM_400000_NS6detail17trampoline_kernelINS0_14default_configENS1_20scan_config_selectorIN3c107complexIdEEEEZZNS1_9scan_implILNS1_25lookback_scan_determinismE0ELb0ELb0ES3_PKS7_PS7_S7_ZZZN2at6native31launch_logcumsumexp_cuda_kernelERKNSE_10TensorBaseESI_lENKUlvE_clEvENKUlvE1_clEvEUlS7_S7_E_S7_EEDaPvRmT3_T4_T5_mT6_P12ihipStream_tbENKUlT_T0_E_clISt17integral_constantIbLb0EESZ_EEDaSU_SV_EUlSU_E_NS1_11comp_targetILNS1_3genE8ELNS1_11target_archE1030ELNS1_3gpuE2ELNS1_3repE0EEENS1_30default_config_static_selectorELNS0_4arch9wavefront6targetE1EEEvT1_
; %bb.0:
	.section	.rodata,"a",@progbits
	.p2align	6, 0x0
	.amdhsa_kernel _ZN7rocprim17ROCPRIM_400000_NS6detail17trampoline_kernelINS0_14default_configENS1_20scan_config_selectorIN3c107complexIdEEEEZZNS1_9scan_implILNS1_25lookback_scan_determinismE0ELb0ELb0ES3_PKS7_PS7_S7_ZZZN2at6native31launch_logcumsumexp_cuda_kernelERKNSE_10TensorBaseESI_lENKUlvE_clEvENKUlvE1_clEvEUlS7_S7_E_S7_EEDaPvRmT3_T4_T5_mT6_P12ihipStream_tbENKUlT_T0_E_clISt17integral_constantIbLb0EESZ_EEDaSU_SV_EUlSU_E_NS1_11comp_targetILNS1_3genE8ELNS1_11target_archE1030ELNS1_3gpuE2ELNS1_3repE0EEENS1_30default_config_static_selectorELNS0_4arch9wavefront6targetE1EEEvT1_
		.amdhsa_group_segment_fixed_size 0
		.amdhsa_private_segment_fixed_size 0
		.amdhsa_kernarg_size 128
		.amdhsa_user_sgpr_count 2
		.amdhsa_user_sgpr_dispatch_ptr 0
		.amdhsa_user_sgpr_queue_ptr 0
		.amdhsa_user_sgpr_kernarg_segment_ptr 1
		.amdhsa_user_sgpr_dispatch_id 0
		.amdhsa_user_sgpr_kernarg_preload_length 0
		.amdhsa_user_sgpr_kernarg_preload_offset 0
		.amdhsa_user_sgpr_private_segment_size 0
		.amdhsa_uses_dynamic_stack 0
		.amdhsa_enable_private_segment 0
		.amdhsa_system_sgpr_workgroup_id_x 1
		.amdhsa_system_sgpr_workgroup_id_y 0
		.amdhsa_system_sgpr_workgroup_id_z 0
		.amdhsa_system_sgpr_workgroup_info 0
		.amdhsa_system_vgpr_workitem_id 0
		.amdhsa_next_free_vgpr 1
		.amdhsa_next_free_sgpr 0
		.amdhsa_accum_offset 4
		.amdhsa_reserve_vcc 0
		.amdhsa_float_round_mode_32 0
		.amdhsa_float_round_mode_16_64 0
		.amdhsa_float_denorm_mode_32 3
		.amdhsa_float_denorm_mode_16_64 3
		.amdhsa_dx10_clamp 1
		.amdhsa_ieee_mode 1
		.amdhsa_fp16_overflow 0
		.amdhsa_tg_split 0
		.amdhsa_exception_fp_ieee_invalid_op 0
		.amdhsa_exception_fp_denorm_src 0
		.amdhsa_exception_fp_ieee_div_zero 0
		.amdhsa_exception_fp_ieee_overflow 0
		.amdhsa_exception_fp_ieee_underflow 0
		.amdhsa_exception_fp_ieee_inexact 0
		.amdhsa_exception_int_div_zero 0
	.end_amdhsa_kernel
	.section	.text._ZN7rocprim17ROCPRIM_400000_NS6detail17trampoline_kernelINS0_14default_configENS1_20scan_config_selectorIN3c107complexIdEEEEZZNS1_9scan_implILNS1_25lookback_scan_determinismE0ELb0ELb0ES3_PKS7_PS7_S7_ZZZN2at6native31launch_logcumsumexp_cuda_kernelERKNSE_10TensorBaseESI_lENKUlvE_clEvENKUlvE1_clEvEUlS7_S7_E_S7_EEDaPvRmT3_T4_T5_mT6_P12ihipStream_tbENKUlT_T0_E_clISt17integral_constantIbLb0EESZ_EEDaSU_SV_EUlSU_E_NS1_11comp_targetILNS1_3genE8ELNS1_11target_archE1030ELNS1_3gpuE2ELNS1_3repE0EEENS1_30default_config_static_selectorELNS0_4arch9wavefront6targetE1EEEvT1_,"axG",@progbits,_ZN7rocprim17ROCPRIM_400000_NS6detail17trampoline_kernelINS0_14default_configENS1_20scan_config_selectorIN3c107complexIdEEEEZZNS1_9scan_implILNS1_25lookback_scan_determinismE0ELb0ELb0ES3_PKS7_PS7_S7_ZZZN2at6native31launch_logcumsumexp_cuda_kernelERKNSE_10TensorBaseESI_lENKUlvE_clEvENKUlvE1_clEvEUlS7_S7_E_S7_EEDaPvRmT3_T4_T5_mT6_P12ihipStream_tbENKUlT_T0_E_clISt17integral_constantIbLb0EESZ_EEDaSU_SV_EUlSU_E_NS1_11comp_targetILNS1_3genE8ELNS1_11target_archE1030ELNS1_3gpuE2ELNS1_3repE0EEENS1_30default_config_static_selectorELNS0_4arch9wavefront6targetE1EEEvT1_,comdat
.Lfunc_end184:
	.size	_ZN7rocprim17ROCPRIM_400000_NS6detail17trampoline_kernelINS0_14default_configENS1_20scan_config_selectorIN3c107complexIdEEEEZZNS1_9scan_implILNS1_25lookback_scan_determinismE0ELb0ELb0ES3_PKS7_PS7_S7_ZZZN2at6native31launch_logcumsumexp_cuda_kernelERKNSE_10TensorBaseESI_lENKUlvE_clEvENKUlvE1_clEvEUlS7_S7_E_S7_EEDaPvRmT3_T4_T5_mT6_P12ihipStream_tbENKUlT_T0_E_clISt17integral_constantIbLb0EESZ_EEDaSU_SV_EUlSU_E_NS1_11comp_targetILNS1_3genE8ELNS1_11target_archE1030ELNS1_3gpuE2ELNS1_3repE0EEENS1_30default_config_static_selectorELNS0_4arch9wavefront6targetE1EEEvT1_, .Lfunc_end184-_ZN7rocprim17ROCPRIM_400000_NS6detail17trampoline_kernelINS0_14default_configENS1_20scan_config_selectorIN3c107complexIdEEEEZZNS1_9scan_implILNS1_25lookback_scan_determinismE0ELb0ELb0ES3_PKS7_PS7_S7_ZZZN2at6native31launch_logcumsumexp_cuda_kernelERKNSE_10TensorBaseESI_lENKUlvE_clEvENKUlvE1_clEvEUlS7_S7_E_S7_EEDaPvRmT3_T4_T5_mT6_P12ihipStream_tbENKUlT_T0_E_clISt17integral_constantIbLb0EESZ_EEDaSU_SV_EUlSU_E_NS1_11comp_targetILNS1_3genE8ELNS1_11target_archE1030ELNS1_3gpuE2ELNS1_3repE0EEENS1_30default_config_static_selectorELNS0_4arch9wavefront6targetE1EEEvT1_
                                        ; -- End function
	.set _ZN7rocprim17ROCPRIM_400000_NS6detail17trampoline_kernelINS0_14default_configENS1_20scan_config_selectorIN3c107complexIdEEEEZZNS1_9scan_implILNS1_25lookback_scan_determinismE0ELb0ELb0ES3_PKS7_PS7_S7_ZZZN2at6native31launch_logcumsumexp_cuda_kernelERKNSE_10TensorBaseESI_lENKUlvE_clEvENKUlvE1_clEvEUlS7_S7_E_S7_EEDaPvRmT3_T4_T5_mT6_P12ihipStream_tbENKUlT_T0_E_clISt17integral_constantIbLb0EESZ_EEDaSU_SV_EUlSU_E_NS1_11comp_targetILNS1_3genE8ELNS1_11target_archE1030ELNS1_3gpuE2ELNS1_3repE0EEENS1_30default_config_static_selectorELNS0_4arch9wavefront6targetE1EEEvT1_.num_vgpr, 0
	.set _ZN7rocprim17ROCPRIM_400000_NS6detail17trampoline_kernelINS0_14default_configENS1_20scan_config_selectorIN3c107complexIdEEEEZZNS1_9scan_implILNS1_25lookback_scan_determinismE0ELb0ELb0ES3_PKS7_PS7_S7_ZZZN2at6native31launch_logcumsumexp_cuda_kernelERKNSE_10TensorBaseESI_lENKUlvE_clEvENKUlvE1_clEvEUlS7_S7_E_S7_EEDaPvRmT3_T4_T5_mT6_P12ihipStream_tbENKUlT_T0_E_clISt17integral_constantIbLb0EESZ_EEDaSU_SV_EUlSU_E_NS1_11comp_targetILNS1_3genE8ELNS1_11target_archE1030ELNS1_3gpuE2ELNS1_3repE0EEENS1_30default_config_static_selectorELNS0_4arch9wavefront6targetE1EEEvT1_.num_agpr, 0
	.set _ZN7rocprim17ROCPRIM_400000_NS6detail17trampoline_kernelINS0_14default_configENS1_20scan_config_selectorIN3c107complexIdEEEEZZNS1_9scan_implILNS1_25lookback_scan_determinismE0ELb0ELb0ES3_PKS7_PS7_S7_ZZZN2at6native31launch_logcumsumexp_cuda_kernelERKNSE_10TensorBaseESI_lENKUlvE_clEvENKUlvE1_clEvEUlS7_S7_E_S7_EEDaPvRmT3_T4_T5_mT6_P12ihipStream_tbENKUlT_T0_E_clISt17integral_constantIbLb0EESZ_EEDaSU_SV_EUlSU_E_NS1_11comp_targetILNS1_3genE8ELNS1_11target_archE1030ELNS1_3gpuE2ELNS1_3repE0EEENS1_30default_config_static_selectorELNS0_4arch9wavefront6targetE1EEEvT1_.numbered_sgpr, 0
	.set _ZN7rocprim17ROCPRIM_400000_NS6detail17trampoline_kernelINS0_14default_configENS1_20scan_config_selectorIN3c107complexIdEEEEZZNS1_9scan_implILNS1_25lookback_scan_determinismE0ELb0ELb0ES3_PKS7_PS7_S7_ZZZN2at6native31launch_logcumsumexp_cuda_kernelERKNSE_10TensorBaseESI_lENKUlvE_clEvENKUlvE1_clEvEUlS7_S7_E_S7_EEDaPvRmT3_T4_T5_mT6_P12ihipStream_tbENKUlT_T0_E_clISt17integral_constantIbLb0EESZ_EEDaSU_SV_EUlSU_E_NS1_11comp_targetILNS1_3genE8ELNS1_11target_archE1030ELNS1_3gpuE2ELNS1_3repE0EEENS1_30default_config_static_selectorELNS0_4arch9wavefront6targetE1EEEvT1_.num_named_barrier, 0
	.set _ZN7rocprim17ROCPRIM_400000_NS6detail17trampoline_kernelINS0_14default_configENS1_20scan_config_selectorIN3c107complexIdEEEEZZNS1_9scan_implILNS1_25lookback_scan_determinismE0ELb0ELb0ES3_PKS7_PS7_S7_ZZZN2at6native31launch_logcumsumexp_cuda_kernelERKNSE_10TensorBaseESI_lENKUlvE_clEvENKUlvE1_clEvEUlS7_S7_E_S7_EEDaPvRmT3_T4_T5_mT6_P12ihipStream_tbENKUlT_T0_E_clISt17integral_constantIbLb0EESZ_EEDaSU_SV_EUlSU_E_NS1_11comp_targetILNS1_3genE8ELNS1_11target_archE1030ELNS1_3gpuE2ELNS1_3repE0EEENS1_30default_config_static_selectorELNS0_4arch9wavefront6targetE1EEEvT1_.private_seg_size, 0
	.set _ZN7rocprim17ROCPRIM_400000_NS6detail17trampoline_kernelINS0_14default_configENS1_20scan_config_selectorIN3c107complexIdEEEEZZNS1_9scan_implILNS1_25lookback_scan_determinismE0ELb0ELb0ES3_PKS7_PS7_S7_ZZZN2at6native31launch_logcumsumexp_cuda_kernelERKNSE_10TensorBaseESI_lENKUlvE_clEvENKUlvE1_clEvEUlS7_S7_E_S7_EEDaPvRmT3_T4_T5_mT6_P12ihipStream_tbENKUlT_T0_E_clISt17integral_constantIbLb0EESZ_EEDaSU_SV_EUlSU_E_NS1_11comp_targetILNS1_3genE8ELNS1_11target_archE1030ELNS1_3gpuE2ELNS1_3repE0EEENS1_30default_config_static_selectorELNS0_4arch9wavefront6targetE1EEEvT1_.uses_vcc, 0
	.set _ZN7rocprim17ROCPRIM_400000_NS6detail17trampoline_kernelINS0_14default_configENS1_20scan_config_selectorIN3c107complexIdEEEEZZNS1_9scan_implILNS1_25lookback_scan_determinismE0ELb0ELb0ES3_PKS7_PS7_S7_ZZZN2at6native31launch_logcumsumexp_cuda_kernelERKNSE_10TensorBaseESI_lENKUlvE_clEvENKUlvE1_clEvEUlS7_S7_E_S7_EEDaPvRmT3_T4_T5_mT6_P12ihipStream_tbENKUlT_T0_E_clISt17integral_constantIbLb0EESZ_EEDaSU_SV_EUlSU_E_NS1_11comp_targetILNS1_3genE8ELNS1_11target_archE1030ELNS1_3gpuE2ELNS1_3repE0EEENS1_30default_config_static_selectorELNS0_4arch9wavefront6targetE1EEEvT1_.uses_flat_scratch, 0
	.set _ZN7rocprim17ROCPRIM_400000_NS6detail17trampoline_kernelINS0_14default_configENS1_20scan_config_selectorIN3c107complexIdEEEEZZNS1_9scan_implILNS1_25lookback_scan_determinismE0ELb0ELb0ES3_PKS7_PS7_S7_ZZZN2at6native31launch_logcumsumexp_cuda_kernelERKNSE_10TensorBaseESI_lENKUlvE_clEvENKUlvE1_clEvEUlS7_S7_E_S7_EEDaPvRmT3_T4_T5_mT6_P12ihipStream_tbENKUlT_T0_E_clISt17integral_constantIbLb0EESZ_EEDaSU_SV_EUlSU_E_NS1_11comp_targetILNS1_3genE8ELNS1_11target_archE1030ELNS1_3gpuE2ELNS1_3repE0EEENS1_30default_config_static_selectorELNS0_4arch9wavefront6targetE1EEEvT1_.has_dyn_sized_stack, 0
	.set _ZN7rocprim17ROCPRIM_400000_NS6detail17trampoline_kernelINS0_14default_configENS1_20scan_config_selectorIN3c107complexIdEEEEZZNS1_9scan_implILNS1_25lookback_scan_determinismE0ELb0ELb0ES3_PKS7_PS7_S7_ZZZN2at6native31launch_logcumsumexp_cuda_kernelERKNSE_10TensorBaseESI_lENKUlvE_clEvENKUlvE1_clEvEUlS7_S7_E_S7_EEDaPvRmT3_T4_T5_mT6_P12ihipStream_tbENKUlT_T0_E_clISt17integral_constantIbLb0EESZ_EEDaSU_SV_EUlSU_E_NS1_11comp_targetILNS1_3genE8ELNS1_11target_archE1030ELNS1_3gpuE2ELNS1_3repE0EEENS1_30default_config_static_selectorELNS0_4arch9wavefront6targetE1EEEvT1_.has_recursion, 0
	.set _ZN7rocprim17ROCPRIM_400000_NS6detail17trampoline_kernelINS0_14default_configENS1_20scan_config_selectorIN3c107complexIdEEEEZZNS1_9scan_implILNS1_25lookback_scan_determinismE0ELb0ELb0ES3_PKS7_PS7_S7_ZZZN2at6native31launch_logcumsumexp_cuda_kernelERKNSE_10TensorBaseESI_lENKUlvE_clEvENKUlvE1_clEvEUlS7_S7_E_S7_EEDaPvRmT3_T4_T5_mT6_P12ihipStream_tbENKUlT_T0_E_clISt17integral_constantIbLb0EESZ_EEDaSU_SV_EUlSU_E_NS1_11comp_targetILNS1_3genE8ELNS1_11target_archE1030ELNS1_3gpuE2ELNS1_3repE0EEENS1_30default_config_static_selectorELNS0_4arch9wavefront6targetE1EEEvT1_.has_indirect_call, 0
	.section	.AMDGPU.csdata,"",@progbits
; Kernel info:
; codeLenInByte = 0
; TotalNumSgprs: 6
; NumVgprs: 0
; NumAgprs: 0
; TotalNumVgprs: 0
; ScratchSize: 0
; MemoryBound: 0
; FloatMode: 240
; IeeeMode: 1
; LDSByteSize: 0 bytes/workgroup (compile time only)
; SGPRBlocks: 0
; VGPRBlocks: 0
; NumSGPRsForWavesPerEU: 6
; NumVGPRsForWavesPerEU: 1
; AccumOffset: 4
; Occupancy: 8
; WaveLimiterHint : 0
; COMPUTE_PGM_RSRC2:SCRATCH_EN: 0
; COMPUTE_PGM_RSRC2:USER_SGPR: 2
; COMPUTE_PGM_RSRC2:TRAP_HANDLER: 0
; COMPUTE_PGM_RSRC2:TGID_X_EN: 1
; COMPUTE_PGM_RSRC2:TGID_Y_EN: 0
; COMPUTE_PGM_RSRC2:TGID_Z_EN: 0
; COMPUTE_PGM_RSRC2:TIDIG_COMP_CNT: 0
; COMPUTE_PGM_RSRC3_GFX90A:ACCUM_OFFSET: 0
; COMPUTE_PGM_RSRC3_GFX90A:TG_SPLIT: 0
	.section	.text._ZN7rocprim17ROCPRIM_400000_NS6detail17trampoline_kernelINS0_14default_configENS1_25transform_config_selectorIN3c107complexIdEELb1EEEZNS1_14transform_implILb1ES3_S8_PS7_SA_NS0_8identityIS7_EEEE10hipError_tT2_T3_mT4_P12ihipStream_tbEUlT_E_NS1_11comp_targetILNS1_3genE0ELNS1_11target_archE4294967295ELNS1_3gpuE0ELNS1_3repE0EEENS1_30default_config_static_selectorELNS0_4arch9wavefront6targetE1EEEvT1_,"axG",@progbits,_ZN7rocprim17ROCPRIM_400000_NS6detail17trampoline_kernelINS0_14default_configENS1_25transform_config_selectorIN3c107complexIdEELb1EEEZNS1_14transform_implILb1ES3_S8_PS7_SA_NS0_8identityIS7_EEEE10hipError_tT2_T3_mT4_P12ihipStream_tbEUlT_E_NS1_11comp_targetILNS1_3genE0ELNS1_11target_archE4294967295ELNS1_3gpuE0ELNS1_3repE0EEENS1_30default_config_static_selectorELNS0_4arch9wavefront6targetE1EEEvT1_,comdat
	.protected	_ZN7rocprim17ROCPRIM_400000_NS6detail17trampoline_kernelINS0_14default_configENS1_25transform_config_selectorIN3c107complexIdEELb1EEEZNS1_14transform_implILb1ES3_S8_PS7_SA_NS0_8identityIS7_EEEE10hipError_tT2_T3_mT4_P12ihipStream_tbEUlT_E_NS1_11comp_targetILNS1_3genE0ELNS1_11target_archE4294967295ELNS1_3gpuE0ELNS1_3repE0EEENS1_30default_config_static_selectorELNS0_4arch9wavefront6targetE1EEEvT1_ ; -- Begin function _ZN7rocprim17ROCPRIM_400000_NS6detail17trampoline_kernelINS0_14default_configENS1_25transform_config_selectorIN3c107complexIdEELb1EEEZNS1_14transform_implILb1ES3_S8_PS7_SA_NS0_8identityIS7_EEEE10hipError_tT2_T3_mT4_P12ihipStream_tbEUlT_E_NS1_11comp_targetILNS1_3genE0ELNS1_11target_archE4294967295ELNS1_3gpuE0ELNS1_3repE0EEENS1_30default_config_static_selectorELNS0_4arch9wavefront6targetE1EEEvT1_
	.globl	_ZN7rocprim17ROCPRIM_400000_NS6detail17trampoline_kernelINS0_14default_configENS1_25transform_config_selectorIN3c107complexIdEELb1EEEZNS1_14transform_implILb1ES3_S8_PS7_SA_NS0_8identityIS7_EEEE10hipError_tT2_T3_mT4_P12ihipStream_tbEUlT_E_NS1_11comp_targetILNS1_3genE0ELNS1_11target_archE4294967295ELNS1_3gpuE0ELNS1_3repE0EEENS1_30default_config_static_selectorELNS0_4arch9wavefront6targetE1EEEvT1_
	.p2align	8
	.type	_ZN7rocprim17ROCPRIM_400000_NS6detail17trampoline_kernelINS0_14default_configENS1_25transform_config_selectorIN3c107complexIdEELb1EEEZNS1_14transform_implILb1ES3_S8_PS7_SA_NS0_8identityIS7_EEEE10hipError_tT2_T3_mT4_P12ihipStream_tbEUlT_E_NS1_11comp_targetILNS1_3genE0ELNS1_11target_archE4294967295ELNS1_3gpuE0ELNS1_3repE0EEENS1_30default_config_static_selectorELNS0_4arch9wavefront6targetE1EEEvT1_,@function
_ZN7rocprim17ROCPRIM_400000_NS6detail17trampoline_kernelINS0_14default_configENS1_25transform_config_selectorIN3c107complexIdEELb1EEEZNS1_14transform_implILb1ES3_S8_PS7_SA_NS0_8identityIS7_EEEE10hipError_tT2_T3_mT4_P12ihipStream_tbEUlT_E_NS1_11comp_targetILNS1_3genE0ELNS1_11target_archE4294967295ELNS1_3gpuE0ELNS1_3repE0EEENS1_30default_config_static_selectorELNS0_4arch9wavefront6targetE1EEEvT1_: ; @_ZN7rocprim17ROCPRIM_400000_NS6detail17trampoline_kernelINS0_14default_configENS1_25transform_config_selectorIN3c107complexIdEELb1EEEZNS1_14transform_implILb1ES3_S8_PS7_SA_NS0_8identityIS7_EEEE10hipError_tT2_T3_mT4_P12ihipStream_tbEUlT_E_NS1_11comp_targetILNS1_3genE0ELNS1_11target_archE4294967295ELNS1_3gpuE0ELNS1_3repE0EEENS1_30default_config_static_selectorELNS0_4arch9wavefront6targetE1EEEvT1_
; %bb.0:
	s_load_dword s3, s[0:1], 0x28
	s_load_dword s5, s[0:1], 0x10
	s_lshl_b32 s4, s2, 7
	s_waitcnt lgkmcnt(0)
	s_add_i32 s3, s3, -1
	s_cmp_lg_u32 s2, s3
	s_cselect_b64 s[2:3], -1, 0
	s_sub_i32 s5, s5, s4
	v_cmp_gt_u32_e32 vcc, s5, v0
	s_or_b64 s[2:3], vcc, s[2:3]
	s_and_saveexec_b64 s[6:7], s[2:3]
	s_cbranch_execz .LBB185_2
; %bb.1:
	s_load_dwordx4 s[8:11], s[0:1], 0x0
	s_load_dwordx2 s[2:3], s[0:1], 0x18
	s_mov_b32 s5, 0
	v_lshlrev_b32_e32 v4, 4, v0
	s_waitcnt lgkmcnt(0)
	s_lshl_b64 s[0:1], s[10:11], 4
	s_add_u32 s6, s8, s0
	s_addc_u32 s7, s9, s1
	s_lshl_b64 s[4:5], s[4:5], 4
	s_add_u32 s6, s6, s4
	s_addc_u32 s7, s7, s5
	global_load_dwordx4 v[0:3], v4, s[6:7]
	s_add_u32 s0, s2, s0
	s_addc_u32 s1, s3, s1
	s_add_u32 s0, s0, s4
	s_addc_u32 s1, s1, s5
	s_waitcnt vmcnt(0)
	global_store_dwordx4 v4, v[0:3], s[0:1]
.LBB185_2:
	s_endpgm
	.section	.rodata,"a",@progbits
	.p2align	6, 0x0
	.amdhsa_kernel _ZN7rocprim17ROCPRIM_400000_NS6detail17trampoline_kernelINS0_14default_configENS1_25transform_config_selectorIN3c107complexIdEELb1EEEZNS1_14transform_implILb1ES3_S8_PS7_SA_NS0_8identityIS7_EEEE10hipError_tT2_T3_mT4_P12ihipStream_tbEUlT_E_NS1_11comp_targetILNS1_3genE0ELNS1_11target_archE4294967295ELNS1_3gpuE0ELNS1_3repE0EEENS1_30default_config_static_selectorELNS0_4arch9wavefront6targetE1EEEvT1_
		.amdhsa_group_segment_fixed_size 0
		.amdhsa_private_segment_fixed_size 0
		.amdhsa_kernarg_size 296
		.amdhsa_user_sgpr_count 2
		.amdhsa_user_sgpr_dispatch_ptr 0
		.amdhsa_user_sgpr_queue_ptr 0
		.amdhsa_user_sgpr_kernarg_segment_ptr 1
		.amdhsa_user_sgpr_dispatch_id 0
		.amdhsa_user_sgpr_kernarg_preload_length 0
		.amdhsa_user_sgpr_kernarg_preload_offset 0
		.amdhsa_user_sgpr_private_segment_size 0
		.amdhsa_uses_dynamic_stack 0
		.amdhsa_enable_private_segment 0
		.amdhsa_system_sgpr_workgroup_id_x 1
		.amdhsa_system_sgpr_workgroup_id_y 0
		.amdhsa_system_sgpr_workgroup_id_z 0
		.amdhsa_system_sgpr_workgroup_info 0
		.amdhsa_system_vgpr_workitem_id 0
		.amdhsa_next_free_vgpr 5
		.amdhsa_next_free_sgpr 12
		.amdhsa_accum_offset 8
		.amdhsa_reserve_vcc 1
		.amdhsa_float_round_mode_32 0
		.amdhsa_float_round_mode_16_64 0
		.amdhsa_float_denorm_mode_32 3
		.amdhsa_float_denorm_mode_16_64 3
		.amdhsa_dx10_clamp 1
		.amdhsa_ieee_mode 1
		.amdhsa_fp16_overflow 0
		.amdhsa_tg_split 0
		.amdhsa_exception_fp_ieee_invalid_op 0
		.amdhsa_exception_fp_denorm_src 0
		.amdhsa_exception_fp_ieee_div_zero 0
		.amdhsa_exception_fp_ieee_overflow 0
		.amdhsa_exception_fp_ieee_underflow 0
		.amdhsa_exception_fp_ieee_inexact 0
		.amdhsa_exception_int_div_zero 0
	.end_amdhsa_kernel
	.section	.text._ZN7rocprim17ROCPRIM_400000_NS6detail17trampoline_kernelINS0_14default_configENS1_25transform_config_selectorIN3c107complexIdEELb1EEEZNS1_14transform_implILb1ES3_S8_PS7_SA_NS0_8identityIS7_EEEE10hipError_tT2_T3_mT4_P12ihipStream_tbEUlT_E_NS1_11comp_targetILNS1_3genE0ELNS1_11target_archE4294967295ELNS1_3gpuE0ELNS1_3repE0EEENS1_30default_config_static_selectorELNS0_4arch9wavefront6targetE1EEEvT1_,"axG",@progbits,_ZN7rocprim17ROCPRIM_400000_NS6detail17trampoline_kernelINS0_14default_configENS1_25transform_config_selectorIN3c107complexIdEELb1EEEZNS1_14transform_implILb1ES3_S8_PS7_SA_NS0_8identityIS7_EEEE10hipError_tT2_T3_mT4_P12ihipStream_tbEUlT_E_NS1_11comp_targetILNS1_3genE0ELNS1_11target_archE4294967295ELNS1_3gpuE0ELNS1_3repE0EEENS1_30default_config_static_selectorELNS0_4arch9wavefront6targetE1EEEvT1_,comdat
.Lfunc_end185:
	.size	_ZN7rocprim17ROCPRIM_400000_NS6detail17trampoline_kernelINS0_14default_configENS1_25transform_config_selectorIN3c107complexIdEELb1EEEZNS1_14transform_implILb1ES3_S8_PS7_SA_NS0_8identityIS7_EEEE10hipError_tT2_T3_mT4_P12ihipStream_tbEUlT_E_NS1_11comp_targetILNS1_3genE0ELNS1_11target_archE4294967295ELNS1_3gpuE0ELNS1_3repE0EEENS1_30default_config_static_selectorELNS0_4arch9wavefront6targetE1EEEvT1_, .Lfunc_end185-_ZN7rocprim17ROCPRIM_400000_NS6detail17trampoline_kernelINS0_14default_configENS1_25transform_config_selectorIN3c107complexIdEELb1EEEZNS1_14transform_implILb1ES3_S8_PS7_SA_NS0_8identityIS7_EEEE10hipError_tT2_T3_mT4_P12ihipStream_tbEUlT_E_NS1_11comp_targetILNS1_3genE0ELNS1_11target_archE4294967295ELNS1_3gpuE0ELNS1_3repE0EEENS1_30default_config_static_selectorELNS0_4arch9wavefront6targetE1EEEvT1_
                                        ; -- End function
	.set _ZN7rocprim17ROCPRIM_400000_NS6detail17trampoline_kernelINS0_14default_configENS1_25transform_config_selectorIN3c107complexIdEELb1EEEZNS1_14transform_implILb1ES3_S8_PS7_SA_NS0_8identityIS7_EEEE10hipError_tT2_T3_mT4_P12ihipStream_tbEUlT_E_NS1_11comp_targetILNS1_3genE0ELNS1_11target_archE4294967295ELNS1_3gpuE0ELNS1_3repE0EEENS1_30default_config_static_selectorELNS0_4arch9wavefront6targetE1EEEvT1_.num_vgpr, 5
	.set _ZN7rocprim17ROCPRIM_400000_NS6detail17trampoline_kernelINS0_14default_configENS1_25transform_config_selectorIN3c107complexIdEELb1EEEZNS1_14transform_implILb1ES3_S8_PS7_SA_NS0_8identityIS7_EEEE10hipError_tT2_T3_mT4_P12ihipStream_tbEUlT_E_NS1_11comp_targetILNS1_3genE0ELNS1_11target_archE4294967295ELNS1_3gpuE0ELNS1_3repE0EEENS1_30default_config_static_selectorELNS0_4arch9wavefront6targetE1EEEvT1_.num_agpr, 0
	.set _ZN7rocprim17ROCPRIM_400000_NS6detail17trampoline_kernelINS0_14default_configENS1_25transform_config_selectorIN3c107complexIdEELb1EEEZNS1_14transform_implILb1ES3_S8_PS7_SA_NS0_8identityIS7_EEEE10hipError_tT2_T3_mT4_P12ihipStream_tbEUlT_E_NS1_11comp_targetILNS1_3genE0ELNS1_11target_archE4294967295ELNS1_3gpuE0ELNS1_3repE0EEENS1_30default_config_static_selectorELNS0_4arch9wavefront6targetE1EEEvT1_.numbered_sgpr, 12
	.set _ZN7rocprim17ROCPRIM_400000_NS6detail17trampoline_kernelINS0_14default_configENS1_25transform_config_selectorIN3c107complexIdEELb1EEEZNS1_14transform_implILb1ES3_S8_PS7_SA_NS0_8identityIS7_EEEE10hipError_tT2_T3_mT4_P12ihipStream_tbEUlT_E_NS1_11comp_targetILNS1_3genE0ELNS1_11target_archE4294967295ELNS1_3gpuE0ELNS1_3repE0EEENS1_30default_config_static_selectorELNS0_4arch9wavefront6targetE1EEEvT1_.num_named_barrier, 0
	.set _ZN7rocprim17ROCPRIM_400000_NS6detail17trampoline_kernelINS0_14default_configENS1_25transform_config_selectorIN3c107complexIdEELb1EEEZNS1_14transform_implILb1ES3_S8_PS7_SA_NS0_8identityIS7_EEEE10hipError_tT2_T3_mT4_P12ihipStream_tbEUlT_E_NS1_11comp_targetILNS1_3genE0ELNS1_11target_archE4294967295ELNS1_3gpuE0ELNS1_3repE0EEENS1_30default_config_static_selectorELNS0_4arch9wavefront6targetE1EEEvT1_.private_seg_size, 0
	.set _ZN7rocprim17ROCPRIM_400000_NS6detail17trampoline_kernelINS0_14default_configENS1_25transform_config_selectorIN3c107complexIdEELb1EEEZNS1_14transform_implILb1ES3_S8_PS7_SA_NS0_8identityIS7_EEEE10hipError_tT2_T3_mT4_P12ihipStream_tbEUlT_E_NS1_11comp_targetILNS1_3genE0ELNS1_11target_archE4294967295ELNS1_3gpuE0ELNS1_3repE0EEENS1_30default_config_static_selectorELNS0_4arch9wavefront6targetE1EEEvT1_.uses_vcc, 1
	.set _ZN7rocprim17ROCPRIM_400000_NS6detail17trampoline_kernelINS0_14default_configENS1_25transform_config_selectorIN3c107complexIdEELb1EEEZNS1_14transform_implILb1ES3_S8_PS7_SA_NS0_8identityIS7_EEEE10hipError_tT2_T3_mT4_P12ihipStream_tbEUlT_E_NS1_11comp_targetILNS1_3genE0ELNS1_11target_archE4294967295ELNS1_3gpuE0ELNS1_3repE0EEENS1_30default_config_static_selectorELNS0_4arch9wavefront6targetE1EEEvT1_.uses_flat_scratch, 0
	.set _ZN7rocprim17ROCPRIM_400000_NS6detail17trampoline_kernelINS0_14default_configENS1_25transform_config_selectorIN3c107complexIdEELb1EEEZNS1_14transform_implILb1ES3_S8_PS7_SA_NS0_8identityIS7_EEEE10hipError_tT2_T3_mT4_P12ihipStream_tbEUlT_E_NS1_11comp_targetILNS1_3genE0ELNS1_11target_archE4294967295ELNS1_3gpuE0ELNS1_3repE0EEENS1_30default_config_static_selectorELNS0_4arch9wavefront6targetE1EEEvT1_.has_dyn_sized_stack, 0
	.set _ZN7rocprim17ROCPRIM_400000_NS6detail17trampoline_kernelINS0_14default_configENS1_25transform_config_selectorIN3c107complexIdEELb1EEEZNS1_14transform_implILb1ES3_S8_PS7_SA_NS0_8identityIS7_EEEE10hipError_tT2_T3_mT4_P12ihipStream_tbEUlT_E_NS1_11comp_targetILNS1_3genE0ELNS1_11target_archE4294967295ELNS1_3gpuE0ELNS1_3repE0EEENS1_30default_config_static_selectorELNS0_4arch9wavefront6targetE1EEEvT1_.has_recursion, 0
	.set _ZN7rocprim17ROCPRIM_400000_NS6detail17trampoline_kernelINS0_14default_configENS1_25transform_config_selectorIN3c107complexIdEELb1EEEZNS1_14transform_implILb1ES3_S8_PS7_SA_NS0_8identityIS7_EEEE10hipError_tT2_T3_mT4_P12ihipStream_tbEUlT_E_NS1_11comp_targetILNS1_3genE0ELNS1_11target_archE4294967295ELNS1_3gpuE0ELNS1_3repE0EEENS1_30default_config_static_selectorELNS0_4arch9wavefront6targetE1EEEvT1_.has_indirect_call, 0
	.section	.AMDGPU.csdata,"",@progbits
; Kernel info:
; codeLenInByte = 148
; TotalNumSgprs: 18
; NumVgprs: 5
; NumAgprs: 0
; TotalNumVgprs: 5
; ScratchSize: 0
; MemoryBound: 0
; FloatMode: 240
; IeeeMode: 1
; LDSByteSize: 0 bytes/workgroup (compile time only)
; SGPRBlocks: 2
; VGPRBlocks: 0
; NumSGPRsForWavesPerEU: 18
; NumVGPRsForWavesPerEU: 5
; AccumOffset: 8
; Occupancy: 8
; WaveLimiterHint : 0
; COMPUTE_PGM_RSRC2:SCRATCH_EN: 0
; COMPUTE_PGM_RSRC2:USER_SGPR: 2
; COMPUTE_PGM_RSRC2:TRAP_HANDLER: 0
; COMPUTE_PGM_RSRC2:TGID_X_EN: 1
; COMPUTE_PGM_RSRC2:TGID_Y_EN: 0
; COMPUTE_PGM_RSRC2:TGID_Z_EN: 0
; COMPUTE_PGM_RSRC2:TIDIG_COMP_CNT: 0
; COMPUTE_PGM_RSRC3_GFX90A:ACCUM_OFFSET: 1
; COMPUTE_PGM_RSRC3_GFX90A:TG_SPLIT: 0
	.section	.text._ZN7rocprim17ROCPRIM_400000_NS6detail17trampoline_kernelINS0_14default_configENS1_25transform_config_selectorIN3c107complexIdEELb1EEEZNS1_14transform_implILb1ES3_S8_PS7_SA_NS0_8identityIS7_EEEE10hipError_tT2_T3_mT4_P12ihipStream_tbEUlT_E_NS1_11comp_targetILNS1_3genE10ELNS1_11target_archE1201ELNS1_3gpuE5ELNS1_3repE0EEENS1_30default_config_static_selectorELNS0_4arch9wavefront6targetE1EEEvT1_,"axG",@progbits,_ZN7rocprim17ROCPRIM_400000_NS6detail17trampoline_kernelINS0_14default_configENS1_25transform_config_selectorIN3c107complexIdEELb1EEEZNS1_14transform_implILb1ES3_S8_PS7_SA_NS0_8identityIS7_EEEE10hipError_tT2_T3_mT4_P12ihipStream_tbEUlT_E_NS1_11comp_targetILNS1_3genE10ELNS1_11target_archE1201ELNS1_3gpuE5ELNS1_3repE0EEENS1_30default_config_static_selectorELNS0_4arch9wavefront6targetE1EEEvT1_,comdat
	.protected	_ZN7rocprim17ROCPRIM_400000_NS6detail17trampoline_kernelINS0_14default_configENS1_25transform_config_selectorIN3c107complexIdEELb1EEEZNS1_14transform_implILb1ES3_S8_PS7_SA_NS0_8identityIS7_EEEE10hipError_tT2_T3_mT4_P12ihipStream_tbEUlT_E_NS1_11comp_targetILNS1_3genE10ELNS1_11target_archE1201ELNS1_3gpuE5ELNS1_3repE0EEENS1_30default_config_static_selectorELNS0_4arch9wavefront6targetE1EEEvT1_ ; -- Begin function _ZN7rocprim17ROCPRIM_400000_NS6detail17trampoline_kernelINS0_14default_configENS1_25transform_config_selectorIN3c107complexIdEELb1EEEZNS1_14transform_implILb1ES3_S8_PS7_SA_NS0_8identityIS7_EEEE10hipError_tT2_T3_mT4_P12ihipStream_tbEUlT_E_NS1_11comp_targetILNS1_3genE10ELNS1_11target_archE1201ELNS1_3gpuE5ELNS1_3repE0EEENS1_30default_config_static_selectorELNS0_4arch9wavefront6targetE1EEEvT1_
	.globl	_ZN7rocprim17ROCPRIM_400000_NS6detail17trampoline_kernelINS0_14default_configENS1_25transform_config_selectorIN3c107complexIdEELb1EEEZNS1_14transform_implILb1ES3_S8_PS7_SA_NS0_8identityIS7_EEEE10hipError_tT2_T3_mT4_P12ihipStream_tbEUlT_E_NS1_11comp_targetILNS1_3genE10ELNS1_11target_archE1201ELNS1_3gpuE5ELNS1_3repE0EEENS1_30default_config_static_selectorELNS0_4arch9wavefront6targetE1EEEvT1_
	.p2align	8
	.type	_ZN7rocprim17ROCPRIM_400000_NS6detail17trampoline_kernelINS0_14default_configENS1_25transform_config_selectorIN3c107complexIdEELb1EEEZNS1_14transform_implILb1ES3_S8_PS7_SA_NS0_8identityIS7_EEEE10hipError_tT2_T3_mT4_P12ihipStream_tbEUlT_E_NS1_11comp_targetILNS1_3genE10ELNS1_11target_archE1201ELNS1_3gpuE5ELNS1_3repE0EEENS1_30default_config_static_selectorELNS0_4arch9wavefront6targetE1EEEvT1_,@function
_ZN7rocprim17ROCPRIM_400000_NS6detail17trampoline_kernelINS0_14default_configENS1_25transform_config_selectorIN3c107complexIdEELb1EEEZNS1_14transform_implILb1ES3_S8_PS7_SA_NS0_8identityIS7_EEEE10hipError_tT2_T3_mT4_P12ihipStream_tbEUlT_E_NS1_11comp_targetILNS1_3genE10ELNS1_11target_archE1201ELNS1_3gpuE5ELNS1_3repE0EEENS1_30default_config_static_selectorELNS0_4arch9wavefront6targetE1EEEvT1_: ; @_ZN7rocprim17ROCPRIM_400000_NS6detail17trampoline_kernelINS0_14default_configENS1_25transform_config_selectorIN3c107complexIdEELb1EEEZNS1_14transform_implILb1ES3_S8_PS7_SA_NS0_8identityIS7_EEEE10hipError_tT2_T3_mT4_P12ihipStream_tbEUlT_E_NS1_11comp_targetILNS1_3genE10ELNS1_11target_archE1201ELNS1_3gpuE5ELNS1_3repE0EEENS1_30default_config_static_selectorELNS0_4arch9wavefront6targetE1EEEvT1_
; %bb.0:
	.section	.rodata,"a",@progbits
	.p2align	6, 0x0
	.amdhsa_kernel _ZN7rocprim17ROCPRIM_400000_NS6detail17trampoline_kernelINS0_14default_configENS1_25transform_config_selectorIN3c107complexIdEELb1EEEZNS1_14transform_implILb1ES3_S8_PS7_SA_NS0_8identityIS7_EEEE10hipError_tT2_T3_mT4_P12ihipStream_tbEUlT_E_NS1_11comp_targetILNS1_3genE10ELNS1_11target_archE1201ELNS1_3gpuE5ELNS1_3repE0EEENS1_30default_config_static_selectorELNS0_4arch9wavefront6targetE1EEEvT1_
		.amdhsa_group_segment_fixed_size 0
		.amdhsa_private_segment_fixed_size 0
		.amdhsa_kernarg_size 40
		.amdhsa_user_sgpr_count 2
		.amdhsa_user_sgpr_dispatch_ptr 0
		.amdhsa_user_sgpr_queue_ptr 0
		.amdhsa_user_sgpr_kernarg_segment_ptr 1
		.amdhsa_user_sgpr_dispatch_id 0
		.amdhsa_user_sgpr_kernarg_preload_length 0
		.amdhsa_user_sgpr_kernarg_preload_offset 0
		.amdhsa_user_sgpr_private_segment_size 0
		.amdhsa_uses_dynamic_stack 0
		.amdhsa_enable_private_segment 0
		.amdhsa_system_sgpr_workgroup_id_x 1
		.amdhsa_system_sgpr_workgroup_id_y 0
		.amdhsa_system_sgpr_workgroup_id_z 0
		.amdhsa_system_sgpr_workgroup_info 0
		.amdhsa_system_vgpr_workitem_id 0
		.amdhsa_next_free_vgpr 1
		.amdhsa_next_free_sgpr 0
		.amdhsa_accum_offset 4
		.amdhsa_reserve_vcc 0
		.amdhsa_float_round_mode_32 0
		.amdhsa_float_round_mode_16_64 0
		.amdhsa_float_denorm_mode_32 3
		.amdhsa_float_denorm_mode_16_64 3
		.amdhsa_dx10_clamp 1
		.amdhsa_ieee_mode 1
		.amdhsa_fp16_overflow 0
		.amdhsa_tg_split 0
		.amdhsa_exception_fp_ieee_invalid_op 0
		.amdhsa_exception_fp_denorm_src 0
		.amdhsa_exception_fp_ieee_div_zero 0
		.amdhsa_exception_fp_ieee_overflow 0
		.amdhsa_exception_fp_ieee_underflow 0
		.amdhsa_exception_fp_ieee_inexact 0
		.amdhsa_exception_int_div_zero 0
	.end_amdhsa_kernel
	.section	.text._ZN7rocprim17ROCPRIM_400000_NS6detail17trampoline_kernelINS0_14default_configENS1_25transform_config_selectorIN3c107complexIdEELb1EEEZNS1_14transform_implILb1ES3_S8_PS7_SA_NS0_8identityIS7_EEEE10hipError_tT2_T3_mT4_P12ihipStream_tbEUlT_E_NS1_11comp_targetILNS1_3genE10ELNS1_11target_archE1201ELNS1_3gpuE5ELNS1_3repE0EEENS1_30default_config_static_selectorELNS0_4arch9wavefront6targetE1EEEvT1_,"axG",@progbits,_ZN7rocprim17ROCPRIM_400000_NS6detail17trampoline_kernelINS0_14default_configENS1_25transform_config_selectorIN3c107complexIdEELb1EEEZNS1_14transform_implILb1ES3_S8_PS7_SA_NS0_8identityIS7_EEEE10hipError_tT2_T3_mT4_P12ihipStream_tbEUlT_E_NS1_11comp_targetILNS1_3genE10ELNS1_11target_archE1201ELNS1_3gpuE5ELNS1_3repE0EEENS1_30default_config_static_selectorELNS0_4arch9wavefront6targetE1EEEvT1_,comdat
.Lfunc_end186:
	.size	_ZN7rocprim17ROCPRIM_400000_NS6detail17trampoline_kernelINS0_14default_configENS1_25transform_config_selectorIN3c107complexIdEELb1EEEZNS1_14transform_implILb1ES3_S8_PS7_SA_NS0_8identityIS7_EEEE10hipError_tT2_T3_mT4_P12ihipStream_tbEUlT_E_NS1_11comp_targetILNS1_3genE10ELNS1_11target_archE1201ELNS1_3gpuE5ELNS1_3repE0EEENS1_30default_config_static_selectorELNS0_4arch9wavefront6targetE1EEEvT1_, .Lfunc_end186-_ZN7rocprim17ROCPRIM_400000_NS6detail17trampoline_kernelINS0_14default_configENS1_25transform_config_selectorIN3c107complexIdEELb1EEEZNS1_14transform_implILb1ES3_S8_PS7_SA_NS0_8identityIS7_EEEE10hipError_tT2_T3_mT4_P12ihipStream_tbEUlT_E_NS1_11comp_targetILNS1_3genE10ELNS1_11target_archE1201ELNS1_3gpuE5ELNS1_3repE0EEENS1_30default_config_static_selectorELNS0_4arch9wavefront6targetE1EEEvT1_
                                        ; -- End function
	.set _ZN7rocprim17ROCPRIM_400000_NS6detail17trampoline_kernelINS0_14default_configENS1_25transform_config_selectorIN3c107complexIdEELb1EEEZNS1_14transform_implILb1ES3_S8_PS7_SA_NS0_8identityIS7_EEEE10hipError_tT2_T3_mT4_P12ihipStream_tbEUlT_E_NS1_11comp_targetILNS1_3genE10ELNS1_11target_archE1201ELNS1_3gpuE5ELNS1_3repE0EEENS1_30default_config_static_selectorELNS0_4arch9wavefront6targetE1EEEvT1_.num_vgpr, 0
	.set _ZN7rocprim17ROCPRIM_400000_NS6detail17trampoline_kernelINS0_14default_configENS1_25transform_config_selectorIN3c107complexIdEELb1EEEZNS1_14transform_implILb1ES3_S8_PS7_SA_NS0_8identityIS7_EEEE10hipError_tT2_T3_mT4_P12ihipStream_tbEUlT_E_NS1_11comp_targetILNS1_3genE10ELNS1_11target_archE1201ELNS1_3gpuE5ELNS1_3repE0EEENS1_30default_config_static_selectorELNS0_4arch9wavefront6targetE1EEEvT1_.num_agpr, 0
	.set _ZN7rocprim17ROCPRIM_400000_NS6detail17trampoline_kernelINS0_14default_configENS1_25transform_config_selectorIN3c107complexIdEELb1EEEZNS1_14transform_implILb1ES3_S8_PS7_SA_NS0_8identityIS7_EEEE10hipError_tT2_T3_mT4_P12ihipStream_tbEUlT_E_NS1_11comp_targetILNS1_3genE10ELNS1_11target_archE1201ELNS1_3gpuE5ELNS1_3repE0EEENS1_30default_config_static_selectorELNS0_4arch9wavefront6targetE1EEEvT1_.numbered_sgpr, 0
	.set _ZN7rocprim17ROCPRIM_400000_NS6detail17trampoline_kernelINS0_14default_configENS1_25transform_config_selectorIN3c107complexIdEELb1EEEZNS1_14transform_implILb1ES3_S8_PS7_SA_NS0_8identityIS7_EEEE10hipError_tT2_T3_mT4_P12ihipStream_tbEUlT_E_NS1_11comp_targetILNS1_3genE10ELNS1_11target_archE1201ELNS1_3gpuE5ELNS1_3repE0EEENS1_30default_config_static_selectorELNS0_4arch9wavefront6targetE1EEEvT1_.num_named_barrier, 0
	.set _ZN7rocprim17ROCPRIM_400000_NS6detail17trampoline_kernelINS0_14default_configENS1_25transform_config_selectorIN3c107complexIdEELb1EEEZNS1_14transform_implILb1ES3_S8_PS7_SA_NS0_8identityIS7_EEEE10hipError_tT2_T3_mT4_P12ihipStream_tbEUlT_E_NS1_11comp_targetILNS1_3genE10ELNS1_11target_archE1201ELNS1_3gpuE5ELNS1_3repE0EEENS1_30default_config_static_selectorELNS0_4arch9wavefront6targetE1EEEvT1_.private_seg_size, 0
	.set _ZN7rocprim17ROCPRIM_400000_NS6detail17trampoline_kernelINS0_14default_configENS1_25transform_config_selectorIN3c107complexIdEELb1EEEZNS1_14transform_implILb1ES3_S8_PS7_SA_NS0_8identityIS7_EEEE10hipError_tT2_T3_mT4_P12ihipStream_tbEUlT_E_NS1_11comp_targetILNS1_3genE10ELNS1_11target_archE1201ELNS1_3gpuE5ELNS1_3repE0EEENS1_30default_config_static_selectorELNS0_4arch9wavefront6targetE1EEEvT1_.uses_vcc, 0
	.set _ZN7rocprim17ROCPRIM_400000_NS6detail17trampoline_kernelINS0_14default_configENS1_25transform_config_selectorIN3c107complexIdEELb1EEEZNS1_14transform_implILb1ES3_S8_PS7_SA_NS0_8identityIS7_EEEE10hipError_tT2_T3_mT4_P12ihipStream_tbEUlT_E_NS1_11comp_targetILNS1_3genE10ELNS1_11target_archE1201ELNS1_3gpuE5ELNS1_3repE0EEENS1_30default_config_static_selectorELNS0_4arch9wavefront6targetE1EEEvT1_.uses_flat_scratch, 0
	.set _ZN7rocprim17ROCPRIM_400000_NS6detail17trampoline_kernelINS0_14default_configENS1_25transform_config_selectorIN3c107complexIdEELb1EEEZNS1_14transform_implILb1ES3_S8_PS7_SA_NS0_8identityIS7_EEEE10hipError_tT2_T3_mT4_P12ihipStream_tbEUlT_E_NS1_11comp_targetILNS1_3genE10ELNS1_11target_archE1201ELNS1_3gpuE5ELNS1_3repE0EEENS1_30default_config_static_selectorELNS0_4arch9wavefront6targetE1EEEvT1_.has_dyn_sized_stack, 0
	.set _ZN7rocprim17ROCPRIM_400000_NS6detail17trampoline_kernelINS0_14default_configENS1_25transform_config_selectorIN3c107complexIdEELb1EEEZNS1_14transform_implILb1ES3_S8_PS7_SA_NS0_8identityIS7_EEEE10hipError_tT2_T3_mT4_P12ihipStream_tbEUlT_E_NS1_11comp_targetILNS1_3genE10ELNS1_11target_archE1201ELNS1_3gpuE5ELNS1_3repE0EEENS1_30default_config_static_selectorELNS0_4arch9wavefront6targetE1EEEvT1_.has_recursion, 0
	.set _ZN7rocprim17ROCPRIM_400000_NS6detail17trampoline_kernelINS0_14default_configENS1_25transform_config_selectorIN3c107complexIdEELb1EEEZNS1_14transform_implILb1ES3_S8_PS7_SA_NS0_8identityIS7_EEEE10hipError_tT2_T3_mT4_P12ihipStream_tbEUlT_E_NS1_11comp_targetILNS1_3genE10ELNS1_11target_archE1201ELNS1_3gpuE5ELNS1_3repE0EEENS1_30default_config_static_selectorELNS0_4arch9wavefront6targetE1EEEvT1_.has_indirect_call, 0
	.section	.AMDGPU.csdata,"",@progbits
; Kernel info:
; codeLenInByte = 0
; TotalNumSgprs: 6
; NumVgprs: 0
; NumAgprs: 0
; TotalNumVgprs: 0
; ScratchSize: 0
; MemoryBound: 0
; FloatMode: 240
; IeeeMode: 1
; LDSByteSize: 0 bytes/workgroup (compile time only)
; SGPRBlocks: 0
; VGPRBlocks: 0
; NumSGPRsForWavesPerEU: 6
; NumVGPRsForWavesPerEU: 1
; AccumOffset: 4
; Occupancy: 8
; WaveLimiterHint : 0
; COMPUTE_PGM_RSRC2:SCRATCH_EN: 0
; COMPUTE_PGM_RSRC2:USER_SGPR: 2
; COMPUTE_PGM_RSRC2:TRAP_HANDLER: 0
; COMPUTE_PGM_RSRC2:TGID_X_EN: 1
; COMPUTE_PGM_RSRC2:TGID_Y_EN: 0
; COMPUTE_PGM_RSRC2:TGID_Z_EN: 0
; COMPUTE_PGM_RSRC2:TIDIG_COMP_CNT: 0
; COMPUTE_PGM_RSRC3_GFX90A:ACCUM_OFFSET: 0
; COMPUTE_PGM_RSRC3_GFX90A:TG_SPLIT: 0
	.section	.text._ZN7rocprim17ROCPRIM_400000_NS6detail17trampoline_kernelINS0_14default_configENS1_25transform_config_selectorIN3c107complexIdEELb1EEEZNS1_14transform_implILb1ES3_S8_PS7_SA_NS0_8identityIS7_EEEE10hipError_tT2_T3_mT4_P12ihipStream_tbEUlT_E_NS1_11comp_targetILNS1_3genE5ELNS1_11target_archE942ELNS1_3gpuE9ELNS1_3repE0EEENS1_30default_config_static_selectorELNS0_4arch9wavefront6targetE1EEEvT1_,"axG",@progbits,_ZN7rocprim17ROCPRIM_400000_NS6detail17trampoline_kernelINS0_14default_configENS1_25transform_config_selectorIN3c107complexIdEELb1EEEZNS1_14transform_implILb1ES3_S8_PS7_SA_NS0_8identityIS7_EEEE10hipError_tT2_T3_mT4_P12ihipStream_tbEUlT_E_NS1_11comp_targetILNS1_3genE5ELNS1_11target_archE942ELNS1_3gpuE9ELNS1_3repE0EEENS1_30default_config_static_selectorELNS0_4arch9wavefront6targetE1EEEvT1_,comdat
	.protected	_ZN7rocprim17ROCPRIM_400000_NS6detail17trampoline_kernelINS0_14default_configENS1_25transform_config_selectorIN3c107complexIdEELb1EEEZNS1_14transform_implILb1ES3_S8_PS7_SA_NS0_8identityIS7_EEEE10hipError_tT2_T3_mT4_P12ihipStream_tbEUlT_E_NS1_11comp_targetILNS1_3genE5ELNS1_11target_archE942ELNS1_3gpuE9ELNS1_3repE0EEENS1_30default_config_static_selectorELNS0_4arch9wavefront6targetE1EEEvT1_ ; -- Begin function _ZN7rocprim17ROCPRIM_400000_NS6detail17trampoline_kernelINS0_14default_configENS1_25transform_config_selectorIN3c107complexIdEELb1EEEZNS1_14transform_implILb1ES3_S8_PS7_SA_NS0_8identityIS7_EEEE10hipError_tT2_T3_mT4_P12ihipStream_tbEUlT_E_NS1_11comp_targetILNS1_3genE5ELNS1_11target_archE942ELNS1_3gpuE9ELNS1_3repE0EEENS1_30default_config_static_selectorELNS0_4arch9wavefront6targetE1EEEvT1_
	.globl	_ZN7rocprim17ROCPRIM_400000_NS6detail17trampoline_kernelINS0_14default_configENS1_25transform_config_selectorIN3c107complexIdEELb1EEEZNS1_14transform_implILb1ES3_S8_PS7_SA_NS0_8identityIS7_EEEE10hipError_tT2_T3_mT4_P12ihipStream_tbEUlT_E_NS1_11comp_targetILNS1_3genE5ELNS1_11target_archE942ELNS1_3gpuE9ELNS1_3repE0EEENS1_30default_config_static_selectorELNS0_4arch9wavefront6targetE1EEEvT1_
	.p2align	8
	.type	_ZN7rocprim17ROCPRIM_400000_NS6detail17trampoline_kernelINS0_14default_configENS1_25transform_config_selectorIN3c107complexIdEELb1EEEZNS1_14transform_implILb1ES3_S8_PS7_SA_NS0_8identityIS7_EEEE10hipError_tT2_T3_mT4_P12ihipStream_tbEUlT_E_NS1_11comp_targetILNS1_3genE5ELNS1_11target_archE942ELNS1_3gpuE9ELNS1_3repE0EEENS1_30default_config_static_selectorELNS0_4arch9wavefront6targetE1EEEvT1_,@function
_ZN7rocprim17ROCPRIM_400000_NS6detail17trampoline_kernelINS0_14default_configENS1_25transform_config_selectorIN3c107complexIdEELb1EEEZNS1_14transform_implILb1ES3_S8_PS7_SA_NS0_8identityIS7_EEEE10hipError_tT2_T3_mT4_P12ihipStream_tbEUlT_E_NS1_11comp_targetILNS1_3genE5ELNS1_11target_archE942ELNS1_3gpuE9ELNS1_3repE0EEENS1_30default_config_static_selectorELNS0_4arch9wavefront6targetE1EEEvT1_: ; @_ZN7rocprim17ROCPRIM_400000_NS6detail17trampoline_kernelINS0_14default_configENS1_25transform_config_selectorIN3c107complexIdEELb1EEEZNS1_14transform_implILb1ES3_S8_PS7_SA_NS0_8identityIS7_EEEE10hipError_tT2_T3_mT4_P12ihipStream_tbEUlT_E_NS1_11comp_targetILNS1_3genE5ELNS1_11target_archE942ELNS1_3gpuE9ELNS1_3repE0EEENS1_30default_config_static_selectorELNS0_4arch9wavefront6targetE1EEEvT1_
; %bb.0:
	.section	.rodata,"a",@progbits
	.p2align	6, 0x0
	.amdhsa_kernel _ZN7rocprim17ROCPRIM_400000_NS6detail17trampoline_kernelINS0_14default_configENS1_25transform_config_selectorIN3c107complexIdEELb1EEEZNS1_14transform_implILb1ES3_S8_PS7_SA_NS0_8identityIS7_EEEE10hipError_tT2_T3_mT4_P12ihipStream_tbEUlT_E_NS1_11comp_targetILNS1_3genE5ELNS1_11target_archE942ELNS1_3gpuE9ELNS1_3repE0EEENS1_30default_config_static_selectorELNS0_4arch9wavefront6targetE1EEEvT1_
		.amdhsa_group_segment_fixed_size 0
		.amdhsa_private_segment_fixed_size 0
		.amdhsa_kernarg_size 40
		.amdhsa_user_sgpr_count 2
		.amdhsa_user_sgpr_dispatch_ptr 0
		.amdhsa_user_sgpr_queue_ptr 0
		.amdhsa_user_sgpr_kernarg_segment_ptr 1
		.amdhsa_user_sgpr_dispatch_id 0
		.amdhsa_user_sgpr_kernarg_preload_length 0
		.amdhsa_user_sgpr_kernarg_preload_offset 0
		.amdhsa_user_sgpr_private_segment_size 0
		.amdhsa_uses_dynamic_stack 0
		.amdhsa_enable_private_segment 0
		.amdhsa_system_sgpr_workgroup_id_x 1
		.amdhsa_system_sgpr_workgroup_id_y 0
		.amdhsa_system_sgpr_workgroup_id_z 0
		.amdhsa_system_sgpr_workgroup_info 0
		.amdhsa_system_vgpr_workitem_id 0
		.amdhsa_next_free_vgpr 1
		.amdhsa_next_free_sgpr 0
		.amdhsa_accum_offset 4
		.amdhsa_reserve_vcc 0
		.amdhsa_float_round_mode_32 0
		.amdhsa_float_round_mode_16_64 0
		.amdhsa_float_denorm_mode_32 3
		.amdhsa_float_denorm_mode_16_64 3
		.amdhsa_dx10_clamp 1
		.amdhsa_ieee_mode 1
		.amdhsa_fp16_overflow 0
		.amdhsa_tg_split 0
		.amdhsa_exception_fp_ieee_invalid_op 0
		.amdhsa_exception_fp_denorm_src 0
		.amdhsa_exception_fp_ieee_div_zero 0
		.amdhsa_exception_fp_ieee_overflow 0
		.amdhsa_exception_fp_ieee_underflow 0
		.amdhsa_exception_fp_ieee_inexact 0
		.amdhsa_exception_int_div_zero 0
	.end_amdhsa_kernel
	.section	.text._ZN7rocprim17ROCPRIM_400000_NS6detail17trampoline_kernelINS0_14default_configENS1_25transform_config_selectorIN3c107complexIdEELb1EEEZNS1_14transform_implILb1ES3_S8_PS7_SA_NS0_8identityIS7_EEEE10hipError_tT2_T3_mT4_P12ihipStream_tbEUlT_E_NS1_11comp_targetILNS1_3genE5ELNS1_11target_archE942ELNS1_3gpuE9ELNS1_3repE0EEENS1_30default_config_static_selectorELNS0_4arch9wavefront6targetE1EEEvT1_,"axG",@progbits,_ZN7rocprim17ROCPRIM_400000_NS6detail17trampoline_kernelINS0_14default_configENS1_25transform_config_selectorIN3c107complexIdEELb1EEEZNS1_14transform_implILb1ES3_S8_PS7_SA_NS0_8identityIS7_EEEE10hipError_tT2_T3_mT4_P12ihipStream_tbEUlT_E_NS1_11comp_targetILNS1_3genE5ELNS1_11target_archE942ELNS1_3gpuE9ELNS1_3repE0EEENS1_30default_config_static_selectorELNS0_4arch9wavefront6targetE1EEEvT1_,comdat
.Lfunc_end187:
	.size	_ZN7rocprim17ROCPRIM_400000_NS6detail17trampoline_kernelINS0_14default_configENS1_25transform_config_selectorIN3c107complexIdEELb1EEEZNS1_14transform_implILb1ES3_S8_PS7_SA_NS0_8identityIS7_EEEE10hipError_tT2_T3_mT4_P12ihipStream_tbEUlT_E_NS1_11comp_targetILNS1_3genE5ELNS1_11target_archE942ELNS1_3gpuE9ELNS1_3repE0EEENS1_30default_config_static_selectorELNS0_4arch9wavefront6targetE1EEEvT1_, .Lfunc_end187-_ZN7rocprim17ROCPRIM_400000_NS6detail17trampoline_kernelINS0_14default_configENS1_25transform_config_selectorIN3c107complexIdEELb1EEEZNS1_14transform_implILb1ES3_S8_PS7_SA_NS0_8identityIS7_EEEE10hipError_tT2_T3_mT4_P12ihipStream_tbEUlT_E_NS1_11comp_targetILNS1_3genE5ELNS1_11target_archE942ELNS1_3gpuE9ELNS1_3repE0EEENS1_30default_config_static_selectorELNS0_4arch9wavefront6targetE1EEEvT1_
                                        ; -- End function
	.set _ZN7rocprim17ROCPRIM_400000_NS6detail17trampoline_kernelINS0_14default_configENS1_25transform_config_selectorIN3c107complexIdEELb1EEEZNS1_14transform_implILb1ES3_S8_PS7_SA_NS0_8identityIS7_EEEE10hipError_tT2_T3_mT4_P12ihipStream_tbEUlT_E_NS1_11comp_targetILNS1_3genE5ELNS1_11target_archE942ELNS1_3gpuE9ELNS1_3repE0EEENS1_30default_config_static_selectorELNS0_4arch9wavefront6targetE1EEEvT1_.num_vgpr, 0
	.set _ZN7rocprim17ROCPRIM_400000_NS6detail17trampoline_kernelINS0_14default_configENS1_25transform_config_selectorIN3c107complexIdEELb1EEEZNS1_14transform_implILb1ES3_S8_PS7_SA_NS0_8identityIS7_EEEE10hipError_tT2_T3_mT4_P12ihipStream_tbEUlT_E_NS1_11comp_targetILNS1_3genE5ELNS1_11target_archE942ELNS1_3gpuE9ELNS1_3repE0EEENS1_30default_config_static_selectorELNS0_4arch9wavefront6targetE1EEEvT1_.num_agpr, 0
	.set _ZN7rocprim17ROCPRIM_400000_NS6detail17trampoline_kernelINS0_14default_configENS1_25transform_config_selectorIN3c107complexIdEELb1EEEZNS1_14transform_implILb1ES3_S8_PS7_SA_NS0_8identityIS7_EEEE10hipError_tT2_T3_mT4_P12ihipStream_tbEUlT_E_NS1_11comp_targetILNS1_3genE5ELNS1_11target_archE942ELNS1_3gpuE9ELNS1_3repE0EEENS1_30default_config_static_selectorELNS0_4arch9wavefront6targetE1EEEvT1_.numbered_sgpr, 0
	.set _ZN7rocprim17ROCPRIM_400000_NS6detail17trampoline_kernelINS0_14default_configENS1_25transform_config_selectorIN3c107complexIdEELb1EEEZNS1_14transform_implILb1ES3_S8_PS7_SA_NS0_8identityIS7_EEEE10hipError_tT2_T3_mT4_P12ihipStream_tbEUlT_E_NS1_11comp_targetILNS1_3genE5ELNS1_11target_archE942ELNS1_3gpuE9ELNS1_3repE0EEENS1_30default_config_static_selectorELNS0_4arch9wavefront6targetE1EEEvT1_.num_named_barrier, 0
	.set _ZN7rocprim17ROCPRIM_400000_NS6detail17trampoline_kernelINS0_14default_configENS1_25transform_config_selectorIN3c107complexIdEELb1EEEZNS1_14transform_implILb1ES3_S8_PS7_SA_NS0_8identityIS7_EEEE10hipError_tT2_T3_mT4_P12ihipStream_tbEUlT_E_NS1_11comp_targetILNS1_3genE5ELNS1_11target_archE942ELNS1_3gpuE9ELNS1_3repE0EEENS1_30default_config_static_selectorELNS0_4arch9wavefront6targetE1EEEvT1_.private_seg_size, 0
	.set _ZN7rocprim17ROCPRIM_400000_NS6detail17trampoline_kernelINS0_14default_configENS1_25transform_config_selectorIN3c107complexIdEELb1EEEZNS1_14transform_implILb1ES3_S8_PS7_SA_NS0_8identityIS7_EEEE10hipError_tT2_T3_mT4_P12ihipStream_tbEUlT_E_NS1_11comp_targetILNS1_3genE5ELNS1_11target_archE942ELNS1_3gpuE9ELNS1_3repE0EEENS1_30default_config_static_selectorELNS0_4arch9wavefront6targetE1EEEvT1_.uses_vcc, 0
	.set _ZN7rocprim17ROCPRIM_400000_NS6detail17trampoline_kernelINS0_14default_configENS1_25transform_config_selectorIN3c107complexIdEELb1EEEZNS1_14transform_implILb1ES3_S8_PS7_SA_NS0_8identityIS7_EEEE10hipError_tT2_T3_mT4_P12ihipStream_tbEUlT_E_NS1_11comp_targetILNS1_3genE5ELNS1_11target_archE942ELNS1_3gpuE9ELNS1_3repE0EEENS1_30default_config_static_selectorELNS0_4arch9wavefront6targetE1EEEvT1_.uses_flat_scratch, 0
	.set _ZN7rocprim17ROCPRIM_400000_NS6detail17trampoline_kernelINS0_14default_configENS1_25transform_config_selectorIN3c107complexIdEELb1EEEZNS1_14transform_implILb1ES3_S8_PS7_SA_NS0_8identityIS7_EEEE10hipError_tT2_T3_mT4_P12ihipStream_tbEUlT_E_NS1_11comp_targetILNS1_3genE5ELNS1_11target_archE942ELNS1_3gpuE9ELNS1_3repE0EEENS1_30default_config_static_selectorELNS0_4arch9wavefront6targetE1EEEvT1_.has_dyn_sized_stack, 0
	.set _ZN7rocprim17ROCPRIM_400000_NS6detail17trampoline_kernelINS0_14default_configENS1_25transform_config_selectorIN3c107complexIdEELb1EEEZNS1_14transform_implILb1ES3_S8_PS7_SA_NS0_8identityIS7_EEEE10hipError_tT2_T3_mT4_P12ihipStream_tbEUlT_E_NS1_11comp_targetILNS1_3genE5ELNS1_11target_archE942ELNS1_3gpuE9ELNS1_3repE0EEENS1_30default_config_static_selectorELNS0_4arch9wavefront6targetE1EEEvT1_.has_recursion, 0
	.set _ZN7rocprim17ROCPRIM_400000_NS6detail17trampoline_kernelINS0_14default_configENS1_25transform_config_selectorIN3c107complexIdEELb1EEEZNS1_14transform_implILb1ES3_S8_PS7_SA_NS0_8identityIS7_EEEE10hipError_tT2_T3_mT4_P12ihipStream_tbEUlT_E_NS1_11comp_targetILNS1_3genE5ELNS1_11target_archE942ELNS1_3gpuE9ELNS1_3repE0EEENS1_30default_config_static_selectorELNS0_4arch9wavefront6targetE1EEEvT1_.has_indirect_call, 0
	.section	.AMDGPU.csdata,"",@progbits
; Kernel info:
; codeLenInByte = 0
; TotalNumSgprs: 6
; NumVgprs: 0
; NumAgprs: 0
; TotalNumVgprs: 0
; ScratchSize: 0
; MemoryBound: 0
; FloatMode: 240
; IeeeMode: 1
; LDSByteSize: 0 bytes/workgroup (compile time only)
; SGPRBlocks: 0
; VGPRBlocks: 0
; NumSGPRsForWavesPerEU: 6
; NumVGPRsForWavesPerEU: 1
; AccumOffset: 4
; Occupancy: 8
; WaveLimiterHint : 0
; COMPUTE_PGM_RSRC2:SCRATCH_EN: 0
; COMPUTE_PGM_RSRC2:USER_SGPR: 2
; COMPUTE_PGM_RSRC2:TRAP_HANDLER: 0
; COMPUTE_PGM_RSRC2:TGID_X_EN: 1
; COMPUTE_PGM_RSRC2:TGID_Y_EN: 0
; COMPUTE_PGM_RSRC2:TGID_Z_EN: 0
; COMPUTE_PGM_RSRC2:TIDIG_COMP_CNT: 0
; COMPUTE_PGM_RSRC3_GFX90A:ACCUM_OFFSET: 0
; COMPUTE_PGM_RSRC3_GFX90A:TG_SPLIT: 0
	.section	.text._ZN7rocprim17ROCPRIM_400000_NS6detail17trampoline_kernelINS0_14default_configENS1_25transform_config_selectorIN3c107complexIdEELb1EEEZNS1_14transform_implILb1ES3_S8_PS7_SA_NS0_8identityIS7_EEEE10hipError_tT2_T3_mT4_P12ihipStream_tbEUlT_E_NS1_11comp_targetILNS1_3genE4ELNS1_11target_archE910ELNS1_3gpuE8ELNS1_3repE0EEENS1_30default_config_static_selectorELNS0_4arch9wavefront6targetE1EEEvT1_,"axG",@progbits,_ZN7rocprim17ROCPRIM_400000_NS6detail17trampoline_kernelINS0_14default_configENS1_25transform_config_selectorIN3c107complexIdEELb1EEEZNS1_14transform_implILb1ES3_S8_PS7_SA_NS0_8identityIS7_EEEE10hipError_tT2_T3_mT4_P12ihipStream_tbEUlT_E_NS1_11comp_targetILNS1_3genE4ELNS1_11target_archE910ELNS1_3gpuE8ELNS1_3repE0EEENS1_30default_config_static_selectorELNS0_4arch9wavefront6targetE1EEEvT1_,comdat
	.protected	_ZN7rocprim17ROCPRIM_400000_NS6detail17trampoline_kernelINS0_14default_configENS1_25transform_config_selectorIN3c107complexIdEELb1EEEZNS1_14transform_implILb1ES3_S8_PS7_SA_NS0_8identityIS7_EEEE10hipError_tT2_T3_mT4_P12ihipStream_tbEUlT_E_NS1_11comp_targetILNS1_3genE4ELNS1_11target_archE910ELNS1_3gpuE8ELNS1_3repE0EEENS1_30default_config_static_selectorELNS0_4arch9wavefront6targetE1EEEvT1_ ; -- Begin function _ZN7rocprim17ROCPRIM_400000_NS6detail17trampoline_kernelINS0_14default_configENS1_25transform_config_selectorIN3c107complexIdEELb1EEEZNS1_14transform_implILb1ES3_S8_PS7_SA_NS0_8identityIS7_EEEE10hipError_tT2_T3_mT4_P12ihipStream_tbEUlT_E_NS1_11comp_targetILNS1_3genE4ELNS1_11target_archE910ELNS1_3gpuE8ELNS1_3repE0EEENS1_30default_config_static_selectorELNS0_4arch9wavefront6targetE1EEEvT1_
	.globl	_ZN7rocprim17ROCPRIM_400000_NS6detail17trampoline_kernelINS0_14default_configENS1_25transform_config_selectorIN3c107complexIdEELb1EEEZNS1_14transform_implILb1ES3_S8_PS7_SA_NS0_8identityIS7_EEEE10hipError_tT2_T3_mT4_P12ihipStream_tbEUlT_E_NS1_11comp_targetILNS1_3genE4ELNS1_11target_archE910ELNS1_3gpuE8ELNS1_3repE0EEENS1_30default_config_static_selectorELNS0_4arch9wavefront6targetE1EEEvT1_
	.p2align	8
	.type	_ZN7rocprim17ROCPRIM_400000_NS6detail17trampoline_kernelINS0_14default_configENS1_25transform_config_selectorIN3c107complexIdEELb1EEEZNS1_14transform_implILb1ES3_S8_PS7_SA_NS0_8identityIS7_EEEE10hipError_tT2_T3_mT4_P12ihipStream_tbEUlT_E_NS1_11comp_targetILNS1_3genE4ELNS1_11target_archE910ELNS1_3gpuE8ELNS1_3repE0EEENS1_30default_config_static_selectorELNS0_4arch9wavefront6targetE1EEEvT1_,@function
_ZN7rocprim17ROCPRIM_400000_NS6detail17trampoline_kernelINS0_14default_configENS1_25transform_config_selectorIN3c107complexIdEELb1EEEZNS1_14transform_implILb1ES3_S8_PS7_SA_NS0_8identityIS7_EEEE10hipError_tT2_T3_mT4_P12ihipStream_tbEUlT_E_NS1_11comp_targetILNS1_3genE4ELNS1_11target_archE910ELNS1_3gpuE8ELNS1_3repE0EEENS1_30default_config_static_selectorELNS0_4arch9wavefront6targetE1EEEvT1_: ; @_ZN7rocprim17ROCPRIM_400000_NS6detail17trampoline_kernelINS0_14default_configENS1_25transform_config_selectorIN3c107complexIdEELb1EEEZNS1_14transform_implILb1ES3_S8_PS7_SA_NS0_8identityIS7_EEEE10hipError_tT2_T3_mT4_P12ihipStream_tbEUlT_E_NS1_11comp_targetILNS1_3genE4ELNS1_11target_archE910ELNS1_3gpuE8ELNS1_3repE0EEENS1_30default_config_static_selectorELNS0_4arch9wavefront6targetE1EEEvT1_
; %bb.0:
	.section	.rodata,"a",@progbits
	.p2align	6, 0x0
	.amdhsa_kernel _ZN7rocprim17ROCPRIM_400000_NS6detail17trampoline_kernelINS0_14default_configENS1_25transform_config_selectorIN3c107complexIdEELb1EEEZNS1_14transform_implILb1ES3_S8_PS7_SA_NS0_8identityIS7_EEEE10hipError_tT2_T3_mT4_P12ihipStream_tbEUlT_E_NS1_11comp_targetILNS1_3genE4ELNS1_11target_archE910ELNS1_3gpuE8ELNS1_3repE0EEENS1_30default_config_static_selectorELNS0_4arch9wavefront6targetE1EEEvT1_
		.amdhsa_group_segment_fixed_size 0
		.amdhsa_private_segment_fixed_size 0
		.amdhsa_kernarg_size 40
		.amdhsa_user_sgpr_count 2
		.amdhsa_user_sgpr_dispatch_ptr 0
		.amdhsa_user_sgpr_queue_ptr 0
		.amdhsa_user_sgpr_kernarg_segment_ptr 1
		.amdhsa_user_sgpr_dispatch_id 0
		.amdhsa_user_sgpr_kernarg_preload_length 0
		.amdhsa_user_sgpr_kernarg_preload_offset 0
		.amdhsa_user_sgpr_private_segment_size 0
		.amdhsa_uses_dynamic_stack 0
		.amdhsa_enable_private_segment 0
		.amdhsa_system_sgpr_workgroup_id_x 1
		.amdhsa_system_sgpr_workgroup_id_y 0
		.amdhsa_system_sgpr_workgroup_id_z 0
		.amdhsa_system_sgpr_workgroup_info 0
		.amdhsa_system_vgpr_workitem_id 0
		.amdhsa_next_free_vgpr 1
		.amdhsa_next_free_sgpr 0
		.amdhsa_accum_offset 4
		.amdhsa_reserve_vcc 0
		.amdhsa_float_round_mode_32 0
		.amdhsa_float_round_mode_16_64 0
		.amdhsa_float_denorm_mode_32 3
		.amdhsa_float_denorm_mode_16_64 3
		.amdhsa_dx10_clamp 1
		.amdhsa_ieee_mode 1
		.amdhsa_fp16_overflow 0
		.amdhsa_tg_split 0
		.amdhsa_exception_fp_ieee_invalid_op 0
		.amdhsa_exception_fp_denorm_src 0
		.amdhsa_exception_fp_ieee_div_zero 0
		.amdhsa_exception_fp_ieee_overflow 0
		.amdhsa_exception_fp_ieee_underflow 0
		.amdhsa_exception_fp_ieee_inexact 0
		.amdhsa_exception_int_div_zero 0
	.end_amdhsa_kernel
	.section	.text._ZN7rocprim17ROCPRIM_400000_NS6detail17trampoline_kernelINS0_14default_configENS1_25transform_config_selectorIN3c107complexIdEELb1EEEZNS1_14transform_implILb1ES3_S8_PS7_SA_NS0_8identityIS7_EEEE10hipError_tT2_T3_mT4_P12ihipStream_tbEUlT_E_NS1_11comp_targetILNS1_3genE4ELNS1_11target_archE910ELNS1_3gpuE8ELNS1_3repE0EEENS1_30default_config_static_selectorELNS0_4arch9wavefront6targetE1EEEvT1_,"axG",@progbits,_ZN7rocprim17ROCPRIM_400000_NS6detail17trampoline_kernelINS0_14default_configENS1_25transform_config_selectorIN3c107complexIdEELb1EEEZNS1_14transform_implILb1ES3_S8_PS7_SA_NS0_8identityIS7_EEEE10hipError_tT2_T3_mT4_P12ihipStream_tbEUlT_E_NS1_11comp_targetILNS1_3genE4ELNS1_11target_archE910ELNS1_3gpuE8ELNS1_3repE0EEENS1_30default_config_static_selectorELNS0_4arch9wavefront6targetE1EEEvT1_,comdat
.Lfunc_end188:
	.size	_ZN7rocprim17ROCPRIM_400000_NS6detail17trampoline_kernelINS0_14default_configENS1_25transform_config_selectorIN3c107complexIdEELb1EEEZNS1_14transform_implILb1ES3_S8_PS7_SA_NS0_8identityIS7_EEEE10hipError_tT2_T3_mT4_P12ihipStream_tbEUlT_E_NS1_11comp_targetILNS1_3genE4ELNS1_11target_archE910ELNS1_3gpuE8ELNS1_3repE0EEENS1_30default_config_static_selectorELNS0_4arch9wavefront6targetE1EEEvT1_, .Lfunc_end188-_ZN7rocprim17ROCPRIM_400000_NS6detail17trampoline_kernelINS0_14default_configENS1_25transform_config_selectorIN3c107complexIdEELb1EEEZNS1_14transform_implILb1ES3_S8_PS7_SA_NS0_8identityIS7_EEEE10hipError_tT2_T3_mT4_P12ihipStream_tbEUlT_E_NS1_11comp_targetILNS1_3genE4ELNS1_11target_archE910ELNS1_3gpuE8ELNS1_3repE0EEENS1_30default_config_static_selectorELNS0_4arch9wavefront6targetE1EEEvT1_
                                        ; -- End function
	.set _ZN7rocprim17ROCPRIM_400000_NS6detail17trampoline_kernelINS0_14default_configENS1_25transform_config_selectorIN3c107complexIdEELb1EEEZNS1_14transform_implILb1ES3_S8_PS7_SA_NS0_8identityIS7_EEEE10hipError_tT2_T3_mT4_P12ihipStream_tbEUlT_E_NS1_11comp_targetILNS1_3genE4ELNS1_11target_archE910ELNS1_3gpuE8ELNS1_3repE0EEENS1_30default_config_static_selectorELNS0_4arch9wavefront6targetE1EEEvT1_.num_vgpr, 0
	.set _ZN7rocprim17ROCPRIM_400000_NS6detail17trampoline_kernelINS0_14default_configENS1_25transform_config_selectorIN3c107complexIdEELb1EEEZNS1_14transform_implILb1ES3_S8_PS7_SA_NS0_8identityIS7_EEEE10hipError_tT2_T3_mT4_P12ihipStream_tbEUlT_E_NS1_11comp_targetILNS1_3genE4ELNS1_11target_archE910ELNS1_3gpuE8ELNS1_3repE0EEENS1_30default_config_static_selectorELNS0_4arch9wavefront6targetE1EEEvT1_.num_agpr, 0
	.set _ZN7rocprim17ROCPRIM_400000_NS6detail17trampoline_kernelINS0_14default_configENS1_25transform_config_selectorIN3c107complexIdEELb1EEEZNS1_14transform_implILb1ES3_S8_PS7_SA_NS0_8identityIS7_EEEE10hipError_tT2_T3_mT4_P12ihipStream_tbEUlT_E_NS1_11comp_targetILNS1_3genE4ELNS1_11target_archE910ELNS1_3gpuE8ELNS1_3repE0EEENS1_30default_config_static_selectorELNS0_4arch9wavefront6targetE1EEEvT1_.numbered_sgpr, 0
	.set _ZN7rocprim17ROCPRIM_400000_NS6detail17trampoline_kernelINS0_14default_configENS1_25transform_config_selectorIN3c107complexIdEELb1EEEZNS1_14transform_implILb1ES3_S8_PS7_SA_NS0_8identityIS7_EEEE10hipError_tT2_T3_mT4_P12ihipStream_tbEUlT_E_NS1_11comp_targetILNS1_3genE4ELNS1_11target_archE910ELNS1_3gpuE8ELNS1_3repE0EEENS1_30default_config_static_selectorELNS0_4arch9wavefront6targetE1EEEvT1_.num_named_barrier, 0
	.set _ZN7rocprim17ROCPRIM_400000_NS6detail17trampoline_kernelINS0_14default_configENS1_25transform_config_selectorIN3c107complexIdEELb1EEEZNS1_14transform_implILb1ES3_S8_PS7_SA_NS0_8identityIS7_EEEE10hipError_tT2_T3_mT4_P12ihipStream_tbEUlT_E_NS1_11comp_targetILNS1_3genE4ELNS1_11target_archE910ELNS1_3gpuE8ELNS1_3repE0EEENS1_30default_config_static_selectorELNS0_4arch9wavefront6targetE1EEEvT1_.private_seg_size, 0
	.set _ZN7rocprim17ROCPRIM_400000_NS6detail17trampoline_kernelINS0_14default_configENS1_25transform_config_selectorIN3c107complexIdEELb1EEEZNS1_14transform_implILb1ES3_S8_PS7_SA_NS0_8identityIS7_EEEE10hipError_tT2_T3_mT4_P12ihipStream_tbEUlT_E_NS1_11comp_targetILNS1_3genE4ELNS1_11target_archE910ELNS1_3gpuE8ELNS1_3repE0EEENS1_30default_config_static_selectorELNS0_4arch9wavefront6targetE1EEEvT1_.uses_vcc, 0
	.set _ZN7rocprim17ROCPRIM_400000_NS6detail17trampoline_kernelINS0_14default_configENS1_25transform_config_selectorIN3c107complexIdEELb1EEEZNS1_14transform_implILb1ES3_S8_PS7_SA_NS0_8identityIS7_EEEE10hipError_tT2_T3_mT4_P12ihipStream_tbEUlT_E_NS1_11comp_targetILNS1_3genE4ELNS1_11target_archE910ELNS1_3gpuE8ELNS1_3repE0EEENS1_30default_config_static_selectorELNS0_4arch9wavefront6targetE1EEEvT1_.uses_flat_scratch, 0
	.set _ZN7rocprim17ROCPRIM_400000_NS6detail17trampoline_kernelINS0_14default_configENS1_25transform_config_selectorIN3c107complexIdEELb1EEEZNS1_14transform_implILb1ES3_S8_PS7_SA_NS0_8identityIS7_EEEE10hipError_tT2_T3_mT4_P12ihipStream_tbEUlT_E_NS1_11comp_targetILNS1_3genE4ELNS1_11target_archE910ELNS1_3gpuE8ELNS1_3repE0EEENS1_30default_config_static_selectorELNS0_4arch9wavefront6targetE1EEEvT1_.has_dyn_sized_stack, 0
	.set _ZN7rocprim17ROCPRIM_400000_NS6detail17trampoline_kernelINS0_14default_configENS1_25transform_config_selectorIN3c107complexIdEELb1EEEZNS1_14transform_implILb1ES3_S8_PS7_SA_NS0_8identityIS7_EEEE10hipError_tT2_T3_mT4_P12ihipStream_tbEUlT_E_NS1_11comp_targetILNS1_3genE4ELNS1_11target_archE910ELNS1_3gpuE8ELNS1_3repE0EEENS1_30default_config_static_selectorELNS0_4arch9wavefront6targetE1EEEvT1_.has_recursion, 0
	.set _ZN7rocprim17ROCPRIM_400000_NS6detail17trampoline_kernelINS0_14default_configENS1_25transform_config_selectorIN3c107complexIdEELb1EEEZNS1_14transform_implILb1ES3_S8_PS7_SA_NS0_8identityIS7_EEEE10hipError_tT2_T3_mT4_P12ihipStream_tbEUlT_E_NS1_11comp_targetILNS1_3genE4ELNS1_11target_archE910ELNS1_3gpuE8ELNS1_3repE0EEENS1_30default_config_static_selectorELNS0_4arch9wavefront6targetE1EEEvT1_.has_indirect_call, 0
	.section	.AMDGPU.csdata,"",@progbits
; Kernel info:
; codeLenInByte = 0
; TotalNumSgprs: 6
; NumVgprs: 0
; NumAgprs: 0
; TotalNumVgprs: 0
; ScratchSize: 0
; MemoryBound: 0
; FloatMode: 240
; IeeeMode: 1
; LDSByteSize: 0 bytes/workgroup (compile time only)
; SGPRBlocks: 0
; VGPRBlocks: 0
; NumSGPRsForWavesPerEU: 6
; NumVGPRsForWavesPerEU: 1
; AccumOffset: 4
; Occupancy: 8
; WaveLimiterHint : 0
; COMPUTE_PGM_RSRC2:SCRATCH_EN: 0
; COMPUTE_PGM_RSRC2:USER_SGPR: 2
; COMPUTE_PGM_RSRC2:TRAP_HANDLER: 0
; COMPUTE_PGM_RSRC2:TGID_X_EN: 1
; COMPUTE_PGM_RSRC2:TGID_Y_EN: 0
; COMPUTE_PGM_RSRC2:TGID_Z_EN: 0
; COMPUTE_PGM_RSRC2:TIDIG_COMP_CNT: 0
; COMPUTE_PGM_RSRC3_GFX90A:ACCUM_OFFSET: 0
; COMPUTE_PGM_RSRC3_GFX90A:TG_SPLIT: 0
	.section	.text._ZN7rocprim17ROCPRIM_400000_NS6detail17trampoline_kernelINS0_14default_configENS1_25transform_config_selectorIN3c107complexIdEELb1EEEZNS1_14transform_implILb1ES3_S8_PS7_SA_NS0_8identityIS7_EEEE10hipError_tT2_T3_mT4_P12ihipStream_tbEUlT_E_NS1_11comp_targetILNS1_3genE3ELNS1_11target_archE908ELNS1_3gpuE7ELNS1_3repE0EEENS1_30default_config_static_selectorELNS0_4arch9wavefront6targetE1EEEvT1_,"axG",@progbits,_ZN7rocprim17ROCPRIM_400000_NS6detail17trampoline_kernelINS0_14default_configENS1_25transform_config_selectorIN3c107complexIdEELb1EEEZNS1_14transform_implILb1ES3_S8_PS7_SA_NS0_8identityIS7_EEEE10hipError_tT2_T3_mT4_P12ihipStream_tbEUlT_E_NS1_11comp_targetILNS1_3genE3ELNS1_11target_archE908ELNS1_3gpuE7ELNS1_3repE0EEENS1_30default_config_static_selectorELNS0_4arch9wavefront6targetE1EEEvT1_,comdat
	.protected	_ZN7rocprim17ROCPRIM_400000_NS6detail17trampoline_kernelINS0_14default_configENS1_25transform_config_selectorIN3c107complexIdEELb1EEEZNS1_14transform_implILb1ES3_S8_PS7_SA_NS0_8identityIS7_EEEE10hipError_tT2_T3_mT4_P12ihipStream_tbEUlT_E_NS1_11comp_targetILNS1_3genE3ELNS1_11target_archE908ELNS1_3gpuE7ELNS1_3repE0EEENS1_30default_config_static_selectorELNS0_4arch9wavefront6targetE1EEEvT1_ ; -- Begin function _ZN7rocprim17ROCPRIM_400000_NS6detail17trampoline_kernelINS0_14default_configENS1_25transform_config_selectorIN3c107complexIdEELb1EEEZNS1_14transform_implILb1ES3_S8_PS7_SA_NS0_8identityIS7_EEEE10hipError_tT2_T3_mT4_P12ihipStream_tbEUlT_E_NS1_11comp_targetILNS1_3genE3ELNS1_11target_archE908ELNS1_3gpuE7ELNS1_3repE0EEENS1_30default_config_static_selectorELNS0_4arch9wavefront6targetE1EEEvT1_
	.globl	_ZN7rocprim17ROCPRIM_400000_NS6detail17trampoline_kernelINS0_14default_configENS1_25transform_config_selectorIN3c107complexIdEELb1EEEZNS1_14transform_implILb1ES3_S8_PS7_SA_NS0_8identityIS7_EEEE10hipError_tT2_T3_mT4_P12ihipStream_tbEUlT_E_NS1_11comp_targetILNS1_3genE3ELNS1_11target_archE908ELNS1_3gpuE7ELNS1_3repE0EEENS1_30default_config_static_selectorELNS0_4arch9wavefront6targetE1EEEvT1_
	.p2align	8
	.type	_ZN7rocprim17ROCPRIM_400000_NS6detail17trampoline_kernelINS0_14default_configENS1_25transform_config_selectorIN3c107complexIdEELb1EEEZNS1_14transform_implILb1ES3_S8_PS7_SA_NS0_8identityIS7_EEEE10hipError_tT2_T3_mT4_P12ihipStream_tbEUlT_E_NS1_11comp_targetILNS1_3genE3ELNS1_11target_archE908ELNS1_3gpuE7ELNS1_3repE0EEENS1_30default_config_static_selectorELNS0_4arch9wavefront6targetE1EEEvT1_,@function
_ZN7rocprim17ROCPRIM_400000_NS6detail17trampoline_kernelINS0_14default_configENS1_25transform_config_selectorIN3c107complexIdEELb1EEEZNS1_14transform_implILb1ES3_S8_PS7_SA_NS0_8identityIS7_EEEE10hipError_tT2_T3_mT4_P12ihipStream_tbEUlT_E_NS1_11comp_targetILNS1_3genE3ELNS1_11target_archE908ELNS1_3gpuE7ELNS1_3repE0EEENS1_30default_config_static_selectorELNS0_4arch9wavefront6targetE1EEEvT1_: ; @_ZN7rocprim17ROCPRIM_400000_NS6detail17trampoline_kernelINS0_14default_configENS1_25transform_config_selectorIN3c107complexIdEELb1EEEZNS1_14transform_implILb1ES3_S8_PS7_SA_NS0_8identityIS7_EEEE10hipError_tT2_T3_mT4_P12ihipStream_tbEUlT_E_NS1_11comp_targetILNS1_3genE3ELNS1_11target_archE908ELNS1_3gpuE7ELNS1_3repE0EEENS1_30default_config_static_selectorELNS0_4arch9wavefront6targetE1EEEvT1_
; %bb.0:
	.section	.rodata,"a",@progbits
	.p2align	6, 0x0
	.amdhsa_kernel _ZN7rocprim17ROCPRIM_400000_NS6detail17trampoline_kernelINS0_14default_configENS1_25transform_config_selectorIN3c107complexIdEELb1EEEZNS1_14transform_implILb1ES3_S8_PS7_SA_NS0_8identityIS7_EEEE10hipError_tT2_T3_mT4_P12ihipStream_tbEUlT_E_NS1_11comp_targetILNS1_3genE3ELNS1_11target_archE908ELNS1_3gpuE7ELNS1_3repE0EEENS1_30default_config_static_selectorELNS0_4arch9wavefront6targetE1EEEvT1_
		.amdhsa_group_segment_fixed_size 0
		.amdhsa_private_segment_fixed_size 0
		.amdhsa_kernarg_size 40
		.amdhsa_user_sgpr_count 2
		.amdhsa_user_sgpr_dispatch_ptr 0
		.amdhsa_user_sgpr_queue_ptr 0
		.amdhsa_user_sgpr_kernarg_segment_ptr 1
		.amdhsa_user_sgpr_dispatch_id 0
		.amdhsa_user_sgpr_kernarg_preload_length 0
		.amdhsa_user_sgpr_kernarg_preload_offset 0
		.amdhsa_user_sgpr_private_segment_size 0
		.amdhsa_uses_dynamic_stack 0
		.amdhsa_enable_private_segment 0
		.amdhsa_system_sgpr_workgroup_id_x 1
		.amdhsa_system_sgpr_workgroup_id_y 0
		.amdhsa_system_sgpr_workgroup_id_z 0
		.amdhsa_system_sgpr_workgroup_info 0
		.amdhsa_system_vgpr_workitem_id 0
		.amdhsa_next_free_vgpr 1
		.amdhsa_next_free_sgpr 0
		.amdhsa_accum_offset 4
		.amdhsa_reserve_vcc 0
		.amdhsa_float_round_mode_32 0
		.amdhsa_float_round_mode_16_64 0
		.amdhsa_float_denorm_mode_32 3
		.amdhsa_float_denorm_mode_16_64 3
		.amdhsa_dx10_clamp 1
		.amdhsa_ieee_mode 1
		.amdhsa_fp16_overflow 0
		.amdhsa_tg_split 0
		.amdhsa_exception_fp_ieee_invalid_op 0
		.amdhsa_exception_fp_denorm_src 0
		.amdhsa_exception_fp_ieee_div_zero 0
		.amdhsa_exception_fp_ieee_overflow 0
		.amdhsa_exception_fp_ieee_underflow 0
		.amdhsa_exception_fp_ieee_inexact 0
		.amdhsa_exception_int_div_zero 0
	.end_amdhsa_kernel
	.section	.text._ZN7rocprim17ROCPRIM_400000_NS6detail17trampoline_kernelINS0_14default_configENS1_25transform_config_selectorIN3c107complexIdEELb1EEEZNS1_14transform_implILb1ES3_S8_PS7_SA_NS0_8identityIS7_EEEE10hipError_tT2_T3_mT4_P12ihipStream_tbEUlT_E_NS1_11comp_targetILNS1_3genE3ELNS1_11target_archE908ELNS1_3gpuE7ELNS1_3repE0EEENS1_30default_config_static_selectorELNS0_4arch9wavefront6targetE1EEEvT1_,"axG",@progbits,_ZN7rocprim17ROCPRIM_400000_NS6detail17trampoline_kernelINS0_14default_configENS1_25transform_config_selectorIN3c107complexIdEELb1EEEZNS1_14transform_implILb1ES3_S8_PS7_SA_NS0_8identityIS7_EEEE10hipError_tT2_T3_mT4_P12ihipStream_tbEUlT_E_NS1_11comp_targetILNS1_3genE3ELNS1_11target_archE908ELNS1_3gpuE7ELNS1_3repE0EEENS1_30default_config_static_selectorELNS0_4arch9wavefront6targetE1EEEvT1_,comdat
.Lfunc_end189:
	.size	_ZN7rocprim17ROCPRIM_400000_NS6detail17trampoline_kernelINS0_14default_configENS1_25transform_config_selectorIN3c107complexIdEELb1EEEZNS1_14transform_implILb1ES3_S8_PS7_SA_NS0_8identityIS7_EEEE10hipError_tT2_T3_mT4_P12ihipStream_tbEUlT_E_NS1_11comp_targetILNS1_3genE3ELNS1_11target_archE908ELNS1_3gpuE7ELNS1_3repE0EEENS1_30default_config_static_selectorELNS0_4arch9wavefront6targetE1EEEvT1_, .Lfunc_end189-_ZN7rocprim17ROCPRIM_400000_NS6detail17trampoline_kernelINS0_14default_configENS1_25transform_config_selectorIN3c107complexIdEELb1EEEZNS1_14transform_implILb1ES3_S8_PS7_SA_NS0_8identityIS7_EEEE10hipError_tT2_T3_mT4_P12ihipStream_tbEUlT_E_NS1_11comp_targetILNS1_3genE3ELNS1_11target_archE908ELNS1_3gpuE7ELNS1_3repE0EEENS1_30default_config_static_selectorELNS0_4arch9wavefront6targetE1EEEvT1_
                                        ; -- End function
	.set _ZN7rocprim17ROCPRIM_400000_NS6detail17trampoline_kernelINS0_14default_configENS1_25transform_config_selectorIN3c107complexIdEELb1EEEZNS1_14transform_implILb1ES3_S8_PS7_SA_NS0_8identityIS7_EEEE10hipError_tT2_T3_mT4_P12ihipStream_tbEUlT_E_NS1_11comp_targetILNS1_3genE3ELNS1_11target_archE908ELNS1_3gpuE7ELNS1_3repE0EEENS1_30default_config_static_selectorELNS0_4arch9wavefront6targetE1EEEvT1_.num_vgpr, 0
	.set _ZN7rocprim17ROCPRIM_400000_NS6detail17trampoline_kernelINS0_14default_configENS1_25transform_config_selectorIN3c107complexIdEELb1EEEZNS1_14transform_implILb1ES3_S8_PS7_SA_NS0_8identityIS7_EEEE10hipError_tT2_T3_mT4_P12ihipStream_tbEUlT_E_NS1_11comp_targetILNS1_3genE3ELNS1_11target_archE908ELNS1_3gpuE7ELNS1_3repE0EEENS1_30default_config_static_selectorELNS0_4arch9wavefront6targetE1EEEvT1_.num_agpr, 0
	.set _ZN7rocprim17ROCPRIM_400000_NS6detail17trampoline_kernelINS0_14default_configENS1_25transform_config_selectorIN3c107complexIdEELb1EEEZNS1_14transform_implILb1ES3_S8_PS7_SA_NS0_8identityIS7_EEEE10hipError_tT2_T3_mT4_P12ihipStream_tbEUlT_E_NS1_11comp_targetILNS1_3genE3ELNS1_11target_archE908ELNS1_3gpuE7ELNS1_3repE0EEENS1_30default_config_static_selectorELNS0_4arch9wavefront6targetE1EEEvT1_.numbered_sgpr, 0
	.set _ZN7rocprim17ROCPRIM_400000_NS6detail17trampoline_kernelINS0_14default_configENS1_25transform_config_selectorIN3c107complexIdEELb1EEEZNS1_14transform_implILb1ES3_S8_PS7_SA_NS0_8identityIS7_EEEE10hipError_tT2_T3_mT4_P12ihipStream_tbEUlT_E_NS1_11comp_targetILNS1_3genE3ELNS1_11target_archE908ELNS1_3gpuE7ELNS1_3repE0EEENS1_30default_config_static_selectorELNS0_4arch9wavefront6targetE1EEEvT1_.num_named_barrier, 0
	.set _ZN7rocprim17ROCPRIM_400000_NS6detail17trampoline_kernelINS0_14default_configENS1_25transform_config_selectorIN3c107complexIdEELb1EEEZNS1_14transform_implILb1ES3_S8_PS7_SA_NS0_8identityIS7_EEEE10hipError_tT2_T3_mT4_P12ihipStream_tbEUlT_E_NS1_11comp_targetILNS1_3genE3ELNS1_11target_archE908ELNS1_3gpuE7ELNS1_3repE0EEENS1_30default_config_static_selectorELNS0_4arch9wavefront6targetE1EEEvT1_.private_seg_size, 0
	.set _ZN7rocprim17ROCPRIM_400000_NS6detail17trampoline_kernelINS0_14default_configENS1_25transform_config_selectorIN3c107complexIdEELb1EEEZNS1_14transform_implILb1ES3_S8_PS7_SA_NS0_8identityIS7_EEEE10hipError_tT2_T3_mT4_P12ihipStream_tbEUlT_E_NS1_11comp_targetILNS1_3genE3ELNS1_11target_archE908ELNS1_3gpuE7ELNS1_3repE0EEENS1_30default_config_static_selectorELNS0_4arch9wavefront6targetE1EEEvT1_.uses_vcc, 0
	.set _ZN7rocprim17ROCPRIM_400000_NS6detail17trampoline_kernelINS0_14default_configENS1_25transform_config_selectorIN3c107complexIdEELb1EEEZNS1_14transform_implILb1ES3_S8_PS7_SA_NS0_8identityIS7_EEEE10hipError_tT2_T3_mT4_P12ihipStream_tbEUlT_E_NS1_11comp_targetILNS1_3genE3ELNS1_11target_archE908ELNS1_3gpuE7ELNS1_3repE0EEENS1_30default_config_static_selectorELNS0_4arch9wavefront6targetE1EEEvT1_.uses_flat_scratch, 0
	.set _ZN7rocprim17ROCPRIM_400000_NS6detail17trampoline_kernelINS0_14default_configENS1_25transform_config_selectorIN3c107complexIdEELb1EEEZNS1_14transform_implILb1ES3_S8_PS7_SA_NS0_8identityIS7_EEEE10hipError_tT2_T3_mT4_P12ihipStream_tbEUlT_E_NS1_11comp_targetILNS1_3genE3ELNS1_11target_archE908ELNS1_3gpuE7ELNS1_3repE0EEENS1_30default_config_static_selectorELNS0_4arch9wavefront6targetE1EEEvT1_.has_dyn_sized_stack, 0
	.set _ZN7rocprim17ROCPRIM_400000_NS6detail17trampoline_kernelINS0_14default_configENS1_25transform_config_selectorIN3c107complexIdEELb1EEEZNS1_14transform_implILb1ES3_S8_PS7_SA_NS0_8identityIS7_EEEE10hipError_tT2_T3_mT4_P12ihipStream_tbEUlT_E_NS1_11comp_targetILNS1_3genE3ELNS1_11target_archE908ELNS1_3gpuE7ELNS1_3repE0EEENS1_30default_config_static_selectorELNS0_4arch9wavefront6targetE1EEEvT1_.has_recursion, 0
	.set _ZN7rocprim17ROCPRIM_400000_NS6detail17trampoline_kernelINS0_14default_configENS1_25transform_config_selectorIN3c107complexIdEELb1EEEZNS1_14transform_implILb1ES3_S8_PS7_SA_NS0_8identityIS7_EEEE10hipError_tT2_T3_mT4_P12ihipStream_tbEUlT_E_NS1_11comp_targetILNS1_3genE3ELNS1_11target_archE908ELNS1_3gpuE7ELNS1_3repE0EEENS1_30default_config_static_selectorELNS0_4arch9wavefront6targetE1EEEvT1_.has_indirect_call, 0
	.section	.AMDGPU.csdata,"",@progbits
; Kernel info:
; codeLenInByte = 0
; TotalNumSgprs: 6
; NumVgprs: 0
; NumAgprs: 0
; TotalNumVgprs: 0
; ScratchSize: 0
; MemoryBound: 0
; FloatMode: 240
; IeeeMode: 1
; LDSByteSize: 0 bytes/workgroup (compile time only)
; SGPRBlocks: 0
; VGPRBlocks: 0
; NumSGPRsForWavesPerEU: 6
; NumVGPRsForWavesPerEU: 1
; AccumOffset: 4
; Occupancy: 8
; WaveLimiterHint : 0
; COMPUTE_PGM_RSRC2:SCRATCH_EN: 0
; COMPUTE_PGM_RSRC2:USER_SGPR: 2
; COMPUTE_PGM_RSRC2:TRAP_HANDLER: 0
; COMPUTE_PGM_RSRC2:TGID_X_EN: 1
; COMPUTE_PGM_RSRC2:TGID_Y_EN: 0
; COMPUTE_PGM_RSRC2:TGID_Z_EN: 0
; COMPUTE_PGM_RSRC2:TIDIG_COMP_CNT: 0
; COMPUTE_PGM_RSRC3_GFX90A:ACCUM_OFFSET: 0
; COMPUTE_PGM_RSRC3_GFX90A:TG_SPLIT: 0
	.section	.text._ZN7rocprim17ROCPRIM_400000_NS6detail17trampoline_kernelINS0_14default_configENS1_25transform_config_selectorIN3c107complexIdEELb1EEEZNS1_14transform_implILb1ES3_S8_PS7_SA_NS0_8identityIS7_EEEE10hipError_tT2_T3_mT4_P12ihipStream_tbEUlT_E_NS1_11comp_targetILNS1_3genE2ELNS1_11target_archE906ELNS1_3gpuE6ELNS1_3repE0EEENS1_30default_config_static_selectorELNS0_4arch9wavefront6targetE1EEEvT1_,"axG",@progbits,_ZN7rocprim17ROCPRIM_400000_NS6detail17trampoline_kernelINS0_14default_configENS1_25transform_config_selectorIN3c107complexIdEELb1EEEZNS1_14transform_implILb1ES3_S8_PS7_SA_NS0_8identityIS7_EEEE10hipError_tT2_T3_mT4_P12ihipStream_tbEUlT_E_NS1_11comp_targetILNS1_3genE2ELNS1_11target_archE906ELNS1_3gpuE6ELNS1_3repE0EEENS1_30default_config_static_selectorELNS0_4arch9wavefront6targetE1EEEvT1_,comdat
	.protected	_ZN7rocprim17ROCPRIM_400000_NS6detail17trampoline_kernelINS0_14default_configENS1_25transform_config_selectorIN3c107complexIdEELb1EEEZNS1_14transform_implILb1ES3_S8_PS7_SA_NS0_8identityIS7_EEEE10hipError_tT2_T3_mT4_P12ihipStream_tbEUlT_E_NS1_11comp_targetILNS1_3genE2ELNS1_11target_archE906ELNS1_3gpuE6ELNS1_3repE0EEENS1_30default_config_static_selectorELNS0_4arch9wavefront6targetE1EEEvT1_ ; -- Begin function _ZN7rocprim17ROCPRIM_400000_NS6detail17trampoline_kernelINS0_14default_configENS1_25transform_config_selectorIN3c107complexIdEELb1EEEZNS1_14transform_implILb1ES3_S8_PS7_SA_NS0_8identityIS7_EEEE10hipError_tT2_T3_mT4_P12ihipStream_tbEUlT_E_NS1_11comp_targetILNS1_3genE2ELNS1_11target_archE906ELNS1_3gpuE6ELNS1_3repE0EEENS1_30default_config_static_selectorELNS0_4arch9wavefront6targetE1EEEvT1_
	.globl	_ZN7rocprim17ROCPRIM_400000_NS6detail17trampoline_kernelINS0_14default_configENS1_25transform_config_selectorIN3c107complexIdEELb1EEEZNS1_14transform_implILb1ES3_S8_PS7_SA_NS0_8identityIS7_EEEE10hipError_tT2_T3_mT4_P12ihipStream_tbEUlT_E_NS1_11comp_targetILNS1_3genE2ELNS1_11target_archE906ELNS1_3gpuE6ELNS1_3repE0EEENS1_30default_config_static_selectorELNS0_4arch9wavefront6targetE1EEEvT1_
	.p2align	8
	.type	_ZN7rocprim17ROCPRIM_400000_NS6detail17trampoline_kernelINS0_14default_configENS1_25transform_config_selectorIN3c107complexIdEELb1EEEZNS1_14transform_implILb1ES3_S8_PS7_SA_NS0_8identityIS7_EEEE10hipError_tT2_T3_mT4_P12ihipStream_tbEUlT_E_NS1_11comp_targetILNS1_3genE2ELNS1_11target_archE906ELNS1_3gpuE6ELNS1_3repE0EEENS1_30default_config_static_selectorELNS0_4arch9wavefront6targetE1EEEvT1_,@function
_ZN7rocprim17ROCPRIM_400000_NS6detail17trampoline_kernelINS0_14default_configENS1_25transform_config_selectorIN3c107complexIdEELb1EEEZNS1_14transform_implILb1ES3_S8_PS7_SA_NS0_8identityIS7_EEEE10hipError_tT2_T3_mT4_P12ihipStream_tbEUlT_E_NS1_11comp_targetILNS1_3genE2ELNS1_11target_archE906ELNS1_3gpuE6ELNS1_3repE0EEENS1_30default_config_static_selectorELNS0_4arch9wavefront6targetE1EEEvT1_: ; @_ZN7rocprim17ROCPRIM_400000_NS6detail17trampoline_kernelINS0_14default_configENS1_25transform_config_selectorIN3c107complexIdEELb1EEEZNS1_14transform_implILb1ES3_S8_PS7_SA_NS0_8identityIS7_EEEE10hipError_tT2_T3_mT4_P12ihipStream_tbEUlT_E_NS1_11comp_targetILNS1_3genE2ELNS1_11target_archE906ELNS1_3gpuE6ELNS1_3repE0EEENS1_30default_config_static_selectorELNS0_4arch9wavefront6targetE1EEEvT1_
; %bb.0:
	.section	.rodata,"a",@progbits
	.p2align	6, 0x0
	.amdhsa_kernel _ZN7rocprim17ROCPRIM_400000_NS6detail17trampoline_kernelINS0_14default_configENS1_25transform_config_selectorIN3c107complexIdEELb1EEEZNS1_14transform_implILb1ES3_S8_PS7_SA_NS0_8identityIS7_EEEE10hipError_tT2_T3_mT4_P12ihipStream_tbEUlT_E_NS1_11comp_targetILNS1_3genE2ELNS1_11target_archE906ELNS1_3gpuE6ELNS1_3repE0EEENS1_30default_config_static_selectorELNS0_4arch9wavefront6targetE1EEEvT1_
		.amdhsa_group_segment_fixed_size 0
		.amdhsa_private_segment_fixed_size 0
		.amdhsa_kernarg_size 40
		.amdhsa_user_sgpr_count 2
		.amdhsa_user_sgpr_dispatch_ptr 0
		.amdhsa_user_sgpr_queue_ptr 0
		.amdhsa_user_sgpr_kernarg_segment_ptr 1
		.amdhsa_user_sgpr_dispatch_id 0
		.amdhsa_user_sgpr_kernarg_preload_length 0
		.amdhsa_user_sgpr_kernarg_preload_offset 0
		.amdhsa_user_sgpr_private_segment_size 0
		.amdhsa_uses_dynamic_stack 0
		.amdhsa_enable_private_segment 0
		.amdhsa_system_sgpr_workgroup_id_x 1
		.amdhsa_system_sgpr_workgroup_id_y 0
		.amdhsa_system_sgpr_workgroup_id_z 0
		.amdhsa_system_sgpr_workgroup_info 0
		.amdhsa_system_vgpr_workitem_id 0
		.amdhsa_next_free_vgpr 1
		.amdhsa_next_free_sgpr 0
		.amdhsa_accum_offset 4
		.amdhsa_reserve_vcc 0
		.amdhsa_float_round_mode_32 0
		.amdhsa_float_round_mode_16_64 0
		.amdhsa_float_denorm_mode_32 3
		.amdhsa_float_denorm_mode_16_64 3
		.amdhsa_dx10_clamp 1
		.amdhsa_ieee_mode 1
		.amdhsa_fp16_overflow 0
		.amdhsa_tg_split 0
		.amdhsa_exception_fp_ieee_invalid_op 0
		.amdhsa_exception_fp_denorm_src 0
		.amdhsa_exception_fp_ieee_div_zero 0
		.amdhsa_exception_fp_ieee_overflow 0
		.amdhsa_exception_fp_ieee_underflow 0
		.amdhsa_exception_fp_ieee_inexact 0
		.amdhsa_exception_int_div_zero 0
	.end_amdhsa_kernel
	.section	.text._ZN7rocprim17ROCPRIM_400000_NS6detail17trampoline_kernelINS0_14default_configENS1_25transform_config_selectorIN3c107complexIdEELb1EEEZNS1_14transform_implILb1ES3_S8_PS7_SA_NS0_8identityIS7_EEEE10hipError_tT2_T3_mT4_P12ihipStream_tbEUlT_E_NS1_11comp_targetILNS1_3genE2ELNS1_11target_archE906ELNS1_3gpuE6ELNS1_3repE0EEENS1_30default_config_static_selectorELNS0_4arch9wavefront6targetE1EEEvT1_,"axG",@progbits,_ZN7rocprim17ROCPRIM_400000_NS6detail17trampoline_kernelINS0_14default_configENS1_25transform_config_selectorIN3c107complexIdEELb1EEEZNS1_14transform_implILb1ES3_S8_PS7_SA_NS0_8identityIS7_EEEE10hipError_tT2_T3_mT4_P12ihipStream_tbEUlT_E_NS1_11comp_targetILNS1_3genE2ELNS1_11target_archE906ELNS1_3gpuE6ELNS1_3repE0EEENS1_30default_config_static_selectorELNS0_4arch9wavefront6targetE1EEEvT1_,comdat
.Lfunc_end190:
	.size	_ZN7rocprim17ROCPRIM_400000_NS6detail17trampoline_kernelINS0_14default_configENS1_25transform_config_selectorIN3c107complexIdEELb1EEEZNS1_14transform_implILb1ES3_S8_PS7_SA_NS0_8identityIS7_EEEE10hipError_tT2_T3_mT4_P12ihipStream_tbEUlT_E_NS1_11comp_targetILNS1_3genE2ELNS1_11target_archE906ELNS1_3gpuE6ELNS1_3repE0EEENS1_30default_config_static_selectorELNS0_4arch9wavefront6targetE1EEEvT1_, .Lfunc_end190-_ZN7rocprim17ROCPRIM_400000_NS6detail17trampoline_kernelINS0_14default_configENS1_25transform_config_selectorIN3c107complexIdEELb1EEEZNS1_14transform_implILb1ES3_S8_PS7_SA_NS0_8identityIS7_EEEE10hipError_tT2_T3_mT4_P12ihipStream_tbEUlT_E_NS1_11comp_targetILNS1_3genE2ELNS1_11target_archE906ELNS1_3gpuE6ELNS1_3repE0EEENS1_30default_config_static_selectorELNS0_4arch9wavefront6targetE1EEEvT1_
                                        ; -- End function
	.set _ZN7rocprim17ROCPRIM_400000_NS6detail17trampoline_kernelINS0_14default_configENS1_25transform_config_selectorIN3c107complexIdEELb1EEEZNS1_14transform_implILb1ES3_S8_PS7_SA_NS0_8identityIS7_EEEE10hipError_tT2_T3_mT4_P12ihipStream_tbEUlT_E_NS1_11comp_targetILNS1_3genE2ELNS1_11target_archE906ELNS1_3gpuE6ELNS1_3repE0EEENS1_30default_config_static_selectorELNS0_4arch9wavefront6targetE1EEEvT1_.num_vgpr, 0
	.set _ZN7rocprim17ROCPRIM_400000_NS6detail17trampoline_kernelINS0_14default_configENS1_25transform_config_selectorIN3c107complexIdEELb1EEEZNS1_14transform_implILb1ES3_S8_PS7_SA_NS0_8identityIS7_EEEE10hipError_tT2_T3_mT4_P12ihipStream_tbEUlT_E_NS1_11comp_targetILNS1_3genE2ELNS1_11target_archE906ELNS1_3gpuE6ELNS1_3repE0EEENS1_30default_config_static_selectorELNS0_4arch9wavefront6targetE1EEEvT1_.num_agpr, 0
	.set _ZN7rocprim17ROCPRIM_400000_NS6detail17trampoline_kernelINS0_14default_configENS1_25transform_config_selectorIN3c107complexIdEELb1EEEZNS1_14transform_implILb1ES3_S8_PS7_SA_NS0_8identityIS7_EEEE10hipError_tT2_T3_mT4_P12ihipStream_tbEUlT_E_NS1_11comp_targetILNS1_3genE2ELNS1_11target_archE906ELNS1_3gpuE6ELNS1_3repE0EEENS1_30default_config_static_selectorELNS0_4arch9wavefront6targetE1EEEvT1_.numbered_sgpr, 0
	.set _ZN7rocprim17ROCPRIM_400000_NS6detail17trampoline_kernelINS0_14default_configENS1_25transform_config_selectorIN3c107complexIdEELb1EEEZNS1_14transform_implILb1ES3_S8_PS7_SA_NS0_8identityIS7_EEEE10hipError_tT2_T3_mT4_P12ihipStream_tbEUlT_E_NS1_11comp_targetILNS1_3genE2ELNS1_11target_archE906ELNS1_3gpuE6ELNS1_3repE0EEENS1_30default_config_static_selectorELNS0_4arch9wavefront6targetE1EEEvT1_.num_named_barrier, 0
	.set _ZN7rocprim17ROCPRIM_400000_NS6detail17trampoline_kernelINS0_14default_configENS1_25transform_config_selectorIN3c107complexIdEELb1EEEZNS1_14transform_implILb1ES3_S8_PS7_SA_NS0_8identityIS7_EEEE10hipError_tT2_T3_mT4_P12ihipStream_tbEUlT_E_NS1_11comp_targetILNS1_3genE2ELNS1_11target_archE906ELNS1_3gpuE6ELNS1_3repE0EEENS1_30default_config_static_selectorELNS0_4arch9wavefront6targetE1EEEvT1_.private_seg_size, 0
	.set _ZN7rocprim17ROCPRIM_400000_NS6detail17trampoline_kernelINS0_14default_configENS1_25transform_config_selectorIN3c107complexIdEELb1EEEZNS1_14transform_implILb1ES3_S8_PS7_SA_NS0_8identityIS7_EEEE10hipError_tT2_T3_mT4_P12ihipStream_tbEUlT_E_NS1_11comp_targetILNS1_3genE2ELNS1_11target_archE906ELNS1_3gpuE6ELNS1_3repE0EEENS1_30default_config_static_selectorELNS0_4arch9wavefront6targetE1EEEvT1_.uses_vcc, 0
	.set _ZN7rocprim17ROCPRIM_400000_NS6detail17trampoline_kernelINS0_14default_configENS1_25transform_config_selectorIN3c107complexIdEELb1EEEZNS1_14transform_implILb1ES3_S8_PS7_SA_NS0_8identityIS7_EEEE10hipError_tT2_T3_mT4_P12ihipStream_tbEUlT_E_NS1_11comp_targetILNS1_3genE2ELNS1_11target_archE906ELNS1_3gpuE6ELNS1_3repE0EEENS1_30default_config_static_selectorELNS0_4arch9wavefront6targetE1EEEvT1_.uses_flat_scratch, 0
	.set _ZN7rocprim17ROCPRIM_400000_NS6detail17trampoline_kernelINS0_14default_configENS1_25transform_config_selectorIN3c107complexIdEELb1EEEZNS1_14transform_implILb1ES3_S8_PS7_SA_NS0_8identityIS7_EEEE10hipError_tT2_T3_mT4_P12ihipStream_tbEUlT_E_NS1_11comp_targetILNS1_3genE2ELNS1_11target_archE906ELNS1_3gpuE6ELNS1_3repE0EEENS1_30default_config_static_selectorELNS0_4arch9wavefront6targetE1EEEvT1_.has_dyn_sized_stack, 0
	.set _ZN7rocprim17ROCPRIM_400000_NS6detail17trampoline_kernelINS0_14default_configENS1_25transform_config_selectorIN3c107complexIdEELb1EEEZNS1_14transform_implILb1ES3_S8_PS7_SA_NS0_8identityIS7_EEEE10hipError_tT2_T3_mT4_P12ihipStream_tbEUlT_E_NS1_11comp_targetILNS1_3genE2ELNS1_11target_archE906ELNS1_3gpuE6ELNS1_3repE0EEENS1_30default_config_static_selectorELNS0_4arch9wavefront6targetE1EEEvT1_.has_recursion, 0
	.set _ZN7rocprim17ROCPRIM_400000_NS6detail17trampoline_kernelINS0_14default_configENS1_25transform_config_selectorIN3c107complexIdEELb1EEEZNS1_14transform_implILb1ES3_S8_PS7_SA_NS0_8identityIS7_EEEE10hipError_tT2_T3_mT4_P12ihipStream_tbEUlT_E_NS1_11comp_targetILNS1_3genE2ELNS1_11target_archE906ELNS1_3gpuE6ELNS1_3repE0EEENS1_30default_config_static_selectorELNS0_4arch9wavefront6targetE1EEEvT1_.has_indirect_call, 0
	.section	.AMDGPU.csdata,"",@progbits
; Kernel info:
; codeLenInByte = 0
; TotalNumSgprs: 6
; NumVgprs: 0
; NumAgprs: 0
; TotalNumVgprs: 0
; ScratchSize: 0
; MemoryBound: 0
; FloatMode: 240
; IeeeMode: 1
; LDSByteSize: 0 bytes/workgroup (compile time only)
; SGPRBlocks: 0
; VGPRBlocks: 0
; NumSGPRsForWavesPerEU: 6
; NumVGPRsForWavesPerEU: 1
; AccumOffset: 4
; Occupancy: 8
; WaveLimiterHint : 0
; COMPUTE_PGM_RSRC2:SCRATCH_EN: 0
; COMPUTE_PGM_RSRC2:USER_SGPR: 2
; COMPUTE_PGM_RSRC2:TRAP_HANDLER: 0
; COMPUTE_PGM_RSRC2:TGID_X_EN: 1
; COMPUTE_PGM_RSRC2:TGID_Y_EN: 0
; COMPUTE_PGM_RSRC2:TGID_Z_EN: 0
; COMPUTE_PGM_RSRC2:TIDIG_COMP_CNT: 0
; COMPUTE_PGM_RSRC3_GFX90A:ACCUM_OFFSET: 0
; COMPUTE_PGM_RSRC3_GFX90A:TG_SPLIT: 0
	.section	.text._ZN7rocprim17ROCPRIM_400000_NS6detail17trampoline_kernelINS0_14default_configENS1_25transform_config_selectorIN3c107complexIdEELb1EEEZNS1_14transform_implILb1ES3_S8_PS7_SA_NS0_8identityIS7_EEEE10hipError_tT2_T3_mT4_P12ihipStream_tbEUlT_E_NS1_11comp_targetILNS1_3genE9ELNS1_11target_archE1100ELNS1_3gpuE3ELNS1_3repE0EEENS1_30default_config_static_selectorELNS0_4arch9wavefront6targetE1EEEvT1_,"axG",@progbits,_ZN7rocprim17ROCPRIM_400000_NS6detail17trampoline_kernelINS0_14default_configENS1_25transform_config_selectorIN3c107complexIdEELb1EEEZNS1_14transform_implILb1ES3_S8_PS7_SA_NS0_8identityIS7_EEEE10hipError_tT2_T3_mT4_P12ihipStream_tbEUlT_E_NS1_11comp_targetILNS1_3genE9ELNS1_11target_archE1100ELNS1_3gpuE3ELNS1_3repE0EEENS1_30default_config_static_selectorELNS0_4arch9wavefront6targetE1EEEvT1_,comdat
	.protected	_ZN7rocprim17ROCPRIM_400000_NS6detail17trampoline_kernelINS0_14default_configENS1_25transform_config_selectorIN3c107complexIdEELb1EEEZNS1_14transform_implILb1ES3_S8_PS7_SA_NS0_8identityIS7_EEEE10hipError_tT2_T3_mT4_P12ihipStream_tbEUlT_E_NS1_11comp_targetILNS1_3genE9ELNS1_11target_archE1100ELNS1_3gpuE3ELNS1_3repE0EEENS1_30default_config_static_selectorELNS0_4arch9wavefront6targetE1EEEvT1_ ; -- Begin function _ZN7rocprim17ROCPRIM_400000_NS6detail17trampoline_kernelINS0_14default_configENS1_25transform_config_selectorIN3c107complexIdEELb1EEEZNS1_14transform_implILb1ES3_S8_PS7_SA_NS0_8identityIS7_EEEE10hipError_tT2_T3_mT4_P12ihipStream_tbEUlT_E_NS1_11comp_targetILNS1_3genE9ELNS1_11target_archE1100ELNS1_3gpuE3ELNS1_3repE0EEENS1_30default_config_static_selectorELNS0_4arch9wavefront6targetE1EEEvT1_
	.globl	_ZN7rocprim17ROCPRIM_400000_NS6detail17trampoline_kernelINS0_14default_configENS1_25transform_config_selectorIN3c107complexIdEELb1EEEZNS1_14transform_implILb1ES3_S8_PS7_SA_NS0_8identityIS7_EEEE10hipError_tT2_T3_mT4_P12ihipStream_tbEUlT_E_NS1_11comp_targetILNS1_3genE9ELNS1_11target_archE1100ELNS1_3gpuE3ELNS1_3repE0EEENS1_30default_config_static_selectorELNS0_4arch9wavefront6targetE1EEEvT1_
	.p2align	8
	.type	_ZN7rocprim17ROCPRIM_400000_NS6detail17trampoline_kernelINS0_14default_configENS1_25transform_config_selectorIN3c107complexIdEELb1EEEZNS1_14transform_implILb1ES3_S8_PS7_SA_NS0_8identityIS7_EEEE10hipError_tT2_T3_mT4_P12ihipStream_tbEUlT_E_NS1_11comp_targetILNS1_3genE9ELNS1_11target_archE1100ELNS1_3gpuE3ELNS1_3repE0EEENS1_30default_config_static_selectorELNS0_4arch9wavefront6targetE1EEEvT1_,@function
_ZN7rocprim17ROCPRIM_400000_NS6detail17trampoline_kernelINS0_14default_configENS1_25transform_config_selectorIN3c107complexIdEELb1EEEZNS1_14transform_implILb1ES3_S8_PS7_SA_NS0_8identityIS7_EEEE10hipError_tT2_T3_mT4_P12ihipStream_tbEUlT_E_NS1_11comp_targetILNS1_3genE9ELNS1_11target_archE1100ELNS1_3gpuE3ELNS1_3repE0EEENS1_30default_config_static_selectorELNS0_4arch9wavefront6targetE1EEEvT1_: ; @_ZN7rocprim17ROCPRIM_400000_NS6detail17trampoline_kernelINS0_14default_configENS1_25transform_config_selectorIN3c107complexIdEELb1EEEZNS1_14transform_implILb1ES3_S8_PS7_SA_NS0_8identityIS7_EEEE10hipError_tT2_T3_mT4_P12ihipStream_tbEUlT_E_NS1_11comp_targetILNS1_3genE9ELNS1_11target_archE1100ELNS1_3gpuE3ELNS1_3repE0EEENS1_30default_config_static_selectorELNS0_4arch9wavefront6targetE1EEEvT1_
; %bb.0:
	.section	.rodata,"a",@progbits
	.p2align	6, 0x0
	.amdhsa_kernel _ZN7rocprim17ROCPRIM_400000_NS6detail17trampoline_kernelINS0_14default_configENS1_25transform_config_selectorIN3c107complexIdEELb1EEEZNS1_14transform_implILb1ES3_S8_PS7_SA_NS0_8identityIS7_EEEE10hipError_tT2_T3_mT4_P12ihipStream_tbEUlT_E_NS1_11comp_targetILNS1_3genE9ELNS1_11target_archE1100ELNS1_3gpuE3ELNS1_3repE0EEENS1_30default_config_static_selectorELNS0_4arch9wavefront6targetE1EEEvT1_
		.amdhsa_group_segment_fixed_size 0
		.amdhsa_private_segment_fixed_size 0
		.amdhsa_kernarg_size 40
		.amdhsa_user_sgpr_count 2
		.amdhsa_user_sgpr_dispatch_ptr 0
		.amdhsa_user_sgpr_queue_ptr 0
		.amdhsa_user_sgpr_kernarg_segment_ptr 1
		.amdhsa_user_sgpr_dispatch_id 0
		.amdhsa_user_sgpr_kernarg_preload_length 0
		.amdhsa_user_sgpr_kernarg_preload_offset 0
		.amdhsa_user_sgpr_private_segment_size 0
		.amdhsa_uses_dynamic_stack 0
		.amdhsa_enable_private_segment 0
		.amdhsa_system_sgpr_workgroup_id_x 1
		.amdhsa_system_sgpr_workgroup_id_y 0
		.amdhsa_system_sgpr_workgroup_id_z 0
		.amdhsa_system_sgpr_workgroup_info 0
		.amdhsa_system_vgpr_workitem_id 0
		.amdhsa_next_free_vgpr 1
		.amdhsa_next_free_sgpr 0
		.amdhsa_accum_offset 4
		.amdhsa_reserve_vcc 0
		.amdhsa_float_round_mode_32 0
		.amdhsa_float_round_mode_16_64 0
		.amdhsa_float_denorm_mode_32 3
		.amdhsa_float_denorm_mode_16_64 3
		.amdhsa_dx10_clamp 1
		.amdhsa_ieee_mode 1
		.amdhsa_fp16_overflow 0
		.amdhsa_tg_split 0
		.amdhsa_exception_fp_ieee_invalid_op 0
		.amdhsa_exception_fp_denorm_src 0
		.amdhsa_exception_fp_ieee_div_zero 0
		.amdhsa_exception_fp_ieee_overflow 0
		.amdhsa_exception_fp_ieee_underflow 0
		.amdhsa_exception_fp_ieee_inexact 0
		.amdhsa_exception_int_div_zero 0
	.end_amdhsa_kernel
	.section	.text._ZN7rocprim17ROCPRIM_400000_NS6detail17trampoline_kernelINS0_14default_configENS1_25transform_config_selectorIN3c107complexIdEELb1EEEZNS1_14transform_implILb1ES3_S8_PS7_SA_NS0_8identityIS7_EEEE10hipError_tT2_T3_mT4_P12ihipStream_tbEUlT_E_NS1_11comp_targetILNS1_3genE9ELNS1_11target_archE1100ELNS1_3gpuE3ELNS1_3repE0EEENS1_30default_config_static_selectorELNS0_4arch9wavefront6targetE1EEEvT1_,"axG",@progbits,_ZN7rocprim17ROCPRIM_400000_NS6detail17trampoline_kernelINS0_14default_configENS1_25transform_config_selectorIN3c107complexIdEELb1EEEZNS1_14transform_implILb1ES3_S8_PS7_SA_NS0_8identityIS7_EEEE10hipError_tT2_T3_mT4_P12ihipStream_tbEUlT_E_NS1_11comp_targetILNS1_3genE9ELNS1_11target_archE1100ELNS1_3gpuE3ELNS1_3repE0EEENS1_30default_config_static_selectorELNS0_4arch9wavefront6targetE1EEEvT1_,comdat
.Lfunc_end191:
	.size	_ZN7rocprim17ROCPRIM_400000_NS6detail17trampoline_kernelINS0_14default_configENS1_25transform_config_selectorIN3c107complexIdEELb1EEEZNS1_14transform_implILb1ES3_S8_PS7_SA_NS0_8identityIS7_EEEE10hipError_tT2_T3_mT4_P12ihipStream_tbEUlT_E_NS1_11comp_targetILNS1_3genE9ELNS1_11target_archE1100ELNS1_3gpuE3ELNS1_3repE0EEENS1_30default_config_static_selectorELNS0_4arch9wavefront6targetE1EEEvT1_, .Lfunc_end191-_ZN7rocprim17ROCPRIM_400000_NS6detail17trampoline_kernelINS0_14default_configENS1_25transform_config_selectorIN3c107complexIdEELb1EEEZNS1_14transform_implILb1ES3_S8_PS7_SA_NS0_8identityIS7_EEEE10hipError_tT2_T3_mT4_P12ihipStream_tbEUlT_E_NS1_11comp_targetILNS1_3genE9ELNS1_11target_archE1100ELNS1_3gpuE3ELNS1_3repE0EEENS1_30default_config_static_selectorELNS0_4arch9wavefront6targetE1EEEvT1_
                                        ; -- End function
	.set _ZN7rocprim17ROCPRIM_400000_NS6detail17trampoline_kernelINS0_14default_configENS1_25transform_config_selectorIN3c107complexIdEELb1EEEZNS1_14transform_implILb1ES3_S8_PS7_SA_NS0_8identityIS7_EEEE10hipError_tT2_T3_mT4_P12ihipStream_tbEUlT_E_NS1_11comp_targetILNS1_3genE9ELNS1_11target_archE1100ELNS1_3gpuE3ELNS1_3repE0EEENS1_30default_config_static_selectorELNS0_4arch9wavefront6targetE1EEEvT1_.num_vgpr, 0
	.set _ZN7rocprim17ROCPRIM_400000_NS6detail17trampoline_kernelINS0_14default_configENS1_25transform_config_selectorIN3c107complexIdEELb1EEEZNS1_14transform_implILb1ES3_S8_PS7_SA_NS0_8identityIS7_EEEE10hipError_tT2_T3_mT4_P12ihipStream_tbEUlT_E_NS1_11comp_targetILNS1_3genE9ELNS1_11target_archE1100ELNS1_3gpuE3ELNS1_3repE0EEENS1_30default_config_static_selectorELNS0_4arch9wavefront6targetE1EEEvT1_.num_agpr, 0
	.set _ZN7rocprim17ROCPRIM_400000_NS6detail17trampoline_kernelINS0_14default_configENS1_25transform_config_selectorIN3c107complexIdEELb1EEEZNS1_14transform_implILb1ES3_S8_PS7_SA_NS0_8identityIS7_EEEE10hipError_tT2_T3_mT4_P12ihipStream_tbEUlT_E_NS1_11comp_targetILNS1_3genE9ELNS1_11target_archE1100ELNS1_3gpuE3ELNS1_3repE0EEENS1_30default_config_static_selectorELNS0_4arch9wavefront6targetE1EEEvT1_.numbered_sgpr, 0
	.set _ZN7rocprim17ROCPRIM_400000_NS6detail17trampoline_kernelINS0_14default_configENS1_25transform_config_selectorIN3c107complexIdEELb1EEEZNS1_14transform_implILb1ES3_S8_PS7_SA_NS0_8identityIS7_EEEE10hipError_tT2_T3_mT4_P12ihipStream_tbEUlT_E_NS1_11comp_targetILNS1_3genE9ELNS1_11target_archE1100ELNS1_3gpuE3ELNS1_3repE0EEENS1_30default_config_static_selectorELNS0_4arch9wavefront6targetE1EEEvT1_.num_named_barrier, 0
	.set _ZN7rocprim17ROCPRIM_400000_NS6detail17trampoline_kernelINS0_14default_configENS1_25transform_config_selectorIN3c107complexIdEELb1EEEZNS1_14transform_implILb1ES3_S8_PS7_SA_NS0_8identityIS7_EEEE10hipError_tT2_T3_mT4_P12ihipStream_tbEUlT_E_NS1_11comp_targetILNS1_3genE9ELNS1_11target_archE1100ELNS1_3gpuE3ELNS1_3repE0EEENS1_30default_config_static_selectorELNS0_4arch9wavefront6targetE1EEEvT1_.private_seg_size, 0
	.set _ZN7rocprim17ROCPRIM_400000_NS6detail17trampoline_kernelINS0_14default_configENS1_25transform_config_selectorIN3c107complexIdEELb1EEEZNS1_14transform_implILb1ES3_S8_PS7_SA_NS0_8identityIS7_EEEE10hipError_tT2_T3_mT4_P12ihipStream_tbEUlT_E_NS1_11comp_targetILNS1_3genE9ELNS1_11target_archE1100ELNS1_3gpuE3ELNS1_3repE0EEENS1_30default_config_static_selectorELNS0_4arch9wavefront6targetE1EEEvT1_.uses_vcc, 0
	.set _ZN7rocprim17ROCPRIM_400000_NS6detail17trampoline_kernelINS0_14default_configENS1_25transform_config_selectorIN3c107complexIdEELb1EEEZNS1_14transform_implILb1ES3_S8_PS7_SA_NS0_8identityIS7_EEEE10hipError_tT2_T3_mT4_P12ihipStream_tbEUlT_E_NS1_11comp_targetILNS1_3genE9ELNS1_11target_archE1100ELNS1_3gpuE3ELNS1_3repE0EEENS1_30default_config_static_selectorELNS0_4arch9wavefront6targetE1EEEvT1_.uses_flat_scratch, 0
	.set _ZN7rocprim17ROCPRIM_400000_NS6detail17trampoline_kernelINS0_14default_configENS1_25transform_config_selectorIN3c107complexIdEELb1EEEZNS1_14transform_implILb1ES3_S8_PS7_SA_NS0_8identityIS7_EEEE10hipError_tT2_T3_mT4_P12ihipStream_tbEUlT_E_NS1_11comp_targetILNS1_3genE9ELNS1_11target_archE1100ELNS1_3gpuE3ELNS1_3repE0EEENS1_30default_config_static_selectorELNS0_4arch9wavefront6targetE1EEEvT1_.has_dyn_sized_stack, 0
	.set _ZN7rocprim17ROCPRIM_400000_NS6detail17trampoline_kernelINS0_14default_configENS1_25transform_config_selectorIN3c107complexIdEELb1EEEZNS1_14transform_implILb1ES3_S8_PS7_SA_NS0_8identityIS7_EEEE10hipError_tT2_T3_mT4_P12ihipStream_tbEUlT_E_NS1_11comp_targetILNS1_3genE9ELNS1_11target_archE1100ELNS1_3gpuE3ELNS1_3repE0EEENS1_30default_config_static_selectorELNS0_4arch9wavefront6targetE1EEEvT1_.has_recursion, 0
	.set _ZN7rocprim17ROCPRIM_400000_NS6detail17trampoline_kernelINS0_14default_configENS1_25transform_config_selectorIN3c107complexIdEELb1EEEZNS1_14transform_implILb1ES3_S8_PS7_SA_NS0_8identityIS7_EEEE10hipError_tT2_T3_mT4_P12ihipStream_tbEUlT_E_NS1_11comp_targetILNS1_3genE9ELNS1_11target_archE1100ELNS1_3gpuE3ELNS1_3repE0EEENS1_30default_config_static_selectorELNS0_4arch9wavefront6targetE1EEEvT1_.has_indirect_call, 0
	.section	.AMDGPU.csdata,"",@progbits
; Kernel info:
; codeLenInByte = 0
; TotalNumSgprs: 6
; NumVgprs: 0
; NumAgprs: 0
; TotalNumVgprs: 0
; ScratchSize: 0
; MemoryBound: 0
; FloatMode: 240
; IeeeMode: 1
; LDSByteSize: 0 bytes/workgroup (compile time only)
; SGPRBlocks: 0
; VGPRBlocks: 0
; NumSGPRsForWavesPerEU: 6
; NumVGPRsForWavesPerEU: 1
; AccumOffset: 4
; Occupancy: 8
; WaveLimiterHint : 0
; COMPUTE_PGM_RSRC2:SCRATCH_EN: 0
; COMPUTE_PGM_RSRC2:USER_SGPR: 2
; COMPUTE_PGM_RSRC2:TRAP_HANDLER: 0
; COMPUTE_PGM_RSRC2:TGID_X_EN: 1
; COMPUTE_PGM_RSRC2:TGID_Y_EN: 0
; COMPUTE_PGM_RSRC2:TGID_Z_EN: 0
; COMPUTE_PGM_RSRC2:TIDIG_COMP_CNT: 0
; COMPUTE_PGM_RSRC3_GFX90A:ACCUM_OFFSET: 0
; COMPUTE_PGM_RSRC3_GFX90A:TG_SPLIT: 0
	.section	.text._ZN7rocprim17ROCPRIM_400000_NS6detail17trampoline_kernelINS0_14default_configENS1_25transform_config_selectorIN3c107complexIdEELb1EEEZNS1_14transform_implILb1ES3_S8_PS7_SA_NS0_8identityIS7_EEEE10hipError_tT2_T3_mT4_P12ihipStream_tbEUlT_E_NS1_11comp_targetILNS1_3genE8ELNS1_11target_archE1030ELNS1_3gpuE2ELNS1_3repE0EEENS1_30default_config_static_selectorELNS0_4arch9wavefront6targetE1EEEvT1_,"axG",@progbits,_ZN7rocprim17ROCPRIM_400000_NS6detail17trampoline_kernelINS0_14default_configENS1_25transform_config_selectorIN3c107complexIdEELb1EEEZNS1_14transform_implILb1ES3_S8_PS7_SA_NS0_8identityIS7_EEEE10hipError_tT2_T3_mT4_P12ihipStream_tbEUlT_E_NS1_11comp_targetILNS1_3genE8ELNS1_11target_archE1030ELNS1_3gpuE2ELNS1_3repE0EEENS1_30default_config_static_selectorELNS0_4arch9wavefront6targetE1EEEvT1_,comdat
	.protected	_ZN7rocprim17ROCPRIM_400000_NS6detail17trampoline_kernelINS0_14default_configENS1_25transform_config_selectorIN3c107complexIdEELb1EEEZNS1_14transform_implILb1ES3_S8_PS7_SA_NS0_8identityIS7_EEEE10hipError_tT2_T3_mT4_P12ihipStream_tbEUlT_E_NS1_11comp_targetILNS1_3genE8ELNS1_11target_archE1030ELNS1_3gpuE2ELNS1_3repE0EEENS1_30default_config_static_selectorELNS0_4arch9wavefront6targetE1EEEvT1_ ; -- Begin function _ZN7rocprim17ROCPRIM_400000_NS6detail17trampoline_kernelINS0_14default_configENS1_25transform_config_selectorIN3c107complexIdEELb1EEEZNS1_14transform_implILb1ES3_S8_PS7_SA_NS0_8identityIS7_EEEE10hipError_tT2_T3_mT4_P12ihipStream_tbEUlT_E_NS1_11comp_targetILNS1_3genE8ELNS1_11target_archE1030ELNS1_3gpuE2ELNS1_3repE0EEENS1_30default_config_static_selectorELNS0_4arch9wavefront6targetE1EEEvT1_
	.globl	_ZN7rocprim17ROCPRIM_400000_NS6detail17trampoline_kernelINS0_14default_configENS1_25transform_config_selectorIN3c107complexIdEELb1EEEZNS1_14transform_implILb1ES3_S8_PS7_SA_NS0_8identityIS7_EEEE10hipError_tT2_T3_mT4_P12ihipStream_tbEUlT_E_NS1_11comp_targetILNS1_3genE8ELNS1_11target_archE1030ELNS1_3gpuE2ELNS1_3repE0EEENS1_30default_config_static_selectorELNS0_4arch9wavefront6targetE1EEEvT1_
	.p2align	8
	.type	_ZN7rocprim17ROCPRIM_400000_NS6detail17trampoline_kernelINS0_14default_configENS1_25transform_config_selectorIN3c107complexIdEELb1EEEZNS1_14transform_implILb1ES3_S8_PS7_SA_NS0_8identityIS7_EEEE10hipError_tT2_T3_mT4_P12ihipStream_tbEUlT_E_NS1_11comp_targetILNS1_3genE8ELNS1_11target_archE1030ELNS1_3gpuE2ELNS1_3repE0EEENS1_30default_config_static_selectorELNS0_4arch9wavefront6targetE1EEEvT1_,@function
_ZN7rocprim17ROCPRIM_400000_NS6detail17trampoline_kernelINS0_14default_configENS1_25transform_config_selectorIN3c107complexIdEELb1EEEZNS1_14transform_implILb1ES3_S8_PS7_SA_NS0_8identityIS7_EEEE10hipError_tT2_T3_mT4_P12ihipStream_tbEUlT_E_NS1_11comp_targetILNS1_3genE8ELNS1_11target_archE1030ELNS1_3gpuE2ELNS1_3repE0EEENS1_30default_config_static_selectorELNS0_4arch9wavefront6targetE1EEEvT1_: ; @_ZN7rocprim17ROCPRIM_400000_NS6detail17trampoline_kernelINS0_14default_configENS1_25transform_config_selectorIN3c107complexIdEELb1EEEZNS1_14transform_implILb1ES3_S8_PS7_SA_NS0_8identityIS7_EEEE10hipError_tT2_T3_mT4_P12ihipStream_tbEUlT_E_NS1_11comp_targetILNS1_3genE8ELNS1_11target_archE1030ELNS1_3gpuE2ELNS1_3repE0EEENS1_30default_config_static_selectorELNS0_4arch9wavefront6targetE1EEEvT1_
; %bb.0:
	.section	.rodata,"a",@progbits
	.p2align	6, 0x0
	.amdhsa_kernel _ZN7rocprim17ROCPRIM_400000_NS6detail17trampoline_kernelINS0_14default_configENS1_25transform_config_selectorIN3c107complexIdEELb1EEEZNS1_14transform_implILb1ES3_S8_PS7_SA_NS0_8identityIS7_EEEE10hipError_tT2_T3_mT4_P12ihipStream_tbEUlT_E_NS1_11comp_targetILNS1_3genE8ELNS1_11target_archE1030ELNS1_3gpuE2ELNS1_3repE0EEENS1_30default_config_static_selectorELNS0_4arch9wavefront6targetE1EEEvT1_
		.amdhsa_group_segment_fixed_size 0
		.amdhsa_private_segment_fixed_size 0
		.amdhsa_kernarg_size 40
		.amdhsa_user_sgpr_count 2
		.amdhsa_user_sgpr_dispatch_ptr 0
		.amdhsa_user_sgpr_queue_ptr 0
		.amdhsa_user_sgpr_kernarg_segment_ptr 1
		.amdhsa_user_sgpr_dispatch_id 0
		.amdhsa_user_sgpr_kernarg_preload_length 0
		.amdhsa_user_sgpr_kernarg_preload_offset 0
		.amdhsa_user_sgpr_private_segment_size 0
		.amdhsa_uses_dynamic_stack 0
		.amdhsa_enable_private_segment 0
		.amdhsa_system_sgpr_workgroup_id_x 1
		.amdhsa_system_sgpr_workgroup_id_y 0
		.amdhsa_system_sgpr_workgroup_id_z 0
		.amdhsa_system_sgpr_workgroup_info 0
		.amdhsa_system_vgpr_workitem_id 0
		.amdhsa_next_free_vgpr 1
		.amdhsa_next_free_sgpr 0
		.amdhsa_accum_offset 4
		.amdhsa_reserve_vcc 0
		.amdhsa_float_round_mode_32 0
		.amdhsa_float_round_mode_16_64 0
		.amdhsa_float_denorm_mode_32 3
		.amdhsa_float_denorm_mode_16_64 3
		.amdhsa_dx10_clamp 1
		.amdhsa_ieee_mode 1
		.amdhsa_fp16_overflow 0
		.amdhsa_tg_split 0
		.amdhsa_exception_fp_ieee_invalid_op 0
		.amdhsa_exception_fp_denorm_src 0
		.amdhsa_exception_fp_ieee_div_zero 0
		.amdhsa_exception_fp_ieee_overflow 0
		.amdhsa_exception_fp_ieee_underflow 0
		.amdhsa_exception_fp_ieee_inexact 0
		.amdhsa_exception_int_div_zero 0
	.end_amdhsa_kernel
	.section	.text._ZN7rocprim17ROCPRIM_400000_NS6detail17trampoline_kernelINS0_14default_configENS1_25transform_config_selectorIN3c107complexIdEELb1EEEZNS1_14transform_implILb1ES3_S8_PS7_SA_NS0_8identityIS7_EEEE10hipError_tT2_T3_mT4_P12ihipStream_tbEUlT_E_NS1_11comp_targetILNS1_3genE8ELNS1_11target_archE1030ELNS1_3gpuE2ELNS1_3repE0EEENS1_30default_config_static_selectorELNS0_4arch9wavefront6targetE1EEEvT1_,"axG",@progbits,_ZN7rocprim17ROCPRIM_400000_NS6detail17trampoline_kernelINS0_14default_configENS1_25transform_config_selectorIN3c107complexIdEELb1EEEZNS1_14transform_implILb1ES3_S8_PS7_SA_NS0_8identityIS7_EEEE10hipError_tT2_T3_mT4_P12ihipStream_tbEUlT_E_NS1_11comp_targetILNS1_3genE8ELNS1_11target_archE1030ELNS1_3gpuE2ELNS1_3repE0EEENS1_30default_config_static_selectorELNS0_4arch9wavefront6targetE1EEEvT1_,comdat
.Lfunc_end192:
	.size	_ZN7rocprim17ROCPRIM_400000_NS6detail17trampoline_kernelINS0_14default_configENS1_25transform_config_selectorIN3c107complexIdEELb1EEEZNS1_14transform_implILb1ES3_S8_PS7_SA_NS0_8identityIS7_EEEE10hipError_tT2_T3_mT4_P12ihipStream_tbEUlT_E_NS1_11comp_targetILNS1_3genE8ELNS1_11target_archE1030ELNS1_3gpuE2ELNS1_3repE0EEENS1_30default_config_static_selectorELNS0_4arch9wavefront6targetE1EEEvT1_, .Lfunc_end192-_ZN7rocprim17ROCPRIM_400000_NS6detail17trampoline_kernelINS0_14default_configENS1_25transform_config_selectorIN3c107complexIdEELb1EEEZNS1_14transform_implILb1ES3_S8_PS7_SA_NS0_8identityIS7_EEEE10hipError_tT2_T3_mT4_P12ihipStream_tbEUlT_E_NS1_11comp_targetILNS1_3genE8ELNS1_11target_archE1030ELNS1_3gpuE2ELNS1_3repE0EEENS1_30default_config_static_selectorELNS0_4arch9wavefront6targetE1EEEvT1_
                                        ; -- End function
	.set _ZN7rocprim17ROCPRIM_400000_NS6detail17trampoline_kernelINS0_14default_configENS1_25transform_config_selectorIN3c107complexIdEELb1EEEZNS1_14transform_implILb1ES3_S8_PS7_SA_NS0_8identityIS7_EEEE10hipError_tT2_T3_mT4_P12ihipStream_tbEUlT_E_NS1_11comp_targetILNS1_3genE8ELNS1_11target_archE1030ELNS1_3gpuE2ELNS1_3repE0EEENS1_30default_config_static_selectorELNS0_4arch9wavefront6targetE1EEEvT1_.num_vgpr, 0
	.set _ZN7rocprim17ROCPRIM_400000_NS6detail17trampoline_kernelINS0_14default_configENS1_25transform_config_selectorIN3c107complexIdEELb1EEEZNS1_14transform_implILb1ES3_S8_PS7_SA_NS0_8identityIS7_EEEE10hipError_tT2_T3_mT4_P12ihipStream_tbEUlT_E_NS1_11comp_targetILNS1_3genE8ELNS1_11target_archE1030ELNS1_3gpuE2ELNS1_3repE0EEENS1_30default_config_static_selectorELNS0_4arch9wavefront6targetE1EEEvT1_.num_agpr, 0
	.set _ZN7rocprim17ROCPRIM_400000_NS6detail17trampoline_kernelINS0_14default_configENS1_25transform_config_selectorIN3c107complexIdEELb1EEEZNS1_14transform_implILb1ES3_S8_PS7_SA_NS0_8identityIS7_EEEE10hipError_tT2_T3_mT4_P12ihipStream_tbEUlT_E_NS1_11comp_targetILNS1_3genE8ELNS1_11target_archE1030ELNS1_3gpuE2ELNS1_3repE0EEENS1_30default_config_static_selectorELNS0_4arch9wavefront6targetE1EEEvT1_.numbered_sgpr, 0
	.set _ZN7rocprim17ROCPRIM_400000_NS6detail17trampoline_kernelINS0_14default_configENS1_25transform_config_selectorIN3c107complexIdEELb1EEEZNS1_14transform_implILb1ES3_S8_PS7_SA_NS0_8identityIS7_EEEE10hipError_tT2_T3_mT4_P12ihipStream_tbEUlT_E_NS1_11comp_targetILNS1_3genE8ELNS1_11target_archE1030ELNS1_3gpuE2ELNS1_3repE0EEENS1_30default_config_static_selectorELNS0_4arch9wavefront6targetE1EEEvT1_.num_named_barrier, 0
	.set _ZN7rocprim17ROCPRIM_400000_NS6detail17trampoline_kernelINS0_14default_configENS1_25transform_config_selectorIN3c107complexIdEELb1EEEZNS1_14transform_implILb1ES3_S8_PS7_SA_NS0_8identityIS7_EEEE10hipError_tT2_T3_mT4_P12ihipStream_tbEUlT_E_NS1_11comp_targetILNS1_3genE8ELNS1_11target_archE1030ELNS1_3gpuE2ELNS1_3repE0EEENS1_30default_config_static_selectorELNS0_4arch9wavefront6targetE1EEEvT1_.private_seg_size, 0
	.set _ZN7rocprim17ROCPRIM_400000_NS6detail17trampoline_kernelINS0_14default_configENS1_25transform_config_selectorIN3c107complexIdEELb1EEEZNS1_14transform_implILb1ES3_S8_PS7_SA_NS0_8identityIS7_EEEE10hipError_tT2_T3_mT4_P12ihipStream_tbEUlT_E_NS1_11comp_targetILNS1_3genE8ELNS1_11target_archE1030ELNS1_3gpuE2ELNS1_3repE0EEENS1_30default_config_static_selectorELNS0_4arch9wavefront6targetE1EEEvT1_.uses_vcc, 0
	.set _ZN7rocprim17ROCPRIM_400000_NS6detail17trampoline_kernelINS0_14default_configENS1_25transform_config_selectorIN3c107complexIdEELb1EEEZNS1_14transform_implILb1ES3_S8_PS7_SA_NS0_8identityIS7_EEEE10hipError_tT2_T3_mT4_P12ihipStream_tbEUlT_E_NS1_11comp_targetILNS1_3genE8ELNS1_11target_archE1030ELNS1_3gpuE2ELNS1_3repE0EEENS1_30default_config_static_selectorELNS0_4arch9wavefront6targetE1EEEvT1_.uses_flat_scratch, 0
	.set _ZN7rocprim17ROCPRIM_400000_NS6detail17trampoline_kernelINS0_14default_configENS1_25transform_config_selectorIN3c107complexIdEELb1EEEZNS1_14transform_implILb1ES3_S8_PS7_SA_NS0_8identityIS7_EEEE10hipError_tT2_T3_mT4_P12ihipStream_tbEUlT_E_NS1_11comp_targetILNS1_3genE8ELNS1_11target_archE1030ELNS1_3gpuE2ELNS1_3repE0EEENS1_30default_config_static_selectorELNS0_4arch9wavefront6targetE1EEEvT1_.has_dyn_sized_stack, 0
	.set _ZN7rocprim17ROCPRIM_400000_NS6detail17trampoline_kernelINS0_14default_configENS1_25transform_config_selectorIN3c107complexIdEELb1EEEZNS1_14transform_implILb1ES3_S8_PS7_SA_NS0_8identityIS7_EEEE10hipError_tT2_T3_mT4_P12ihipStream_tbEUlT_E_NS1_11comp_targetILNS1_3genE8ELNS1_11target_archE1030ELNS1_3gpuE2ELNS1_3repE0EEENS1_30default_config_static_selectorELNS0_4arch9wavefront6targetE1EEEvT1_.has_recursion, 0
	.set _ZN7rocprim17ROCPRIM_400000_NS6detail17trampoline_kernelINS0_14default_configENS1_25transform_config_selectorIN3c107complexIdEELb1EEEZNS1_14transform_implILb1ES3_S8_PS7_SA_NS0_8identityIS7_EEEE10hipError_tT2_T3_mT4_P12ihipStream_tbEUlT_E_NS1_11comp_targetILNS1_3genE8ELNS1_11target_archE1030ELNS1_3gpuE2ELNS1_3repE0EEENS1_30default_config_static_selectorELNS0_4arch9wavefront6targetE1EEEvT1_.has_indirect_call, 0
	.section	.AMDGPU.csdata,"",@progbits
; Kernel info:
; codeLenInByte = 0
; TotalNumSgprs: 6
; NumVgprs: 0
; NumAgprs: 0
; TotalNumVgprs: 0
; ScratchSize: 0
; MemoryBound: 0
; FloatMode: 240
; IeeeMode: 1
; LDSByteSize: 0 bytes/workgroup (compile time only)
; SGPRBlocks: 0
; VGPRBlocks: 0
; NumSGPRsForWavesPerEU: 6
; NumVGPRsForWavesPerEU: 1
; AccumOffset: 4
; Occupancy: 8
; WaveLimiterHint : 0
; COMPUTE_PGM_RSRC2:SCRATCH_EN: 0
; COMPUTE_PGM_RSRC2:USER_SGPR: 2
; COMPUTE_PGM_RSRC2:TRAP_HANDLER: 0
; COMPUTE_PGM_RSRC2:TGID_X_EN: 1
; COMPUTE_PGM_RSRC2:TGID_Y_EN: 0
; COMPUTE_PGM_RSRC2:TGID_Z_EN: 0
; COMPUTE_PGM_RSRC2:TIDIG_COMP_CNT: 0
; COMPUTE_PGM_RSRC3_GFX90A:ACCUM_OFFSET: 0
; COMPUTE_PGM_RSRC3_GFX90A:TG_SPLIT: 0
	.section	.text._ZN7rocprim17ROCPRIM_400000_NS6detail17trampoline_kernelINS0_14default_configENS1_20scan_config_selectorIN3c107complexIdEEEEZZNS1_9scan_implILNS1_25lookback_scan_determinismE0ELb0ELb0ES3_PKS7_PS7_S7_ZZZN2at6native31launch_logcumsumexp_cuda_kernelERKNSE_10TensorBaseESI_lENKUlvE_clEvENKUlvE1_clEvEUlS7_S7_E_S7_EEDaPvRmT3_T4_T5_mT6_P12ihipStream_tbENKUlT_T0_E_clISt17integral_constantIbLb0EESZ_EEDaSU_SV_EUlSU_E0_NS1_11comp_targetILNS1_3genE0ELNS1_11target_archE4294967295ELNS1_3gpuE0ELNS1_3repE0EEENS1_30default_config_static_selectorELNS0_4arch9wavefront6targetE1EEEvT1_,"axG",@progbits,_ZN7rocprim17ROCPRIM_400000_NS6detail17trampoline_kernelINS0_14default_configENS1_20scan_config_selectorIN3c107complexIdEEEEZZNS1_9scan_implILNS1_25lookback_scan_determinismE0ELb0ELb0ES3_PKS7_PS7_S7_ZZZN2at6native31launch_logcumsumexp_cuda_kernelERKNSE_10TensorBaseESI_lENKUlvE_clEvENKUlvE1_clEvEUlS7_S7_E_S7_EEDaPvRmT3_T4_T5_mT6_P12ihipStream_tbENKUlT_T0_E_clISt17integral_constantIbLb0EESZ_EEDaSU_SV_EUlSU_E0_NS1_11comp_targetILNS1_3genE0ELNS1_11target_archE4294967295ELNS1_3gpuE0ELNS1_3repE0EEENS1_30default_config_static_selectorELNS0_4arch9wavefront6targetE1EEEvT1_,comdat
	.globl	_ZN7rocprim17ROCPRIM_400000_NS6detail17trampoline_kernelINS0_14default_configENS1_20scan_config_selectorIN3c107complexIdEEEEZZNS1_9scan_implILNS1_25lookback_scan_determinismE0ELb0ELb0ES3_PKS7_PS7_S7_ZZZN2at6native31launch_logcumsumexp_cuda_kernelERKNSE_10TensorBaseESI_lENKUlvE_clEvENKUlvE1_clEvEUlS7_S7_E_S7_EEDaPvRmT3_T4_T5_mT6_P12ihipStream_tbENKUlT_T0_E_clISt17integral_constantIbLb0EESZ_EEDaSU_SV_EUlSU_E0_NS1_11comp_targetILNS1_3genE0ELNS1_11target_archE4294967295ELNS1_3gpuE0ELNS1_3repE0EEENS1_30default_config_static_selectorELNS0_4arch9wavefront6targetE1EEEvT1_ ; -- Begin function _ZN7rocprim17ROCPRIM_400000_NS6detail17trampoline_kernelINS0_14default_configENS1_20scan_config_selectorIN3c107complexIdEEEEZZNS1_9scan_implILNS1_25lookback_scan_determinismE0ELb0ELb0ES3_PKS7_PS7_S7_ZZZN2at6native31launch_logcumsumexp_cuda_kernelERKNSE_10TensorBaseESI_lENKUlvE_clEvENKUlvE1_clEvEUlS7_S7_E_S7_EEDaPvRmT3_T4_T5_mT6_P12ihipStream_tbENKUlT_T0_E_clISt17integral_constantIbLb0EESZ_EEDaSU_SV_EUlSU_E0_NS1_11comp_targetILNS1_3genE0ELNS1_11target_archE4294967295ELNS1_3gpuE0ELNS1_3repE0EEENS1_30default_config_static_selectorELNS0_4arch9wavefront6targetE1EEEvT1_
	.p2align	8
	.type	_ZN7rocprim17ROCPRIM_400000_NS6detail17trampoline_kernelINS0_14default_configENS1_20scan_config_selectorIN3c107complexIdEEEEZZNS1_9scan_implILNS1_25lookback_scan_determinismE0ELb0ELb0ES3_PKS7_PS7_S7_ZZZN2at6native31launch_logcumsumexp_cuda_kernelERKNSE_10TensorBaseESI_lENKUlvE_clEvENKUlvE1_clEvEUlS7_S7_E_S7_EEDaPvRmT3_T4_T5_mT6_P12ihipStream_tbENKUlT_T0_E_clISt17integral_constantIbLb0EESZ_EEDaSU_SV_EUlSU_E0_NS1_11comp_targetILNS1_3genE0ELNS1_11target_archE4294967295ELNS1_3gpuE0ELNS1_3repE0EEENS1_30default_config_static_selectorELNS0_4arch9wavefront6targetE1EEEvT1_,@function
_ZN7rocprim17ROCPRIM_400000_NS6detail17trampoline_kernelINS0_14default_configENS1_20scan_config_selectorIN3c107complexIdEEEEZZNS1_9scan_implILNS1_25lookback_scan_determinismE0ELb0ELb0ES3_PKS7_PS7_S7_ZZZN2at6native31launch_logcumsumexp_cuda_kernelERKNSE_10TensorBaseESI_lENKUlvE_clEvENKUlvE1_clEvEUlS7_S7_E_S7_EEDaPvRmT3_T4_T5_mT6_P12ihipStream_tbENKUlT_T0_E_clISt17integral_constantIbLb0EESZ_EEDaSU_SV_EUlSU_E0_NS1_11comp_targetILNS1_3genE0ELNS1_11target_archE4294967295ELNS1_3gpuE0ELNS1_3repE0EEENS1_30default_config_static_selectorELNS0_4arch9wavefront6targetE1EEEvT1_: ; @_ZN7rocprim17ROCPRIM_400000_NS6detail17trampoline_kernelINS0_14default_configENS1_20scan_config_selectorIN3c107complexIdEEEEZZNS1_9scan_implILNS1_25lookback_scan_determinismE0ELb0ELb0ES3_PKS7_PS7_S7_ZZZN2at6native31launch_logcumsumexp_cuda_kernelERKNSE_10TensorBaseESI_lENKUlvE_clEvENKUlvE1_clEvEUlS7_S7_E_S7_EEDaPvRmT3_T4_T5_mT6_P12ihipStream_tbENKUlT_T0_E_clISt17integral_constantIbLb0EESZ_EEDaSU_SV_EUlSU_E0_NS1_11comp_targetILNS1_3genE0ELNS1_11target_archE4294967295ELNS1_3gpuE0ELNS1_3repE0EEENS1_30default_config_static_selectorELNS0_4arch9wavefront6targetE1EEEvT1_
; %bb.0:
	s_mov_b64 s[56:57], s[0:1]
	s_load_dwordx4 s[0:3], s[0:1], 0x0
	v_mov_b32_e32 v56, v0
	v_lshlrev_b32_e32 v130, 4, v56
	s_mov_b32 s32, 0
	s_waitcnt lgkmcnt(0)
	s_load_dwordx4 s[4:7], s[0:1], 0x0
	v_cmp_gt_u32_e64 s[34:35], s2, v56
	s_waitcnt lgkmcnt(0)
	v_mov_b64_e32 v[4:5], s[6:7]
	v_mov_b64_e32 v[2:3], s[4:5]
	s_and_saveexec_b64 s[8:9], s[34:35]
	s_cbranch_execz .LBB193_2
; %bb.1:
	global_load_dwordx4 v[2:5], v130, s[0:1]
.LBB193_2:
	s_or_b64 exec, exec, s[8:9]
	v_or_b32_e32 v0, 0x80, v56
	v_cmp_gt_u32_e64 s[36:37], s2, v0
	v_mov_b64_e32 v[8:9], s[6:7]
	v_mov_b64_e32 v[6:7], s[4:5]
	s_and_saveexec_b64 s[8:9], s[36:37]
	s_cbranch_execz .LBB193_4
; %bb.3:
	global_load_dwordx4 v[6:9], v130, s[0:1] offset:2048
.LBB193_4:
	s_or_b64 exec, exec, s[8:9]
	v_or_b32_e32 v0, 0x100, v56
	v_cmp_gt_u32_e64 s[38:39], s2, v0
	v_mov_b64_e32 v[12:13], s[6:7]
	v_mov_b64_e32 v[10:11], s[4:5]
	s_and_saveexec_b64 s[8:9], s[38:39]
	s_cbranch_execz .LBB193_6
; %bb.5:
	v_lshlrev_b32_e32 v0, 4, v0
	global_load_dwordx4 v[10:13], v0, s[0:1]
.LBB193_6:
	s_or_b64 exec, exec, s[8:9]
	v_or_b32_e32 v0, 0x180, v56
	v_cmp_gt_u32_e64 s[42:43], s2, v0
	v_mov_b64_e32 v[16:17], s[6:7]
	v_mov_b64_e32 v[14:15], s[4:5]
	s_and_saveexec_b64 s[8:9], s[42:43]
	s_cbranch_execz .LBB193_8
; %bb.7:
	v_lshlrev_b32_e32 v0, 4, v0
	global_load_dwordx4 v[14:17], v0, s[0:1]
.LBB193_8:
	s_or_b64 exec, exec, s[8:9]
	v_or_b32_e32 v0, 0x200, v56
	v_cmp_gt_u32_e64 s[44:45], s2, v0
	v_mov_b64_e32 v[20:21], s[6:7]
	v_mov_b64_e32 v[18:19], s[4:5]
	s_and_saveexec_b64 s[8:9], s[44:45]
	s_cbranch_execz .LBB193_10
; %bb.9:
	v_lshlrev_b32_e32 v0, 4, v0
	global_load_dwordx4 v[18:21], v0, s[0:1]
.LBB193_10:
	s_or_b64 exec, exec, s[8:9]
	v_or_b32_e32 v0, 0x280, v56
	v_cmp_gt_u32_e64 s[46:47], s2, v0
	v_mov_b64_e32 v[24:25], s[6:7]
	v_mov_b64_e32 v[22:23], s[4:5]
	s_and_saveexec_b64 s[8:9], s[46:47]
	s_cbranch_execz .LBB193_12
; %bb.11:
	v_lshlrev_b32_e32 v0, 4, v0
	global_load_dwordx4 v[22:25], v0, s[0:1]
.LBB193_12:
	s_or_b64 exec, exec, s[8:9]
	v_or_b32_e32 v0, 0x300, v56
	v_cmp_gt_u32_e64 s[48:49], s2, v0
	v_mov_b64_e32 v[28:29], s[6:7]
	v_mov_b64_e32 v[26:27], s[4:5]
	s_and_saveexec_b64 s[8:9], s[48:49]
	s_cbranch_execz .LBB193_14
; %bb.13:
	v_lshlrev_b32_e32 v0, 4, v0
	global_load_dwordx4 v[26:29], v0, s[0:1]
.LBB193_14:
	s_or_b64 exec, exec, s[8:9]
	v_or_b32_e32 v0, 0x380, v56
	v_cmp_gt_u32_e64 s[50:51], s2, v0
	v_mov_b64_e32 v[32:33], s[6:7]
	v_mov_b64_e32 v[30:31], s[4:5]
	s_and_saveexec_b64 s[8:9], s[50:51]
	s_cbranch_execz .LBB193_16
; %bb.15:
	v_lshlrev_b32_e32 v0, 4, v0
	global_load_dwordx4 v[30:33], v0, s[0:1]
.LBB193_16:
	s_or_b64 exec, exec, s[8:9]
	v_or_b32_e32 v0, 0x400, v56
	v_cmp_gt_u32_e64 s[52:53], s2, v0
	v_mov_b64_e32 v[36:37], s[6:7]
	v_mov_b64_e32 v[34:35], s[4:5]
	s_and_saveexec_b64 s[8:9], s[52:53]
	s_cbranch_execz .LBB193_18
; %bb.17:
	v_lshlrev_b32_e32 v0, 4, v0
	global_load_dwordx4 v[34:37], v0, s[0:1]
.LBB193_18:
	s_or_b64 exec, exec, s[8:9]
	v_or_b32_e32 v0, 0x480, v56
	v_cmp_gt_u32_e64 s[54:55], s2, v0
	v_mov_b64_e32 v[40:41], s[6:7]
	v_mov_b64_e32 v[38:39], s[4:5]
	s_and_saveexec_b64 s[2:3], s[54:55]
	s_cbranch_execz .LBB193_20
; %bb.19:
	v_lshlrev_b32_e32 v0, 4, v0
	global_load_dwordx4 v[38:41], v0, s[0:1]
.LBB193_20:
	s_or_b64 exec, exec, s[2:3]
	s_movk_i32 s0, 0x90
	v_mad_u32_u24 v0, v56, s0, v130
	s_waitcnt vmcnt(0)
	ds_write_b128 v130, v[2:5]
	ds_write_b128 v130, v[6:9] offset:2048
	ds_write_b128 v130, v[10:13] offset:4096
	;; [unrolled: 1-line block ×9, first 2 shown]
	s_waitcnt lgkmcnt(0)
	s_barrier
	ds_read_b128 v[58:61], v0
	ds_read_b128 v[110:113], v0 offset:16
	ds_read_b128 v[106:109], v0 offset:32
	;; [unrolled: 1-line block ×9, first 2 shown]
	s_getpc_b64 s[58:59]
	s_add_u32 s58, s58, _ZZZZN2at6native31launch_logcumsumexp_cuda_kernelERKNS_10TensorBaseES3_lENKUlvE_clEvENKUlvE1_clEvENKUlN3c107complexIdEES8_E_clES8_S8_@rel32@lo+4
	s_addc_u32 s59, s59, _ZZZZN2at6native31launch_logcumsumexp_cuda_kernelERKNS_10TensorBaseES3_lENKUlvE_clEvENKUlvE1_clEvENKUlN3c107complexIdEES8_E_clES8_S8_@rel32@hi+12
	s_waitcnt lgkmcnt(9)
	v_mov_b32_e32 v0, v58
	v_mov_b32_e32 v1, v59
	;; [unrolled: 1-line block ×4, first 2 shown]
	s_waitcnt lgkmcnt(8)
	v_mov_b32_e32 v4, v110
	v_mov_b32_e32 v5, v111
	;; [unrolled: 1-line block ×4, first 2 shown]
	s_waitcnt lgkmcnt(0)
	s_barrier
	s_swappc_b64 s[30:31], s[58:59]
	v_mov_b32_e32 v4, v106
	v_mov_b32_e32 v5, v107
	v_mov_b32_e32 v6, v108
	v_mov_b32_e32 v7, v109
	v_mov_b32_e32 v66, v0
	v_mov_b32_e32 v67, v1
	v_mov_b32_e32 v68, v2
	v_mov_b32_e32 v69, v3
	s_swappc_b64 s[30:31], s[58:59]
	v_mov_b32_e32 v4, v98
	v_mov_b32_e32 v5, v99
	v_mov_b32_e32 v6, v100
	v_mov_b32_e32 v7, v101
	v_mov_b32_e32 v78, v0
	v_mov_b32_e32 v79, v1
	v_mov_b32_e32 v80, v2
	v_mov_b32_e32 v81, v3
	;; [unrolled: 9-line block ×8, first 2 shown]
	s_swappc_b64 s[30:31], s[58:59]
	v_mov_b32_e32 v40, v0
	v_mbcnt_lo_u32_b32 v0, -1, 0
	v_mbcnt_hi_u32_b32 v57, -1, v0
	v_mov_b32_e32 v41, v1
	v_mov_b32_e32 v42, v2
	;; [unrolled: 1-line block ×3, first 2 shown]
	v_and_b32_e32 v52, 15, v57
	v_mov_b32_dpp v4, v40 row_shr:1 row_mask:0xf bank_mask:0xf
	v_mov_b32_dpp v5, v41 row_shr:1 row_mask:0xf bank_mask:0xf
	;; [unrolled: 1-line block ×4, first 2 shown]
	v_cmp_ne_u32_e32 vcc, 0, v52
	v_mov_b64_e32 v[46:47], v[42:43]
	v_mov_b64_e32 v[44:45], v[40:41]
	v_mov_b32_e32 v0, v40
	s_and_saveexec_b64 s[60:61], vcc
	s_cbranch_execz .LBB193_22
; %bb.21:
	v_mov_b32_e32 v0, v4
	v_mov_b32_e32 v1, v5
	;; [unrolled: 1-line block ×8, first 2 shown]
	s_swappc_b64 s[30:31], s[58:59]
	v_mov_b32_e32 v44, v0
	v_mov_b32_e32 v45, v1
	;; [unrolled: 1-line block ×4, first 2 shown]
.LBB193_22:
	s_or_b64 exec, exec, s[60:61]
	v_mov_b32_dpp v4, v0 row_shr:2 row_mask:0xf bank_mask:0xf
	v_mov_b32_dpp v5, v1 row_shr:2 row_mask:0xf bank_mask:0xf
	v_mov_b32_dpp v6, v2 row_shr:2 row_mask:0xf bank_mask:0xf
	v_mov_b32_dpp v7, v3 row_shr:2 row_mask:0xf bank_mask:0xf
	v_cmp_lt_u32_e32 vcc, 1, v52
	s_and_saveexec_b64 s[58:59], vcc
	s_cbranch_execz .LBB193_24
; %bb.23:
	s_getpc_b64 s[0:1]
	s_add_u32 s0, s0, _ZZZZN2at6native31launch_logcumsumexp_cuda_kernelERKNS_10TensorBaseES3_lENKUlvE_clEvENKUlvE1_clEvENKUlN3c107complexIdEES8_E_clES8_S8_@rel32@lo+4
	s_addc_u32 s1, s1, _ZZZZN2at6native31launch_logcumsumexp_cuda_kernelERKNS_10TensorBaseES3_lENKUlvE_clEvENKUlvE1_clEvENKUlN3c107complexIdEES8_E_clES8_S8_@rel32@hi+12
	v_mov_b32_e32 v0, v4
	v_mov_b32_e32 v1, v5
	v_mov_b32_e32 v2, v6
	v_mov_b32_e32 v3, v7
	v_mov_b32_e32 v4, v44
	v_mov_b32_e32 v5, v45
	v_mov_b32_e32 v6, v46
	v_mov_b32_e32 v7, v47
	s_swappc_b64 s[30:31], s[0:1]
	v_mov_b64_e32 v[46:47], v[2:3]
	v_mov_b64_e32 v[44:45], v[0:1]
.LBB193_24:
	s_or_b64 exec, exec, s[58:59]
	v_mov_b32_dpp v4, v0 row_shr:4 row_mask:0xf bank_mask:0xf
	v_mov_b32_dpp v5, v1 row_shr:4 row_mask:0xf bank_mask:0xf
	v_mov_b32_dpp v6, v2 row_shr:4 row_mask:0xf bank_mask:0xf
	v_mov_b32_dpp v7, v3 row_shr:4 row_mask:0xf bank_mask:0xf
	v_cmp_lt_u32_e32 vcc, 3, v52
	s_and_saveexec_b64 s[58:59], vcc
	s_cbranch_execz .LBB193_26
; %bb.25:
	s_getpc_b64 s[0:1]
	s_add_u32 s0, s0, _ZZZZN2at6native31launch_logcumsumexp_cuda_kernelERKNS_10TensorBaseES3_lENKUlvE_clEvENKUlvE1_clEvENKUlN3c107complexIdEES8_E_clES8_S8_@rel32@lo+4
	s_addc_u32 s1, s1, _ZZZZN2at6native31launch_logcumsumexp_cuda_kernelERKNS_10TensorBaseES3_lENKUlvE_clEvENKUlvE1_clEvENKUlN3c107complexIdEES8_E_clES8_S8_@rel32@hi+12
	v_mov_b32_e32 v0, v4
	v_mov_b32_e32 v1, v5
	v_mov_b32_e32 v2, v6
	v_mov_b32_e32 v3, v7
	v_mov_b32_e32 v4, v44
	v_mov_b32_e32 v5, v45
	v_mov_b32_e32 v6, v46
	v_mov_b32_e32 v7, v47
	s_swappc_b64 s[30:31], s[0:1]
	v_mov_b64_e32 v[46:47], v[2:3]
	v_mov_b64_e32 v[44:45], v[0:1]
.LBB193_26:
	;; [unrolled: 24-line block ×3, first 2 shown]
	s_or_b64 exec, exec, s[58:59]
	v_and_b32_e32 v8, 16, v57
	v_mov_b32_dpp v4, v0 row_bcast:15 row_mask:0xf bank_mask:0xf
	v_mov_b32_dpp v5, v1 row_bcast:15 row_mask:0xf bank_mask:0xf
	;; [unrolled: 1-line block ×4, first 2 shown]
	v_cmp_ne_u32_e32 vcc, 0, v8
	s_and_saveexec_b64 s[58:59], vcc
	s_cbranch_execz .LBB193_30
; %bb.29:
	s_getpc_b64 s[0:1]
	s_add_u32 s0, s0, _ZZZZN2at6native31launch_logcumsumexp_cuda_kernelERKNS_10TensorBaseES3_lENKUlvE_clEvENKUlvE1_clEvENKUlN3c107complexIdEES8_E_clES8_S8_@rel32@lo+4
	s_addc_u32 s1, s1, _ZZZZN2at6native31launch_logcumsumexp_cuda_kernelERKNS_10TensorBaseES3_lENKUlvE_clEvENKUlvE1_clEvENKUlN3c107complexIdEES8_E_clES8_S8_@rel32@hi+12
	v_mov_b32_e32 v0, v4
	v_mov_b32_e32 v1, v5
	;; [unrolled: 1-line block ×8, first 2 shown]
	s_swappc_b64 s[30:31], s[0:1]
	v_mov_b32_e32 v44, v0
	v_mov_b32_e32 v45, v1
	;; [unrolled: 1-line block ×4, first 2 shown]
.LBB193_30:
	s_or_b64 exec, exec, s[58:59]
	v_mov_b32_dpp v0, v0 row_bcast:31 row_mask:0xf bank_mask:0xf
	v_mov_b32_dpp v1, v1 row_bcast:31 row_mask:0xf bank_mask:0xf
	;; [unrolled: 1-line block ×4, first 2 shown]
	v_cmp_lt_u32_e32 vcc, 31, v57
	s_and_saveexec_b64 s[58:59], vcc
	s_cbranch_execz .LBB193_32
; %bb.31:
	s_getpc_b64 s[0:1]
	s_add_u32 s0, s0, _ZZZZN2at6native31launch_logcumsumexp_cuda_kernelERKNS_10TensorBaseES3_lENKUlvE_clEvENKUlvE1_clEvENKUlN3c107complexIdEES8_E_clES8_S8_@rel32@lo+4
	s_addc_u32 s1, s1, _ZZZZN2at6native31launch_logcumsumexp_cuda_kernelERKNS_10TensorBaseES3_lENKUlvE_clEvENKUlvE1_clEvENKUlN3c107complexIdEES8_E_clES8_S8_@rel32@hi+12
	v_mov_b32_e32 v4, v44
	v_mov_b32_e32 v5, v45
	;; [unrolled: 1-line block ×4, first 2 shown]
	s_swappc_b64 s[30:31], s[0:1]
	v_mov_b32_e32 v44, v0
	v_mov_b32_e32 v45, v1
	;; [unrolled: 1-line block ×4, first 2 shown]
.LBB193_32:
	s_or_b64 exec, exec, s[58:59]
	v_or_b32_e32 v0, 63, v56
	v_lshrrev_b32_e32 v132, 6, v56
	v_cmp_eq_u32_e32 vcc, v56, v0
	s_and_saveexec_b64 s[0:1], vcc
; %bb.33:
	v_lshlrev_b32_e32 v0, 4, v132
	ds_write_b128 v0, v[44:47]
; %bb.34:
	s_or_b64 exec, exec, s[0:1]
	v_cmp_gt_u32_e32 vcc, 2, v56
	s_waitcnt lgkmcnt(0)
	s_barrier
	s_and_saveexec_b64 s[58:59], vcc
	s_cbranch_execz .LBB193_38
; %bb.35:
	ds_read_b128 v[4:7], v130
	v_and_b32_e32 v8, 1, v57
	v_cmp_eq_u32_e32 vcc, 1, v8
	s_waitcnt lgkmcnt(0)
	v_mov_b32_dpp v0, v4 row_shr:1 row_mask:0xf bank_mask:0xf
	v_mov_b32_dpp v1, v5 row_shr:1 row_mask:0xf bank_mask:0xf
	;; [unrolled: 1-line block ×4, first 2 shown]
	s_and_saveexec_b64 s[60:61], vcc
	s_cbranch_execz .LBB193_37
; %bb.36:
	s_getpc_b64 s[0:1]
	s_add_u32 s0, s0, _ZZZZN2at6native31launch_logcumsumexp_cuda_kernelERKNS_10TensorBaseES3_lENKUlvE_clEvENKUlvE1_clEvENKUlN3c107complexIdEES8_E_clES8_S8_@rel32@lo+4
	s_addc_u32 s1, s1, _ZZZZN2at6native31launch_logcumsumexp_cuda_kernelERKNS_10TensorBaseES3_lENKUlvE_clEvENKUlvE1_clEvENKUlN3c107complexIdEES8_E_clES8_S8_@rel32@hi+12
	s_swappc_b64 s[30:31], s[0:1]
	v_mov_b32_e32 v4, v0
	v_mov_b32_e32 v5, v1
	;; [unrolled: 1-line block ×4, first 2 shown]
.LBB193_37:
	s_or_b64 exec, exec, s[60:61]
	ds_write_b128 v130, v[4:7]
.LBB193_38:
	s_or_b64 exec, exec, s[58:59]
	s_load_dwordx2 s[56:57], s[56:57], 0x28
	v_mul_u32_u24_e32 v131, 0x90, v56
	v_cmp_lt_u32_e32 vcc, 63, v56
	v_mov_b64_e32 v[54:55], 0
	v_mov_b64_e32 v[52:53], 0
	s_waitcnt lgkmcnt(0)
	s_barrier
	s_and_saveexec_b64 s[58:59], vcc
	s_cbranch_execz .LBB193_40
; %bb.39:
	v_lshl_add_u32 v0, v132, 4, -16
	ds_read_b128 v[52:55], v0
	s_getpc_b64 s[0:1]
	s_add_u32 s0, s0, _ZZZZN2at6native31launch_logcumsumexp_cuda_kernelERKNS_10TensorBaseES3_lENKUlvE_clEvENKUlvE1_clEvENKUlN3c107complexIdEES8_E_clES8_S8_@rel32@lo+4
	s_addc_u32 s1, s1, _ZZZZN2at6native31launch_logcumsumexp_cuda_kernelERKNS_10TensorBaseES3_lENKUlvE_clEvENKUlvE1_clEvENKUlN3c107complexIdEES8_E_clES8_S8_@rel32@hi+12
	v_mov_b32_e32 v4, v44
	v_mov_b32_e32 v5, v45
	;; [unrolled: 1-line block ×3, first 2 shown]
	s_waitcnt lgkmcnt(0)
	v_mov_b32_e32 v0, v52
	v_mov_b32_e32 v1, v53
	;; [unrolled: 1-line block ×5, first 2 shown]
	s_swappc_b64 s[30:31], s[0:1]
	v_mov_b32_e32 v44, v0
	v_mov_b32_e32 v45, v1
	;; [unrolled: 1-line block ×4, first 2 shown]
.LBB193_40:
	s_or_b64 exec, exec, s[58:59]
	v_add_u32_e32 v0, -1, v57
	v_and_b32_e32 v1, 64, v57
	v_cmp_lt_i32_e32 vcc, v0, v1
	s_nop 1
	v_cndmask_b32_e32 v0, v0, v57, vcc
	v_lshlrev_b32_e32 v3, 2, v0
	ds_bpermute_b32 v0, v3, v44
	ds_bpermute_b32 v1, v3, v45
	;; [unrolled: 1-line block ×4, first 2 shown]
	v_cmp_ne_u32_e32 vcc, 0, v56
	s_and_saveexec_b64 s[58:59], vcc
	s_cbranch_execz .LBB193_42
; %bb.41:
	v_cmp_eq_u32_e32 vcc, 0, v57
	s_getpc_b64 s[60:61]
	s_add_u32 s60, s60, _ZZZZN2at6native31launch_logcumsumexp_cuda_kernelERKNS_10TensorBaseES3_lENKUlvE_clEvENKUlvE1_clEvENKUlN3c107complexIdEES8_E_clES8_S8_@rel32@lo+4
	s_addc_u32 s61, s61, _ZZZZN2at6native31launch_logcumsumexp_cuda_kernelERKNS_10TensorBaseES3_lENKUlvE_clEvENKUlvE1_clEvENKUlN3c107complexIdEES8_E_clES8_S8_@rel32@hi+12
	s_waitcnt lgkmcnt(3)
	v_cndmask_b32_e32 v0, v0, v52, vcc
	s_waitcnt lgkmcnt(2)
	v_cndmask_b32_e32 v1, v1, v53, vcc
	;; [unrolled: 2-line block ×4, first 2 shown]
	v_mov_b32_e32 v4, v58
	v_mov_b32_e32 v5, v59
	;; [unrolled: 1-line block ×4, first 2 shown]
	s_swappc_b64 s[30:31], s[60:61]
	v_mov_b32_e32 v4, v110
	v_mov_b32_e32 v5, v111
	;; [unrolled: 1-line block ×8, first 2 shown]
	;;#ASMSTART
	;;#ASMEND
	s_swappc_b64 s[30:31], s[60:61]
	v_mov_b32_e32 v4, v106
	v_mov_b32_e32 v5, v107
	v_mov_b32_e32 v6, v108
	v_mov_b32_e32 v7, v109
	v_mov_b32_e32 v66, v0
	v_mov_b32_e32 v67, v1
	v_mov_b32_e32 v68, v2
	v_mov_b32_e32 v69, v3
	s_swappc_b64 s[30:31], s[60:61]
	v_mov_b32_e32 v4, v98
	v_mov_b32_e32 v5, v99
	v_mov_b32_e32 v6, v100
	v_mov_b32_e32 v7, v101
	v_mov_b32_e32 v78, v0
	v_mov_b32_e32 v79, v1
	v_mov_b32_e32 v80, v2
	v_mov_b32_e32 v81, v3
	;; [unrolled: 9-line block ×8, first 2 shown]
	s_swappc_b64 s[30:31], s[60:61]
	v_mov_b32_e32 v40, v0
	v_mov_b32_e32 v41, v1
	;; [unrolled: 1-line block ×4, first 2 shown]
.LBB193_42:
	s_or_b64 exec, exec, s[58:59]
	s_waitcnt lgkmcnt(3)
	v_add_u32_e32 v0, v130, v131
	s_waitcnt lgkmcnt(0)
	s_barrier
	ds_write_b128 v0, v[58:61]
	ds_write_b128 v0, v[66:69] offset:16
	ds_write_b128 v0, v[78:81] offset:32
	ds_write_b128 v0, v[90:93] offset:48
	ds_write_b128 v0, v[102:105] offset:64
	ds_write_b128 v0, v[114:117] offset:80
	ds_write_b128 v0, v[118:121] offset:96
	ds_write_b128 v0, v[122:125] offset:112
	ds_write_b128 v0, v[126:129] offset:128
	ds_write_b128 v0, v[40:43] offset:144
	s_waitcnt lgkmcnt(0)
	s_barrier
	ds_read_b128 v[32:35], v130 offset:2048
	ds_read_b128 v[28:31], v130 offset:4096
	ds_read_b128 v[24:27], v130 offset:6144
	ds_read_b128 v[20:23], v130 offset:8192
	ds_read_b128 v[16:19], v130 offset:10240
	ds_read_b128 v[12:15], v130 offset:12288
	ds_read_b128 v[8:11], v130 offset:14336
	ds_read_b128 v[4:7], v130 offset:16384
	ds_read_b128 v[0:3], v130 offset:18432
	v_mov_b32_e32 v131, 0
	v_lshl_add_u64 v[36:37], s[56:57], 0, v[130:131]
	s_and_saveexec_b64 s[0:1], s[34:35]
	s_cbranch_execnz .LBB193_53
; %bb.43:
	s_or_b64 exec, exec, s[0:1]
	s_and_saveexec_b64 s[0:1], s[36:37]
	s_cbranch_execnz .LBB193_54
.LBB193_44:
	s_or_b64 exec, exec, s[0:1]
	s_and_saveexec_b64 s[0:1], s[38:39]
	s_cbranch_execnz .LBB193_55
.LBB193_45:
	s_or_b64 exec, exec, s[0:1]
	s_and_saveexec_b64 s[0:1], s[42:43]
	s_cbranch_execnz .LBB193_56
.LBB193_46:
	s_or_b64 exec, exec, s[0:1]
	s_and_saveexec_b64 s[0:1], s[44:45]
	s_cbranch_execnz .LBB193_57
.LBB193_47:
	s_or_b64 exec, exec, s[0:1]
	s_and_saveexec_b64 s[0:1], s[46:47]
	s_cbranch_execnz .LBB193_58
.LBB193_48:
	s_or_b64 exec, exec, s[0:1]
	s_and_saveexec_b64 s[0:1], s[48:49]
	s_cbranch_execnz .LBB193_59
.LBB193_49:
	s_or_b64 exec, exec, s[0:1]
	s_and_saveexec_b64 s[0:1], s[50:51]
	s_cbranch_execnz .LBB193_60
.LBB193_50:
	s_or_b64 exec, exec, s[0:1]
	s_and_saveexec_b64 s[0:1], s[52:53]
	s_cbranch_execnz .LBB193_61
.LBB193_51:
	s_or_b64 exec, exec, s[0:1]
	s_and_saveexec_b64 s[0:1], s[54:55]
	s_cbranch_execnz .LBB193_62
.LBB193_52:
	s_endpgm
.LBB193_53:
	ds_read_b128 v[38:41], v130
	s_waitcnt lgkmcnt(0)
	global_store_dwordx4 v[36:37], v[38:41], off
	s_or_b64 exec, exec, s[0:1]
	s_and_saveexec_b64 s[0:1], s[36:37]
	s_cbranch_execz .LBB193_44
.LBB193_54:
	s_waitcnt lgkmcnt(8)
	global_store_dwordx4 v[36:37], v[32:35], off offset:2048
	s_or_b64 exec, exec, s[0:1]
	s_and_saveexec_b64 s[0:1], s[38:39]
	s_cbranch_execz .LBB193_45
.LBB193_55:
	s_waitcnt lgkmcnt(8)
	v_add_co_u32_e32 v32, vcc, 0x1000, v36
	s_nop 1
	v_addc_co_u32_e32 v33, vcc, 0, v37, vcc
	s_waitcnt lgkmcnt(7)
	global_store_dwordx4 v[32:33], v[28:31], off
	s_or_b64 exec, exec, s[0:1]
	s_and_saveexec_b64 s[0:1], s[42:43]
	s_cbranch_execz .LBB193_46
.LBB193_56:
	s_waitcnt lgkmcnt(7)
	v_add_co_u32_e32 v28, vcc, 0x1000, v36
	s_nop 1
	v_addc_co_u32_e32 v29, vcc, 0, v37, vcc
	s_waitcnt lgkmcnt(6)
	global_store_dwordx4 v[28:29], v[24:27], off offset:2048
	s_or_b64 exec, exec, s[0:1]
	s_and_saveexec_b64 s[0:1], s[44:45]
	s_cbranch_execz .LBB193_47
.LBB193_57:
	s_waitcnt lgkmcnt(6)
	v_add_co_u32_e32 v24, vcc, 0x2000, v36
	s_nop 1
	v_addc_co_u32_e32 v25, vcc, 0, v37, vcc
	s_waitcnt lgkmcnt(5)
	global_store_dwordx4 v[24:25], v[20:23], off
	s_or_b64 exec, exec, s[0:1]
	s_and_saveexec_b64 s[0:1], s[46:47]
	s_cbranch_execz .LBB193_48
.LBB193_58:
	s_waitcnt lgkmcnt(5)
	v_add_co_u32_e32 v20, vcc, 0x2000, v36
	s_nop 1
	v_addc_co_u32_e32 v21, vcc, 0, v37, vcc
	s_waitcnt lgkmcnt(4)
	global_store_dwordx4 v[20:21], v[16:19], off offset:2048
	s_or_b64 exec, exec, s[0:1]
	s_and_saveexec_b64 s[0:1], s[48:49]
	s_cbranch_execz .LBB193_49
.LBB193_59:
	s_waitcnt lgkmcnt(4)
	v_add_co_u32_e32 v16, vcc, 0x3000, v36
	s_nop 1
	v_addc_co_u32_e32 v17, vcc, 0, v37, vcc
	s_waitcnt lgkmcnt(3)
	global_store_dwordx4 v[16:17], v[12:15], off
	s_or_b64 exec, exec, s[0:1]
	s_and_saveexec_b64 s[0:1], s[50:51]
	s_cbranch_execz .LBB193_50
.LBB193_60:
	s_waitcnt lgkmcnt(3)
	v_add_co_u32_e32 v12, vcc, 0x3000, v36
	s_nop 1
	v_addc_co_u32_e32 v13, vcc, 0, v37, vcc
	s_waitcnt lgkmcnt(2)
	global_store_dwordx4 v[12:13], v[8:11], off offset:2048
	s_or_b64 exec, exec, s[0:1]
	s_and_saveexec_b64 s[0:1], s[52:53]
	s_cbranch_execz .LBB193_51
.LBB193_61:
	s_waitcnt lgkmcnt(2)
	v_add_co_u32_e32 v8, vcc, 0x4000, v36
	s_nop 1
	v_addc_co_u32_e32 v9, vcc, 0, v37, vcc
	s_waitcnt lgkmcnt(1)
	global_store_dwordx4 v[8:9], v[4:7], off
	s_or_b64 exec, exec, s[0:1]
	s_and_saveexec_b64 s[0:1], s[54:55]
	s_cbranch_execz .LBB193_52
.LBB193_62:
	s_waitcnt lgkmcnt(1)
	v_add_co_u32_e32 v4, vcc, 0x4000, v36
	s_nop 1
	v_addc_co_u32_e32 v5, vcc, 0, v37, vcc
	s_waitcnt lgkmcnt(0)
	global_store_dwordx4 v[4:5], v[0:3], off offset:2048
	s_endpgm
	.section	.rodata,"a",@progbits
	.p2align	6, 0x0
	.amdhsa_kernel _ZN7rocprim17ROCPRIM_400000_NS6detail17trampoline_kernelINS0_14default_configENS1_20scan_config_selectorIN3c107complexIdEEEEZZNS1_9scan_implILNS1_25lookback_scan_determinismE0ELb0ELb0ES3_PKS7_PS7_S7_ZZZN2at6native31launch_logcumsumexp_cuda_kernelERKNSE_10TensorBaseESI_lENKUlvE_clEvENKUlvE1_clEvEUlS7_S7_E_S7_EEDaPvRmT3_T4_T5_mT6_P12ihipStream_tbENKUlT_T0_E_clISt17integral_constantIbLb0EESZ_EEDaSU_SV_EUlSU_E0_NS1_11comp_targetILNS1_3genE0ELNS1_11target_archE4294967295ELNS1_3gpuE0ELNS1_3repE0EEENS1_30default_config_static_selectorELNS0_4arch9wavefront6targetE1EEEvT1_
		.amdhsa_group_segment_fixed_size 20480
		.amdhsa_private_segment_fixed_size 0
		.amdhsa_kernarg_size 48
		.amdhsa_user_sgpr_count 2
		.amdhsa_user_sgpr_dispatch_ptr 0
		.amdhsa_user_sgpr_queue_ptr 0
		.amdhsa_user_sgpr_kernarg_segment_ptr 1
		.amdhsa_user_sgpr_dispatch_id 0
		.amdhsa_user_sgpr_kernarg_preload_length 0
		.amdhsa_user_sgpr_kernarg_preload_offset 0
		.amdhsa_user_sgpr_private_segment_size 0
		.amdhsa_uses_dynamic_stack 0
		.amdhsa_enable_private_segment 0
		.amdhsa_system_sgpr_workgroup_id_x 1
		.amdhsa_system_sgpr_workgroup_id_y 0
		.amdhsa_system_sgpr_workgroup_id_z 0
		.amdhsa_system_sgpr_workgroup_info 0
		.amdhsa_system_vgpr_workitem_id 0
		.amdhsa_next_free_vgpr 133
		.amdhsa_next_free_sgpr 96
		.amdhsa_accum_offset 136
		.amdhsa_reserve_vcc 1
		.amdhsa_float_round_mode_32 0
		.amdhsa_float_round_mode_16_64 0
		.amdhsa_float_denorm_mode_32 3
		.amdhsa_float_denorm_mode_16_64 3
		.amdhsa_dx10_clamp 1
		.amdhsa_ieee_mode 1
		.amdhsa_fp16_overflow 0
		.amdhsa_tg_split 0
		.amdhsa_exception_fp_ieee_invalid_op 0
		.amdhsa_exception_fp_denorm_src 0
		.amdhsa_exception_fp_ieee_div_zero 0
		.amdhsa_exception_fp_ieee_overflow 0
		.amdhsa_exception_fp_ieee_underflow 0
		.amdhsa_exception_fp_ieee_inexact 0
		.amdhsa_exception_int_div_zero 0
	.end_amdhsa_kernel
	.section	.text._ZN7rocprim17ROCPRIM_400000_NS6detail17trampoline_kernelINS0_14default_configENS1_20scan_config_selectorIN3c107complexIdEEEEZZNS1_9scan_implILNS1_25lookback_scan_determinismE0ELb0ELb0ES3_PKS7_PS7_S7_ZZZN2at6native31launch_logcumsumexp_cuda_kernelERKNSE_10TensorBaseESI_lENKUlvE_clEvENKUlvE1_clEvEUlS7_S7_E_S7_EEDaPvRmT3_T4_T5_mT6_P12ihipStream_tbENKUlT_T0_E_clISt17integral_constantIbLb0EESZ_EEDaSU_SV_EUlSU_E0_NS1_11comp_targetILNS1_3genE0ELNS1_11target_archE4294967295ELNS1_3gpuE0ELNS1_3repE0EEENS1_30default_config_static_selectorELNS0_4arch9wavefront6targetE1EEEvT1_,"axG",@progbits,_ZN7rocprim17ROCPRIM_400000_NS6detail17trampoline_kernelINS0_14default_configENS1_20scan_config_selectorIN3c107complexIdEEEEZZNS1_9scan_implILNS1_25lookback_scan_determinismE0ELb0ELb0ES3_PKS7_PS7_S7_ZZZN2at6native31launch_logcumsumexp_cuda_kernelERKNSE_10TensorBaseESI_lENKUlvE_clEvENKUlvE1_clEvEUlS7_S7_E_S7_EEDaPvRmT3_T4_T5_mT6_P12ihipStream_tbENKUlT_T0_E_clISt17integral_constantIbLb0EESZ_EEDaSU_SV_EUlSU_E0_NS1_11comp_targetILNS1_3genE0ELNS1_11target_archE4294967295ELNS1_3gpuE0ELNS1_3repE0EEENS1_30default_config_static_selectorELNS0_4arch9wavefront6targetE1EEEvT1_,comdat
.Lfunc_end193:
	.size	_ZN7rocprim17ROCPRIM_400000_NS6detail17trampoline_kernelINS0_14default_configENS1_20scan_config_selectorIN3c107complexIdEEEEZZNS1_9scan_implILNS1_25lookback_scan_determinismE0ELb0ELb0ES3_PKS7_PS7_S7_ZZZN2at6native31launch_logcumsumexp_cuda_kernelERKNSE_10TensorBaseESI_lENKUlvE_clEvENKUlvE1_clEvEUlS7_S7_E_S7_EEDaPvRmT3_T4_T5_mT6_P12ihipStream_tbENKUlT_T0_E_clISt17integral_constantIbLb0EESZ_EEDaSU_SV_EUlSU_E0_NS1_11comp_targetILNS1_3genE0ELNS1_11target_archE4294967295ELNS1_3gpuE0ELNS1_3repE0EEENS1_30default_config_static_selectorELNS0_4arch9wavefront6targetE1EEEvT1_, .Lfunc_end193-_ZN7rocprim17ROCPRIM_400000_NS6detail17trampoline_kernelINS0_14default_configENS1_20scan_config_selectorIN3c107complexIdEEEEZZNS1_9scan_implILNS1_25lookback_scan_determinismE0ELb0ELb0ES3_PKS7_PS7_S7_ZZZN2at6native31launch_logcumsumexp_cuda_kernelERKNSE_10TensorBaseESI_lENKUlvE_clEvENKUlvE1_clEvEUlS7_S7_E_S7_EEDaPvRmT3_T4_T5_mT6_P12ihipStream_tbENKUlT_T0_E_clISt17integral_constantIbLb0EESZ_EEDaSU_SV_EUlSU_E0_NS1_11comp_targetILNS1_3genE0ELNS1_11target_archE4294967295ELNS1_3gpuE0ELNS1_3repE0EEENS1_30default_config_static_selectorELNS0_4arch9wavefront6targetE1EEEvT1_
                                        ; -- End function
	.set _ZN7rocprim17ROCPRIM_400000_NS6detail17trampoline_kernelINS0_14default_configENS1_20scan_config_selectorIN3c107complexIdEEEEZZNS1_9scan_implILNS1_25lookback_scan_determinismE0ELb0ELb0ES3_PKS7_PS7_S7_ZZZN2at6native31launch_logcumsumexp_cuda_kernelERKNSE_10TensorBaseESI_lENKUlvE_clEvENKUlvE1_clEvEUlS7_S7_E_S7_EEDaPvRmT3_T4_T5_mT6_P12ihipStream_tbENKUlT_T0_E_clISt17integral_constantIbLb0EESZ_EEDaSU_SV_EUlSU_E0_NS1_11comp_targetILNS1_3genE0ELNS1_11target_archE4294967295ELNS1_3gpuE0ELNS1_3repE0EEENS1_30default_config_static_selectorELNS0_4arch9wavefront6targetE1EEEvT1_.num_vgpr, max(133, .L_ZZZZN2at6native31launch_logcumsumexp_cuda_kernelERKNS_10TensorBaseES3_lENKUlvE_clEvENKUlvE1_clEvENKUlN3c107complexIdEES8_E_clES8_S8_.num_vgpr)
	.set _ZN7rocprim17ROCPRIM_400000_NS6detail17trampoline_kernelINS0_14default_configENS1_20scan_config_selectorIN3c107complexIdEEEEZZNS1_9scan_implILNS1_25lookback_scan_determinismE0ELb0ELb0ES3_PKS7_PS7_S7_ZZZN2at6native31launch_logcumsumexp_cuda_kernelERKNSE_10TensorBaseESI_lENKUlvE_clEvENKUlvE1_clEvEUlS7_S7_E_S7_EEDaPvRmT3_T4_T5_mT6_P12ihipStream_tbENKUlT_T0_E_clISt17integral_constantIbLb0EESZ_EEDaSU_SV_EUlSU_E0_NS1_11comp_targetILNS1_3genE0ELNS1_11target_archE4294967295ELNS1_3gpuE0ELNS1_3repE0EEENS1_30default_config_static_selectorELNS0_4arch9wavefront6targetE1EEEvT1_.num_agpr, max(0, .L_ZZZZN2at6native31launch_logcumsumexp_cuda_kernelERKNS_10TensorBaseES3_lENKUlvE_clEvENKUlvE1_clEvENKUlN3c107complexIdEES8_E_clES8_S8_.num_agpr)
	.set _ZN7rocprim17ROCPRIM_400000_NS6detail17trampoline_kernelINS0_14default_configENS1_20scan_config_selectorIN3c107complexIdEEEEZZNS1_9scan_implILNS1_25lookback_scan_determinismE0ELb0ELb0ES3_PKS7_PS7_S7_ZZZN2at6native31launch_logcumsumexp_cuda_kernelERKNSE_10TensorBaseESI_lENKUlvE_clEvENKUlvE1_clEvEUlS7_S7_E_S7_EEDaPvRmT3_T4_T5_mT6_P12ihipStream_tbENKUlT_T0_E_clISt17integral_constantIbLb0EESZ_EEDaSU_SV_EUlSU_E0_NS1_11comp_targetILNS1_3genE0ELNS1_11target_archE4294967295ELNS1_3gpuE0ELNS1_3repE0EEENS1_30default_config_static_selectorELNS0_4arch9wavefront6targetE1EEEvT1_.numbered_sgpr, max(62, .L_ZZZZN2at6native31launch_logcumsumexp_cuda_kernelERKNS_10TensorBaseES3_lENKUlvE_clEvENKUlvE1_clEvENKUlN3c107complexIdEES8_E_clES8_S8_.numbered_sgpr)
	.set _ZN7rocprim17ROCPRIM_400000_NS6detail17trampoline_kernelINS0_14default_configENS1_20scan_config_selectorIN3c107complexIdEEEEZZNS1_9scan_implILNS1_25lookback_scan_determinismE0ELb0ELb0ES3_PKS7_PS7_S7_ZZZN2at6native31launch_logcumsumexp_cuda_kernelERKNSE_10TensorBaseESI_lENKUlvE_clEvENKUlvE1_clEvEUlS7_S7_E_S7_EEDaPvRmT3_T4_T5_mT6_P12ihipStream_tbENKUlT_T0_E_clISt17integral_constantIbLb0EESZ_EEDaSU_SV_EUlSU_E0_NS1_11comp_targetILNS1_3genE0ELNS1_11target_archE4294967295ELNS1_3gpuE0ELNS1_3repE0EEENS1_30default_config_static_selectorELNS0_4arch9wavefront6targetE1EEEvT1_.num_named_barrier, max(0, .L_ZZZZN2at6native31launch_logcumsumexp_cuda_kernelERKNS_10TensorBaseES3_lENKUlvE_clEvENKUlvE1_clEvENKUlN3c107complexIdEES8_E_clES8_S8_.num_named_barrier)
	.set _ZN7rocprim17ROCPRIM_400000_NS6detail17trampoline_kernelINS0_14default_configENS1_20scan_config_selectorIN3c107complexIdEEEEZZNS1_9scan_implILNS1_25lookback_scan_determinismE0ELb0ELb0ES3_PKS7_PS7_S7_ZZZN2at6native31launch_logcumsumexp_cuda_kernelERKNSE_10TensorBaseESI_lENKUlvE_clEvENKUlvE1_clEvEUlS7_S7_E_S7_EEDaPvRmT3_T4_T5_mT6_P12ihipStream_tbENKUlT_T0_E_clISt17integral_constantIbLb0EESZ_EEDaSU_SV_EUlSU_E0_NS1_11comp_targetILNS1_3genE0ELNS1_11target_archE4294967295ELNS1_3gpuE0ELNS1_3repE0EEENS1_30default_config_static_selectorELNS0_4arch9wavefront6targetE1EEEvT1_.private_seg_size, 0+max(.L_ZZZZN2at6native31launch_logcumsumexp_cuda_kernelERKNS_10TensorBaseES3_lENKUlvE_clEvENKUlvE1_clEvENKUlN3c107complexIdEES8_E_clES8_S8_.private_seg_size)
	.set _ZN7rocprim17ROCPRIM_400000_NS6detail17trampoline_kernelINS0_14default_configENS1_20scan_config_selectorIN3c107complexIdEEEEZZNS1_9scan_implILNS1_25lookback_scan_determinismE0ELb0ELb0ES3_PKS7_PS7_S7_ZZZN2at6native31launch_logcumsumexp_cuda_kernelERKNSE_10TensorBaseESI_lENKUlvE_clEvENKUlvE1_clEvEUlS7_S7_E_S7_EEDaPvRmT3_T4_T5_mT6_P12ihipStream_tbENKUlT_T0_E_clISt17integral_constantIbLb0EESZ_EEDaSU_SV_EUlSU_E0_NS1_11comp_targetILNS1_3genE0ELNS1_11target_archE4294967295ELNS1_3gpuE0ELNS1_3repE0EEENS1_30default_config_static_selectorELNS0_4arch9wavefront6targetE1EEEvT1_.uses_vcc, or(1, .L_ZZZZN2at6native31launch_logcumsumexp_cuda_kernelERKNS_10TensorBaseES3_lENKUlvE_clEvENKUlvE1_clEvENKUlN3c107complexIdEES8_E_clES8_S8_.uses_vcc)
	.set _ZN7rocprim17ROCPRIM_400000_NS6detail17trampoline_kernelINS0_14default_configENS1_20scan_config_selectorIN3c107complexIdEEEEZZNS1_9scan_implILNS1_25lookback_scan_determinismE0ELb0ELb0ES3_PKS7_PS7_S7_ZZZN2at6native31launch_logcumsumexp_cuda_kernelERKNSE_10TensorBaseESI_lENKUlvE_clEvENKUlvE1_clEvEUlS7_S7_E_S7_EEDaPvRmT3_T4_T5_mT6_P12ihipStream_tbENKUlT_T0_E_clISt17integral_constantIbLb0EESZ_EEDaSU_SV_EUlSU_E0_NS1_11comp_targetILNS1_3genE0ELNS1_11target_archE4294967295ELNS1_3gpuE0ELNS1_3repE0EEENS1_30default_config_static_selectorELNS0_4arch9wavefront6targetE1EEEvT1_.uses_flat_scratch, or(0, .L_ZZZZN2at6native31launch_logcumsumexp_cuda_kernelERKNS_10TensorBaseES3_lENKUlvE_clEvENKUlvE1_clEvENKUlN3c107complexIdEES8_E_clES8_S8_.uses_flat_scratch)
	.set _ZN7rocprim17ROCPRIM_400000_NS6detail17trampoline_kernelINS0_14default_configENS1_20scan_config_selectorIN3c107complexIdEEEEZZNS1_9scan_implILNS1_25lookback_scan_determinismE0ELb0ELb0ES3_PKS7_PS7_S7_ZZZN2at6native31launch_logcumsumexp_cuda_kernelERKNSE_10TensorBaseESI_lENKUlvE_clEvENKUlvE1_clEvEUlS7_S7_E_S7_EEDaPvRmT3_T4_T5_mT6_P12ihipStream_tbENKUlT_T0_E_clISt17integral_constantIbLb0EESZ_EEDaSU_SV_EUlSU_E0_NS1_11comp_targetILNS1_3genE0ELNS1_11target_archE4294967295ELNS1_3gpuE0ELNS1_3repE0EEENS1_30default_config_static_selectorELNS0_4arch9wavefront6targetE1EEEvT1_.has_dyn_sized_stack, or(0, .L_ZZZZN2at6native31launch_logcumsumexp_cuda_kernelERKNS_10TensorBaseES3_lENKUlvE_clEvENKUlvE1_clEvENKUlN3c107complexIdEES8_E_clES8_S8_.has_dyn_sized_stack)
	.set _ZN7rocprim17ROCPRIM_400000_NS6detail17trampoline_kernelINS0_14default_configENS1_20scan_config_selectorIN3c107complexIdEEEEZZNS1_9scan_implILNS1_25lookback_scan_determinismE0ELb0ELb0ES3_PKS7_PS7_S7_ZZZN2at6native31launch_logcumsumexp_cuda_kernelERKNSE_10TensorBaseESI_lENKUlvE_clEvENKUlvE1_clEvEUlS7_S7_E_S7_EEDaPvRmT3_T4_T5_mT6_P12ihipStream_tbENKUlT_T0_E_clISt17integral_constantIbLb0EESZ_EEDaSU_SV_EUlSU_E0_NS1_11comp_targetILNS1_3genE0ELNS1_11target_archE4294967295ELNS1_3gpuE0ELNS1_3repE0EEENS1_30default_config_static_selectorELNS0_4arch9wavefront6targetE1EEEvT1_.has_recursion, or(0, .L_ZZZZN2at6native31launch_logcumsumexp_cuda_kernelERKNS_10TensorBaseES3_lENKUlvE_clEvENKUlvE1_clEvENKUlN3c107complexIdEES8_E_clES8_S8_.has_recursion)
	.set _ZN7rocprim17ROCPRIM_400000_NS6detail17trampoline_kernelINS0_14default_configENS1_20scan_config_selectorIN3c107complexIdEEEEZZNS1_9scan_implILNS1_25lookback_scan_determinismE0ELb0ELb0ES3_PKS7_PS7_S7_ZZZN2at6native31launch_logcumsumexp_cuda_kernelERKNSE_10TensorBaseESI_lENKUlvE_clEvENKUlvE1_clEvEUlS7_S7_E_S7_EEDaPvRmT3_T4_T5_mT6_P12ihipStream_tbENKUlT_T0_E_clISt17integral_constantIbLb0EESZ_EEDaSU_SV_EUlSU_E0_NS1_11comp_targetILNS1_3genE0ELNS1_11target_archE4294967295ELNS1_3gpuE0ELNS1_3repE0EEENS1_30default_config_static_selectorELNS0_4arch9wavefront6targetE1EEEvT1_.has_indirect_call, or(0, .L_ZZZZN2at6native31launch_logcumsumexp_cuda_kernelERKNS_10TensorBaseES3_lENKUlvE_clEvENKUlvE1_clEvENKUlN3c107complexIdEES8_E_clES8_S8_.has_indirect_call)
	.section	.AMDGPU.csdata,"",@progbits
; Kernel info:
; codeLenInByte = 3264
; TotalNumSgprs: 68
; NumVgprs: 133
; NumAgprs: 0
; TotalNumVgprs: 133
; ScratchSize: 0
; MemoryBound: 1
; FloatMode: 240
; IeeeMode: 1
; LDSByteSize: 20480 bytes/workgroup (compile time only)
; SGPRBlocks: 12
; VGPRBlocks: 16
; NumSGPRsForWavesPerEU: 102
; NumVGPRsForWavesPerEU: 133
; AccumOffset: 136
; Occupancy: 3
; WaveLimiterHint : 0
; COMPUTE_PGM_RSRC2:SCRATCH_EN: 0
; COMPUTE_PGM_RSRC2:USER_SGPR: 2
; COMPUTE_PGM_RSRC2:TRAP_HANDLER: 0
; COMPUTE_PGM_RSRC2:TGID_X_EN: 1
; COMPUTE_PGM_RSRC2:TGID_Y_EN: 0
; COMPUTE_PGM_RSRC2:TGID_Z_EN: 0
; COMPUTE_PGM_RSRC2:TIDIG_COMP_CNT: 0
; COMPUTE_PGM_RSRC3_GFX90A:ACCUM_OFFSET: 33
; COMPUTE_PGM_RSRC3_GFX90A:TG_SPLIT: 0
	.section	.text._ZN7rocprim17ROCPRIM_400000_NS6detail17trampoline_kernelINS0_14default_configENS1_20scan_config_selectorIN3c107complexIdEEEEZZNS1_9scan_implILNS1_25lookback_scan_determinismE0ELb0ELb0ES3_PKS7_PS7_S7_ZZZN2at6native31launch_logcumsumexp_cuda_kernelERKNSE_10TensorBaseESI_lENKUlvE_clEvENKUlvE1_clEvEUlS7_S7_E_S7_EEDaPvRmT3_T4_T5_mT6_P12ihipStream_tbENKUlT_T0_E_clISt17integral_constantIbLb0EESZ_EEDaSU_SV_EUlSU_E0_NS1_11comp_targetILNS1_3genE5ELNS1_11target_archE942ELNS1_3gpuE9ELNS1_3repE0EEENS1_30default_config_static_selectorELNS0_4arch9wavefront6targetE1EEEvT1_,"axG",@progbits,_ZN7rocprim17ROCPRIM_400000_NS6detail17trampoline_kernelINS0_14default_configENS1_20scan_config_selectorIN3c107complexIdEEEEZZNS1_9scan_implILNS1_25lookback_scan_determinismE0ELb0ELb0ES3_PKS7_PS7_S7_ZZZN2at6native31launch_logcumsumexp_cuda_kernelERKNSE_10TensorBaseESI_lENKUlvE_clEvENKUlvE1_clEvEUlS7_S7_E_S7_EEDaPvRmT3_T4_T5_mT6_P12ihipStream_tbENKUlT_T0_E_clISt17integral_constantIbLb0EESZ_EEDaSU_SV_EUlSU_E0_NS1_11comp_targetILNS1_3genE5ELNS1_11target_archE942ELNS1_3gpuE9ELNS1_3repE0EEENS1_30default_config_static_selectorELNS0_4arch9wavefront6targetE1EEEvT1_,comdat
	.globl	_ZN7rocprim17ROCPRIM_400000_NS6detail17trampoline_kernelINS0_14default_configENS1_20scan_config_selectorIN3c107complexIdEEEEZZNS1_9scan_implILNS1_25lookback_scan_determinismE0ELb0ELb0ES3_PKS7_PS7_S7_ZZZN2at6native31launch_logcumsumexp_cuda_kernelERKNSE_10TensorBaseESI_lENKUlvE_clEvENKUlvE1_clEvEUlS7_S7_E_S7_EEDaPvRmT3_T4_T5_mT6_P12ihipStream_tbENKUlT_T0_E_clISt17integral_constantIbLb0EESZ_EEDaSU_SV_EUlSU_E0_NS1_11comp_targetILNS1_3genE5ELNS1_11target_archE942ELNS1_3gpuE9ELNS1_3repE0EEENS1_30default_config_static_selectorELNS0_4arch9wavefront6targetE1EEEvT1_ ; -- Begin function _ZN7rocprim17ROCPRIM_400000_NS6detail17trampoline_kernelINS0_14default_configENS1_20scan_config_selectorIN3c107complexIdEEEEZZNS1_9scan_implILNS1_25lookback_scan_determinismE0ELb0ELb0ES3_PKS7_PS7_S7_ZZZN2at6native31launch_logcumsumexp_cuda_kernelERKNSE_10TensorBaseESI_lENKUlvE_clEvENKUlvE1_clEvEUlS7_S7_E_S7_EEDaPvRmT3_T4_T5_mT6_P12ihipStream_tbENKUlT_T0_E_clISt17integral_constantIbLb0EESZ_EEDaSU_SV_EUlSU_E0_NS1_11comp_targetILNS1_3genE5ELNS1_11target_archE942ELNS1_3gpuE9ELNS1_3repE0EEENS1_30default_config_static_selectorELNS0_4arch9wavefront6targetE1EEEvT1_
	.p2align	8
	.type	_ZN7rocprim17ROCPRIM_400000_NS6detail17trampoline_kernelINS0_14default_configENS1_20scan_config_selectorIN3c107complexIdEEEEZZNS1_9scan_implILNS1_25lookback_scan_determinismE0ELb0ELb0ES3_PKS7_PS7_S7_ZZZN2at6native31launch_logcumsumexp_cuda_kernelERKNSE_10TensorBaseESI_lENKUlvE_clEvENKUlvE1_clEvEUlS7_S7_E_S7_EEDaPvRmT3_T4_T5_mT6_P12ihipStream_tbENKUlT_T0_E_clISt17integral_constantIbLb0EESZ_EEDaSU_SV_EUlSU_E0_NS1_11comp_targetILNS1_3genE5ELNS1_11target_archE942ELNS1_3gpuE9ELNS1_3repE0EEENS1_30default_config_static_selectorELNS0_4arch9wavefront6targetE1EEEvT1_,@function
_ZN7rocprim17ROCPRIM_400000_NS6detail17trampoline_kernelINS0_14default_configENS1_20scan_config_selectorIN3c107complexIdEEEEZZNS1_9scan_implILNS1_25lookback_scan_determinismE0ELb0ELb0ES3_PKS7_PS7_S7_ZZZN2at6native31launch_logcumsumexp_cuda_kernelERKNSE_10TensorBaseESI_lENKUlvE_clEvENKUlvE1_clEvEUlS7_S7_E_S7_EEDaPvRmT3_T4_T5_mT6_P12ihipStream_tbENKUlT_T0_E_clISt17integral_constantIbLb0EESZ_EEDaSU_SV_EUlSU_E0_NS1_11comp_targetILNS1_3genE5ELNS1_11target_archE942ELNS1_3gpuE9ELNS1_3repE0EEENS1_30default_config_static_selectorELNS0_4arch9wavefront6targetE1EEEvT1_: ; @_ZN7rocprim17ROCPRIM_400000_NS6detail17trampoline_kernelINS0_14default_configENS1_20scan_config_selectorIN3c107complexIdEEEEZZNS1_9scan_implILNS1_25lookback_scan_determinismE0ELb0ELb0ES3_PKS7_PS7_S7_ZZZN2at6native31launch_logcumsumexp_cuda_kernelERKNSE_10TensorBaseESI_lENKUlvE_clEvENKUlvE1_clEvEUlS7_S7_E_S7_EEDaPvRmT3_T4_T5_mT6_P12ihipStream_tbENKUlT_T0_E_clISt17integral_constantIbLb0EESZ_EEDaSU_SV_EUlSU_E0_NS1_11comp_targetILNS1_3genE5ELNS1_11target_archE942ELNS1_3gpuE9ELNS1_3repE0EEENS1_30default_config_static_selectorELNS0_4arch9wavefront6targetE1EEEvT1_
; %bb.0:
	.section	.rodata,"a",@progbits
	.p2align	6, 0x0
	.amdhsa_kernel _ZN7rocprim17ROCPRIM_400000_NS6detail17trampoline_kernelINS0_14default_configENS1_20scan_config_selectorIN3c107complexIdEEEEZZNS1_9scan_implILNS1_25lookback_scan_determinismE0ELb0ELb0ES3_PKS7_PS7_S7_ZZZN2at6native31launch_logcumsumexp_cuda_kernelERKNSE_10TensorBaseESI_lENKUlvE_clEvENKUlvE1_clEvEUlS7_S7_E_S7_EEDaPvRmT3_T4_T5_mT6_P12ihipStream_tbENKUlT_T0_E_clISt17integral_constantIbLb0EESZ_EEDaSU_SV_EUlSU_E0_NS1_11comp_targetILNS1_3genE5ELNS1_11target_archE942ELNS1_3gpuE9ELNS1_3repE0EEENS1_30default_config_static_selectorELNS0_4arch9wavefront6targetE1EEEvT1_
		.amdhsa_group_segment_fixed_size 0
		.amdhsa_private_segment_fixed_size 0
		.amdhsa_kernarg_size 48
		.amdhsa_user_sgpr_count 2
		.amdhsa_user_sgpr_dispatch_ptr 0
		.amdhsa_user_sgpr_queue_ptr 0
		.amdhsa_user_sgpr_kernarg_segment_ptr 1
		.amdhsa_user_sgpr_dispatch_id 0
		.amdhsa_user_sgpr_kernarg_preload_length 0
		.amdhsa_user_sgpr_kernarg_preload_offset 0
		.amdhsa_user_sgpr_private_segment_size 0
		.amdhsa_uses_dynamic_stack 0
		.amdhsa_enable_private_segment 0
		.amdhsa_system_sgpr_workgroup_id_x 1
		.amdhsa_system_sgpr_workgroup_id_y 0
		.amdhsa_system_sgpr_workgroup_id_z 0
		.amdhsa_system_sgpr_workgroup_info 0
		.amdhsa_system_vgpr_workitem_id 0
		.amdhsa_next_free_vgpr 1
		.amdhsa_next_free_sgpr 0
		.amdhsa_accum_offset 4
		.amdhsa_reserve_vcc 0
		.amdhsa_float_round_mode_32 0
		.amdhsa_float_round_mode_16_64 0
		.amdhsa_float_denorm_mode_32 3
		.amdhsa_float_denorm_mode_16_64 3
		.amdhsa_dx10_clamp 1
		.amdhsa_ieee_mode 1
		.amdhsa_fp16_overflow 0
		.amdhsa_tg_split 0
		.amdhsa_exception_fp_ieee_invalid_op 0
		.amdhsa_exception_fp_denorm_src 0
		.amdhsa_exception_fp_ieee_div_zero 0
		.amdhsa_exception_fp_ieee_overflow 0
		.amdhsa_exception_fp_ieee_underflow 0
		.amdhsa_exception_fp_ieee_inexact 0
		.amdhsa_exception_int_div_zero 0
	.end_amdhsa_kernel
	.section	.text._ZN7rocprim17ROCPRIM_400000_NS6detail17trampoline_kernelINS0_14default_configENS1_20scan_config_selectorIN3c107complexIdEEEEZZNS1_9scan_implILNS1_25lookback_scan_determinismE0ELb0ELb0ES3_PKS7_PS7_S7_ZZZN2at6native31launch_logcumsumexp_cuda_kernelERKNSE_10TensorBaseESI_lENKUlvE_clEvENKUlvE1_clEvEUlS7_S7_E_S7_EEDaPvRmT3_T4_T5_mT6_P12ihipStream_tbENKUlT_T0_E_clISt17integral_constantIbLb0EESZ_EEDaSU_SV_EUlSU_E0_NS1_11comp_targetILNS1_3genE5ELNS1_11target_archE942ELNS1_3gpuE9ELNS1_3repE0EEENS1_30default_config_static_selectorELNS0_4arch9wavefront6targetE1EEEvT1_,"axG",@progbits,_ZN7rocprim17ROCPRIM_400000_NS6detail17trampoline_kernelINS0_14default_configENS1_20scan_config_selectorIN3c107complexIdEEEEZZNS1_9scan_implILNS1_25lookback_scan_determinismE0ELb0ELb0ES3_PKS7_PS7_S7_ZZZN2at6native31launch_logcumsumexp_cuda_kernelERKNSE_10TensorBaseESI_lENKUlvE_clEvENKUlvE1_clEvEUlS7_S7_E_S7_EEDaPvRmT3_T4_T5_mT6_P12ihipStream_tbENKUlT_T0_E_clISt17integral_constantIbLb0EESZ_EEDaSU_SV_EUlSU_E0_NS1_11comp_targetILNS1_3genE5ELNS1_11target_archE942ELNS1_3gpuE9ELNS1_3repE0EEENS1_30default_config_static_selectorELNS0_4arch9wavefront6targetE1EEEvT1_,comdat
.Lfunc_end194:
	.size	_ZN7rocprim17ROCPRIM_400000_NS6detail17trampoline_kernelINS0_14default_configENS1_20scan_config_selectorIN3c107complexIdEEEEZZNS1_9scan_implILNS1_25lookback_scan_determinismE0ELb0ELb0ES3_PKS7_PS7_S7_ZZZN2at6native31launch_logcumsumexp_cuda_kernelERKNSE_10TensorBaseESI_lENKUlvE_clEvENKUlvE1_clEvEUlS7_S7_E_S7_EEDaPvRmT3_T4_T5_mT6_P12ihipStream_tbENKUlT_T0_E_clISt17integral_constantIbLb0EESZ_EEDaSU_SV_EUlSU_E0_NS1_11comp_targetILNS1_3genE5ELNS1_11target_archE942ELNS1_3gpuE9ELNS1_3repE0EEENS1_30default_config_static_selectorELNS0_4arch9wavefront6targetE1EEEvT1_, .Lfunc_end194-_ZN7rocprim17ROCPRIM_400000_NS6detail17trampoline_kernelINS0_14default_configENS1_20scan_config_selectorIN3c107complexIdEEEEZZNS1_9scan_implILNS1_25lookback_scan_determinismE0ELb0ELb0ES3_PKS7_PS7_S7_ZZZN2at6native31launch_logcumsumexp_cuda_kernelERKNSE_10TensorBaseESI_lENKUlvE_clEvENKUlvE1_clEvEUlS7_S7_E_S7_EEDaPvRmT3_T4_T5_mT6_P12ihipStream_tbENKUlT_T0_E_clISt17integral_constantIbLb0EESZ_EEDaSU_SV_EUlSU_E0_NS1_11comp_targetILNS1_3genE5ELNS1_11target_archE942ELNS1_3gpuE9ELNS1_3repE0EEENS1_30default_config_static_selectorELNS0_4arch9wavefront6targetE1EEEvT1_
                                        ; -- End function
	.set _ZN7rocprim17ROCPRIM_400000_NS6detail17trampoline_kernelINS0_14default_configENS1_20scan_config_selectorIN3c107complexIdEEEEZZNS1_9scan_implILNS1_25lookback_scan_determinismE0ELb0ELb0ES3_PKS7_PS7_S7_ZZZN2at6native31launch_logcumsumexp_cuda_kernelERKNSE_10TensorBaseESI_lENKUlvE_clEvENKUlvE1_clEvEUlS7_S7_E_S7_EEDaPvRmT3_T4_T5_mT6_P12ihipStream_tbENKUlT_T0_E_clISt17integral_constantIbLb0EESZ_EEDaSU_SV_EUlSU_E0_NS1_11comp_targetILNS1_3genE5ELNS1_11target_archE942ELNS1_3gpuE9ELNS1_3repE0EEENS1_30default_config_static_selectorELNS0_4arch9wavefront6targetE1EEEvT1_.num_vgpr, 0
	.set _ZN7rocprim17ROCPRIM_400000_NS6detail17trampoline_kernelINS0_14default_configENS1_20scan_config_selectorIN3c107complexIdEEEEZZNS1_9scan_implILNS1_25lookback_scan_determinismE0ELb0ELb0ES3_PKS7_PS7_S7_ZZZN2at6native31launch_logcumsumexp_cuda_kernelERKNSE_10TensorBaseESI_lENKUlvE_clEvENKUlvE1_clEvEUlS7_S7_E_S7_EEDaPvRmT3_T4_T5_mT6_P12ihipStream_tbENKUlT_T0_E_clISt17integral_constantIbLb0EESZ_EEDaSU_SV_EUlSU_E0_NS1_11comp_targetILNS1_3genE5ELNS1_11target_archE942ELNS1_3gpuE9ELNS1_3repE0EEENS1_30default_config_static_selectorELNS0_4arch9wavefront6targetE1EEEvT1_.num_agpr, 0
	.set _ZN7rocprim17ROCPRIM_400000_NS6detail17trampoline_kernelINS0_14default_configENS1_20scan_config_selectorIN3c107complexIdEEEEZZNS1_9scan_implILNS1_25lookback_scan_determinismE0ELb0ELb0ES3_PKS7_PS7_S7_ZZZN2at6native31launch_logcumsumexp_cuda_kernelERKNSE_10TensorBaseESI_lENKUlvE_clEvENKUlvE1_clEvEUlS7_S7_E_S7_EEDaPvRmT3_T4_T5_mT6_P12ihipStream_tbENKUlT_T0_E_clISt17integral_constantIbLb0EESZ_EEDaSU_SV_EUlSU_E0_NS1_11comp_targetILNS1_3genE5ELNS1_11target_archE942ELNS1_3gpuE9ELNS1_3repE0EEENS1_30default_config_static_selectorELNS0_4arch9wavefront6targetE1EEEvT1_.numbered_sgpr, 0
	.set _ZN7rocprim17ROCPRIM_400000_NS6detail17trampoline_kernelINS0_14default_configENS1_20scan_config_selectorIN3c107complexIdEEEEZZNS1_9scan_implILNS1_25lookback_scan_determinismE0ELb0ELb0ES3_PKS7_PS7_S7_ZZZN2at6native31launch_logcumsumexp_cuda_kernelERKNSE_10TensorBaseESI_lENKUlvE_clEvENKUlvE1_clEvEUlS7_S7_E_S7_EEDaPvRmT3_T4_T5_mT6_P12ihipStream_tbENKUlT_T0_E_clISt17integral_constantIbLb0EESZ_EEDaSU_SV_EUlSU_E0_NS1_11comp_targetILNS1_3genE5ELNS1_11target_archE942ELNS1_3gpuE9ELNS1_3repE0EEENS1_30default_config_static_selectorELNS0_4arch9wavefront6targetE1EEEvT1_.num_named_barrier, 0
	.set _ZN7rocprim17ROCPRIM_400000_NS6detail17trampoline_kernelINS0_14default_configENS1_20scan_config_selectorIN3c107complexIdEEEEZZNS1_9scan_implILNS1_25lookback_scan_determinismE0ELb0ELb0ES3_PKS7_PS7_S7_ZZZN2at6native31launch_logcumsumexp_cuda_kernelERKNSE_10TensorBaseESI_lENKUlvE_clEvENKUlvE1_clEvEUlS7_S7_E_S7_EEDaPvRmT3_T4_T5_mT6_P12ihipStream_tbENKUlT_T0_E_clISt17integral_constantIbLb0EESZ_EEDaSU_SV_EUlSU_E0_NS1_11comp_targetILNS1_3genE5ELNS1_11target_archE942ELNS1_3gpuE9ELNS1_3repE0EEENS1_30default_config_static_selectorELNS0_4arch9wavefront6targetE1EEEvT1_.private_seg_size, 0
	.set _ZN7rocprim17ROCPRIM_400000_NS6detail17trampoline_kernelINS0_14default_configENS1_20scan_config_selectorIN3c107complexIdEEEEZZNS1_9scan_implILNS1_25lookback_scan_determinismE0ELb0ELb0ES3_PKS7_PS7_S7_ZZZN2at6native31launch_logcumsumexp_cuda_kernelERKNSE_10TensorBaseESI_lENKUlvE_clEvENKUlvE1_clEvEUlS7_S7_E_S7_EEDaPvRmT3_T4_T5_mT6_P12ihipStream_tbENKUlT_T0_E_clISt17integral_constantIbLb0EESZ_EEDaSU_SV_EUlSU_E0_NS1_11comp_targetILNS1_3genE5ELNS1_11target_archE942ELNS1_3gpuE9ELNS1_3repE0EEENS1_30default_config_static_selectorELNS0_4arch9wavefront6targetE1EEEvT1_.uses_vcc, 0
	.set _ZN7rocprim17ROCPRIM_400000_NS6detail17trampoline_kernelINS0_14default_configENS1_20scan_config_selectorIN3c107complexIdEEEEZZNS1_9scan_implILNS1_25lookback_scan_determinismE0ELb0ELb0ES3_PKS7_PS7_S7_ZZZN2at6native31launch_logcumsumexp_cuda_kernelERKNSE_10TensorBaseESI_lENKUlvE_clEvENKUlvE1_clEvEUlS7_S7_E_S7_EEDaPvRmT3_T4_T5_mT6_P12ihipStream_tbENKUlT_T0_E_clISt17integral_constantIbLb0EESZ_EEDaSU_SV_EUlSU_E0_NS1_11comp_targetILNS1_3genE5ELNS1_11target_archE942ELNS1_3gpuE9ELNS1_3repE0EEENS1_30default_config_static_selectorELNS0_4arch9wavefront6targetE1EEEvT1_.uses_flat_scratch, 0
	.set _ZN7rocprim17ROCPRIM_400000_NS6detail17trampoline_kernelINS0_14default_configENS1_20scan_config_selectorIN3c107complexIdEEEEZZNS1_9scan_implILNS1_25lookback_scan_determinismE0ELb0ELb0ES3_PKS7_PS7_S7_ZZZN2at6native31launch_logcumsumexp_cuda_kernelERKNSE_10TensorBaseESI_lENKUlvE_clEvENKUlvE1_clEvEUlS7_S7_E_S7_EEDaPvRmT3_T4_T5_mT6_P12ihipStream_tbENKUlT_T0_E_clISt17integral_constantIbLb0EESZ_EEDaSU_SV_EUlSU_E0_NS1_11comp_targetILNS1_3genE5ELNS1_11target_archE942ELNS1_3gpuE9ELNS1_3repE0EEENS1_30default_config_static_selectorELNS0_4arch9wavefront6targetE1EEEvT1_.has_dyn_sized_stack, 0
	.set _ZN7rocprim17ROCPRIM_400000_NS6detail17trampoline_kernelINS0_14default_configENS1_20scan_config_selectorIN3c107complexIdEEEEZZNS1_9scan_implILNS1_25lookback_scan_determinismE0ELb0ELb0ES3_PKS7_PS7_S7_ZZZN2at6native31launch_logcumsumexp_cuda_kernelERKNSE_10TensorBaseESI_lENKUlvE_clEvENKUlvE1_clEvEUlS7_S7_E_S7_EEDaPvRmT3_T4_T5_mT6_P12ihipStream_tbENKUlT_T0_E_clISt17integral_constantIbLb0EESZ_EEDaSU_SV_EUlSU_E0_NS1_11comp_targetILNS1_3genE5ELNS1_11target_archE942ELNS1_3gpuE9ELNS1_3repE0EEENS1_30default_config_static_selectorELNS0_4arch9wavefront6targetE1EEEvT1_.has_recursion, 0
	.set _ZN7rocprim17ROCPRIM_400000_NS6detail17trampoline_kernelINS0_14default_configENS1_20scan_config_selectorIN3c107complexIdEEEEZZNS1_9scan_implILNS1_25lookback_scan_determinismE0ELb0ELb0ES3_PKS7_PS7_S7_ZZZN2at6native31launch_logcumsumexp_cuda_kernelERKNSE_10TensorBaseESI_lENKUlvE_clEvENKUlvE1_clEvEUlS7_S7_E_S7_EEDaPvRmT3_T4_T5_mT6_P12ihipStream_tbENKUlT_T0_E_clISt17integral_constantIbLb0EESZ_EEDaSU_SV_EUlSU_E0_NS1_11comp_targetILNS1_3genE5ELNS1_11target_archE942ELNS1_3gpuE9ELNS1_3repE0EEENS1_30default_config_static_selectorELNS0_4arch9wavefront6targetE1EEEvT1_.has_indirect_call, 0
	.section	.AMDGPU.csdata,"",@progbits
; Kernel info:
; codeLenInByte = 0
; TotalNumSgprs: 6
; NumVgprs: 0
; NumAgprs: 0
; TotalNumVgprs: 0
; ScratchSize: 0
; MemoryBound: 0
; FloatMode: 240
; IeeeMode: 1
; LDSByteSize: 0 bytes/workgroup (compile time only)
; SGPRBlocks: 0
; VGPRBlocks: 0
; NumSGPRsForWavesPerEU: 6
; NumVGPRsForWavesPerEU: 1
; AccumOffset: 4
; Occupancy: 8
; WaveLimiterHint : 0
; COMPUTE_PGM_RSRC2:SCRATCH_EN: 0
; COMPUTE_PGM_RSRC2:USER_SGPR: 2
; COMPUTE_PGM_RSRC2:TRAP_HANDLER: 0
; COMPUTE_PGM_RSRC2:TGID_X_EN: 1
; COMPUTE_PGM_RSRC2:TGID_Y_EN: 0
; COMPUTE_PGM_RSRC2:TGID_Z_EN: 0
; COMPUTE_PGM_RSRC2:TIDIG_COMP_CNT: 0
; COMPUTE_PGM_RSRC3_GFX90A:ACCUM_OFFSET: 0
; COMPUTE_PGM_RSRC3_GFX90A:TG_SPLIT: 0
	.section	.text._ZN7rocprim17ROCPRIM_400000_NS6detail17trampoline_kernelINS0_14default_configENS1_20scan_config_selectorIN3c107complexIdEEEEZZNS1_9scan_implILNS1_25lookback_scan_determinismE0ELb0ELb0ES3_PKS7_PS7_S7_ZZZN2at6native31launch_logcumsumexp_cuda_kernelERKNSE_10TensorBaseESI_lENKUlvE_clEvENKUlvE1_clEvEUlS7_S7_E_S7_EEDaPvRmT3_T4_T5_mT6_P12ihipStream_tbENKUlT_T0_E_clISt17integral_constantIbLb0EESZ_EEDaSU_SV_EUlSU_E0_NS1_11comp_targetILNS1_3genE4ELNS1_11target_archE910ELNS1_3gpuE8ELNS1_3repE0EEENS1_30default_config_static_selectorELNS0_4arch9wavefront6targetE1EEEvT1_,"axG",@progbits,_ZN7rocprim17ROCPRIM_400000_NS6detail17trampoline_kernelINS0_14default_configENS1_20scan_config_selectorIN3c107complexIdEEEEZZNS1_9scan_implILNS1_25lookback_scan_determinismE0ELb0ELb0ES3_PKS7_PS7_S7_ZZZN2at6native31launch_logcumsumexp_cuda_kernelERKNSE_10TensorBaseESI_lENKUlvE_clEvENKUlvE1_clEvEUlS7_S7_E_S7_EEDaPvRmT3_T4_T5_mT6_P12ihipStream_tbENKUlT_T0_E_clISt17integral_constantIbLb0EESZ_EEDaSU_SV_EUlSU_E0_NS1_11comp_targetILNS1_3genE4ELNS1_11target_archE910ELNS1_3gpuE8ELNS1_3repE0EEENS1_30default_config_static_selectorELNS0_4arch9wavefront6targetE1EEEvT1_,comdat
	.globl	_ZN7rocprim17ROCPRIM_400000_NS6detail17trampoline_kernelINS0_14default_configENS1_20scan_config_selectorIN3c107complexIdEEEEZZNS1_9scan_implILNS1_25lookback_scan_determinismE0ELb0ELb0ES3_PKS7_PS7_S7_ZZZN2at6native31launch_logcumsumexp_cuda_kernelERKNSE_10TensorBaseESI_lENKUlvE_clEvENKUlvE1_clEvEUlS7_S7_E_S7_EEDaPvRmT3_T4_T5_mT6_P12ihipStream_tbENKUlT_T0_E_clISt17integral_constantIbLb0EESZ_EEDaSU_SV_EUlSU_E0_NS1_11comp_targetILNS1_3genE4ELNS1_11target_archE910ELNS1_3gpuE8ELNS1_3repE0EEENS1_30default_config_static_selectorELNS0_4arch9wavefront6targetE1EEEvT1_ ; -- Begin function _ZN7rocprim17ROCPRIM_400000_NS6detail17trampoline_kernelINS0_14default_configENS1_20scan_config_selectorIN3c107complexIdEEEEZZNS1_9scan_implILNS1_25lookback_scan_determinismE0ELb0ELb0ES3_PKS7_PS7_S7_ZZZN2at6native31launch_logcumsumexp_cuda_kernelERKNSE_10TensorBaseESI_lENKUlvE_clEvENKUlvE1_clEvEUlS7_S7_E_S7_EEDaPvRmT3_T4_T5_mT6_P12ihipStream_tbENKUlT_T0_E_clISt17integral_constantIbLb0EESZ_EEDaSU_SV_EUlSU_E0_NS1_11comp_targetILNS1_3genE4ELNS1_11target_archE910ELNS1_3gpuE8ELNS1_3repE0EEENS1_30default_config_static_selectorELNS0_4arch9wavefront6targetE1EEEvT1_
	.p2align	8
	.type	_ZN7rocprim17ROCPRIM_400000_NS6detail17trampoline_kernelINS0_14default_configENS1_20scan_config_selectorIN3c107complexIdEEEEZZNS1_9scan_implILNS1_25lookback_scan_determinismE0ELb0ELb0ES3_PKS7_PS7_S7_ZZZN2at6native31launch_logcumsumexp_cuda_kernelERKNSE_10TensorBaseESI_lENKUlvE_clEvENKUlvE1_clEvEUlS7_S7_E_S7_EEDaPvRmT3_T4_T5_mT6_P12ihipStream_tbENKUlT_T0_E_clISt17integral_constantIbLb0EESZ_EEDaSU_SV_EUlSU_E0_NS1_11comp_targetILNS1_3genE4ELNS1_11target_archE910ELNS1_3gpuE8ELNS1_3repE0EEENS1_30default_config_static_selectorELNS0_4arch9wavefront6targetE1EEEvT1_,@function
_ZN7rocprim17ROCPRIM_400000_NS6detail17trampoline_kernelINS0_14default_configENS1_20scan_config_selectorIN3c107complexIdEEEEZZNS1_9scan_implILNS1_25lookback_scan_determinismE0ELb0ELb0ES3_PKS7_PS7_S7_ZZZN2at6native31launch_logcumsumexp_cuda_kernelERKNSE_10TensorBaseESI_lENKUlvE_clEvENKUlvE1_clEvEUlS7_S7_E_S7_EEDaPvRmT3_T4_T5_mT6_P12ihipStream_tbENKUlT_T0_E_clISt17integral_constantIbLb0EESZ_EEDaSU_SV_EUlSU_E0_NS1_11comp_targetILNS1_3genE4ELNS1_11target_archE910ELNS1_3gpuE8ELNS1_3repE0EEENS1_30default_config_static_selectorELNS0_4arch9wavefront6targetE1EEEvT1_: ; @_ZN7rocprim17ROCPRIM_400000_NS6detail17trampoline_kernelINS0_14default_configENS1_20scan_config_selectorIN3c107complexIdEEEEZZNS1_9scan_implILNS1_25lookback_scan_determinismE0ELb0ELb0ES3_PKS7_PS7_S7_ZZZN2at6native31launch_logcumsumexp_cuda_kernelERKNSE_10TensorBaseESI_lENKUlvE_clEvENKUlvE1_clEvEUlS7_S7_E_S7_EEDaPvRmT3_T4_T5_mT6_P12ihipStream_tbENKUlT_T0_E_clISt17integral_constantIbLb0EESZ_EEDaSU_SV_EUlSU_E0_NS1_11comp_targetILNS1_3genE4ELNS1_11target_archE910ELNS1_3gpuE8ELNS1_3repE0EEENS1_30default_config_static_selectorELNS0_4arch9wavefront6targetE1EEEvT1_
; %bb.0:
	.section	.rodata,"a",@progbits
	.p2align	6, 0x0
	.amdhsa_kernel _ZN7rocprim17ROCPRIM_400000_NS6detail17trampoline_kernelINS0_14default_configENS1_20scan_config_selectorIN3c107complexIdEEEEZZNS1_9scan_implILNS1_25lookback_scan_determinismE0ELb0ELb0ES3_PKS7_PS7_S7_ZZZN2at6native31launch_logcumsumexp_cuda_kernelERKNSE_10TensorBaseESI_lENKUlvE_clEvENKUlvE1_clEvEUlS7_S7_E_S7_EEDaPvRmT3_T4_T5_mT6_P12ihipStream_tbENKUlT_T0_E_clISt17integral_constantIbLb0EESZ_EEDaSU_SV_EUlSU_E0_NS1_11comp_targetILNS1_3genE4ELNS1_11target_archE910ELNS1_3gpuE8ELNS1_3repE0EEENS1_30default_config_static_selectorELNS0_4arch9wavefront6targetE1EEEvT1_
		.amdhsa_group_segment_fixed_size 0
		.amdhsa_private_segment_fixed_size 0
		.amdhsa_kernarg_size 48
		.amdhsa_user_sgpr_count 2
		.amdhsa_user_sgpr_dispatch_ptr 0
		.amdhsa_user_sgpr_queue_ptr 0
		.amdhsa_user_sgpr_kernarg_segment_ptr 1
		.amdhsa_user_sgpr_dispatch_id 0
		.amdhsa_user_sgpr_kernarg_preload_length 0
		.amdhsa_user_sgpr_kernarg_preload_offset 0
		.amdhsa_user_sgpr_private_segment_size 0
		.amdhsa_uses_dynamic_stack 0
		.amdhsa_enable_private_segment 0
		.amdhsa_system_sgpr_workgroup_id_x 1
		.amdhsa_system_sgpr_workgroup_id_y 0
		.amdhsa_system_sgpr_workgroup_id_z 0
		.amdhsa_system_sgpr_workgroup_info 0
		.amdhsa_system_vgpr_workitem_id 0
		.amdhsa_next_free_vgpr 1
		.amdhsa_next_free_sgpr 0
		.amdhsa_accum_offset 4
		.amdhsa_reserve_vcc 0
		.amdhsa_float_round_mode_32 0
		.amdhsa_float_round_mode_16_64 0
		.amdhsa_float_denorm_mode_32 3
		.amdhsa_float_denorm_mode_16_64 3
		.amdhsa_dx10_clamp 1
		.amdhsa_ieee_mode 1
		.amdhsa_fp16_overflow 0
		.amdhsa_tg_split 0
		.amdhsa_exception_fp_ieee_invalid_op 0
		.amdhsa_exception_fp_denorm_src 0
		.amdhsa_exception_fp_ieee_div_zero 0
		.amdhsa_exception_fp_ieee_overflow 0
		.amdhsa_exception_fp_ieee_underflow 0
		.amdhsa_exception_fp_ieee_inexact 0
		.amdhsa_exception_int_div_zero 0
	.end_amdhsa_kernel
	.section	.text._ZN7rocprim17ROCPRIM_400000_NS6detail17trampoline_kernelINS0_14default_configENS1_20scan_config_selectorIN3c107complexIdEEEEZZNS1_9scan_implILNS1_25lookback_scan_determinismE0ELb0ELb0ES3_PKS7_PS7_S7_ZZZN2at6native31launch_logcumsumexp_cuda_kernelERKNSE_10TensorBaseESI_lENKUlvE_clEvENKUlvE1_clEvEUlS7_S7_E_S7_EEDaPvRmT3_T4_T5_mT6_P12ihipStream_tbENKUlT_T0_E_clISt17integral_constantIbLb0EESZ_EEDaSU_SV_EUlSU_E0_NS1_11comp_targetILNS1_3genE4ELNS1_11target_archE910ELNS1_3gpuE8ELNS1_3repE0EEENS1_30default_config_static_selectorELNS0_4arch9wavefront6targetE1EEEvT1_,"axG",@progbits,_ZN7rocprim17ROCPRIM_400000_NS6detail17trampoline_kernelINS0_14default_configENS1_20scan_config_selectorIN3c107complexIdEEEEZZNS1_9scan_implILNS1_25lookback_scan_determinismE0ELb0ELb0ES3_PKS7_PS7_S7_ZZZN2at6native31launch_logcumsumexp_cuda_kernelERKNSE_10TensorBaseESI_lENKUlvE_clEvENKUlvE1_clEvEUlS7_S7_E_S7_EEDaPvRmT3_T4_T5_mT6_P12ihipStream_tbENKUlT_T0_E_clISt17integral_constantIbLb0EESZ_EEDaSU_SV_EUlSU_E0_NS1_11comp_targetILNS1_3genE4ELNS1_11target_archE910ELNS1_3gpuE8ELNS1_3repE0EEENS1_30default_config_static_selectorELNS0_4arch9wavefront6targetE1EEEvT1_,comdat
.Lfunc_end195:
	.size	_ZN7rocprim17ROCPRIM_400000_NS6detail17trampoline_kernelINS0_14default_configENS1_20scan_config_selectorIN3c107complexIdEEEEZZNS1_9scan_implILNS1_25lookback_scan_determinismE0ELb0ELb0ES3_PKS7_PS7_S7_ZZZN2at6native31launch_logcumsumexp_cuda_kernelERKNSE_10TensorBaseESI_lENKUlvE_clEvENKUlvE1_clEvEUlS7_S7_E_S7_EEDaPvRmT3_T4_T5_mT6_P12ihipStream_tbENKUlT_T0_E_clISt17integral_constantIbLb0EESZ_EEDaSU_SV_EUlSU_E0_NS1_11comp_targetILNS1_3genE4ELNS1_11target_archE910ELNS1_3gpuE8ELNS1_3repE0EEENS1_30default_config_static_selectorELNS0_4arch9wavefront6targetE1EEEvT1_, .Lfunc_end195-_ZN7rocprim17ROCPRIM_400000_NS6detail17trampoline_kernelINS0_14default_configENS1_20scan_config_selectorIN3c107complexIdEEEEZZNS1_9scan_implILNS1_25lookback_scan_determinismE0ELb0ELb0ES3_PKS7_PS7_S7_ZZZN2at6native31launch_logcumsumexp_cuda_kernelERKNSE_10TensorBaseESI_lENKUlvE_clEvENKUlvE1_clEvEUlS7_S7_E_S7_EEDaPvRmT3_T4_T5_mT6_P12ihipStream_tbENKUlT_T0_E_clISt17integral_constantIbLb0EESZ_EEDaSU_SV_EUlSU_E0_NS1_11comp_targetILNS1_3genE4ELNS1_11target_archE910ELNS1_3gpuE8ELNS1_3repE0EEENS1_30default_config_static_selectorELNS0_4arch9wavefront6targetE1EEEvT1_
                                        ; -- End function
	.set _ZN7rocprim17ROCPRIM_400000_NS6detail17trampoline_kernelINS0_14default_configENS1_20scan_config_selectorIN3c107complexIdEEEEZZNS1_9scan_implILNS1_25lookback_scan_determinismE0ELb0ELb0ES3_PKS7_PS7_S7_ZZZN2at6native31launch_logcumsumexp_cuda_kernelERKNSE_10TensorBaseESI_lENKUlvE_clEvENKUlvE1_clEvEUlS7_S7_E_S7_EEDaPvRmT3_T4_T5_mT6_P12ihipStream_tbENKUlT_T0_E_clISt17integral_constantIbLb0EESZ_EEDaSU_SV_EUlSU_E0_NS1_11comp_targetILNS1_3genE4ELNS1_11target_archE910ELNS1_3gpuE8ELNS1_3repE0EEENS1_30default_config_static_selectorELNS0_4arch9wavefront6targetE1EEEvT1_.num_vgpr, 0
	.set _ZN7rocprim17ROCPRIM_400000_NS6detail17trampoline_kernelINS0_14default_configENS1_20scan_config_selectorIN3c107complexIdEEEEZZNS1_9scan_implILNS1_25lookback_scan_determinismE0ELb0ELb0ES3_PKS7_PS7_S7_ZZZN2at6native31launch_logcumsumexp_cuda_kernelERKNSE_10TensorBaseESI_lENKUlvE_clEvENKUlvE1_clEvEUlS7_S7_E_S7_EEDaPvRmT3_T4_T5_mT6_P12ihipStream_tbENKUlT_T0_E_clISt17integral_constantIbLb0EESZ_EEDaSU_SV_EUlSU_E0_NS1_11comp_targetILNS1_3genE4ELNS1_11target_archE910ELNS1_3gpuE8ELNS1_3repE0EEENS1_30default_config_static_selectorELNS0_4arch9wavefront6targetE1EEEvT1_.num_agpr, 0
	.set _ZN7rocprim17ROCPRIM_400000_NS6detail17trampoline_kernelINS0_14default_configENS1_20scan_config_selectorIN3c107complexIdEEEEZZNS1_9scan_implILNS1_25lookback_scan_determinismE0ELb0ELb0ES3_PKS7_PS7_S7_ZZZN2at6native31launch_logcumsumexp_cuda_kernelERKNSE_10TensorBaseESI_lENKUlvE_clEvENKUlvE1_clEvEUlS7_S7_E_S7_EEDaPvRmT3_T4_T5_mT6_P12ihipStream_tbENKUlT_T0_E_clISt17integral_constantIbLb0EESZ_EEDaSU_SV_EUlSU_E0_NS1_11comp_targetILNS1_3genE4ELNS1_11target_archE910ELNS1_3gpuE8ELNS1_3repE0EEENS1_30default_config_static_selectorELNS0_4arch9wavefront6targetE1EEEvT1_.numbered_sgpr, 0
	.set _ZN7rocprim17ROCPRIM_400000_NS6detail17trampoline_kernelINS0_14default_configENS1_20scan_config_selectorIN3c107complexIdEEEEZZNS1_9scan_implILNS1_25lookback_scan_determinismE0ELb0ELb0ES3_PKS7_PS7_S7_ZZZN2at6native31launch_logcumsumexp_cuda_kernelERKNSE_10TensorBaseESI_lENKUlvE_clEvENKUlvE1_clEvEUlS7_S7_E_S7_EEDaPvRmT3_T4_T5_mT6_P12ihipStream_tbENKUlT_T0_E_clISt17integral_constantIbLb0EESZ_EEDaSU_SV_EUlSU_E0_NS1_11comp_targetILNS1_3genE4ELNS1_11target_archE910ELNS1_3gpuE8ELNS1_3repE0EEENS1_30default_config_static_selectorELNS0_4arch9wavefront6targetE1EEEvT1_.num_named_barrier, 0
	.set _ZN7rocprim17ROCPRIM_400000_NS6detail17trampoline_kernelINS0_14default_configENS1_20scan_config_selectorIN3c107complexIdEEEEZZNS1_9scan_implILNS1_25lookback_scan_determinismE0ELb0ELb0ES3_PKS7_PS7_S7_ZZZN2at6native31launch_logcumsumexp_cuda_kernelERKNSE_10TensorBaseESI_lENKUlvE_clEvENKUlvE1_clEvEUlS7_S7_E_S7_EEDaPvRmT3_T4_T5_mT6_P12ihipStream_tbENKUlT_T0_E_clISt17integral_constantIbLb0EESZ_EEDaSU_SV_EUlSU_E0_NS1_11comp_targetILNS1_3genE4ELNS1_11target_archE910ELNS1_3gpuE8ELNS1_3repE0EEENS1_30default_config_static_selectorELNS0_4arch9wavefront6targetE1EEEvT1_.private_seg_size, 0
	.set _ZN7rocprim17ROCPRIM_400000_NS6detail17trampoline_kernelINS0_14default_configENS1_20scan_config_selectorIN3c107complexIdEEEEZZNS1_9scan_implILNS1_25lookback_scan_determinismE0ELb0ELb0ES3_PKS7_PS7_S7_ZZZN2at6native31launch_logcumsumexp_cuda_kernelERKNSE_10TensorBaseESI_lENKUlvE_clEvENKUlvE1_clEvEUlS7_S7_E_S7_EEDaPvRmT3_T4_T5_mT6_P12ihipStream_tbENKUlT_T0_E_clISt17integral_constantIbLb0EESZ_EEDaSU_SV_EUlSU_E0_NS1_11comp_targetILNS1_3genE4ELNS1_11target_archE910ELNS1_3gpuE8ELNS1_3repE0EEENS1_30default_config_static_selectorELNS0_4arch9wavefront6targetE1EEEvT1_.uses_vcc, 0
	.set _ZN7rocprim17ROCPRIM_400000_NS6detail17trampoline_kernelINS0_14default_configENS1_20scan_config_selectorIN3c107complexIdEEEEZZNS1_9scan_implILNS1_25lookback_scan_determinismE0ELb0ELb0ES3_PKS7_PS7_S7_ZZZN2at6native31launch_logcumsumexp_cuda_kernelERKNSE_10TensorBaseESI_lENKUlvE_clEvENKUlvE1_clEvEUlS7_S7_E_S7_EEDaPvRmT3_T4_T5_mT6_P12ihipStream_tbENKUlT_T0_E_clISt17integral_constantIbLb0EESZ_EEDaSU_SV_EUlSU_E0_NS1_11comp_targetILNS1_3genE4ELNS1_11target_archE910ELNS1_3gpuE8ELNS1_3repE0EEENS1_30default_config_static_selectorELNS0_4arch9wavefront6targetE1EEEvT1_.uses_flat_scratch, 0
	.set _ZN7rocprim17ROCPRIM_400000_NS6detail17trampoline_kernelINS0_14default_configENS1_20scan_config_selectorIN3c107complexIdEEEEZZNS1_9scan_implILNS1_25lookback_scan_determinismE0ELb0ELb0ES3_PKS7_PS7_S7_ZZZN2at6native31launch_logcumsumexp_cuda_kernelERKNSE_10TensorBaseESI_lENKUlvE_clEvENKUlvE1_clEvEUlS7_S7_E_S7_EEDaPvRmT3_T4_T5_mT6_P12ihipStream_tbENKUlT_T0_E_clISt17integral_constantIbLb0EESZ_EEDaSU_SV_EUlSU_E0_NS1_11comp_targetILNS1_3genE4ELNS1_11target_archE910ELNS1_3gpuE8ELNS1_3repE0EEENS1_30default_config_static_selectorELNS0_4arch9wavefront6targetE1EEEvT1_.has_dyn_sized_stack, 0
	.set _ZN7rocprim17ROCPRIM_400000_NS6detail17trampoline_kernelINS0_14default_configENS1_20scan_config_selectorIN3c107complexIdEEEEZZNS1_9scan_implILNS1_25lookback_scan_determinismE0ELb0ELb0ES3_PKS7_PS7_S7_ZZZN2at6native31launch_logcumsumexp_cuda_kernelERKNSE_10TensorBaseESI_lENKUlvE_clEvENKUlvE1_clEvEUlS7_S7_E_S7_EEDaPvRmT3_T4_T5_mT6_P12ihipStream_tbENKUlT_T0_E_clISt17integral_constantIbLb0EESZ_EEDaSU_SV_EUlSU_E0_NS1_11comp_targetILNS1_3genE4ELNS1_11target_archE910ELNS1_3gpuE8ELNS1_3repE0EEENS1_30default_config_static_selectorELNS0_4arch9wavefront6targetE1EEEvT1_.has_recursion, 0
	.set _ZN7rocprim17ROCPRIM_400000_NS6detail17trampoline_kernelINS0_14default_configENS1_20scan_config_selectorIN3c107complexIdEEEEZZNS1_9scan_implILNS1_25lookback_scan_determinismE0ELb0ELb0ES3_PKS7_PS7_S7_ZZZN2at6native31launch_logcumsumexp_cuda_kernelERKNSE_10TensorBaseESI_lENKUlvE_clEvENKUlvE1_clEvEUlS7_S7_E_S7_EEDaPvRmT3_T4_T5_mT6_P12ihipStream_tbENKUlT_T0_E_clISt17integral_constantIbLb0EESZ_EEDaSU_SV_EUlSU_E0_NS1_11comp_targetILNS1_3genE4ELNS1_11target_archE910ELNS1_3gpuE8ELNS1_3repE0EEENS1_30default_config_static_selectorELNS0_4arch9wavefront6targetE1EEEvT1_.has_indirect_call, 0
	.section	.AMDGPU.csdata,"",@progbits
; Kernel info:
; codeLenInByte = 0
; TotalNumSgprs: 6
; NumVgprs: 0
; NumAgprs: 0
; TotalNumVgprs: 0
; ScratchSize: 0
; MemoryBound: 0
; FloatMode: 240
; IeeeMode: 1
; LDSByteSize: 0 bytes/workgroup (compile time only)
; SGPRBlocks: 0
; VGPRBlocks: 0
; NumSGPRsForWavesPerEU: 6
; NumVGPRsForWavesPerEU: 1
; AccumOffset: 4
; Occupancy: 8
; WaveLimiterHint : 0
; COMPUTE_PGM_RSRC2:SCRATCH_EN: 0
; COMPUTE_PGM_RSRC2:USER_SGPR: 2
; COMPUTE_PGM_RSRC2:TRAP_HANDLER: 0
; COMPUTE_PGM_RSRC2:TGID_X_EN: 1
; COMPUTE_PGM_RSRC2:TGID_Y_EN: 0
; COMPUTE_PGM_RSRC2:TGID_Z_EN: 0
; COMPUTE_PGM_RSRC2:TIDIG_COMP_CNT: 0
; COMPUTE_PGM_RSRC3_GFX90A:ACCUM_OFFSET: 0
; COMPUTE_PGM_RSRC3_GFX90A:TG_SPLIT: 0
	.section	.text._ZN7rocprim17ROCPRIM_400000_NS6detail17trampoline_kernelINS0_14default_configENS1_20scan_config_selectorIN3c107complexIdEEEEZZNS1_9scan_implILNS1_25lookback_scan_determinismE0ELb0ELb0ES3_PKS7_PS7_S7_ZZZN2at6native31launch_logcumsumexp_cuda_kernelERKNSE_10TensorBaseESI_lENKUlvE_clEvENKUlvE1_clEvEUlS7_S7_E_S7_EEDaPvRmT3_T4_T5_mT6_P12ihipStream_tbENKUlT_T0_E_clISt17integral_constantIbLb0EESZ_EEDaSU_SV_EUlSU_E0_NS1_11comp_targetILNS1_3genE3ELNS1_11target_archE908ELNS1_3gpuE7ELNS1_3repE0EEENS1_30default_config_static_selectorELNS0_4arch9wavefront6targetE1EEEvT1_,"axG",@progbits,_ZN7rocprim17ROCPRIM_400000_NS6detail17trampoline_kernelINS0_14default_configENS1_20scan_config_selectorIN3c107complexIdEEEEZZNS1_9scan_implILNS1_25lookback_scan_determinismE0ELb0ELb0ES3_PKS7_PS7_S7_ZZZN2at6native31launch_logcumsumexp_cuda_kernelERKNSE_10TensorBaseESI_lENKUlvE_clEvENKUlvE1_clEvEUlS7_S7_E_S7_EEDaPvRmT3_T4_T5_mT6_P12ihipStream_tbENKUlT_T0_E_clISt17integral_constantIbLb0EESZ_EEDaSU_SV_EUlSU_E0_NS1_11comp_targetILNS1_3genE3ELNS1_11target_archE908ELNS1_3gpuE7ELNS1_3repE0EEENS1_30default_config_static_selectorELNS0_4arch9wavefront6targetE1EEEvT1_,comdat
	.globl	_ZN7rocprim17ROCPRIM_400000_NS6detail17trampoline_kernelINS0_14default_configENS1_20scan_config_selectorIN3c107complexIdEEEEZZNS1_9scan_implILNS1_25lookback_scan_determinismE0ELb0ELb0ES3_PKS7_PS7_S7_ZZZN2at6native31launch_logcumsumexp_cuda_kernelERKNSE_10TensorBaseESI_lENKUlvE_clEvENKUlvE1_clEvEUlS7_S7_E_S7_EEDaPvRmT3_T4_T5_mT6_P12ihipStream_tbENKUlT_T0_E_clISt17integral_constantIbLb0EESZ_EEDaSU_SV_EUlSU_E0_NS1_11comp_targetILNS1_3genE3ELNS1_11target_archE908ELNS1_3gpuE7ELNS1_3repE0EEENS1_30default_config_static_selectorELNS0_4arch9wavefront6targetE1EEEvT1_ ; -- Begin function _ZN7rocprim17ROCPRIM_400000_NS6detail17trampoline_kernelINS0_14default_configENS1_20scan_config_selectorIN3c107complexIdEEEEZZNS1_9scan_implILNS1_25lookback_scan_determinismE0ELb0ELb0ES3_PKS7_PS7_S7_ZZZN2at6native31launch_logcumsumexp_cuda_kernelERKNSE_10TensorBaseESI_lENKUlvE_clEvENKUlvE1_clEvEUlS7_S7_E_S7_EEDaPvRmT3_T4_T5_mT6_P12ihipStream_tbENKUlT_T0_E_clISt17integral_constantIbLb0EESZ_EEDaSU_SV_EUlSU_E0_NS1_11comp_targetILNS1_3genE3ELNS1_11target_archE908ELNS1_3gpuE7ELNS1_3repE0EEENS1_30default_config_static_selectorELNS0_4arch9wavefront6targetE1EEEvT1_
	.p2align	8
	.type	_ZN7rocprim17ROCPRIM_400000_NS6detail17trampoline_kernelINS0_14default_configENS1_20scan_config_selectorIN3c107complexIdEEEEZZNS1_9scan_implILNS1_25lookback_scan_determinismE0ELb0ELb0ES3_PKS7_PS7_S7_ZZZN2at6native31launch_logcumsumexp_cuda_kernelERKNSE_10TensorBaseESI_lENKUlvE_clEvENKUlvE1_clEvEUlS7_S7_E_S7_EEDaPvRmT3_T4_T5_mT6_P12ihipStream_tbENKUlT_T0_E_clISt17integral_constantIbLb0EESZ_EEDaSU_SV_EUlSU_E0_NS1_11comp_targetILNS1_3genE3ELNS1_11target_archE908ELNS1_3gpuE7ELNS1_3repE0EEENS1_30default_config_static_selectorELNS0_4arch9wavefront6targetE1EEEvT1_,@function
_ZN7rocprim17ROCPRIM_400000_NS6detail17trampoline_kernelINS0_14default_configENS1_20scan_config_selectorIN3c107complexIdEEEEZZNS1_9scan_implILNS1_25lookback_scan_determinismE0ELb0ELb0ES3_PKS7_PS7_S7_ZZZN2at6native31launch_logcumsumexp_cuda_kernelERKNSE_10TensorBaseESI_lENKUlvE_clEvENKUlvE1_clEvEUlS7_S7_E_S7_EEDaPvRmT3_T4_T5_mT6_P12ihipStream_tbENKUlT_T0_E_clISt17integral_constantIbLb0EESZ_EEDaSU_SV_EUlSU_E0_NS1_11comp_targetILNS1_3genE3ELNS1_11target_archE908ELNS1_3gpuE7ELNS1_3repE0EEENS1_30default_config_static_selectorELNS0_4arch9wavefront6targetE1EEEvT1_: ; @_ZN7rocprim17ROCPRIM_400000_NS6detail17trampoline_kernelINS0_14default_configENS1_20scan_config_selectorIN3c107complexIdEEEEZZNS1_9scan_implILNS1_25lookback_scan_determinismE0ELb0ELb0ES3_PKS7_PS7_S7_ZZZN2at6native31launch_logcumsumexp_cuda_kernelERKNSE_10TensorBaseESI_lENKUlvE_clEvENKUlvE1_clEvEUlS7_S7_E_S7_EEDaPvRmT3_T4_T5_mT6_P12ihipStream_tbENKUlT_T0_E_clISt17integral_constantIbLb0EESZ_EEDaSU_SV_EUlSU_E0_NS1_11comp_targetILNS1_3genE3ELNS1_11target_archE908ELNS1_3gpuE7ELNS1_3repE0EEENS1_30default_config_static_selectorELNS0_4arch9wavefront6targetE1EEEvT1_
; %bb.0:
	.section	.rodata,"a",@progbits
	.p2align	6, 0x0
	.amdhsa_kernel _ZN7rocprim17ROCPRIM_400000_NS6detail17trampoline_kernelINS0_14default_configENS1_20scan_config_selectorIN3c107complexIdEEEEZZNS1_9scan_implILNS1_25lookback_scan_determinismE0ELb0ELb0ES3_PKS7_PS7_S7_ZZZN2at6native31launch_logcumsumexp_cuda_kernelERKNSE_10TensorBaseESI_lENKUlvE_clEvENKUlvE1_clEvEUlS7_S7_E_S7_EEDaPvRmT3_T4_T5_mT6_P12ihipStream_tbENKUlT_T0_E_clISt17integral_constantIbLb0EESZ_EEDaSU_SV_EUlSU_E0_NS1_11comp_targetILNS1_3genE3ELNS1_11target_archE908ELNS1_3gpuE7ELNS1_3repE0EEENS1_30default_config_static_selectorELNS0_4arch9wavefront6targetE1EEEvT1_
		.amdhsa_group_segment_fixed_size 0
		.amdhsa_private_segment_fixed_size 0
		.amdhsa_kernarg_size 48
		.amdhsa_user_sgpr_count 2
		.amdhsa_user_sgpr_dispatch_ptr 0
		.amdhsa_user_sgpr_queue_ptr 0
		.amdhsa_user_sgpr_kernarg_segment_ptr 1
		.amdhsa_user_sgpr_dispatch_id 0
		.amdhsa_user_sgpr_kernarg_preload_length 0
		.amdhsa_user_sgpr_kernarg_preload_offset 0
		.amdhsa_user_sgpr_private_segment_size 0
		.amdhsa_uses_dynamic_stack 0
		.amdhsa_enable_private_segment 0
		.amdhsa_system_sgpr_workgroup_id_x 1
		.amdhsa_system_sgpr_workgroup_id_y 0
		.amdhsa_system_sgpr_workgroup_id_z 0
		.amdhsa_system_sgpr_workgroup_info 0
		.amdhsa_system_vgpr_workitem_id 0
		.amdhsa_next_free_vgpr 1
		.amdhsa_next_free_sgpr 0
		.amdhsa_accum_offset 4
		.amdhsa_reserve_vcc 0
		.amdhsa_float_round_mode_32 0
		.amdhsa_float_round_mode_16_64 0
		.amdhsa_float_denorm_mode_32 3
		.amdhsa_float_denorm_mode_16_64 3
		.amdhsa_dx10_clamp 1
		.amdhsa_ieee_mode 1
		.amdhsa_fp16_overflow 0
		.amdhsa_tg_split 0
		.amdhsa_exception_fp_ieee_invalid_op 0
		.amdhsa_exception_fp_denorm_src 0
		.amdhsa_exception_fp_ieee_div_zero 0
		.amdhsa_exception_fp_ieee_overflow 0
		.amdhsa_exception_fp_ieee_underflow 0
		.amdhsa_exception_fp_ieee_inexact 0
		.amdhsa_exception_int_div_zero 0
	.end_amdhsa_kernel
	.section	.text._ZN7rocprim17ROCPRIM_400000_NS6detail17trampoline_kernelINS0_14default_configENS1_20scan_config_selectorIN3c107complexIdEEEEZZNS1_9scan_implILNS1_25lookback_scan_determinismE0ELb0ELb0ES3_PKS7_PS7_S7_ZZZN2at6native31launch_logcumsumexp_cuda_kernelERKNSE_10TensorBaseESI_lENKUlvE_clEvENKUlvE1_clEvEUlS7_S7_E_S7_EEDaPvRmT3_T4_T5_mT6_P12ihipStream_tbENKUlT_T0_E_clISt17integral_constantIbLb0EESZ_EEDaSU_SV_EUlSU_E0_NS1_11comp_targetILNS1_3genE3ELNS1_11target_archE908ELNS1_3gpuE7ELNS1_3repE0EEENS1_30default_config_static_selectorELNS0_4arch9wavefront6targetE1EEEvT1_,"axG",@progbits,_ZN7rocprim17ROCPRIM_400000_NS6detail17trampoline_kernelINS0_14default_configENS1_20scan_config_selectorIN3c107complexIdEEEEZZNS1_9scan_implILNS1_25lookback_scan_determinismE0ELb0ELb0ES3_PKS7_PS7_S7_ZZZN2at6native31launch_logcumsumexp_cuda_kernelERKNSE_10TensorBaseESI_lENKUlvE_clEvENKUlvE1_clEvEUlS7_S7_E_S7_EEDaPvRmT3_T4_T5_mT6_P12ihipStream_tbENKUlT_T0_E_clISt17integral_constantIbLb0EESZ_EEDaSU_SV_EUlSU_E0_NS1_11comp_targetILNS1_3genE3ELNS1_11target_archE908ELNS1_3gpuE7ELNS1_3repE0EEENS1_30default_config_static_selectorELNS0_4arch9wavefront6targetE1EEEvT1_,comdat
.Lfunc_end196:
	.size	_ZN7rocprim17ROCPRIM_400000_NS6detail17trampoline_kernelINS0_14default_configENS1_20scan_config_selectorIN3c107complexIdEEEEZZNS1_9scan_implILNS1_25lookback_scan_determinismE0ELb0ELb0ES3_PKS7_PS7_S7_ZZZN2at6native31launch_logcumsumexp_cuda_kernelERKNSE_10TensorBaseESI_lENKUlvE_clEvENKUlvE1_clEvEUlS7_S7_E_S7_EEDaPvRmT3_T4_T5_mT6_P12ihipStream_tbENKUlT_T0_E_clISt17integral_constantIbLb0EESZ_EEDaSU_SV_EUlSU_E0_NS1_11comp_targetILNS1_3genE3ELNS1_11target_archE908ELNS1_3gpuE7ELNS1_3repE0EEENS1_30default_config_static_selectorELNS0_4arch9wavefront6targetE1EEEvT1_, .Lfunc_end196-_ZN7rocprim17ROCPRIM_400000_NS6detail17trampoline_kernelINS0_14default_configENS1_20scan_config_selectorIN3c107complexIdEEEEZZNS1_9scan_implILNS1_25lookback_scan_determinismE0ELb0ELb0ES3_PKS7_PS7_S7_ZZZN2at6native31launch_logcumsumexp_cuda_kernelERKNSE_10TensorBaseESI_lENKUlvE_clEvENKUlvE1_clEvEUlS7_S7_E_S7_EEDaPvRmT3_T4_T5_mT6_P12ihipStream_tbENKUlT_T0_E_clISt17integral_constantIbLb0EESZ_EEDaSU_SV_EUlSU_E0_NS1_11comp_targetILNS1_3genE3ELNS1_11target_archE908ELNS1_3gpuE7ELNS1_3repE0EEENS1_30default_config_static_selectorELNS0_4arch9wavefront6targetE1EEEvT1_
                                        ; -- End function
	.set _ZN7rocprim17ROCPRIM_400000_NS6detail17trampoline_kernelINS0_14default_configENS1_20scan_config_selectorIN3c107complexIdEEEEZZNS1_9scan_implILNS1_25lookback_scan_determinismE0ELb0ELb0ES3_PKS7_PS7_S7_ZZZN2at6native31launch_logcumsumexp_cuda_kernelERKNSE_10TensorBaseESI_lENKUlvE_clEvENKUlvE1_clEvEUlS7_S7_E_S7_EEDaPvRmT3_T4_T5_mT6_P12ihipStream_tbENKUlT_T0_E_clISt17integral_constantIbLb0EESZ_EEDaSU_SV_EUlSU_E0_NS1_11comp_targetILNS1_3genE3ELNS1_11target_archE908ELNS1_3gpuE7ELNS1_3repE0EEENS1_30default_config_static_selectorELNS0_4arch9wavefront6targetE1EEEvT1_.num_vgpr, 0
	.set _ZN7rocprim17ROCPRIM_400000_NS6detail17trampoline_kernelINS0_14default_configENS1_20scan_config_selectorIN3c107complexIdEEEEZZNS1_9scan_implILNS1_25lookback_scan_determinismE0ELb0ELb0ES3_PKS7_PS7_S7_ZZZN2at6native31launch_logcumsumexp_cuda_kernelERKNSE_10TensorBaseESI_lENKUlvE_clEvENKUlvE1_clEvEUlS7_S7_E_S7_EEDaPvRmT3_T4_T5_mT6_P12ihipStream_tbENKUlT_T0_E_clISt17integral_constantIbLb0EESZ_EEDaSU_SV_EUlSU_E0_NS1_11comp_targetILNS1_3genE3ELNS1_11target_archE908ELNS1_3gpuE7ELNS1_3repE0EEENS1_30default_config_static_selectorELNS0_4arch9wavefront6targetE1EEEvT1_.num_agpr, 0
	.set _ZN7rocprim17ROCPRIM_400000_NS6detail17trampoline_kernelINS0_14default_configENS1_20scan_config_selectorIN3c107complexIdEEEEZZNS1_9scan_implILNS1_25lookback_scan_determinismE0ELb0ELb0ES3_PKS7_PS7_S7_ZZZN2at6native31launch_logcumsumexp_cuda_kernelERKNSE_10TensorBaseESI_lENKUlvE_clEvENKUlvE1_clEvEUlS7_S7_E_S7_EEDaPvRmT3_T4_T5_mT6_P12ihipStream_tbENKUlT_T0_E_clISt17integral_constantIbLb0EESZ_EEDaSU_SV_EUlSU_E0_NS1_11comp_targetILNS1_3genE3ELNS1_11target_archE908ELNS1_3gpuE7ELNS1_3repE0EEENS1_30default_config_static_selectorELNS0_4arch9wavefront6targetE1EEEvT1_.numbered_sgpr, 0
	.set _ZN7rocprim17ROCPRIM_400000_NS6detail17trampoline_kernelINS0_14default_configENS1_20scan_config_selectorIN3c107complexIdEEEEZZNS1_9scan_implILNS1_25lookback_scan_determinismE0ELb0ELb0ES3_PKS7_PS7_S7_ZZZN2at6native31launch_logcumsumexp_cuda_kernelERKNSE_10TensorBaseESI_lENKUlvE_clEvENKUlvE1_clEvEUlS7_S7_E_S7_EEDaPvRmT3_T4_T5_mT6_P12ihipStream_tbENKUlT_T0_E_clISt17integral_constantIbLb0EESZ_EEDaSU_SV_EUlSU_E0_NS1_11comp_targetILNS1_3genE3ELNS1_11target_archE908ELNS1_3gpuE7ELNS1_3repE0EEENS1_30default_config_static_selectorELNS0_4arch9wavefront6targetE1EEEvT1_.num_named_barrier, 0
	.set _ZN7rocprim17ROCPRIM_400000_NS6detail17trampoline_kernelINS0_14default_configENS1_20scan_config_selectorIN3c107complexIdEEEEZZNS1_9scan_implILNS1_25lookback_scan_determinismE0ELb0ELb0ES3_PKS7_PS7_S7_ZZZN2at6native31launch_logcumsumexp_cuda_kernelERKNSE_10TensorBaseESI_lENKUlvE_clEvENKUlvE1_clEvEUlS7_S7_E_S7_EEDaPvRmT3_T4_T5_mT6_P12ihipStream_tbENKUlT_T0_E_clISt17integral_constantIbLb0EESZ_EEDaSU_SV_EUlSU_E0_NS1_11comp_targetILNS1_3genE3ELNS1_11target_archE908ELNS1_3gpuE7ELNS1_3repE0EEENS1_30default_config_static_selectorELNS0_4arch9wavefront6targetE1EEEvT1_.private_seg_size, 0
	.set _ZN7rocprim17ROCPRIM_400000_NS6detail17trampoline_kernelINS0_14default_configENS1_20scan_config_selectorIN3c107complexIdEEEEZZNS1_9scan_implILNS1_25lookback_scan_determinismE0ELb0ELb0ES3_PKS7_PS7_S7_ZZZN2at6native31launch_logcumsumexp_cuda_kernelERKNSE_10TensorBaseESI_lENKUlvE_clEvENKUlvE1_clEvEUlS7_S7_E_S7_EEDaPvRmT3_T4_T5_mT6_P12ihipStream_tbENKUlT_T0_E_clISt17integral_constantIbLb0EESZ_EEDaSU_SV_EUlSU_E0_NS1_11comp_targetILNS1_3genE3ELNS1_11target_archE908ELNS1_3gpuE7ELNS1_3repE0EEENS1_30default_config_static_selectorELNS0_4arch9wavefront6targetE1EEEvT1_.uses_vcc, 0
	.set _ZN7rocprim17ROCPRIM_400000_NS6detail17trampoline_kernelINS0_14default_configENS1_20scan_config_selectorIN3c107complexIdEEEEZZNS1_9scan_implILNS1_25lookback_scan_determinismE0ELb0ELb0ES3_PKS7_PS7_S7_ZZZN2at6native31launch_logcumsumexp_cuda_kernelERKNSE_10TensorBaseESI_lENKUlvE_clEvENKUlvE1_clEvEUlS7_S7_E_S7_EEDaPvRmT3_T4_T5_mT6_P12ihipStream_tbENKUlT_T0_E_clISt17integral_constantIbLb0EESZ_EEDaSU_SV_EUlSU_E0_NS1_11comp_targetILNS1_3genE3ELNS1_11target_archE908ELNS1_3gpuE7ELNS1_3repE0EEENS1_30default_config_static_selectorELNS0_4arch9wavefront6targetE1EEEvT1_.uses_flat_scratch, 0
	.set _ZN7rocprim17ROCPRIM_400000_NS6detail17trampoline_kernelINS0_14default_configENS1_20scan_config_selectorIN3c107complexIdEEEEZZNS1_9scan_implILNS1_25lookback_scan_determinismE0ELb0ELb0ES3_PKS7_PS7_S7_ZZZN2at6native31launch_logcumsumexp_cuda_kernelERKNSE_10TensorBaseESI_lENKUlvE_clEvENKUlvE1_clEvEUlS7_S7_E_S7_EEDaPvRmT3_T4_T5_mT6_P12ihipStream_tbENKUlT_T0_E_clISt17integral_constantIbLb0EESZ_EEDaSU_SV_EUlSU_E0_NS1_11comp_targetILNS1_3genE3ELNS1_11target_archE908ELNS1_3gpuE7ELNS1_3repE0EEENS1_30default_config_static_selectorELNS0_4arch9wavefront6targetE1EEEvT1_.has_dyn_sized_stack, 0
	.set _ZN7rocprim17ROCPRIM_400000_NS6detail17trampoline_kernelINS0_14default_configENS1_20scan_config_selectorIN3c107complexIdEEEEZZNS1_9scan_implILNS1_25lookback_scan_determinismE0ELb0ELb0ES3_PKS7_PS7_S7_ZZZN2at6native31launch_logcumsumexp_cuda_kernelERKNSE_10TensorBaseESI_lENKUlvE_clEvENKUlvE1_clEvEUlS7_S7_E_S7_EEDaPvRmT3_T4_T5_mT6_P12ihipStream_tbENKUlT_T0_E_clISt17integral_constantIbLb0EESZ_EEDaSU_SV_EUlSU_E0_NS1_11comp_targetILNS1_3genE3ELNS1_11target_archE908ELNS1_3gpuE7ELNS1_3repE0EEENS1_30default_config_static_selectorELNS0_4arch9wavefront6targetE1EEEvT1_.has_recursion, 0
	.set _ZN7rocprim17ROCPRIM_400000_NS6detail17trampoline_kernelINS0_14default_configENS1_20scan_config_selectorIN3c107complexIdEEEEZZNS1_9scan_implILNS1_25lookback_scan_determinismE0ELb0ELb0ES3_PKS7_PS7_S7_ZZZN2at6native31launch_logcumsumexp_cuda_kernelERKNSE_10TensorBaseESI_lENKUlvE_clEvENKUlvE1_clEvEUlS7_S7_E_S7_EEDaPvRmT3_T4_T5_mT6_P12ihipStream_tbENKUlT_T0_E_clISt17integral_constantIbLb0EESZ_EEDaSU_SV_EUlSU_E0_NS1_11comp_targetILNS1_3genE3ELNS1_11target_archE908ELNS1_3gpuE7ELNS1_3repE0EEENS1_30default_config_static_selectorELNS0_4arch9wavefront6targetE1EEEvT1_.has_indirect_call, 0
	.section	.AMDGPU.csdata,"",@progbits
; Kernel info:
; codeLenInByte = 0
; TotalNumSgprs: 6
; NumVgprs: 0
; NumAgprs: 0
; TotalNumVgprs: 0
; ScratchSize: 0
; MemoryBound: 0
; FloatMode: 240
; IeeeMode: 1
; LDSByteSize: 0 bytes/workgroup (compile time only)
; SGPRBlocks: 0
; VGPRBlocks: 0
; NumSGPRsForWavesPerEU: 6
; NumVGPRsForWavesPerEU: 1
; AccumOffset: 4
; Occupancy: 8
; WaveLimiterHint : 0
; COMPUTE_PGM_RSRC2:SCRATCH_EN: 0
; COMPUTE_PGM_RSRC2:USER_SGPR: 2
; COMPUTE_PGM_RSRC2:TRAP_HANDLER: 0
; COMPUTE_PGM_RSRC2:TGID_X_EN: 1
; COMPUTE_PGM_RSRC2:TGID_Y_EN: 0
; COMPUTE_PGM_RSRC2:TGID_Z_EN: 0
; COMPUTE_PGM_RSRC2:TIDIG_COMP_CNT: 0
; COMPUTE_PGM_RSRC3_GFX90A:ACCUM_OFFSET: 0
; COMPUTE_PGM_RSRC3_GFX90A:TG_SPLIT: 0
	.section	.text._ZN7rocprim17ROCPRIM_400000_NS6detail17trampoline_kernelINS0_14default_configENS1_20scan_config_selectorIN3c107complexIdEEEEZZNS1_9scan_implILNS1_25lookback_scan_determinismE0ELb0ELb0ES3_PKS7_PS7_S7_ZZZN2at6native31launch_logcumsumexp_cuda_kernelERKNSE_10TensorBaseESI_lENKUlvE_clEvENKUlvE1_clEvEUlS7_S7_E_S7_EEDaPvRmT3_T4_T5_mT6_P12ihipStream_tbENKUlT_T0_E_clISt17integral_constantIbLb0EESZ_EEDaSU_SV_EUlSU_E0_NS1_11comp_targetILNS1_3genE2ELNS1_11target_archE906ELNS1_3gpuE6ELNS1_3repE0EEENS1_30default_config_static_selectorELNS0_4arch9wavefront6targetE1EEEvT1_,"axG",@progbits,_ZN7rocprim17ROCPRIM_400000_NS6detail17trampoline_kernelINS0_14default_configENS1_20scan_config_selectorIN3c107complexIdEEEEZZNS1_9scan_implILNS1_25lookback_scan_determinismE0ELb0ELb0ES3_PKS7_PS7_S7_ZZZN2at6native31launch_logcumsumexp_cuda_kernelERKNSE_10TensorBaseESI_lENKUlvE_clEvENKUlvE1_clEvEUlS7_S7_E_S7_EEDaPvRmT3_T4_T5_mT6_P12ihipStream_tbENKUlT_T0_E_clISt17integral_constantIbLb0EESZ_EEDaSU_SV_EUlSU_E0_NS1_11comp_targetILNS1_3genE2ELNS1_11target_archE906ELNS1_3gpuE6ELNS1_3repE0EEENS1_30default_config_static_selectorELNS0_4arch9wavefront6targetE1EEEvT1_,comdat
	.globl	_ZN7rocprim17ROCPRIM_400000_NS6detail17trampoline_kernelINS0_14default_configENS1_20scan_config_selectorIN3c107complexIdEEEEZZNS1_9scan_implILNS1_25lookback_scan_determinismE0ELb0ELb0ES3_PKS7_PS7_S7_ZZZN2at6native31launch_logcumsumexp_cuda_kernelERKNSE_10TensorBaseESI_lENKUlvE_clEvENKUlvE1_clEvEUlS7_S7_E_S7_EEDaPvRmT3_T4_T5_mT6_P12ihipStream_tbENKUlT_T0_E_clISt17integral_constantIbLb0EESZ_EEDaSU_SV_EUlSU_E0_NS1_11comp_targetILNS1_3genE2ELNS1_11target_archE906ELNS1_3gpuE6ELNS1_3repE0EEENS1_30default_config_static_selectorELNS0_4arch9wavefront6targetE1EEEvT1_ ; -- Begin function _ZN7rocprim17ROCPRIM_400000_NS6detail17trampoline_kernelINS0_14default_configENS1_20scan_config_selectorIN3c107complexIdEEEEZZNS1_9scan_implILNS1_25lookback_scan_determinismE0ELb0ELb0ES3_PKS7_PS7_S7_ZZZN2at6native31launch_logcumsumexp_cuda_kernelERKNSE_10TensorBaseESI_lENKUlvE_clEvENKUlvE1_clEvEUlS7_S7_E_S7_EEDaPvRmT3_T4_T5_mT6_P12ihipStream_tbENKUlT_T0_E_clISt17integral_constantIbLb0EESZ_EEDaSU_SV_EUlSU_E0_NS1_11comp_targetILNS1_3genE2ELNS1_11target_archE906ELNS1_3gpuE6ELNS1_3repE0EEENS1_30default_config_static_selectorELNS0_4arch9wavefront6targetE1EEEvT1_
	.p2align	8
	.type	_ZN7rocprim17ROCPRIM_400000_NS6detail17trampoline_kernelINS0_14default_configENS1_20scan_config_selectorIN3c107complexIdEEEEZZNS1_9scan_implILNS1_25lookback_scan_determinismE0ELb0ELb0ES3_PKS7_PS7_S7_ZZZN2at6native31launch_logcumsumexp_cuda_kernelERKNSE_10TensorBaseESI_lENKUlvE_clEvENKUlvE1_clEvEUlS7_S7_E_S7_EEDaPvRmT3_T4_T5_mT6_P12ihipStream_tbENKUlT_T0_E_clISt17integral_constantIbLb0EESZ_EEDaSU_SV_EUlSU_E0_NS1_11comp_targetILNS1_3genE2ELNS1_11target_archE906ELNS1_3gpuE6ELNS1_3repE0EEENS1_30default_config_static_selectorELNS0_4arch9wavefront6targetE1EEEvT1_,@function
_ZN7rocprim17ROCPRIM_400000_NS6detail17trampoline_kernelINS0_14default_configENS1_20scan_config_selectorIN3c107complexIdEEEEZZNS1_9scan_implILNS1_25lookback_scan_determinismE0ELb0ELb0ES3_PKS7_PS7_S7_ZZZN2at6native31launch_logcumsumexp_cuda_kernelERKNSE_10TensorBaseESI_lENKUlvE_clEvENKUlvE1_clEvEUlS7_S7_E_S7_EEDaPvRmT3_T4_T5_mT6_P12ihipStream_tbENKUlT_T0_E_clISt17integral_constantIbLb0EESZ_EEDaSU_SV_EUlSU_E0_NS1_11comp_targetILNS1_3genE2ELNS1_11target_archE906ELNS1_3gpuE6ELNS1_3repE0EEENS1_30default_config_static_selectorELNS0_4arch9wavefront6targetE1EEEvT1_: ; @_ZN7rocprim17ROCPRIM_400000_NS6detail17trampoline_kernelINS0_14default_configENS1_20scan_config_selectorIN3c107complexIdEEEEZZNS1_9scan_implILNS1_25lookback_scan_determinismE0ELb0ELb0ES3_PKS7_PS7_S7_ZZZN2at6native31launch_logcumsumexp_cuda_kernelERKNSE_10TensorBaseESI_lENKUlvE_clEvENKUlvE1_clEvEUlS7_S7_E_S7_EEDaPvRmT3_T4_T5_mT6_P12ihipStream_tbENKUlT_T0_E_clISt17integral_constantIbLb0EESZ_EEDaSU_SV_EUlSU_E0_NS1_11comp_targetILNS1_3genE2ELNS1_11target_archE906ELNS1_3gpuE6ELNS1_3repE0EEENS1_30default_config_static_selectorELNS0_4arch9wavefront6targetE1EEEvT1_
; %bb.0:
	.section	.rodata,"a",@progbits
	.p2align	6, 0x0
	.amdhsa_kernel _ZN7rocprim17ROCPRIM_400000_NS6detail17trampoline_kernelINS0_14default_configENS1_20scan_config_selectorIN3c107complexIdEEEEZZNS1_9scan_implILNS1_25lookback_scan_determinismE0ELb0ELb0ES3_PKS7_PS7_S7_ZZZN2at6native31launch_logcumsumexp_cuda_kernelERKNSE_10TensorBaseESI_lENKUlvE_clEvENKUlvE1_clEvEUlS7_S7_E_S7_EEDaPvRmT3_T4_T5_mT6_P12ihipStream_tbENKUlT_T0_E_clISt17integral_constantIbLb0EESZ_EEDaSU_SV_EUlSU_E0_NS1_11comp_targetILNS1_3genE2ELNS1_11target_archE906ELNS1_3gpuE6ELNS1_3repE0EEENS1_30default_config_static_selectorELNS0_4arch9wavefront6targetE1EEEvT1_
		.amdhsa_group_segment_fixed_size 0
		.amdhsa_private_segment_fixed_size 0
		.amdhsa_kernarg_size 48
		.amdhsa_user_sgpr_count 2
		.amdhsa_user_sgpr_dispatch_ptr 0
		.amdhsa_user_sgpr_queue_ptr 0
		.amdhsa_user_sgpr_kernarg_segment_ptr 1
		.amdhsa_user_sgpr_dispatch_id 0
		.amdhsa_user_sgpr_kernarg_preload_length 0
		.amdhsa_user_sgpr_kernarg_preload_offset 0
		.amdhsa_user_sgpr_private_segment_size 0
		.amdhsa_uses_dynamic_stack 0
		.amdhsa_enable_private_segment 0
		.amdhsa_system_sgpr_workgroup_id_x 1
		.amdhsa_system_sgpr_workgroup_id_y 0
		.amdhsa_system_sgpr_workgroup_id_z 0
		.amdhsa_system_sgpr_workgroup_info 0
		.amdhsa_system_vgpr_workitem_id 0
		.amdhsa_next_free_vgpr 1
		.amdhsa_next_free_sgpr 0
		.amdhsa_accum_offset 4
		.amdhsa_reserve_vcc 0
		.amdhsa_float_round_mode_32 0
		.amdhsa_float_round_mode_16_64 0
		.amdhsa_float_denorm_mode_32 3
		.amdhsa_float_denorm_mode_16_64 3
		.amdhsa_dx10_clamp 1
		.amdhsa_ieee_mode 1
		.amdhsa_fp16_overflow 0
		.amdhsa_tg_split 0
		.amdhsa_exception_fp_ieee_invalid_op 0
		.amdhsa_exception_fp_denorm_src 0
		.amdhsa_exception_fp_ieee_div_zero 0
		.amdhsa_exception_fp_ieee_overflow 0
		.amdhsa_exception_fp_ieee_underflow 0
		.amdhsa_exception_fp_ieee_inexact 0
		.amdhsa_exception_int_div_zero 0
	.end_amdhsa_kernel
	.section	.text._ZN7rocprim17ROCPRIM_400000_NS6detail17trampoline_kernelINS0_14default_configENS1_20scan_config_selectorIN3c107complexIdEEEEZZNS1_9scan_implILNS1_25lookback_scan_determinismE0ELb0ELb0ES3_PKS7_PS7_S7_ZZZN2at6native31launch_logcumsumexp_cuda_kernelERKNSE_10TensorBaseESI_lENKUlvE_clEvENKUlvE1_clEvEUlS7_S7_E_S7_EEDaPvRmT3_T4_T5_mT6_P12ihipStream_tbENKUlT_T0_E_clISt17integral_constantIbLb0EESZ_EEDaSU_SV_EUlSU_E0_NS1_11comp_targetILNS1_3genE2ELNS1_11target_archE906ELNS1_3gpuE6ELNS1_3repE0EEENS1_30default_config_static_selectorELNS0_4arch9wavefront6targetE1EEEvT1_,"axG",@progbits,_ZN7rocprim17ROCPRIM_400000_NS6detail17trampoline_kernelINS0_14default_configENS1_20scan_config_selectorIN3c107complexIdEEEEZZNS1_9scan_implILNS1_25lookback_scan_determinismE0ELb0ELb0ES3_PKS7_PS7_S7_ZZZN2at6native31launch_logcumsumexp_cuda_kernelERKNSE_10TensorBaseESI_lENKUlvE_clEvENKUlvE1_clEvEUlS7_S7_E_S7_EEDaPvRmT3_T4_T5_mT6_P12ihipStream_tbENKUlT_T0_E_clISt17integral_constantIbLb0EESZ_EEDaSU_SV_EUlSU_E0_NS1_11comp_targetILNS1_3genE2ELNS1_11target_archE906ELNS1_3gpuE6ELNS1_3repE0EEENS1_30default_config_static_selectorELNS0_4arch9wavefront6targetE1EEEvT1_,comdat
.Lfunc_end197:
	.size	_ZN7rocprim17ROCPRIM_400000_NS6detail17trampoline_kernelINS0_14default_configENS1_20scan_config_selectorIN3c107complexIdEEEEZZNS1_9scan_implILNS1_25lookback_scan_determinismE0ELb0ELb0ES3_PKS7_PS7_S7_ZZZN2at6native31launch_logcumsumexp_cuda_kernelERKNSE_10TensorBaseESI_lENKUlvE_clEvENKUlvE1_clEvEUlS7_S7_E_S7_EEDaPvRmT3_T4_T5_mT6_P12ihipStream_tbENKUlT_T0_E_clISt17integral_constantIbLb0EESZ_EEDaSU_SV_EUlSU_E0_NS1_11comp_targetILNS1_3genE2ELNS1_11target_archE906ELNS1_3gpuE6ELNS1_3repE0EEENS1_30default_config_static_selectorELNS0_4arch9wavefront6targetE1EEEvT1_, .Lfunc_end197-_ZN7rocprim17ROCPRIM_400000_NS6detail17trampoline_kernelINS0_14default_configENS1_20scan_config_selectorIN3c107complexIdEEEEZZNS1_9scan_implILNS1_25lookback_scan_determinismE0ELb0ELb0ES3_PKS7_PS7_S7_ZZZN2at6native31launch_logcumsumexp_cuda_kernelERKNSE_10TensorBaseESI_lENKUlvE_clEvENKUlvE1_clEvEUlS7_S7_E_S7_EEDaPvRmT3_T4_T5_mT6_P12ihipStream_tbENKUlT_T0_E_clISt17integral_constantIbLb0EESZ_EEDaSU_SV_EUlSU_E0_NS1_11comp_targetILNS1_3genE2ELNS1_11target_archE906ELNS1_3gpuE6ELNS1_3repE0EEENS1_30default_config_static_selectorELNS0_4arch9wavefront6targetE1EEEvT1_
                                        ; -- End function
	.set _ZN7rocprim17ROCPRIM_400000_NS6detail17trampoline_kernelINS0_14default_configENS1_20scan_config_selectorIN3c107complexIdEEEEZZNS1_9scan_implILNS1_25lookback_scan_determinismE0ELb0ELb0ES3_PKS7_PS7_S7_ZZZN2at6native31launch_logcumsumexp_cuda_kernelERKNSE_10TensorBaseESI_lENKUlvE_clEvENKUlvE1_clEvEUlS7_S7_E_S7_EEDaPvRmT3_T4_T5_mT6_P12ihipStream_tbENKUlT_T0_E_clISt17integral_constantIbLb0EESZ_EEDaSU_SV_EUlSU_E0_NS1_11comp_targetILNS1_3genE2ELNS1_11target_archE906ELNS1_3gpuE6ELNS1_3repE0EEENS1_30default_config_static_selectorELNS0_4arch9wavefront6targetE1EEEvT1_.num_vgpr, 0
	.set _ZN7rocprim17ROCPRIM_400000_NS6detail17trampoline_kernelINS0_14default_configENS1_20scan_config_selectorIN3c107complexIdEEEEZZNS1_9scan_implILNS1_25lookback_scan_determinismE0ELb0ELb0ES3_PKS7_PS7_S7_ZZZN2at6native31launch_logcumsumexp_cuda_kernelERKNSE_10TensorBaseESI_lENKUlvE_clEvENKUlvE1_clEvEUlS7_S7_E_S7_EEDaPvRmT3_T4_T5_mT6_P12ihipStream_tbENKUlT_T0_E_clISt17integral_constantIbLb0EESZ_EEDaSU_SV_EUlSU_E0_NS1_11comp_targetILNS1_3genE2ELNS1_11target_archE906ELNS1_3gpuE6ELNS1_3repE0EEENS1_30default_config_static_selectorELNS0_4arch9wavefront6targetE1EEEvT1_.num_agpr, 0
	.set _ZN7rocprim17ROCPRIM_400000_NS6detail17trampoline_kernelINS0_14default_configENS1_20scan_config_selectorIN3c107complexIdEEEEZZNS1_9scan_implILNS1_25lookback_scan_determinismE0ELb0ELb0ES3_PKS7_PS7_S7_ZZZN2at6native31launch_logcumsumexp_cuda_kernelERKNSE_10TensorBaseESI_lENKUlvE_clEvENKUlvE1_clEvEUlS7_S7_E_S7_EEDaPvRmT3_T4_T5_mT6_P12ihipStream_tbENKUlT_T0_E_clISt17integral_constantIbLb0EESZ_EEDaSU_SV_EUlSU_E0_NS1_11comp_targetILNS1_3genE2ELNS1_11target_archE906ELNS1_3gpuE6ELNS1_3repE0EEENS1_30default_config_static_selectorELNS0_4arch9wavefront6targetE1EEEvT1_.numbered_sgpr, 0
	.set _ZN7rocprim17ROCPRIM_400000_NS6detail17trampoline_kernelINS0_14default_configENS1_20scan_config_selectorIN3c107complexIdEEEEZZNS1_9scan_implILNS1_25lookback_scan_determinismE0ELb0ELb0ES3_PKS7_PS7_S7_ZZZN2at6native31launch_logcumsumexp_cuda_kernelERKNSE_10TensorBaseESI_lENKUlvE_clEvENKUlvE1_clEvEUlS7_S7_E_S7_EEDaPvRmT3_T4_T5_mT6_P12ihipStream_tbENKUlT_T0_E_clISt17integral_constantIbLb0EESZ_EEDaSU_SV_EUlSU_E0_NS1_11comp_targetILNS1_3genE2ELNS1_11target_archE906ELNS1_3gpuE6ELNS1_3repE0EEENS1_30default_config_static_selectorELNS0_4arch9wavefront6targetE1EEEvT1_.num_named_barrier, 0
	.set _ZN7rocprim17ROCPRIM_400000_NS6detail17trampoline_kernelINS0_14default_configENS1_20scan_config_selectorIN3c107complexIdEEEEZZNS1_9scan_implILNS1_25lookback_scan_determinismE0ELb0ELb0ES3_PKS7_PS7_S7_ZZZN2at6native31launch_logcumsumexp_cuda_kernelERKNSE_10TensorBaseESI_lENKUlvE_clEvENKUlvE1_clEvEUlS7_S7_E_S7_EEDaPvRmT3_T4_T5_mT6_P12ihipStream_tbENKUlT_T0_E_clISt17integral_constantIbLb0EESZ_EEDaSU_SV_EUlSU_E0_NS1_11comp_targetILNS1_3genE2ELNS1_11target_archE906ELNS1_3gpuE6ELNS1_3repE0EEENS1_30default_config_static_selectorELNS0_4arch9wavefront6targetE1EEEvT1_.private_seg_size, 0
	.set _ZN7rocprim17ROCPRIM_400000_NS6detail17trampoline_kernelINS0_14default_configENS1_20scan_config_selectorIN3c107complexIdEEEEZZNS1_9scan_implILNS1_25lookback_scan_determinismE0ELb0ELb0ES3_PKS7_PS7_S7_ZZZN2at6native31launch_logcumsumexp_cuda_kernelERKNSE_10TensorBaseESI_lENKUlvE_clEvENKUlvE1_clEvEUlS7_S7_E_S7_EEDaPvRmT3_T4_T5_mT6_P12ihipStream_tbENKUlT_T0_E_clISt17integral_constantIbLb0EESZ_EEDaSU_SV_EUlSU_E0_NS1_11comp_targetILNS1_3genE2ELNS1_11target_archE906ELNS1_3gpuE6ELNS1_3repE0EEENS1_30default_config_static_selectorELNS0_4arch9wavefront6targetE1EEEvT1_.uses_vcc, 0
	.set _ZN7rocprim17ROCPRIM_400000_NS6detail17trampoline_kernelINS0_14default_configENS1_20scan_config_selectorIN3c107complexIdEEEEZZNS1_9scan_implILNS1_25lookback_scan_determinismE0ELb0ELb0ES3_PKS7_PS7_S7_ZZZN2at6native31launch_logcumsumexp_cuda_kernelERKNSE_10TensorBaseESI_lENKUlvE_clEvENKUlvE1_clEvEUlS7_S7_E_S7_EEDaPvRmT3_T4_T5_mT6_P12ihipStream_tbENKUlT_T0_E_clISt17integral_constantIbLb0EESZ_EEDaSU_SV_EUlSU_E0_NS1_11comp_targetILNS1_3genE2ELNS1_11target_archE906ELNS1_3gpuE6ELNS1_3repE0EEENS1_30default_config_static_selectorELNS0_4arch9wavefront6targetE1EEEvT1_.uses_flat_scratch, 0
	.set _ZN7rocprim17ROCPRIM_400000_NS6detail17trampoline_kernelINS0_14default_configENS1_20scan_config_selectorIN3c107complexIdEEEEZZNS1_9scan_implILNS1_25lookback_scan_determinismE0ELb0ELb0ES3_PKS7_PS7_S7_ZZZN2at6native31launch_logcumsumexp_cuda_kernelERKNSE_10TensorBaseESI_lENKUlvE_clEvENKUlvE1_clEvEUlS7_S7_E_S7_EEDaPvRmT3_T4_T5_mT6_P12ihipStream_tbENKUlT_T0_E_clISt17integral_constantIbLb0EESZ_EEDaSU_SV_EUlSU_E0_NS1_11comp_targetILNS1_3genE2ELNS1_11target_archE906ELNS1_3gpuE6ELNS1_3repE0EEENS1_30default_config_static_selectorELNS0_4arch9wavefront6targetE1EEEvT1_.has_dyn_sized_stack, 0
	.set _ZN7rocprim17ROCPRIM_400000_NS6detail17trampoline_kernelINS0_14default_configENS1_20scan_config_selectorIN3c107complexIdEEEEZZNS1_9scan_implILNS1_25lookback_scan_determinismE0ELb0ELb0ES3_PKS7_PS7_S7_ZZZN2at6native31launch_logcumsumexp_cuda_kernelERKNSE_10TensorBaseESI_lENKUlvE_clEvENKUlvE1_clEvEUlS7_S7_E_S7_EEDaPvRmT3_T4_T5_mT6_P12ihipStream_tbENKUlT_T0_E_clISt17integral_constantIbLb0EESZ_EEDaSU_SV_EUlSU_E0_NS1_11comp_targetILNS1_3genE2ELNS1_11target_archE906ELNS1_3gpuE6ELNS1_3repE0EEENS1_30default_config_static_selectorELNS0_4arch9wavefront6targetE1EEEvT1_.has_recursion, 0
	.set _ZN7rocprim17ROCPRIM_400000_NS6detail17trampoline_kernelINS0_14default_configENS1_20scan_config_selectorIN3c107complexIdEEEEZZNS1_9scan_implILNS1_25lookback_scan_determinismE0ELb0ELb0ES3_PKS7_PS7_S7_ZZZN2at6native31launch_logcumsumexp_cuda_kernelERKNSE_10TensorBaseESI_lENKUlvE_clEvENKUlvE1_clEvEUlS7_S7_E_S7_EEDaPvRmT3_T4_T5_mT6_P12ihipStream_tbENKUlT_T0_E_clISt17integral_constantIbLb0EESZ_EEDaSU_SV_EUlSU_E0_NS1_11comp_targetILNS1_3genE2ELNS1_11target_archE906ELNS1_3gpuE6ELNS1_3repE0EEENS1_30default_config_static_selectorELNS0_4arch9wavefront6targetE1EEEvT1_.has_indirect_call, 0
	.section	.AMDGPU.csdata,"",@progbits
; Kernel info:
; codeLenInByte = 0
; TotalNumSgprs: 6
; NumVgprs: 0
; NumAgprs: 0
; TotalNumVgprs: 0
; ScratchSize: 0
; MemoryBound: 0
; FloatMode: 240
; IeeeMode: 1
; LDSByteSize: 0 bytes/workgroup (compile time only)
; SGPRBlocks: 0
; VGPRBlocks: 0
; NumSGPRsForWavesPerEU: 6
; NumVGPRsForWavesPerEU: 1
; AccumOffset: 4
; Occupancy: 8
; WaveLimiterHint : 0
; COMPUTE_PGM_RSRC2:SCRATCH_EN: 0
; COMPUTE_PGM_RSRC2:USER_SGPR: 2
; COMPUTE_PGM_RSRC2:TRAP_HANDLER: 0
; COMPUTE_PGM_RSRC2:TGID_X_EN: 1
; COMPUTE_PGM_RSRC2:TGID_Y_EN: 0
; COMPUTE_PGM_RSRC2:TGID_Z_EN: 0
; COMPUTE_PGM_RSRC2:TIDIG_COMP_CNT: 0
; COMPUTE_PGM_RSRC3_GFX90A:ACCUM_OFFSET: 0
; COMPUTE_PGM_RSRC3_GFX90A:TG_SPLIT: 0
	.section	.text._ZN7rocprim17ROCPRIM_400000_NS6detail17trampoline_kernelINS0_14default_configENS1_20scan_config_selectorIN3c107complexIdEEEEZZNS1_9scan_implILNS1_25lookback_scan_determinismE0ELb0ELb0ES3_PKS7_PS7_S7_ZZZN2at6native31launch_logcumsumexp_cuda_kernelERKNSE_10TensorBaseESI_lENKUlvE_clEvENKUlvE1_clEvEUlS7_S7_E_S7_EEDaPvRmT3_T4_T5_mT6_P12ihipStream_tbENKUlT_T0_E_clISt17integral_constantIbLb0EESZ_EEDaSU_SV_EUlSU_E0_NS1_11comp_targetILNS1_3genE10ELNS1_11target_archE1201ELNS1_3gpuE5ELNS1_3repE0EEENS1_30default_config_static_selectorELNS0_4arch9wavefront6targetE1EEEvT1_,"axG",@progbits,_ZN7rocprim17ROCPRIM_400000_NS6detail17trampoline_kernelINS0_14default_configENS1_20scan_config_selectorIN3c107complexIdEEEEZZNS1_9scan_implILNS1_25lookback_scan_determinismE0ELb0ELb0ES3_PKS7_PS7_S7_ZZZN2at6native31launch_logcumsumexp_cuda_kernelERKNSE_10TensorBaseESI_lENKUlvE_clEvENKUlvE1_clEvEUlS7_S7_E_S7_EEDaPvRmT3_T4_T5_mT6_P12ihipStream_tbENKUlT_T0_E_clISt17integral_constantIbLb0EESZ_EEDaSU_SV_EUlSU_E0_NS1_11comp_targetILNS1_3genE10ELNS1_11target_archE1201ELNS1_3gpuE5ELNS1_3repE0EEENS1_30default_config_static_selectorELNS0_4arch9wavefront6targetE1EEEvT1_,comdat
	.globl	_ZN7rocprim17ROCPRIM_400000_NS6detail17trampoline_kernelINS0_14default_configENS1_20scan_config_selectorIN3c107complexIdEEEEZZNS1_9scan_implILNS1_25lookback_scan_determinismE0ELb0ELb0ES3_PKS7_PS7_S7_ZZZN2at6native31launch_logcumsumexp_cuda_kernelERKNSE_10TensorBaseESI_lENKUlvE_clEvENKUlvE1_clEvEUlS7_S7_E_S7_EEDaPvRmT3_T4_T5_mT6_P12ihipStream_tbENKUlT_T0_E_clISt17integral_constantIbLb0EESZ_EEDaSU_SV_EUlSU_E0_NS1_11comp_targetILNS1_3genE10ELNS1_11target_archE1201ELNS1_3gpuE5ELNS1_3repE0EEENS1_30default_config_static_selectorELNS0_4arch9wavefront6targetE1EEEvT1_ ; -- Begin function _ZN7rocprim17ROCPRIM_400000_NS6detail17trampoline_kernelINS0_14default_configENS1_20scan_config_selectorIN3c107complexIdEEEEZZNS1_9scan_implILNS1_25lookback_scan_determinismE0ELb0ELb0ES3_PKS7_PS7_S7_ZZZN2at6native31launch_logcumsumexp_cuda_kernelERKNSE_10TensorBaseESI_lENKUlvE_clEvENKUlvE1_clEvEUlS7_S7_E_S7_EEDaPvRmT3_T4_T5_mT6_P12ihipStream_tbENKUlT_T0_E_clISt17integral_constantIbLb0EESZ_EEDaSU_SV_EUlSU_E0_NS1_11comp_targetILNS1_3genE10ELNS1_11target_archE1201ELNS1_3gpuE5ELNS1_3repE0EEENS1_30default_config_static_selectorELNS0_4arch9wavefront6targetE1EEEvT1_
	.p2align	8
	.type	_ZN7rocprim17ROCPRIM_400000_NS6detail17trampoline_kernelINS0_14default_configENS1_20scan_config_selectorIN3c107complexIdEEEEZZNS1_9scan_implILNS1_25lookback_scan_determinismE0ELb0ELb0ES3_PKS7_PS7_S7_ZZZN2at6native31launch_logcumsumexp_cuda_kernelERKNSE_10TensorBaseESI_lENKUlvE_clEvENKUlvE1_clEvEUlS7_S7_E_S7_EEDaPvRmT3_T4_T5_mT6_P12ihipStream_tbENKUlT_T0_E_clISt17integral_constantIbLb0EESZ_EEDaSU_SV_EUlSU_E0_NS1_11comp_targetILNS1_3genE10ELNS1_11target_archE1201ELNS1_3gpuE5ELNS1_3repE0EEENS1_30default_config_static_selectorELNS0_4arch9wavefront6targetE1EEEvT1_,@function
_ZN7rocprim17ROCPRIM_400000_NS6detail17trampoline_kernelINS0_14default_configENS1_20scan_config_selectorIN3c107complexIdEEEEZZNS1_9scan_implILNS1_25lookback_scan_determinismE0ELb0ELb0ES3_PKS7_PS7_S7_ZZZN2at6native31launch_logcumsumexp_cuda_kernelERKNSE_10TensorBaseESI_lENKUlvE_clEvENKUlvE1_clEvEUlS7_S7_E_S7_EEDaPvRmT3_T4_T5_mT6_P12ihipStream_tbENKUlT_T0_E_clISt17integral_constantIbLb0EESZ_EEDaSU_SV_EUlSU_E0_NS1_11comp_targetILNS1_3genE10ELNS1_11target_archE1201ELNS1_3gpuE5ELNS1_3repE0EEENS1_30default_config_static_selectorELNS0_4arch9wavefront6targetE1EEEvT1_: ; @_ZN7rocprim17ROCPRIM_400000_NS6detail17trampoline_kernelINS0_14default_configENS1_20scan_config_selectorIN3c107complexIdEEEEZZNS1_9scan_implILNS1_25lookback_scan_determinismE0ELb0ELb0ES3_PKS7_PS7_S7_ZZZN2at6native31launch_logcumsumexp_cuda_kernelERKNSE_10TensorBaseESI_lENKUlvE_clEvENKUlvE1_clEvEUlS7_S7_E_S7_EEDaPvRmT3_T4_T5_mT6_P12ihipStream_tbENKUlT_T0_E_clISt17integral_constantIbLb0EESZ_EEDaSU_SV_EUlSU_E0_NS1_11comp_targetILNS1_3genE10ELNS1_11target_archE1201ELNS1_3gpuE5ELNS1_3repE0EEENS1_30default_config_static_selectorELNS0_4arch9wavefront6targetE1EEEvT1_
; %bb.0:
	.section	.rodata,"a",@progbits
	.p2align	6, 0x0
	.amdhsa_kernel _ZN7rocprim17ROCPRIM_400000_NS6detail17trampoline_kernelINS0_14default_configENS1_20scan_config_selectorIN3c107complexIdEEEEZZNS1_9scan_implILNS1_25lookback_scan_determinismE0ELb0ELb0ES3_PKS7_PS7_S7_ZZZN2at6native31launch_logcumsumexp_cuda_kernelERKNSE_10TensorBaseESI_lENKUlvE_clEvENKUlvE1_clEvEUlS7_S7_E_S7_EEDaPvRmT3_T4_T5_mT6_P12ihipStream_tbENKUlT_T0_E_clISt17integral_constantIbLb0EESZ_EEDaSU_SV_EUlSU_E0_NS1_11comp_targetILNS1_3genE10ELNS1_11target_archE1201ELNS1_3gpuE5ELNS1_3repE0EEENS1_30default_config_static_selectorELNS0_4arch9wavefront6targetE1EEEvT1_
		.amdhsa_group_segment_fixed_size 0
		.amdhsa_private_segment_fixed_size 0
		.amdhsa_kernarg_size 48
		.amdhsa_user_sgpr_count 2
		.amdhsa_user_sgpr_dispatch_ptr 0
		.amdhsa_user_sgpr_queue_ptr 0
		.amdhsa_user_sgpr_kernarg_segment_ptr 1
		.amdhsa_user_sgpr_dispatch_id 0
		.amdhsa_user_sgpr_kernarg_preload_length 0
		.amdhsa_user_sgpr_kernarg_preload_offset 0
		.amdhsa_user_sgpr_private_segment_size 0
		.amdhsa_uses_dynamic_stack 0
		.amdhsa_enable_private_segment 0
		.amdhsa_system_sgpr_workgroup_id_x 1
		.amdhsa_system_sgpr_workgroup_id_y 0
		.amdhsa_system_sgpr_workgroup_id_z 0
		.amdhsa_system_sgpr_workgroup_info 0
		.amdhsa_system_vgpr_workitem_id 0
		.amdhsa_next_free_vgpr 1
		.amdhsa_next_free_sgpr 0
		.amdhsa_accum_offset 4
		.amdhsa_reserve_vcc 0
		.amdhsa_float_round_mode_32 0
		.amdhsa_float_round_mode_16_64 0
		.amdhsa_float_denorm_mode_32 3
		.amdhsa_float_denorm_mode_16_64 3
		.amdhsa_dx10_clamp 1
		.amdhsa_ieee_mode 1
		.amdhsa_fp16_overflow 0
		.amdhsa_tg_split 0
		.amdhsa_exception_fp_ieee_invalid_op 0
		.amdhsa_exception_fp_denorm_src 0
		.amdhsa_exception_fp_ieee_div_zero 0
		.amdhsa_exception_fp_ieee_overflow 0
		.amdhsa_exception_fp_ieee_underflow 0
		.amdhsa_exception_fp_ieee_inexact 0
		.amdhsa_exception_int_div_zero 0
	.end_amdhsa_kernel
	.section	.text._ZN7rocprim17ROCPRIM_400000_NS6detail17trampoline_kernelINS0_14default_configENS1_20scan_config_selectorIN3c107complexIdEEEEZZNS1_9scan_implILNS1_25lookback_scan_determinismE0ELb0ELb0ES3_PKS7_PS7_S7_ZZZN2at6native31launch_logcumsumexp_cuda_kernelERKNSE_10TensorBaseESI_lENKUlvE_clEvENKUlvE1_clEvEUlS7_S7_E_S7_EEDaPvRmT3_T4_T5_mT6_P12ihipStream_tbENKUlT_T0_E_clISt17integral_constantIbLb0EESZ_EEDaSU_SV_EUlSU_E0_NS1_11comp_targetILNS1_3genE10ELNS1_11target_archE1201ELNS1_3gpuE5ELNS1_3repE0EEENS1_30default_config_static_selectorELNS0_4arch9wavefront6targetE1EEEvT1_,"axG",@progbits,_ZN7rocprim17ROCPRIM_400000_NS6detail17trampoline_kernelINS0_14default_configENS1_20scan_config_selectorIN3c107complexIdEEEEZZNS1_9scan_implILNS1_25lookback_scan_determinismE0ELb0ELb0ES3_PKS7_PS7_S7_ZZZN2at6native31launch_logcumsumexp_cuda_kernelERKNSE_10TensorBaseESI_lENKUlvE_clEvENKUlvE1_clEvEUlS7_S7_E_S7_EEDaPvRmT3_T4_T5_mT6_P12ihipStream_tbENKUlT_T0_E_clISt17integral_constantIbLb0EESZ_EEDaSU_SV_EUlSU_E0_NS1_11comp_targetILNS1_3genE10ELNS1_11target_archE1201ELNS1_3gpuE5ELNS1_3repE0EEENS1_30default_config_static_selectorELNS0_4arch9wavefront6targetE1EEEvT1_,comdat
.Lfunc_end198:
	.size	_ZN7rocprim17ROCPRIM_400000_NS6detail17trampoline_kernelINS0_14default_configENS1_20scan_config_selectorIN3c107complexIdEEEEZZNS1_9scan_implILNS1_25lookback_scan_determinismE0ELb0ELb0ES3_PKS7_PS7_S7_ZZZN2at6native31launch_logcumsumexp_cuda_kernelERKNSE_10TensorBaseESI_lENKUlvE_clEvENKUlvE1_clEvEUlS7_S7_E_S7_EEDaPvRmT3_T4_T5_mT6_P12ihipStream_tbENKUlT_T0_E_clISt17integral_constantIbLb0EESZ_EEDaSU_SV_EUlSU_E0_NS1_11comp_targetILNS1_3genE10ELNS1_11target_archE1201ELNS1_3gpuE5ELNS1_3repE0EEENS1_30default_config_static_selectorELNS0_4arch9wavefront6targetE1EEEvT1_, .Lfunc_end198-_ZN7rocprim17ROCPRIM_400000_NS6detail17trampoline_kernelINS0_14default_configENS1_20scan_config_selectorIN3c107complexIdEEEEZZNS1_9scan_implILNS1_25lookback_scan_determinismE0ELb0ELb0ES3_PKS7_PS7_S7_ZZZN2at6native31launch_logcumsumexp_cuda_kernelERKNSE_10TensorBaseESI_lENKUlvE_clEvENKUlvE1_clEvEUlS7_S7_E_S7_EEDaPvRmT3_T4_T5_mT6_P12ihipStream_tbENKUlT_T0_E_clISt17integral_constantIbLb0EESZ_EEDaSU_SV_EUlSU_E0_NS1_11comp_targetILNS1_3genE10ELNS1_11target_archE1201ELNS1_3gpuE5ELNS1_3repE0EEENS1_30default_config_static_selectorELNS0_4arch9wavefront6targetE1EEEvT1_
                                        ; -- End function
	.set _ZN7rocprim17ROCPRIM_400000_NS6detail17trampoline_kernelINS0_14default_configENS1_20scan_config_selectorIN3c107complexIdEEEEZZNS1_9scan_implILNS1_25lookback_scan_determinismE0ELb0ELb0ES3_PKS7_PS7_S7_ZZZN2at6native31launch_logcumsumexp_cuda_kernelERKNSE_10TensorBaseESI_lENKUlvE_clEvENKUlvE1_clEvEUlS7_S7_E_S7_EEDaPvRmT3_T4_T5_mT6_P12ihipStream_tbENKUlT_T0_E_clISt17integral_constantIbLb0EESZ_EEDaSU_SV_EUlSU_E0_NS1_11comp_targetILNS1_3genE10ELNS1_11target_archE1201ELNS1_3gpuE5ELNS1_3repE0EEENS1_30default_config_static_selectorELNS0_4arch9wavefront6targetE1EEEvT1_.num_vgpr, 0
	.set _ZN7rocprim17ROCPRIM_400000_NS6detail17trampoline_kernelINS0_14default_configENS1_20scan_config_selectorIN3c107complexIdEEEEZZNS1_9scan_implILNS1_25lookback_scan_determinismE0ELb0ELb0ES3_PKS7_PS7_S7_ZZZN2at6native31launch_logcumsumexp_cuda_kernelERKNSE_10TensorBaseESI_lENKUlvE_clEvENKUlvE1_clEvEUlS7_S7_E_S7_EEDaPvRmT3_T4_T5_mT6_P12ihipStream_tbENKUlT_T0_E_clISt17integral_constantIbLb0EESZ_EEDaSU_SV_EUlSU_E0_NS1_11comp_targetILNS1_3genE10ELNS1_11target_archE1201ELNS1_3gpuE5ELNS1_3repE0EEENS1_30default_config_static_selectorELNS0_4arch9wavefront6targetE1EEEvT1_.num_agpr, 0
	.set _ZN7rocprim17ROCPRIM_400000_NS6detail17trampoline_kernelINS0_14default_configENS1_20scan_config_selectorIN3c107complexIdEEEEZZNS1_9scan_implILNS1_25lookback_scan_determinismE0ELb0ELb0ES3_PKS7_PS7_S7_ZZZN2at6native31launch_logcumsumexp_cuda_kernelERKNSE_10TensorBaseESI_lENKUlvE_clEvENKUlvE1_clEvEUlS7_S7_E_S7_EEDaPvRmT3_T4_T5_mT6_P12ihipStream_tbENKUlT_T0_E_clISt17integral_constantIbLb0EESZ_EEDaSU_SV_EUlSU_E0_NS1_11comp_targetILNS1_3genE10ELNS1_11target_archE1201ELNS1_3gpuE5ELNS1_3repE0EEENS1_30default_config_static_selectorELNS0_4arch9wavefront6targetE1EEEvT1_.numbered_sgpr, 0
	.set _ZN7rocprim17ROCPRIM_400000_NS6detail17trampoline_kernelINS0_14default_configENS1_20scan_config_selectorIN3c107complexIdEEEEZZNS1_9scan_implILNS1_25lookback_scan_determinismE0ELb0ELb0ES3_PKS7_PS7_S7_ZZZN2at6native31launch_logcumsumexp_cuda_kernelERKNSE_10TensorBaseESI_lENKUlvE_clEvENKUlvE1_clEvEUlS7_S7_E_S7_EEDaPvRmT3_T4_T5_mT6_P12ihipStream_tbENKUlT_T0_E_clISt17integral_constantIbLb0EESZ_EEDaSU_SV_EUlSU_E0_NS1_11comp_targetILNS1_3genE10ELNS1_11target_archE1201ELNS1_3gpuE5ELNS1_3repE0EEENS1_30default_config_static_selectorELNS0_4arch9wavefront6targetE1EEEvT1_.num_named_barrier, 0
	.set _ZN7rocprim17ROCPRIM_400000_NS6detail17trampoline_kernelINS0_14default_configENS1_20scan_config_selectorIN3c107complexIdEEEEZZNS1_9scan_implILNS1_25lookback_scan_determinismE0ELb0ELb0ES3_PKS7_PS7_S7_ZZZN2at6native31launch_logcumsumexp_cuda_kernelERKNSE_10TensorBaseESI_lENKUlvE_clEvENKUlvE1_clEvEUlS7_S7_E_S7_EEDaPvRmT3_T4_T5_mT6_P12ihipStream_tbENKUlT_T0_E_clISt17integral_constantIbLb0EESZ_EEDaSU_SV_EUlSU_E0_NS1_11comp_targetILNS1_3genE10ELNS1_11target_archE1201ELNS1_3gpuE5ELNS1_3repE0EEENS1_30default_config_static_selectorELNS0_4arch9wavefront6targetE1EEEvT1_.private_seg_size, 0
	.set _ZN7rocprim17ROCPRIM_400000_NS6detail17trampoline_kernelINS0_14default_configENS1_20scan_config_selectorIN3c107complexIdEEEEZZNS1_9scan_implILNS1_25lookback_scan_determinismE0ELb0ELb0ES3_PKS7_PS7_S7_ZZZN2at6native31launch_logcumsumexp_cuda_kernelERKNSE_10TensorBaseESI_lENKUlvE_clEvENKUlvE1_clEvEUlS7_S7_E_S7_EEDaPvRmT3_T4_T5_mT6_P12ihipStream_tbENKUlT_T0_E_clISt17integral_constantIbLb0EESZ_EEDaSU_SV_EUlSU_E0_NS1_11comp_targetILNS1_3genE10ELNS1_11target_archE1201ELNS1_3gpuE5ELNS1_3repE0EEENS1_30default_config_static_selectorELNS0_4arch9wavefront6targetE1EEEvT1_.uses_vcc, 0
	.set _ZN7rocprim17ROCPRIM_400000_NS6detail17trampoline_kernelINS0_14default_configENS1_20scan_config_selectorIN3c107complexIdEEEEZZNS1_9scan_implILNS1_25lookback_scan_determinismE0ELb0ELb0ES3_PKS7_PS7_S7_ZZZN2at6native31launch_logcumsumexp_cuda_kernelERKNSE_10TensorBaseESI_lENKUlvE_clEvENKUlvE1_clEvEUlS7_S7_E_S7_EEDaPvRmT3_T4_T5_mT6_P12ihipStream_tbENKUlT_T0_E_clISt17integral_constantIbLb0EESZ_EEDaSU_SV_EUlSU_E0_NS1_11comp_targetILNS1_3genE10ELNS1_11target_archE1201ELNS1_3gpuE5ELNS1_3repE0EEENS1_30default_config_static_selectorELNS0_4arch9wavefront6targetE1EEEvT1_.uses_flat_scratch, 0
	.set _ZN7rocprim17ROCPRIM_400000_NS6detail17trampoline_kernelINS0_14default_configENS1_20scan_config_selectorIN3c107complexIdEEEEZZNS1_9scan_implILNS1_25lookback_scan_determinismE0ELb0ELb0ES3_PKS7_PS7_S7_ZZZN2at6native31launch_logcumsumexp_cuda_kernelERKNSE_10TensorBaseESI_lENKUlvE_clEvENKUlvE1_clEvEUlS7_S7_E_S7_EEDaPvRmT3_T4_T5_mT6_P12ihipStream_tbENKUlT_T0_E_clISt17integral_constantIbLb0EESZ_EEDaSU_SV_EUlSU_E0_NS1_11comp_targetILNS1_3genE10ELNS1_11target_archE1201ELNS1_3gpuE5ELNS1_3repE0EEENS1_30default_config_static_selectorELNS0_4arch9wavefront6targetE1EEEvT1_.has_dyn_sized_stack, 0
	.set _ZN7rocprim17ROCPRIM_400000_NS6detail17trampoline_kernelINS0_14default_configENS1_20scan_config_selectorIN3c107complexIdEEEEZZNS1_9scan_implILNS1_25lookback_scan_determinismE0ELb0ELb0ES3_PKS7_PS7_S7_ZZZN2at6native31launch_logcumsumexp_cuda_kernelERKNSE_10TensorBaseESI_lENKUlvE_clEvENKUlvE1_clEvEUlS7_S7_E_S7_EEDaPvRmT3_T4_T5_mT6_P12ihipStream_tbENKUlT_T0_E_clISt17integral_constantIbLb0EESZ_EEDaSU_SV_EUlSU_E0_NS1_11comp_targetILNS1_3genE10ELNS1_11target_archE1201ELNS1_3gpuE5ELNS1_3repE0EEENS1_30default_config_static_selectorELNS0_4arch9wavefront6targetE1EEEvT1_.has_recursion, 0
	.set _ZN7rocprim17ROCPRIM_400000_NS6detail17trampoline_kernelINS0_14default_configENS1_20scan_config_selectorIN3c107complexIdEEEEZZNS1_9scan_implILNS1_25lookback_scan_determinismE0ELb0ELb0ES3_PKS7_PS7_S7_ZZZN2at6native31launch_logcumsumexp_cuda_kernelERKNSE_10TensorBaseESI_lENKUlvE_clEvENKUlvE1_clEvEUlS7_S7_E_S7_EEDaPvRmT3_T4_T5_mT6_P12ihipStream_tbENKUlT_T0_E_clISt17integral_constantIbLb0EESZ_EEDaSU_SV_EUlSU_E0_NS1_11comp_targetILNS1_3genE10ELNS1_11target_archE1201ELNS1_3gpuE5ELNS1_3repE0EEENS1_30default_config_static_selectorELNS0_4arch9wavefront6targetE1EEEvT1_.has_indirect_call, 0
	.section	.AMDGPU.csdata,"",@progbits
; Kernel info:
; codeLenInByte = 0
; TotalNumSgprs: 6
; NumVgprs: 0
; NumAgprs: 0
; TotalNumVgprs: 0
; ScratchSize: 0
; MemoryBound: 0
; FloatMode: 240
; IeeeMode: 1
; LDSByteSize: 0 bytes/workgroup (compile time only)
; SGPRBlocks: 0
; VGPRBlocks: 0
; NumSGPRsForWavesPerEU: 6
; NumVGPRsForWavesPerEU: 1
; AccumOffset: 4
; Occupancy: 8
; WaveLimiterHint : 0
; COMPUTE_PGM_RSRC2:SCRATCH_EN: 0
; COMPUTE_PGM_RSRC2:USER_SGPR: 2
; COMPUTE_PGM_RSRC2:TRAP_HANDLER: 0
; COMPUTE_PGM_RSRC2:TGID_X_EN: 1
; COMPUTE_PGM_RSRC2:TGID_Y_EN: 0
; COMPUTE_PGM_RSRC2:TGID_Z_EN: 0
; COMPUTE_PGM_RSRC2:TIDIG_COMP_CNT: 0
; COMPUTE_PGM_RSRC3_GFX90A:ACCUM_OFFSET: 0
; COMPUTE_PGM_RSRC3_GFX90A:TG_SPLIT: 0
	.section	.text._ZN7rocprim17ROCPRIM_400000_NS6detail17trampoline_kernelINS0_14default_configENS1_20scan_config_selectorIN3c107complexIdEEEEZZNS1_9scan_implILNS1_25lookback_scan_determinismE0ELb0ELb0ES3_PKS7_PS7_S7_ZZZN2at6native31launch_logcumsumexp_cuda_kernelERKNSE_10TensorBaseESI_lENKUlvE_clEvENKUlvE1_clEvEUlS7_S7_E_S7_EEDaPvRmT3_T4_T5_mT6_P12ihipStream_tbENKUlT_T0_E_clISt17integral_constantIbLb0EESZ_EEDaSU_SV_EUlSU_E0_NS1_11comp_targetILNS1_3genE10ELNS1_11target_archE1200ELNS1_3gpuE4ELNS1_3repE0EEENS1_30default_config_static_selectorELNS0_4arch9wavefront6targetE1EEEvT1_,"axG",@progbits,_ZN7rocprim17ROCPRIM_400000_NS6detail17trampoline_kernelINS0_14default_configENS1_20scan_config_selectorIN3c107complexIdEEEEZZNS1_9scan_implILNS1_25lookback_scan_determinismE0ELb0ELb0ES3_PKS7_PS7_S7_ZZZN2at6native31launch_logcumsumexp_cuda_kernelERKNSE_10TensorBaseESI_lENKUlvE_clEvENKUlvE1_clEvEUlS7_S7_E_S7_EEDaPvRmT3_T4_T5_mT6_P12ihipStream_tbENKUlT_T0_E_clISt17integral_constantIbLb0EESZ_EEDaSU_SV_EUlSU_E0_NS1_11comp_targetILNS1_3genE10ELNS1_11target_archE1200ELNS1_3gpuE4ELNS1_3repE0EEENS1_30default_config_static_selectorELNS0_4arch9wavefront6targetE1EEEvT1_,comdat
	.globl	_ZN7rocprim17ROCPRIM_400000_NS6detail17trampoline_kernelINS0_14default_configENS1_20scan_config_selectorIN3c107complexIdEEEEZZNS1_9scan_implILNS1_25lookback_scan_determinismE0ELb0ELb0ES3_PKS7_PS7_S7_ZZZN2at6native31launch_logcumsumexp_cuda_kernelERKNSE_10TensorBaseESI_lENKUlvE_clEvENKUlvE1_clEvEUlS7_S7_E_S7_EEDaPvRmT3_T4_T5_mT6_P12ihipStream_tbENKUlT_T0_E_clISt17integral_constantIbLb0EESZ_EEDaSU_SV_EUlSU_E0_NS1_11comp_targetILNS1_3genE10ELNS1_11target_archE1200ELNS1_3gpuE4ELNS1_3repE0EEENS1_30default_config_static_selectorELNS0_4arch9wavefront6targetE1EEEvT1_ ; -- Begin function _ZN7rocprim17ROCPRIM_400000_NS6detail17trampoline_kernelINS0_14default_configENS1_20scan_config_selectorIN3c107complexIdEEEEZZNS1_9scan_implILNS1_25lookback_scan_determinismE0ELb0ELb0ES3_PKS7_PS7_S7_ZZZN2at6native31launch_logcumsumexp_cuda_kernelERKNSE_10TensorBaseESI_lENKUlvE_clEvENKUlvE1_clEvEUlS7_S7_E_S7_EEDaPvRmT3_T4_T5_mT6_P12ihipStream_tbENKUlT_T0_E_clISt17integral_constantIbLb0EESZ_EEDaSU_SV_EUlSU_E0_NS1_11comp_targetILNS1_3genE10ELNS1_11target_archE1200ELNS1_3gpuE4ELNS1_3repE0EEENS1_30default_config_static_selectorELNS0_4arch9wavefront6targetE1EEEvT1_
	.p2align	8
	.type	_ZN7rocprim17ROCPRIM_400000_NS6detail17trampoline_kernelINS0_14default_configENS1_20scan_config_selectorIN3c107complexIdEEEEZZNS1_9scan_implILNS1_25lookback_scan_determinismE0ELb0ELb0ES3_PKS7_PS7_S7_ZZZN2at6native31launch_logcumsumexp_cuda_kernelERKNSE_10TensorBaseESI_lENKUlvE_clEvENKUlvE1_clEvEUlS7_S7_E_S7_EEDaPvRmT3_T4_T5_mT6_P12ihipStream_tbENKUlT_T0_E_clISt17integral_constantIbLb0EESZ_EEDaSU_SV_EUlSU_E0_NS1_11comp_targetILNS1_3genE10ELNS1_11target_archE1200ELNS1_3gpuE4ELNS1_3repE0EEENS1_30default_config_static_selectorELNS0_4arch9wavefront6targetE1EEEvT1_,@function
_ZN7rocprim17ROCPRIM_400000_NS6detail17trampoline_kernelINS0_14default_configENS1_20scan_config_selectorIN3c107complexIdEEEEZZNS1_9scan_implILNS1_25lookback_scan_determinismE0ELb0ELb0ES3_PKS7_PS7_S7_ZZZN2at6native31launch_logcumsumexp_cuda_kernelERKNSE_10TensorBaseESI_lENKUlvE_clEvENKUlvE1_clEvEUlS7_S7_E_S7_EEDaPvRmT3_T4_T5_mT6_P12ihipStream_tbENKUlT_T0_E_clISt17integral_constantIbLb0EESZ_EEDaSU_SV_EUlSU_E0_NS1_11comp_targetILNS1_3genE10ELNS1_11target_archE1200ELNS1_3gpuE4ELNS1_3repE0EEENS1_30default_config_static_selectorELNS0_4arch9wavefront6targetE1EEEvT1_: ; @_ZN7rocprim17ROCPRIM_400000_NS6detail17trampoline_kernelINS0_14default_configENS1_20scan_config_selectorIN3c107complexIdEEEEZZNS1_9scan_implILNS1_25lookback_scan_determinismE0ELb0ELb0ES3_PKS7_PS7_S7_ZZZN2at6native31launch_logcumsumexp_cuda_kernelERKNSE_10TensorBaseESI_lENKUlvE_clEvENKUlvE1_clEvEUlS7_S7_E_S7_EEDaPvRmT3_T4_T5_mT6_P12ihipStream_tbENKUlT_T0_E_clISt17integral_constantIbLb0EESZ_EEDaSU_SV_EUlSU_E0_NS1_11comp_targetILNS1_3genE10ELNS1_11target_archE1200ELNS1_3gpuE4ELNS1_3repE0EEENS1_30default_config_static_selectorELNS0_4arch9wavefront6targetE1EEEvT1_
; %bb.0:
	.section	.rodata,"a",@progbits
	.p2align	6, 0x0
	.amdhsa_kernel _ZN7rocprim17ROCPRIM_400000_NS6detail17trampoline_kernelINS0_14default_configENS1_20scan_config_selectorIN3c107complexIdEEEEZZNS1_9scan_implILNS1_25lookback_scan_determinismE0ELb0ELb0ES3_PKS7_PS7_S7_ZZZN2at6native31launch_logcumsumexp_cuda_kernelERKNSE_10TensorBaseESI_lENKUlvE_clEvENKUlvE1_clEvEUlS7_S7_E_S7_EEDaPvRmT3_T4_T5_mT6_P12ihipStream_tbENKUlT_T0_E_clISt17integral_constantIbLb0EESZ_EEDaSU_SV_EUlSU_E0_NS1_11comp_targetILNS1_3genE10ELNS1_11target_archE1200ELNS1_3gpuE4ELNS1_3repE0EEENS1_30default_config_static_selectorELNS0_4arch9wavefront6targetE1EEEvT1_
		.amdhsa_group_segment_fixed_size 0
		.amdhsa_private_segment_fixed_size 0
		.amdhsa_kernarg_size 48
		.amdhsa_user_sgpr_count 2
		.amdhsa_user_sgpr_dispatch_ptr 0
		.amdhsa_user_sgpr_queue_ptr 0
		.amdhsa_user_sgpr_kernarg_segment_ptr 1
		.amdhsa_user_sgpr_dispatch_id 0
		.amdhsa_user_sgpr_kernarg_preload_length 0
		.amdhsa_user_sgpr_kernarg_preload_offset 0
		.amdhsa_user_sgpr_private_segment_size 0
		.amdhsa_uses_dynamic_stack 0
		.amdhsa_enable_private_segment 0
		.amdhsa_system_sgpr_workgroup_id_x 1
		.amdhsa_system_sgpr_workgroup_id_y 0
		.amdhsa_system_sgpr_workgroup_id_z 0
		.amdhsa_system_sgpr_workgroup_info 0
		.amdhsa_system_vgpr_workitem_id 0
		.amdhsa_next_free_vgpr 1
		.amdhsa_next_free_sgpr 0
		.amdhsa_accum_offset 4
		.amdhsa_reserve_vcc 0
		.amdhsa_float_round_mode_32 0
		.amdhsa_float_round_mode_16_64 0
		.amdhsa_float_denorm_mode_32 3
		.amdhsa_float_denorm_mode_16_64 3
		.amdhsa_dx10_clamp 1
		.amdhsa_ieee_mode 1
		.amdhsa_fp16_overflow 0
		.amdhsa_tg_split 0
		.amdhsa_exception_fp_ieee_invalid_op 0
		.amdhsa_exception_fp_denorm_src 0
		.amdhsa_exception_fp_ieee_div_zero 0
		.amdhsa_exception_fp_ieee_overflow 0
		.amdhsa_exception_fp_ieee_underflow 0
		.amdhsa_exception_fp_ieee_inexact 0
		.amdhsa_exception_int_div_zero 0
	.end_amdhsa_kernel
	.section	.text._ZN7rocprim17ROCPRIM_400000_NS6detail17trampoline_kernelINS0_14default_configENS1_20scan_config_selectorIN3c107complexIdEEEEZZNS1_9scan_implILNS1_25lookback_scan_determinismE0ELb0ELb0ES3_PKS7_PS7_S7_ZZZN2at6native31launch_logcumsumexp_cuda_kernelERKNSE_10TensorBaseESI_lENKUlvE_clEvENKUlvE1_clEvEUlS7_S7_E_S7_EEDaPvRmT3_T4_T5_mT6_P12ihipStream_tbENKUlT_T0_E_clISt17integral_constantIbLb0EESZ_EEDaSU_SV_EUlSU_E0_NS1_11comp_targetILNS1_3genE10ELNS1_11target_archE1200ELNS1_3gpuE4ELNS1_3repE0EEENS1_30default_config_static_selectorELNS0_4arch9wavefront6targetE1EEEvT1_,"axG",@progbits,_ZN7rocprim17ROCPRIM_400000_NS6detail17trampoline_kernelINS0_14default_configENS1_20scan_config_selectorIN3c107complexIdEEEEZZNS1_9scan_implILNS1_25lookback_scan_determinismE0ELb0ELb0ES3_PKS7_PS7_S7_ZZZN2at6native31launch_logcumsumexp_cuda_kernelERKNSE_10TensorBaseESI_lENKUlvE_clEvENKUlvE1_clEvEUlS7_S7_E_S7_EEDaPvRmT3_T4_T5_mT6_P12ihipStream_tbENKUlT_T0_E_clISt17integral_constantIbLb0EESZ_EEDaSU_SV_EUlSU_E0_NS1_11comp_targetILNS1_3genE10ELNS1_11target_archE1200ELNS1_3gpuE4ELNS1_3repE0EEENS1_30default_config_static_selectorELNS0_4arch9wavefront6targetE1EEEvT1_,comdat
.Lfunc_end199:
	.size	_ZN7rocprim17ROCPRIM_400000_NS6detail17trampoline_kernelINS0_14default_configENS1_20scan_config_selectorIN3c107complexIdEEEEZZNS1_9scan_implILNS1_25lookback_scan_determinismE0ELb0ELb0ES3_PKS7_PS7_S7_ZZZN2at6native31launch_logcumsumexp_cuda_kernelERKNSE_10TensorBaseESI_lENKUlvE_clEvENKUlvE1_clEvEUlS7_S7_E_S7_EEDaPvRmT3_T4_T5_mT6_P12ihipStream_tbENKUlT_T0_E_clISt17integral_constantIbLb0EESZ_EEDaSU_SV_EUlSU_E0_NS1_11comp_targetILNS1_3genE10ELNS1_11target_archE1200ELNS1_3gpuE4ELNS1_3repE0EEENS1_30default_config_static_selectorELNS0_4arch9wavefront6targetE1EEEvT1_, .Lfunc_end199-_ZN7rocprim17ROCPRIM_400000_NS6detail17trampoline_kernelINS0_14default_configENS1_20scan_config_selectorIN3c107complexIdEEEEZZNS1_9scan_implILNS1_25lookback_scan_determinismE0ELb0ELb0ES3_PKS7_PS7_S7_ZZZN2at6native31launch_logcumsumexp_cuda_kernelERKNSE_10TensorBaseESI_lENKUlvE_clEvENKUlvE1_clEvEUlS7_S7_E_S7_EEDaPvRmT3_T4_T5_mT6_P12ihipStream_tbENKUlT_T0_E_clISt17integral_constantIbLb0EESZ_EEDaSU_SV_EUlSU_E0_NS1_11comp_targetILNS1_3genE10ELNS1_11target_archE1200ELNS1_3gpuE4ELNS1_3repE0EEENS1_30default_config_static_selectorELNS0_4arch9wavefront6targetE1EEEvT1_
                                        ; -- End function
	.set _ZN7rocprim17ROCPRIM_400000_NS6detail17trampoline_kernelINS0_14default_configENS1_20scan_config_selectorIN3c107complexIdEEEEZZNS1_9scan_implILNS1_25lookback_scan_determinismE0ELb0ELb0ES3_PKS7_PS7_S7_ZZZN2at6native31launch_logcumsumexp_cuda_kernelERKNSE_10TensorBaseESI_lENKUlvE_clEvENKUlvE1_clEvEUlS7_S7_E_S7_EEDaPvRmT3_T4_T5_mT6_P12ihipStream_tbENKUlT_T0_E_clISt17integral_constantIbLb0EESZ_EEDaSU_SV_EUlSU_E0_NS1_11comp_targetILNS1_3genE10ELNS1_11target_archE1200ELNS1_3gpuE4ELNS1_3repE0EEENS1_30default_config_static_selectorELNS0_4arch9wavefront6targetE1EEEvT1_.num_vgpr, 0
	.set _ZN7rocprim17ROCPRIM_400000_NS6detail17trampoline_kernelINS0_14default_configENS1_20scan_config_selectorIN3c107complexIdEEEEZZNS1_9scan_implILNS1_25lookback_scan_determinismE0ELb0ELb0ES3_PKS7_PS7_S7_ZZZN2at6native31launch_logcumsumexp_cuda_kernelERKNSE_10TensorBaseESI_lENKUlvE_clEvENKUlvE1_clEvEUlS7_S7_E_S7_EEDaPvRmT3_T4_T5_mT6_P12ihipStream_tbENKUlT_T0_E_clISt17integral_constantIbLb0EESZ_EEDaSU_SV_EUlSU_E0_NS1_11comp_targetILNS1_3genE10ELNS1_11target_archE1200ELNS1_3gpuE4ELNS1_3repE0EEENS1_30default_config_static_selectorELNS0_4arch9wavefront6targetE1EEEvT1_.num_agpr, 0
	.set _ZN7rocprim17ROCPRIM_400000_NS6detail17trampoline_kernelINS0_14default_configENS1_20scan_config_selectorIN3c107complexIdEEEEZZNS1_9scan_implILNS1_25lookback_scan_determinismE0ELb0ELb0ES3_PKS7_PS7_S7_ZZZN2at6native31launch_logcumsumexp_cuda_kernelERKNSE_10TensorBaseESI_lENKUlvE_clEvENKUlvE1_clEvEUlS7_S7_E_S7_EEDaPvRmT3_T4_T5_mT6_P12ihipStream_tbENKUlT_T0_E_clISt17integral_constantIbLb0EESZ_EEDaSU_SV_EUlSU_E0_NS1_11comp_targetILNS1_3genE10ELNS1_11target_archE1200ELNS1_3gpuE4ELNS1_3repE0EEENS1_30default_config_static_selectorELNS0_4arch9wavefront6targetE1EEEvT1_.numbered_sgpr, 0
	.set _ZN7rocprim17ROCPRIM_400000_NS6detail17trampoline_kernelINS0_14default_configENS1_20scan_config_selectorIN3c107complexIdEEEEZZNS1_9scan_implILNS1_25lookback_scan_determinismE0ELb0ELb0ES3_PKS7_PS7_S7_ZZZN2at6native31launch_logcumsumexp_cuda_kernelERKNSE_10TensorBaseESI_lENKUlvE_clEvENKUlvE1_clEvEUlS7_S7_E_S7_EEDaPvRmT3_T4_T5_mT6_P12ihipStream_tbENKUlT_T0_E_clISt17integral_constantIbLb0EESZ_EEDaSU_SV_EUlSU_E0_NS1_11comp_targetILNS1_3genE10ELNS1_11target_archE1200ELNS1_3gpuE4ELNS1_3repE0EEENS1_30default_config_static_selectorELNS0_4arch9wavefront6targetE1EEEvT1_.num_named_barrier, 0
	.set _ZN7rocprim17ROCPRIM_400000_NS6detail17trampoline_kernelINS0_14default_configENS1_20scan_config_selectorIN3c107complexIdEEEEZZNS1_9scan_implILNS1_25lookback_scan_determinismE0ELb0ELb0ES3_PKS7_PS7_S7_ZZZN2at6native31launch_logcumsumexp_cuda_kernelERKNSE_10TensorBaseESI_lENKUlvE_clEvENKUlvE1_clEvEUlS7_S7_E_S7_EEDaPvRmT3_T4_T5_mT6_P12ihipStream_tbENKUlT_T0_E_clISt17integral_constantIbLb0EESZ_EEDaSU_SV_EUlSU_E0_NS1_11comp_targetILNS1_3genE10ELNS1_11target_archE1200ELNS1_3gpuE4ELNS1_3repE0EEENS1_30default_config_static_selectorELNS0_4arch9wavefront6targetE1EEEvT1_.private_seg_size, 0
	.set _ZN7rocprim17ROCPRIM_400000_NS6detail17trampoline_kernelINS0_14default_configENS1_20scan_config_selectorIN3c107complexIdEEEEZZNS1_9scan_implILNS1_25lookback_scan_determinismE0ELb0ELb0ES3_PKS7_PS7_S7_ZZZN2at6native31launch_logcumsumexp_cuda_kernelERKNSE_10TensorBaseESI_lENKUlvE_clEvENKUlvE1_clEvEUlS7_S7_E_S7_EEDaPvRmT3_T4_T5_mT6_P12ihipStream_tbENKUlT_T0_E_clISt17integral_constantIbLb0EESZ_EEDaSU_SV_EUlSU_E0_NS1_11comp_targetILNS1_3genE10ELNS1_11target_archE1200ELNS1_3gpuE4ELNS1_3repE0EEENS1_30default_config_static_selectorELNS0_4arch9wavefront6targetE1EEEvT1_.uses_vcc, 0
	.set _ZN7rocprim17ROCPRIM_400000_NS6detail17trampoline_kernelINS0_14default_configENS1_20scan_config_selectorIN3c107complexIdEEEEZZNS1_9scan_implILNS1_25lookback_scan_determinismE0ELb0ELb0ES3_PKS7_PS7_S7_ZZZN2at6native31launch_logcumsumexp_cuda_kernelERKNSE_10TensorBaseESI_lENKUlvE_clEvENKUlvE1_clEvEUlS7_S7_E_S7_EEDaPvRmT3_T4_T5_mT6_P12ihipStream_tbENKUlT_T0_E_clISt17integral_constantIbLb0EESZ_EEDaSU_SV_EUlSU_E0_NS1_11comp_targetILNS1_3genE10ELNS1_11target_archE1200ELNS1_3gpuE4ELNS1_3repE0EEENS1_30default_config_static_selectorELNS0_4arch9wavefront6targetE1EEEvT1_.uses_flat_scratch, 0
	.set _ZN7rocprim17ROCPRIM_400000_NS6detail17trampoline_kernelINS0_14default_configENS1_20scan_config_selectorIN3c107complexIdEEEEZZNS1_9scan_implILNS1_25lookback_scan_determinismE0ELb0ELb0ES3_PKS7_PS7_S7_ZZZN2at6native31launch_logcumsumexp_cuda_kernelERKNSE_10TensorBaseESI_lENKUlvE_clEvENKUlvE1_clEvEUlS7_S7_E_S7_EEDaPvRmT3_T4_T5_mT6_P12ihipStream_tbENKUlT_T0_E_clISt17integral_constantIbLb0EESZ_EEDaSU_SV_EUlSU_E0_NS1_11comp_targetILNS1_3genE10ELNS1_11target_archE1200ELNS1_3gpuE4ELNS1_3repE0EEENS1_30default_config_static_selectorELNS0_4arch9wavefront6targetE1EEEvT1_.has_dyn_sized_stack, 0
	.set _ZN7rocprim17ROCPRIM_400000_NS6detail17trampoline_kernelINS0_14default_configENS1_20scan_config_selectorIN3c107complexIdEEEEZZNS1_9scan_implILNS1_25lookback_scan_determinismE0ELb0ELb0ES3_PKS7_PS7_S7_ZZZN2at6native31launch_logcumsumexp_cuda_kernelERKNSE_10TensorBaseESI_lENKUlvE_clEvENKUlvE1_clEvEUlS7_S7_E_S7_EEDaPvRmT3_T4_T5_mT6_P12ihipStream_tbENKUlT_T0_E_clISt17integral_constantIbLb0EESZ_EEDaSU_SV_EUlSU_E0_NS1_11comp_targetILNS1_3genE10ELNS1_11target_archE1200ELNS1_3gpuE4ELNS1_3repE0EEENS1_30default_config_static_selectorELNS0_4arch9wavefront6targetE1EEEvT1_.has_recursion, 0
	.set _ZN7rocprim17ROCPRIM_400000_NS6detail17trampoline_kernelINS0_14default_configENS1_20scan_config_selectorIN3c107complexIdEEEEZZNS1_9scan_implILNS1_25lookback_scan_determinismE0ELb0ELb0ES3_PKS7_PS7_S7_ZZZN2at6native31launch_logcumsumexp_cuda_kernelERKNSE_10TensorBaseESI_lENKUlvE_clEvENKUlvE1_clEvEUlS7_S7_E_S7_EEDaPvRmT3_T4_T5_mT6_P12ihipStream_tbENKUlT_T0_E_clISt17integral_constantIbLb0EESZ_EEDaSU_SV_EUlSU_E0_NS1_11comp_targetILNS1_3genE10ELNS1_11target_archE1200ELNS1_3gpuE4ELNS1_3repE0EEENS1_30default_config_static_selectorELNS0_4arch9wavefront6targetE1EEEvT1_.has_indirect_call, 0
	.section	.AMDGPU.csdata,"",@progbits
; Kernel info:
; codeLenInByte = 0
; TotalNumSgprs: 6
; NumVgprs: 0
; NumAgprs: 0
; TotalNumVgprs: 0
; ScratchSize: 0
; MemoryBound: 0
; FloatMode: 240
; IeeeMode: 1
; LDSByteSize: 0 bytes/workgroup (compile time only)
; SGPRBlocks: 0
; VGPRBlocks: 0
; NumSGPRsForWavesPerEU: 6
; NumVGPRsForWavesPerEU: 1
; AccumOffset: 4
; Occupancy: 8
; WaveLimiterHint : 0
; COMPUTE_PGM_RSRC2:SCRATCH_EN: 0
; COMPUTE_PGM_RSRC2:USER_SGPR: 2
; COMPUTE_PGM_RSRC2:TRAP_HANDLER: 0
; COMPUTE_PGM_RSRC2:TGID_X_EN: 1
; COMPUTE_PGM_RSRC2:TGID_Y_EN: 0
; COMPUTE_PGM_RSRC2:TGID_Z_EN: 0
; COMPUTE_PGM_RSRC2:TIDIG_COMP_CNT: 0
; COMPUTE_PGM_RSRC3_GFX90A:ACCUM_OFFSET: 0
; COMPUTE_PGM_RSRC3_GFX90A:TG_SPLIT: 0
	.section	.text._ZN7rocprim17ROCPRIM_400000_NS6detail17trampoline_kernelINS0_14default_configENS1_20scan_config_selectorIN3c107complexIdEEEEZZNS1_9scan_implILNS1_25lookback_scan_determinismE0ELb0ELb0ES3_PKS7_PS7_S7_ZZZN2at6native31launch_logcumsumexp_cuda_kernelERKNSE_10TensorBaseESI_lENKUlvE_clEvENKUlvE1_clEvEUlS7_S7_E_S7_EEDaPvRmT3_T4_T5_mT6_P12ihipStream_tbENKUlT_T0_E_clISt17integral_constantIbLb0EESZ_EEDaSU_SV_EUlSU_E0_NS1_11comp_targetILNS1_3genE9ELNS1_11target_archE1100ELNS1_3gpuE3ELNS1_3repE0EEENS1_30default_config_static_selectorELNS0_4arch9wavefront6targetE1EEEvT1_,"axG",@progbits,_ZN7rocprim17ROCPRIM_400000_NS6detail17trampoline_kernelINS0_14default_configENS1_20scan_config_selectorIN3c107complexIdEEEEZZNS1_9scan_implILNS1_25lookback_scan_determinismE0ELb0ELb0ES3_PKS7_PS7_S7_ZZZN2at6native31launch_logcumsumexp_cuda_kernelERKNSE_10TensorBaseESI_lENKUlvE_clEvENKUlvE1_clEvEUlS7_S7_E_S7_EEDaPvRmT3_T4_T5_mT6_P12ihipStream_tbENKUlT_T0_E_clISt17integral_constantIbLb0EESZ_EEDaSU_SV_EUlSU_E0_NS1_11comp_targetILNS1_3genE9ELNS1_11target_archE1100ELNS1_3gpuE3ELNS1_3repE0EEENS1_30default_config_static_selectorELNS0_4arch9wavefront6targetE1EEEvT1_,comdat
	.globl	_ZN7rocprim17ROCPRIM_400000_NS6detail17trampoline_kernelINS0_14default_configENS1_20scan_config_selectorIN3c107complexIdEEEEZZNS1_9scan_implILNS1_25lookback_scan_determinismE0ELb0ELb0ES3_PKS7_PS7_S7_ZZZN2at6native31launch_logcumsumexp_cuda_kernelERKNSE_10TensorBaseESI_lENKUlvE_clEvENKUlvE1_clEvEUlS7_S7_E_S7_EEDaPvRmT3_T4_T5_mT6_P12ihipStream_tbENKUlT_T0_E_clISt17integral_constantIbLb0EESZ_EEDaSU_SV_EUlSU_E0_NS1_11comp_targetILNS1_3genE9ELNS1_11target_archE1100ELNS1_3gpuE3ELNS1_3repE0EEENS1_30default_config_static_selectorELNS0_4arch9wavefront6targetE1EEEvT1_ ; -- Begin function _ZN7rocprim17ROCPRIM_400000_NS6detail17trampoline_kernelINS0_14default_configENS1_20scan_config_selectorIN3c107complexIdEEEEZZNS1_9scan_implILNS1_25lookback_scan_determinismE0ELb0ELb0ES3_PKS7_PS7_S7_ZZZN2at6native31launch_logcumsumexp_cuda_kernelERKNSE_10TensorBaseESI_lENKUlvE_clEvENKUlvE1_clEvEUlS7_S7_E_S7_EEDaPvRmT3_T4_T5_mT6_P12ihipStream_tbENKUlT_T0_E_clISt17integral_constantIbLb0EESZ_EEDaSU_SV_EUlSU_E0_NS1_11comp_targetILNS1_3genE9ELNS1_11target_archE1100ELNS1_3gpuE3ELNS1_3repE0EEENS1_30default_config_static_selectorELNS0_4arch9wavefront6targetE1EEEvT1_
	.p2align	8
	.type	_ZN7rocprim17ROCPRIM_400000_NS6detail17trampoline_kernelINS0_14default_configENS1_20scan_config_selectorIN3c107complexIdEEEEZZNS1_9scan_implILNS1_25lookback_scan_determinismE0ELb0ELb0ES3_PKS7_PS7_S7_ZZZN2at6native31launch_logcumsumexp_cuda_kernelERKNSE_10TensorBaseESI_lENKUlvE_clEvENKUlvE1_clEvEUlS7_S7_E_S7_EEDaPvRmT3_T4_T5_mT6_P12ihipStream_tbENKUlT_T0_E_clISt17integral_constantIbLb0EESZ_EEDaSU_SV_EUlSU_E0_NS1_11comp_targetILNS1_3genE9ELNS1_11target_archE1100ELNS1_3gpuE3ELNS1_3repE0EEENS1_30default_config_static_selectorELNS0_4arch9wavefront6targetE1EEEvT1_,@function
_ZN7rocprim17ROCPRIM_400000_NS6detail17trampoline_kernelINS0_14default_configENS1_20scan_config_selectorIN3c107complexIdEEEEZZNS1_9scan_implILNS1_25lookback_scan_determinismE0ELb0ELb0ES3_PKS7_PS7_S7_ZZZN2at6native31launch_logcumsumexp_cuda_kernelERKNSE_10TensorBaseESI_lENKUlvE_clEvENKUlvE1_clEvEUlS7_S7_E_S7_EEDaPvRmT3_T4_T5_mT6_P12ihipStream_tbENKUlT_T0_E_clISt17integral_constantIbLb0EESZ_EEDaSU_SV_EUlSU_E0_NS1_11comp_targetILNS1_3genE9ELNS1_11target_archE1100ELNS1_3gpuE3ELNS1_3repE0EEENS1_30default_config_static_selectorELNS0_4arch9wavefront6targetE1EEEvT1_: ; @_ZN7rocprim17ROCPRIM_400000_NS6detail17trampoline_kernelINS0_14default_configENS1_20scan_config_selectorIN3c107complexIdEEEEZZNS1_9scan_implILNS1_25lookback_scan_determinismE0ELb0ELb0ES3_PKS7_PS7_S7_ZZZN2at6native31launch_logcumsumexp_cuda_kernelERKNSE_10TensorBaseESI_lENKUlvE_clEvENKUlvE1_clEvEUlS7_S7_E_S7_EEDaPvRmT3_T4_T5_mT6_P12ihipStream_tbENKUlT_T0_E_clISt17integral_constantIbLb0EESZ_EEDaSU_SV_EUlSU_E0_NS1_11comp_targetILNS1_3genE9ELNS1_11target_archE1100ELNS1_3gpuE3ELNS1_3repE0EEENS1_30default_config_static_selectorELNS0_4arch9wavefront6targetE1EEEvT1_
; %bb.0:
	.section	.rodata,"a",@progbits
	.p2align	6, 0x0
	.amdhsa_kernel _ZN7rocprim17ROCPRIM_400000_NS6detail17trampoline_kernelINS0_14default_configENS1_20scan_config_selectorIN3c107complexIdEEEEZZNS1_9scan_implILNS1_25lookback_scan_determinismE0ELb0ELb0ES3_PKS7_PS7_S7_ZZZN2at6native31launch_logcumsumexp_cuda_kernelERKNSE_10TensorBaseESI_lENKUlvE_clEvENKUlvE1_clEvEUlS7_S7_E_S7_EEDaPvRmT3_T4_T5_mT6_P12ihipStream_tbENKUlT_T0_E_clISt17integral_constantIbLb0EESZ_EEDaSU_SV_EUlSU_E0_NS1_11comp_targetILNS1_3genE9ELNS1_11target_archE1100ELNS1_3gpuE3ELNS1_3repE0EEENS1_30default_config_static_selectorELNS0_4arch9wavefront6targetE1EEEvT1_
		.amdhsa_group_segment_fixed_size 0
		.amdhsa_private_segment_fixed_size 0
		.amdhsa_kernarg_size 48
		.amdhsa_user_sgpr_count 2
		.amdhsa_user_sgpr_dispatch_ptr 0
		.amdhsa_user_sgpr_queue_ptr 0
		.amdhsa_user_sgpr_kernarg_segment_ptr 1
		.amdhsa_user_sgpr_dispatch_id 0
		.amdhsa_user_sgpr_kernarg_preload_length 0
		.amdhsa_user_sgpr_kernarg_preload_offset 0
		.amdhsa_user_sgpr_private_segment_size 0
		.amdhsa_uses_dynamic_stack 0
		.amdhsa_enable_private_segment 0
		.amdhsa_system_sgpr_workgroup_id_x 1
		.amdhsa_system_sgpr_workgroup_id_y 0
		.amdhsa_system_sgpr_workgroup_id_z 0
		.amdhsa_system_sgpr_workgroup_info 0
		.amdhsa_system_vgpr_workitem_id 0
		.amdhsa_next_free_vgpr 1
		.amdhsa_next_free_sgpr 0
		.amdhsa_accum_offset 4
		.amdhsa_reserve_vcc 0
		.amdhsa_float_round_mode_32 0
		.amdhsa_float_round_mode_16_64 0
		.amdhsa_float_denorm_mode_32 3
		.amdhsa_float_denorm_mode_16_64 3
		.amdhsa_dx10_clamp 1
		.amdhsa_ieee_mode 1
		.amdhsa_fp16_overflow 0
		.amdhsa_tg_split 0
		.amdhsa_exception_fp_ieee_invalid_op 0
		.amdhsa_exception_fp_denorm_src 0
		.amdhsa_exception_fp_ieee_div_zero 0
		.amdhsa_exception_fp_ieee_overflow 0
		.amdhsa_exception_fp_ieee_underflow 0
		.amdhsa_exception_fp_ieee_inexact 0
		.amdhsa_exception_int_div_zero 0
	.end_amdhsa_kernel
	.section	.text._ZN7rocprim17ROCPRIM_400000_NS6detail17trampoline_kernelINS0_14default_configENS1_20scan_config_selectorIN3c107complexIdEEEEZZNS1_9scan_implILNS1_25lookback_scan_determinismE0ELb0ELb0ES3_PKS7_PS7_S7_ZZZN2at6native31launch_logcumsumexp_cuda_kernelERKNSE_10TensorBaseESI_lENKUlvE_clEvENKUlvE1_clEvEUlS7_S7_E_S7_EEDaPvRmT3_T4_T5_mT6_P12ihipStream_tbENKUlT_T0_E_clISt17integral_constantIbLb0EESZ_EEDaSU_SV_EUlSU_E0_NS1_11comp_targetILNS1_3genE9ELNS1_11target_archE1100ELNS1_3gpuE3ELNS1_3repE0EEENS1_30default_config_static_selectorELNS0_4arch9wavefront6targetE1EEEvT1_,"axG",@progbits,_ZN7rocprim17ROCPRIM_400000_NS6detail17trampoline_kernelINS0_14default_configENS1_20scan_config_selectorIN3c107complexIdEEEEZZNS1_9scan_implILNS1_25lookback_scan_determinismE0ELb0ELb0ES3_PKS7_PS7_S7_ZZZN2at6native31launch_logcumsumexp_cuda_kernelERKNSE_10TensorBaseESI_lENKUlvE_clEvENKUlvE1_clEvEUlS7_S7_E_S7_EEDaPvRmT3_T4_T5_mT6_P12ihipStream_tbENKUlT_T0_E_clISt17integral_constantIbLb0EESZ_EEDaSU_SV_EUlSU_E0_NS1_11comp_targetILNS1_3genE9ELNS1_11target_archE1100ELNS1_3gpuE3ELNS1_3repE0EEENS1_30default_config_static_selectorELNS0_4arch9wavefront6targetE1EEEvT1_,comdat
.Lfunc_end200:
	.size	_ZN7rocprim17ROCPRIM_400000_NS6detail17trampoline_kernelINS0_14default_configENS1_20scan_config_selectorIN3c107complexIdEEEEZZNS1_9scan_implILNS1_25lookback_scan_determinismE0ELb0ELb0ES3_PKS7_PS7_S7_ZZZN2at6native31launch_logcumsumexp_cuda_kernelERKNSE_10TensorBaseESI_lENKUlvE_clEvENKUlvE1_clEvEUlS7_S7_E_S7_EEDaPvRmT3_T4_T5_mT6_P12ihipStream_tbENKUlT_T0_E_clISt17integral_constantIbLb0EESZ_EEDaSU_SV_EUlSU_E0_NS1_11comp_targetILNS1_3genE9ELNS1_11target_archE1100ELNS1_3gpuE3ELNS1_3repE0EEENS1_30default_config_static_selectorELNS0_4arch9wavefront6targetE1EEEvT1_, .Lfunc_end200-_ZN7rocprim17ROCPRIM_400000_NS6detail17trampoline_kernelINS0_14default_configENS1_20scan_config_selectorIN3c107complexIdEEEEZZNS1_9scan_implILNS1_25lookback_scan_determinismE0ELb0ELb0ES3_PKS7_PS7_S7_ZZZN2at6native31launch_logcumsumexp_cuda_kernelERKNSE_10TensorBaseESI_lENKUlvE_clEvENKUlvE1_clEvEUlS7_S7_E_S7_EEDaPvRmT3_T4_T5_mT6_P12ihipStream_tbENKUlT_T0_E_clISt17integral_constantIbLb0EESZ_EEDaSU_SV_EUlSU_E0_NS1_11comp_targetILNS1_3genE9ELNS1_11target_archE1100ELNS1_3gpuE3ELNS1_3repE0EEENS1_30default_config_static_selectorELNS0_4arch9wavefront6targetE1EEEvT1_
                                        ; -- End function
	.set _ZN7rocprim17ROCPRIM_400000_NS6detail17trampoline_kernelINS0_14default_configENS1_20scan_config_selectorIN3c107complexIdEEEEZZNS1_9scan_implILNS1_25lookback_scan_determinismE0ELb0ELb0ES3_PKS7_PS7_S7_ZZZN2at6native31launch_logcumsumexp_cuda_kernelERKNSE_10TensorBaseESI_lENKUlvE_clEvENKUlvE1_clEvEUlS7_S7_E_S7_EEDaPvRmT3_T4_T5_mT6_P12ihipStream_tbENKUlT_T0_E_clISt17integral_constantIbLb0EESZ_EEDaSU_SV_EUlSU_E0_NS1_11comp_targetILNS1_3genE9ELNS1_11target_archE1100ELNS1_3gpuE3ELNS1_3repE0EEENS1_30default_config_static_selectorELNS0_4arch9wavefront6targetE1EEEvT1_.num_vgpr, 0
	.set _ZN7rocprim17ROCPRIM_400000_NS6detail17trampoline_kernelINS0_14default_configENS1_20scan_config_selectorIN3c107complexIdEEEEZZNS1_9scan_implILNS1_25lookback_scan_determinismE0ELb0ELb0ES3_PKS7_PS7_S7_ZZZN2at6native31launch_logcumsumexp_cuda_kernelERKNSE_10TensorBaseESI_lENKUlvE_clEvENKUlvE1_clEvEUlS7_S7_E_S7_EEDaPvRmT3_T4_T5_mT6_P12ihipStream_tbENKUlT_T0_E_clISt17integral_constantIbLb0EESZ_EEDaSU_SV_EUlSU_E0_NS1_11comp_targetILNS1_3genE9ELNS1_11target_archE1100ELNS1_3gpuE3ELNS1_3repE0EEENS1_30default_config_static_selectorELNS0_4arch9wavefront6targetE1EEEvT1_.num_agpr, 0
	.set _ZN7rocprim17ROCPRIM_400000_NS6detail17trampoline_kernelINS0_14default_configENS1_20scan_config_selectorIN3c107complexIdEEEEZZNS1_9scan_implILNS1_25lookback_scan_determinismE0ELb0ELb0ES3_PKS7_PS7_S7_ZZZN2at6native31launch_logcumsumexp_cuda_kernelERKNSE_10TensorBaseESI_lENKUlvE_clEvENKUlvE1_clEvEUlS7_S7_E_S7_EEDaPvRmT3_T4_T5_mT6_P12ihipStream_tbENKUlT_T0_E_clISt17integral_constantIbLb0EESZ_EEDaSU_SV_EUlSU_E0_NS1_11comp_targetILNS1_3genE9ELNS1_11target_archE1100ELNS1_3gpuE3ELNS1_3repE0EEENS1_30default_config_static_selectorELNS0_4arch9wavefront6targetE1EEEvT1_.numbered_sgpr, 0
	.set _ZN7rocprim17ROCPRIM_400000_NS6detail17trampoline_kernelINS0_14default_configENS1_20scan_config_selectorIN3c107complexIdEEEEZZNS1_9scan_implILNS1_25lookback_scan_determinismE0ELb0ELb0ES3_PKS7_PS7_S7_ZZZN2at6native31launch_logcumsumexp_cuda_kernelERKNSE_10TensorBaseESI_lENKUlvE_clEvENKUlvE1_clEvEUlS7_S7_E_S7_EEDaPvRmT3_T4_T5_mT6_P12ihipStream_tbENKUlT_T0_E_clISt17integral_constantIbLb0EESZ_EEDaSU_SV_EUlSU_E0_NS1_11comp_targetILNS1_3genE9ELNS1_11target_archE1100ELNS1_3gpuE3ELNS1_3repE0EEENS1_30default_config_static_selectorELNS0_4arch9wavefront6targetE1EEEvT1_.num_named_barrier, 0
	.set _ZN7rocprim17ROCPRIM_400000_NS6detail17trampoline_kernelINS0_14default_configENS1_20scan_config_selectorIN3c107complexIdEEEEZZNS1_9scan_implILNS1_25lookback_scan_determinismE0ELb0ELb0ES3_PKS7_PS7_S7_ZZZN2at6native31launch_logcumsumexp_cuda_kernelERKNSE_10TensorBaseESI_lENKUlvE_clEvENKUlvE1_clEvEUlS7_S7_E_S7_EEDaPvRmT3_T4_T5_mT6_P12ihipStream_tbENKUlT_T0_E_clISt17integral_constantIbLb0EESZ_EEDaSU_SV_EUlSU_E0_NS1_11comp_targetILNS1_3genE9ELNS1_11target_archE1100ELNS1_3gpuE3ELNS1_3repE0EEENS1_30default_config_static_selectorELNS0_4arch9wavefront6targetE1EEEvT1_.private_seg_size, 0
	.set _ZN7rocprim17ROCPRIM_400000_NS6detail17trampoline_kernelINS0_14default_configENS1_20scan_config_selectorIN3c107complexIdEEEEZZNS1_9scan_implILNS1_25lookback_scan_determinismE0ELb0ELb0ES3_PKS7_PS7_S7_ZZZN2at6native31launch_logcumsumexp_cuda_kernelERKNSE_10TensorBaseESI_lENKUlvE_clEvENKUlvE1_clEvEUlS7_S7_E_S7_EEDaPvRmT3_T4_T5_mT6_P12ihipStream_tbENKUlT_T0_E_clISt17integral_constantIbLb0EESZ_EEDaSU_SV_EUlSU_E0_NS1_11comp_targetILNS1_3genE9ELNS1_11target_archE1100ELNS1_3gpuE3ELNS1_3repE0EEENS1_30default_config_static_selectorELNS0_4arch9wavefront6targetE1EEEvT1_.uses_vcc, 0
	.set _ZN7rocprim17ROCPRIM_400000_NS6detail17trampoline_kernelINS0_14default_configENS1_20scan_config_selectorIN3c107complexIdEEEEZZNS1_9scan_implILNS1_25lookback_scan_determinismE0ELb0ELb0ES3_PKS7_PS7_S7_ZZZN2at6native31launch_logcumsumexp_cuda_kernelERKNSE_10TensorBaseESI_lENKUlvE_clEvENKUlvE1_clEvEUlS7_S7_E_S7_EEDaPvRmT3_T4_T5_mT6_P12ihipStream_tbENKUlT_T0_E_clISt17integral_constantIbLb0EESZ_EEDaSU_SV_EUlSU_E0_NS1_11comp_targetILNS1_3genE9ELNS1_11target_archE1100ELNS1_3gpuE3ELNS1_3repE0EEENS1_30default_config_static_selectorELNS0_4arch9wavefront6targetE1EEEvT1_.uses_flat_scratch, 0
	.set _ZN7rocprim17ROCPRIM_400000_NS6detail17trampoline_kernelINS0_14default_configENS1_20scan_config_selectorIN3c107complexIdEEEEZZNS1_9scan_implILNS1_25lookback_scan_determinismE0ELb0ELb0ES3_PKS7_PS7_S7_ZZZN2at6native31launch_logcumsumexp_cuda_kernelERKNSE_10TensorBaseESI_lENKUlvE_clEvENKUlvE1_clEvEUlS7_S7_E_S7_EEDaPvRmT3_T4_T5_mT6_P12ihipStream_tbENKUlT_T0_E_clISt17integral_constantIbLb0EESZ_EEDaSU_SV_EUlSU_E0_NS1_11comp_targetILNS1_3genE9ELNS1_11target_archE1100ELNS1_3gpuE3ELNS1_3repE0EEENS1_30default_config_static_selectorELNS0_4arch9wavefront6targetE1EEEvT1_.has_dyn_sized_stack, 0
	.set _ZN7rocprim17ROCPRIM_400000_NS6detail17trampoline_kernelINS0_14default_configENS1_20scan_config_selectorIN3c107complexIdEEEEZZNS1_9scan_implILNS1_25lookback_scan_determinismE0ELb0ELb0ES3_PKS7_PS7_S7_ZZZN2at6native31launch_logcumsumexp_cuda_kernelERKNSE_10TensorBaseESI_lENKUlvE_clEvENKUlvE1_clEvEUlS7_S7_E_S7_EEDaPvRmT3_T4_T5_mT6_P12ihipStream_tbENKUlT_T0_E_clISt17integral_constantIbLb0EESZ_EEDaSU_SV_EUlSU_E0_NS1_11comp_targetILNS1_3genE9ELNS1_11target_archE1100ELNS1_3gpuE3ELNS1_3repE0EEENS1_30default_config_static_selectorELNS0_4arch9wavefront6targetE1EEEvT1_.has_recursion, 0
	.set _ZN7rocprim17ROCPRIM_400000_NS6detail17trampoline_kernelINS0_14default_configENS1_20scan_config_selectorIN3c107complexIdEEEEZZNS1_9scan_implILNS1_25lookback_scan_determinismE0ELb0ELb0ES3_PKS7_PS7_S7_ZZZN2at6native31launch_logcumsumexp_cuda_kernelERKNSE_10TensorBaseESI_lENKUlvE_clEvENKUlvE1_clEvEUlS7_S7_E_S7_EEDaPvRmT3_T4_T5_mT6_P12ihipStream_tbENKUlT_T0_E_clISt17integral_constantIbLb0EESZ_EEDaSU_SV_EUlSU_E0_NS1_11comp_targetILNS1_3genE9ELNS1_11target_archE1100ELNS1_3gpuE3ELNS1_3repE0EEENS1_30default_config_static_selectorELNS0_4arch9wavefront6targetE1EEEvT1_.has_indirect_call, 0
	.section	.AMDGPU.csdata,"",@progbits
; Kernel info:
; codeLenInByte = 0
; TotalNumSgprs: 6
; NumVgprs: 0
; NumAgprs: 0
; TotalNumVgprs: 0
; ScratchSize: 0
; MemoryBound: 0
; FloatMode: 240
; IeeeMode: 1
; LDSByteSize: 0 bytes/workgroup (compile time only)
; SGPRBlocks: 0
; VGPRBlocks: 0
; NumSGPRsForWavesPerEU: 6
; NumVGPRsForWavesPerEU: 1
; AccumOffset: 4
; Occupancy: 8
; WaveLimiterHint : 0
; COMPUTE_PGM_RSRC2:SCRATCH_EN: 0
; COMPUTE_PGM_RSRC2:USER_SGPR: 2
; COMPUTE_PGM_RSRC2:TRAP_HANDLER: 0
; COMPUTE_PGM_RSRC2:TGID_X_EN: 1
; COMPUTE_PGM_RSRC2:TGID_Y_EN: 0
; COMPUTE_PGM_RSRC2:TGID_Z_EN: 0
; COMPUTE_PGM_RSRC2:TIDIG_COMP_CNT: 0
; COMPUTE_PGM_RSRC3_GFX90A:ACCUM_OFFSET: 0
; COMPUTE_PGM_RSRC3_GFX90A:TG_SPLIT: 0
	.section	.text._ZN7rocprim17ROCPRIM_400000_NS6detail17trampoline_kernelINS0_14default_configENS1_20scan_config_selectorIN3c107complexIdEEEEZZNS1_9scan_implILNS1_25lookback_scan_determinismE0ELb0ELb0ES3_PKS7_PS7_S7_ZZZN2at6native31launch_logcumsumexp_cuda_kernelERKNSE_10TensorBaseESI_lENKUlvE_clEvENKUlvE1_clEvEUlS7_S7_E_S7_EEDaPvRmT3_T4_T5_mT6_P12ihipStream_tbENKUlT_T0_E_clISt17integral_constantIbLb0EESZ_EEDaSU_SV_EUlSU_E0_NS1_11comp_targetILNS1_3genE8ELNS1_11target_archE1030ELNS1_3gpuE2ELNS1_3repE0EEENS1_30default_config_static_selectorELNS0_4arch9wavefront6targetE1EEEvT1_,"axG",@progbits,_ZN7rocprim17ROCPRIM_400000_NS6detail17trampoline_kernelINS0_14default_configENS1_20scan_config_selectorIN3c107complexIdEEEEZZNS1_9scan_implILNS1_25lookback_scan_determinismE0ELb0ELb0ES3_PKS7_PS7_S7_ZZZN2at6native31launch_logcumsumexp_cuda_kernelERKNSE_10TensorBaseESI_lENKUlvE_clEvENKUlvE1_clEvEUlS7_S7_E_S7_EEDaPvRmT3_T4_T5_mT6_P12ihipStream_tbENKUlT_T0_E_clISt17integral_constantIbLb0EESZ_EEDaSU_SV_EUlSU_E0_NS1_11comp_targetILNS1_3genE8ELNS1_11target_archE1030ELNS1_3gpuE2ELNS1_3repE0EEENS1_30default_config_static_selectorELNS0_4arch9wavefront6targetE1EEEvT1_,comdat
	.globl	_ZN7rocprim17ROCPRIM_400000_NS6detail17trampoline_kernelINS0_14default_configENS1_20scan_config_selectorIN3c107complexIdEEEEZZNS1_9scan_implILNS1_25lookback_scan_determinismE0ELb0ELb0ES3_PKS7_PS7_S7_ZZZN2at6native31launch_logcumsumexp_cuda_kernelERKNSE_10TensorBaseESI_lENKUlvE_clEvENKUlvE1_clEvEUlS7_S7_E_S7_EEDaPvRmT3_T4_T5_mT6_P12ihipStream_tbENKUlT_T0_E_clISt17integral_constantIbLb0EESZ_EEDaSU_SV_EUlSU_E0_NS1_11comp_targetILNS1_3genE8ELNS1_11target_archE1030ELNS1_3gpuE2ELNS1_3repE0EEENS1_30default_config_static_selectorELNS0_4arch9wavefront6targetE1EEEvT1_ ; -- Begin function _ZN7rocprim17ROCPRIM_400000_NS6detail17trampoline_kernelINS0_14default_configENS1_20scan_config_selectorIN3c107complexIdEEEEZZNS1_9scan_implILNS1_25lookback_scan_determinismE0ELb0ELb0ES3_PKS7_PS7_S7_ZZZN2at6native31launch_logcumsumexp_cuda_kernelERKNSE_10TensorBaseESI_lENKUlvE_clEvENKUlvE1_clEvEUlS7_S7_E_S7_EEDaPvRmT3_T4_T5_mT6_P12ihipStream_tbENKUlT_T0_E_clISt17integral_constantIbLb0EESZ_EEDaSU_SV_EUlSU_E0_NS1_11comp_targetILNS1_3genE8ELNS1_11target_archE1030ELNS1_3gpuE2ELNS1_3repE0EEENS1_30default_config_static_selectorELNS0_4arch9wavefront6targetE1EEEvT1_
	.p2align	8
	.type	_ZN7rocprim17ROCPRIM_400000_NS6detail17trampoline_kernelINS0_14default_configENS1_20scan_config_selectorIN3c107complexIdEEEEZZNS1_9scan_implILNS1_25lookback_scan_determinismE0ELb0ELb0ES3_PKS7_PS7_S7_ZZZN2at6native31launch_logcumsumexp_cuda_kernelERKNSE_10TensorBaseESI_lENKUlvE_clEvENKUlvE1_clEvEUlS7_S7_E_S7_EEDaPvRmT3_T4_T5_mT6_P12ihipStream_tbENKUlT_T0_E_clISt17integral_constantIbLb0EESZ_EEDaSU_SV_EUlSU_E0_NS1_11comp_targetILNS1_3genE8ELNS1_11target_archE1030ELNS1_3gpuE2ELNS1_3repE0EEENS1_30default_config_static_selectorELNS0_4arch9wavefront6targetE1EEEvT1_,@function
_ZN7rocprim17ROCPRIM_400000_NS6detail17trampoline_kernelINS0_14default_configENS1_20scan_config_selectorIN3c107complexIdEEEEZZNS1_9scan_implILNS1_25lookback_scan_determinismE0ELb0ELb0ES3_PKS7_PS7_S7_ZZZN2at6native31launch_logcumsumexp_cuda_kernelERKNSE_10TensorBaseESI_lENKUlvE_clEvENKUlvE1_clEvEUlS7_S7_E_S7_EEDaPvRmT3_T4_T5_mT6_P12ihipStream_tbENKUlT_T0_E_clISt17integral_constantIbLb0EESZ_EEDaSU_SV_EUlSU_E0_NS1_11comp_targetILNS1_3genE8ELNS1_11target_archE1030ELNS1_3gpuE2ELNS1_3repE0EEENS1_30default_config_static_selectorELNS0_4arch9wavefront6targetE1EEEvT1_: ; @_ZN7rocprim17ROCPRIM_400000_NS6detail17trampoline_kernelINS0_14default_configENS1_20scan_config_selectorIN3c107complexIdEEEEZZNS1_9scan_implILNS1_25lookback_scan_determinismE0ELb0ELb0ES3_PKS7_PS7_S7_ZZZN2at6native31launch_logcumsumexp_cuda_kernelERKNSE_10TensorBaseESI_lENKUlvE_clEvENKUlvE1_clEvEUlS7_S7_E_S7_EEDaPvRmT3_T4_T5_mT6_P12ihipStream_tbENKUlT_T0_E_clISt17integral_constantIbLb0EESZ_EEDaSU_SV_EUlSU_E0_NS1_11comp_targetILNS1_3genE8ELNS1_11target_archE1030ELNS1_3gpuE2ELNS1_3repE0EEENS1_30default_config_static_selectorELNS0_4arch9wavefront6targetE1EEEvT1_
; %bb.0:
	.section	.rodata,"a",@progbits
	.p2align	6, 0x0
	.amdhsa_kernel _ZN7rocprim17ROCPRIM_400000_NS6detail17trampoline_kernelINS0_14default_configENS1_20scan_config_selectorIN3c107complexIdEEEEZZNS1_9scan_implILNS1_25lookback_scan_determinismE0ELb0ELb0ES3_PKS7_PS7_S7_ZZZN2at6native31launch_logcumsumexp_cuda_kernelERKNSE_10TensorBaseESI_lENKUlvE_clEvENKUlvE1_clEvEUlS7_S7_E_S7_EEDaPvRmT3_T4_T5_mT6_P12ihipStream_tbENKUlT_T0_E_clISt17integral_constantIbLb0EESZ_EEDaSU_SV_EUlSU_E0_NS1_11comp_targetILNS1_3genE8ELNS1_11target_archE1030ELNS1_3gpuE2ELNS1_3repE0EEENS1_30default_config_static_selectorELNS0_4arch9wavefront6targetE1EEEvT1_
		.amdhsa_group_segment_fixed_size 0
		.amdhsa_private_segment_fixed_size 0
		.amdhsa_kernarg_size 48
		.amdhsa_user_sgpr_count 2
		.amdhsa_user_sgpr_dispatch_ptr 0
		.amdhsa_user_sgpr_queue_ptr 0
		.amdhsa_user_sgpr_kernarg_segment_ptr 1
		.amdhsa_user_sgpr_dispatch_id 0
		.amdhsa_user_sgpr_kernarg_preload_length 0
		.amdhsa_user_sgpr_kernarg_preload_offset 0
		.amdhsa_user_sgpr_private_segment_size 0
		.amdhsa_uses_dynamic_stack 0
		.amdhsa_enable_private_segment 0
		.amdhsa_system_sgpr_workgroup_id_x 1
		.amdhsa_system_sgpr_workgroup_id_y 0
		.amdhsa_system_sgpr_workgroup_id_z 0
		.amdhsa_system_sgpr_workgroup_info 0
		.amdhsa_system_vgpr_workitem_id 0
		.amdhsa_next_free_vgpr 1
		.amdhsa_next_free_sgpr 0
		.amdhsa_accum_offset 4
		.amdhsa_reserve_vcc 0
		.amdhsa_float_round_mode_32 0
		.amdhsa_float_round_mode_16_64 0
		.amdhsa_float_denorm_mode_32 3
		.amdhsa_float_denorm_mode_16_64 3
		.amdhsa_dx10_clamp 1
		.amdhsa_ieee_mode 1
		.amdhsa_fp16_overflow 0
		.amdhsa_tg_split 0
		.amdhsa_exception_fp_ieee_invalid_op 0
		.amdhsa_exception_fp_denorm_src 0
		.amdhsa_exception_fp_ieee_div_zero 0
		.amdhsa_exception_fp_ieee_overflow 0
		.amdhsa_exception_fp_ieee_underflow 0
		.amdhsa_exception_fp_ieee_inexact 0
		.amdhsa_exception_int_div_zero 0
	.end_amdhsa_kernel
	.section	.text._ZN7rocprim17ROCPRIM_400000_NS6detail17trampoline_kernelINS0_14default_configENS1_20scan_config_selectorIN3c107complexIdEEEEZZNS1_9scan_implILNS1_25lookback_scan_determinismE0ELb0ELb0ES3_PKS7_PS7_S7_ZZZN2at6native31launch_logcumsumexp_cuda_kernelERKNSE_10TensorBaseESI_lENKUlvE_clEvENKUlvE1_clEvEUlS7_S7_E_S7_EEDaPvRmT3_T4_T5_mT6_P12ihipStream_tbENKUlT_T0_E_clISt17integral_constantIbLb0EESZ_EEDaSU_SV_EUlSU_E0_NS1_11comp_targetILNS1_3genE8ELNS1_11target_archE1030ELNS1_3gpuE2ELNS1_3repE0EEENS1_30default_config_static_selectorELNS0_4arch9wavefront6targetE1EEEvT1_,"axG",@progbits,_ZN7rocprim17ROCPRIM_400000_NS6detail17trampoline_kernelINS0_14default_configENS1_20scan_config_selectorIN3c107complexIdEEEEZZNS1_9scan_implILNS1_25lookback_scan_determinismE0ELb0ELb0ES3_PKS7_PS7_S7_ZZZN2at6native31launch_logcumsumexp_cuda_kernelERKNSE_10TensorBaseESI_lENKUlvE_clEvENKUlvE1_clEvEUlS7_S7_E_S7_EEDaPvRmT3_T4_T5_mT6_P12ihipStream_tbENKUlT_T0_E_clISt17integral_constantIbLb0EESZ_EEDaSU_SV_EUlSU_E0_NS1_11comp_targetILNS1_3genE8ELNS1_11target_archE1030ELNS1_3gpuE2ELNS1_3repE0EEENS1_30default_config_static_selectorELNS0_4arch9wavefront6targetE1EEEvT1_,comdat
.Lfunc_end201:
	.size	_ZN7rocprim17ROCPRIM_400000_NS6detail17trampoline_kernelINS0_14default_configENS1_20scan_config_selectorIN3c107complexIdEEEEZZNS1_9scan_implILNS1_25lookback_scan_determinismE0ELb0ELb0ES3_PKS7_PS7_S7_ZZZN2at6native31launch_logcumsumexp_cuda_kernelERKNSE_10TensorBaseESI_lENKUlvE_clEvENKUlvE1_clEvEUlS7_S7_E_S7_EEDaPvRmT3_T4_T5_mT6_P12ihipStream_tbENKUlT_T0_E_clISt17integral_constantIbLb0EESZ_EEDaSU_SV_EUlSU_E0_NS1_11comp_targetILNS1_3genE8ELNS1_11target_archE1030ELNS1_3gpuE2ELNS1_3repE0EEENS1_30default_config_static_selectorELNS0_4arch9wavefront6targetE1EEEvT1_, .Lfunc_end201-_ZN7rocprim17ROCPRIM_400000_NS6detail17trampoline_kernelINS0_14default_configENS1_20scan_config_selectorIN3c107complexIdEEEEZZNS1_9scan_implILNS1_25lookback_scan_determinismE0ELb0ELb0ES3_PKS7_PS7_S7_ZZZN2at6native31launch_logcumsumexp_cuda_kernelERKNSE_10TensorBaseESI_lENKUlvE_clEvENKUlvE1_clEvEUlS7_S7_E_S7_EEDaPvRmT3_T4_T5_mT6_P12ihipStream_tbENKUlT_T0_E_clISt17integral_constantIbLb0EESZ_EEDaSU_SV_EUlSU_E0_NS1_11comp_targetILNS1_3genE8ELNS1_11target_archE1030ELNS1_3gpuE2ELNS1_3repE0EEENS1_30default_config_static_selectorELNS0_4arch9wavefront6targetE1EEEvT1_
                                        ; -- End function
	.set _ZN7rocprim17ROCPRIM_400000_NS6detail17trampoline_kernelINS0_14default_configENS1_20scan_config_selectorIN3c107complexIdEEEEZZNS1_9scan_implILNS1_25lookback_scan_determinismE0ELb0ELb0ES3_PKS7_PS7_S7_ZZZN2at6native31launch_logcumsumexp_cuda_kernelERKNSE_10TensorBaseESI_lENKUlvE_clEvENKUlvE1_clEvEUlS7_S7_E_S7_EEDaPvRmT3_T4_T5_mT6_P12ihipStream_tbENKUlT_T0_E_clISt17integral_constantIbLb0EESZ_EEDaSU_SV_EUlSU_E0_NS1_11comp_targetILNS1_3genE8ELNS1_11target_archE1030ELNS1_3gpuE2ELNS1_3repE0EEENS1_30default_config_static_selectorELNS0_4arch9wavefront6targetE1EEEvT1_.num_vgpr, 0
	.set _ZN7rocprim17ROCPRIM_400000_NS6detail17trampoline_kernelINS0_14default_configENS1_20scan_config_selectorIN3c107complexIdEEEEZZNS1_9scan_implILNS1_25lookback_scan_determinismE0ELb0ELb0ES3_PKS7_PS7_S7_ZZZN2at6native31launch_logcumsumexp_cuda_kernelERKNSE_10TensorBaseESI_lENKUlvE_clEvENKUlvE1_clEvEUlS7_S7_E_S7_EEDaPvRmT3_T4_T5_mT6_P12ihipStream_tbENKUlT_T0_E_clISt17integral_constantIbLb0EESZ_EEDaSU_SV_EUlSU_E0_NS1_11comp_targetILNS1_3genE8ELNS1_11target_archE1030ELNS1_3gpuE2ELNS1_3repE0EEENS1_30default_config_static_selectorELNS0_4arch9wavefront6targetE1EEEvT1_.num_agpr, 0
	.set _ZN7rocprim17ROCPRIM_400000_NS6detail17trampoline_kernelINS0_14default_configENS1_20scan_config_selectorIN3c107complexIdEEEEZZNS1_9scan_implILNS1_25lookback_scan_determinismE0ELb0ELb0ES3_PKS7_PS7_S7_ZZZN2at6native31launch_logcumsumexp_cuda_kernelERKNSE_10TensorBaseESI_lENKUlvE_clEvENKUlvE1_clEvEUlS7_S7_E_S7_EEDaPvRmT3_T4_T5_mT6_P12ihipStream_tbENKUlT_T0_E_clISt17integral_constantIbLb0EESZ_EEDaSU_SV_EUlSU_E0_NS1_11comp_targetILNS1_3genE8ELNS1_11target_archE1030ELNS1_3gpuE2ELNS1_3repE0EEENS1_30default_config_static_selectorELNS0_4arch9wavefront6targetE1EEEvT1_.numbered_sgpr, 0
	.set _ZN7rocprim17ROCPRIM_400000_NS6detail17trampoline_kernelINS0_14default_configENS1_20scan_config_selectorIN3c107complexIdEEEEZZNS1_9scan_implILNS1_25lookback_scan_determinismE0ELb0ELb0ES3_PKS7_PS7_S7_ZZZN2at6native31launch_logcumsumexp_cuda_kernelERKNSE_10TensorBaseESI_lENKUlvE_clEvENKUlvE1_clEvEUlS7_S7_E_S7_EEDaPvRmT3_T4_T5_mT6_P12ihipStream_tbENKUlT_T0_E_clISt17integral_constantIbLb0EESZ_EEDaSU_SV_EUlSU_E0_NS1_11comp_targetILNS1_3genE8ELNS1_11target_archE1030ELNS1_3gpuE2ELNS1_3repE0EEENS1_30default_config_static_selectorELNS0_4arch9wavefront6targetE1EEEvT1_.num_named_barrier, 0
	.set _ZN7rocprim17ROCPRIM_400000_NS6detail17trampoline_kernelINS0_14default_configENS1_20scan_config_selectorIN3c107complexIdEEEEZZNS1_9scan_implILNS1_25lookback_scan_determinismE0ELb0ELb0ES3_PKS7_PS7_S7_ZZZN2at6native31launch_logcumsumexp_cuda_kernelERKNSE_10TensorBaseESI_lENKUlvE_clEvENKUlvE1_clEvEUlS7_S7_E_S7_EEDaPvRmT3_T4_T5_mT6_P12ihipStream_tbENKUlT_T0_E_clISt17integral_constantIbLb0EESZ_EEDaSU_SV_EUlSU_E0_NS1_11comp_targetILNS1_3genE8ELNS1_11target_archE1030ELNS1_3gpuE2ELNS1_3repE0EEENS1_30default_config_static_selectorELNS0_4arch9wavefront6targetE1EEEvT1_.private_seg_size, 0
	.set _ZN7rocprim17ROCPRIM_400000_NS6detail17trampoline_kernelINS0_14default_configENS1_20scan_config_selectorIN3c107complexIdEEEEZZNS1_9scan_implILNS1_25lookback_scan_determinismE0ELb0ELb0ES3_PKS7_PS7_S7_ZZZN2at6native31launch_logcumsumexp_cuda_kernelERKNSE_10TensorBaseESI_lENKUlvE_clEvENKUlvE1_clEvEUlS7_S7_E_S7_EEDaPvRmT3_T4_T5_mT6_P12ihipStream_tbENKUlT_T0_E_clISt17integral_constantIbLb0EESZ_EEDaSU_SV_EUlSU_E0_NS1_11comp_targetILNS1_3genE8ELNS1_11target_archE1030ELNS1_3gpuE2ELNS1_3repE0EEENS1_30default_config_static_selectorELNS0_4arch9wavefront6targetE1EEEvT1_.uses_vcc, 0
	.set _ZN7rocprim17ROCPRIM_400000_NS6detail17trampoline_kernelINS0_14default_configENS1_20scan_config_selectorIN3c107complexIdEEEEZZNS1_9scan_implILNS1_25lookback_scan_determinismE0ELb0ELb0ES3_PKS7_PS7_S7_ZZZN2at6native31launch_logcumsumexp_cuda_kernelERKNSE_10TensorBaseESI_lENKUlvE_clEvENKUlvE1_clEvEUlS7_S7_E_S7_EEDaPvRmT3_T4_T5_mT6_P12ihipStream_tbENKUlT_T0_E_clISt17integral_constantIbLb0EESZ_EEDaSU_SV_EUlSU_E0_NS1_11comp_targetILNS1_3genE8ELNS1_11target_archE1030ELNS1_3gpuE2ELNS1_3repE0EEENS1_30default_config_static_selectorELNS0_4arch9wavefront6targetE1EEEvT1_.uses_flat_scratch, 0
	.set _ZN7rocprim17ROCPRIM_400000_NS6detail17trampoline_kernelINS0_14default_configENS1_20scan_config_selectorIN3c107complexIdEEEEZZNS1_9scan_implILNS1_25lookback_scan_determinismE0ELb0ELb0ES3_PKS7_PS7_S7_ZZZN2at6native31launch_logcumsumexp_cuda_kernelERKNSE_10TensorBaseESI_lENKUlvE_clEvENKUlvE1_clEvEUlS7_S7_E_S7_EEDaPvRmT3_T4_T5_mT6_P12ihipStream_tbENKUlT_T0_E_clISt17integral_constantIbLb0EESZ_EEDaSU_SV_EUlSU_E0_NS1_11comp_targetILNS1_3genE8ELNS1_11target_archE1030ELNS1_3gpuE2ELNS1_3repE0EEENS1_30default_config_static_selectorELNS0_4arch9wavefront6targetE1EEEvT1_.has_dyn_sized_stack, 0
	.set _ZN7rocprim17ROCPRIM_400000_NS6detail17trampoline_kernelINS0_14default_configENS1_20scan_config_selectorIN3c107complexIdEEEEZZNS1_9scan_implILNS1_25lookback_scan_determinismE0ELb0ELb0ES3_PKS7_PS7_S7_ZZZN2at6native31launch_logcumsumexp_cuda_kernelERKNSE_10TensorBaseESI_lENKUlvE_clEvENKUlvE1_clEvEUlS7_S7_E_S7_EEDaPvRmT3_T4_T5_mT6_P12ihipStream_tbENKUlT_T0_E_clISt17integral_constantIbLb0EESZ_EEDaSU_SV_EUlSU_E0_NS1_11comp_targetILNS1_3genE8ELNS1_11target_archE1030ELNS1_3gpuE2ELNS1_3repE0EEENS1_30default_config_static_selectorELNS0_4arch9wavefront6targetE1EEEvT1_.has_recursion, 0
	.set _ZN7rocprim17ROCPRIM_400000_NS6detail17trampoline_kernelINS0_14default_configENS1_20scan_config_selectorIN3c107complexIdEEEEZZNS1_9scan_implILNS1_25lookback_scan_determinismE0ELb0ELb0ES3_PKS7_PS7_S7_ZZZN2at6native31launch_logcumsumexp_cuda_kernelERKNSE_10TensorBaseESI_lENKUlvE_clEvENKUlvE1_clEvEUlS7_S7_E_S7_EEDaPvRmT3_T4_T5_mT6_P12ihipStream_tbENKUlT_T0_E_clISt17integral_constantIbLb0EESZ_EEDaSU_SV_EUlSU_E0_NS1_11comp_targetILNS1_3genE8ELNS1_11target_archE1030ELNS1_3gpuE2ELNS1_3repE0EEENS1_30default_config_static_selectorELNS0_4arch9wavefront6targetE1EEEvT1_.has_indirect_call, 0
	.section	.AMDGPU.csdata,"",@progbits
; Kernel info:
; codeLenInByte = 0
; TotalNumSgprs: 6
; NumVgprs: 0
; NumAgprs: 0
; TotalNumVgprs: 0
; ScratchSize: 0
; MemoryBound: 0
; FloatMode: 240
; IeeeMode: 1
; LDSByteSize: 0 bytes/workgroup (compile time only)
; SGPRBlocks: 0
; VGPRBlocks: 0
; NumSGPRsForWavesPerEU: 6
; NumVGPRsForWavesPerEU: 1
; AccumOffset: 4
; Occupancy: 8
; WaveLimiterHint : 0
; COMPUTE_PGM_RSRC2:SCRATCH_EN: 0
; COMPUTE_PGM_RSRC2:USER_SGPR: 2
; COMPUTE_PGM_RSRC2:TRAP_HANDLER: 0
; COMPUTE_PGM_RSRC2:TGID_X_EN: 1
; COMPUTE_PGM_RSRC2:TGID_Y_EN: 0
; COMPUTE_PGM_RSRC2:TGID_Z_EN: 0
; COMPUTE_PGM_RSRC2:TIDIG_COMP_CNT: 0
; COMPUTE_PGM_RSRC3_GFX90A:ACCUM_OFFSET: 0
; COMPUTE_PGM_RSRC3_GFX90A:TG_SPLIT: 0
	.section	.text._ZN7rocprim17ROCPRIM_400000_NS6detail31init_lookback_scan_state_kernelINS1_19lookback_scan_stateIN3c107complexIdEELb1ELb0EEENS1_16block_id_wrapperIjLb1EEEEEvT_jT0_jPNSA_10value_typeE,"axG",@progbits,_ZN7rocprim17ROCPRIM_400000_NS6detail31init_lookback_scan_state_kernelINS1_19lookback_scan_stateIN3c107complexIdEELb1ELb0EEENS1_16block_id_wrapperIjLb1EEEEEvT_jT0_jPNSA_10value_typeE,comdat
	.protected	_ZN7rocprim17ROCPRIM_400000_NS6detail31init_lookback_scan_state_kernelINS1_19lookback_scan_stateIN3c107complexIdEELb1ELb0EEENS1_16block_id_wrapperIjLb1EEEEEvT_jT0_jPNSA_10value_typeE ; -- Begin function _ZN7rocprim17ROCPRIM_400000_NS6detail31init_lookback_scan_state_kernelINS1_19lookback_scan_stateIN3c107complexIdEELb1ELb0EEENS1_16block_id_wrapperIjLb1EEEEEvT_jT0_jPNSA_10value_typeE
	.globl	_ZN7rocprim17ROCPRIM_400000_NS6detail31init_lookback_scan_state_kernelINS1_19lookback_scan_stateIN3c107complexIdEELb1ELb0EEENS1_16block_id_wrapperIjLb1EEEEEvT_jT0_jPNSA_10value_typeE
	.p2align	8
	.type	_ZN7rocprim17ROCPRIM_400000_NS6detail31init_lookback_scan_state_kernelINS1_19lookback_scan_stateIN3c107complexIdEELb1ELb0EEENS1_16block_id_wrapperIjLb1EEEEEvT_jT0_jPNSA_10value_typeE,@function
_ZN7rocprim17ROCPRIM_400000_NS6detail31init_lookback_scan_state_kernelINS1_19lookback_scan_stateIN3c107complexIdEELb1ELb0EEENS1_16block_id_wrapperIjLb1EEEEEvT_jT0_jPNSA_10value_typeE: ; @_ZN7rocprim17ROCPRIM_400000_NS6detail31init_lookback_scan_state_kernelINS1_19lookback_scan_stateIN3c107complexIdEELb1ELb0EEENS1_16block_id_wrapperIjLb1EEEEEvT_jT0_jPNSA_10value_typeE
; %bb.0:
	s_load_dword s3, s[0:1], 0x44
	s_load_dwordx2 s[10:11], s[0:1], 0x30
	s_load_dwordx2 s[8:9], s[0:1], 0x10
	s_load_dword s16, s[0:1], 0x18
	s_waitcnt lgkmcnt(0)
	s_and_b32 s3, s3, 0xffff
	s_mul_i32 s2, s2, s3
	s_cmp_eq_u64 s[10:11], 0
	v_add_u32_e32 v0, s2, v0
	s_cbranch_scc1 .LBB202_9
; %bb.1:
	s_load_dword s4, s[0:1], 0x28
	s_mov_b32 s13, 0
	s_waitcnt lgkmcnt(0)
	s_cmp_lt_u32 s4, s16
	s_cselect_b32 s2, s4, 0
	v_cmp_eq_u32_e32 vcc, s2, v0
	s_and_saveexec_b64 s[2:3], vcc
	s_cbranch_execz .LBB202_8
; %bb.2:
	s_add_i32 s12, s4, 64
	v_mov_b32_e32 v1, s12
	global_load_ubyte v2, v1, s[8:9] sc1
	s_load_dwordx4 s[4:7], s[0:1], 0x0
	v_mov_b32_e32 v1, 0
	s_add_u32 s14, s8, s12
	s_addc_u32 s15, s9, 0
	s_waitcnt vmcnt(0)
	v_cmp_ne_u32_sdwa s[18:19], v2, v1 src0_sel:WORD_0 src1_sel:DWORD
	s_and_b64 vcc, exec, s[18:19]
	v_readfirstlane_b32 s18, v2
	s_cbranch_vccnz .LBB202_7
; %bb.3:
	s_mov_b32 s17, 1
.LBB202_4:                              ; =>This Loop Header: Depth=1
                                        ;     Child Loop BB202_5 Depth 2
	s_mov_b32 s18, s17
.LBB202_5:                              ;   Parent Loop BB202_4 Depth=1
                                        ; =>  This Inner Loop Header: Depth=2
	s_add_i32 s18, s18, -1
	s_cmp_eq_u32 s18, 0
	s_sleep 1
	s_cbranch_scc0 .LBB202_5
; %bb.6:                                ;   in Loop: Header=BB202_4 Depth=1
	global_load_ubyte v2, v1, s[14:15] sc1
	s_cmp_lt_u32 s17, 32
	s_cselect_b64 s[18:19], -1, 0
	s_cmp_lg_u64 s[18:19], 0
	s_addc_u32 s17, s17, 0
	s_waitcnt vmcnt(0)
	v_cmp_ne_u32_sdwa s[18:19], v2, v1 src0_sel:WORD_0 src1_sel:DWORD
	s_and_b64 vcc, exec, s[18:19]
	v_readfirstlane_b32 s18, v2
	s_cbranch_vccz .LBB202_4
.LBB202_7:
	s_and_b32 s14, 0xffff, s18
	s_cmp_eq_u32 s14, 1
	s_waitcnt lgkmcnt(0)
	s_cselect_b32 s7, s5, s7
	s_cselect_b32 s6, s4, s6
	s_lshl_b64 s[4:5], s[12:13], 4
	s_add_u32 s4, s6, s4
	s_addc_u32 s5, s7, s5
	v_mov_b32_e32 v1, 0
	s_waitcnt vmcnt(0)
	global_load_dword v2, v1, s[4:5] sc1
	global_load_dword v3, v1, s[4:5] offset:4 sc1
	global_load_dword v4, v1, s[4:5] offset:8 sc1
	;; [unrolled: 1-line block ×3, first 2 shown]
	s_waitcnt vmcnt(0)
	global_store_dwordx4 v1, v[2:5], s[10:11]
.LBB202_8:
	s_or_b64 exec, exec, s[2:3]
.LBB202_9:
	v_cmp_eq_u32_e32 vcc, 0, v0
	s_and_saveexec_b64 s[2:3], vcc
	s_cbranch_execnz .LBB202_13
; %bb.10:
	s_or_b64 exec, exec, s[2:3]
	v_cmp_gt_u32_e32 vcc, s16, v0
	s_and_saveexec_b64 s[0:1], vcc
	s_cbranch_execnz .LBB202_14
.LBB202_11:
	s_or_b64 exec, exec, s[0:1]
	v_cmp_gt_u32_e32 vcc, 64, v0
	s_and_saveexec_b64 s[0:1], vcc
	s_cbranch_execnz .LBB202_15
.LBB202_12:
	s_endpgm
.LBB202_13:
	s_load_dwordx2 s[0:1], s[0:1], 0x20
	v_mov_b32_e32 v1, 0
	s_waitcnt lgkmcnt(0)
	global_store_dword v1, v1, s[0:1]
	s_or_b64 exec, exec, s[2:3]
	v_cmp_gt_u32_e32 vcc, s16, v0
	s_and_saveexec_b64 s[0:1], vcc
	s_cbranch_execz .LBB202_11
.LBB202_14:
	v_add_u32_e32 v1, 64, v0
	v_mov_b32_e32 v2, 0
	global_store_byte v1, v2, s[8:9]
	s_or_b64 exec, exec, s[0:1]
	v_cmp_gt_u32_e32 vcc, 64, v0
	s_and_saveexec_b64 s[0:1], vcc
	s_cbranch_execz .LBB202_12
.LBB202_15:
	v_mov_b32_e32 v1, 0xff
	global_store_byte v0, v1, s[8:9]
	s_endpgm
	.section	.rodata,"a",@progbits
	.p2align	6, 0x0
	.amdhsa_kernel _ZN7rocprim17ROCPRIM_400000_NS6detail31init_lookback_scan_state_kernelINS1_19lookback_scan_stateIN3c107complexIdEELb1ELb0EEENS1_16block_id_wrapperIjLb1EEEEEvT_jT0_jPNSA_10value_typeE
		.amdhsa_group_segment_fixed_size 0
		.amdhsa_private_segment_fixed_size 0
		.amdhsa_kernarg_size 312
		.amdhsa_user_sgpr_count 2
		.amdhsa_user_sgpr_dispatch_ptr 0
		.amdhsa_user_sgpr_queue_ptr 0
		.amdhsa_user_sgpr_kernarg_segment_ptr 1
		.amdhsa_user_sgpr_dispatch_id 0
		.amdhsa_user_sgpr_kernarg_preload_length 0
		.amdhsa_user_sgpr_kernarg_preload_offset 0
		.amdhsa_user_sgpr_private_segment_size 0
		.amdhsa_uses_dynamic_stack 0
		.amdhsa_enable_private_segment 0
		.amdhsa_system_sgpr_workgroup_id_x 1
		.amdhsa_system_sgpr_workgroup_id_y 0
		.amdhsa_system_sgpr_workgroup_id_z 0
		.amdhsa_system_sgpr_workgroup_info 0
		.amdhsa_system_vgpr_workitem_id 0
		.amdhsa_next_free_vgpr 6
		.amdhsa_next_free_sgpr 20
		.amdhsa_accum_offset 8
		.amdhsa_reserve_vcc 1
		.amdhsa_float_round_mode_32 0
		.amdhsa_float_round_mode_16_64 0
		.amdhsa_float_denorm_mode_32 3
		.amdhsa_float_denorm_mode_16_64 3
		.amdhsa_dx10_clamp 1
		.amdhsa_ieee_mode 1
		.amdhsa_fp16_overflow 0
		.amdhsa_tg_split 0
		.amdhsa_exception_fp_ieee_invalid_op 0
		.amdhsa_exception_fp_denorm_src 0
		.amdhsa_exception_fp_ieee_div_zero 0
		.amdhsa_exception_fp_ieee_overflow 0
		.amdhsa_exception_fp_ieee_underflow 0
		.amdhsa_exception_fp_ieee_inexact 0
		.amdhsa_exception_int_div_zero 0
	.end_amdhsa_kernel
	.section	.text._ZN7rocprim17ROCPRIM_400000_NS6detail31init_lookback_scan_state_kernelINS1_19lookback_scan_stateIN3c107complexIdEELb1ELb0EEENS1_16block_id_wrapperIjLb1EEEEEvT_jT0_jPNSA_10value_typeE,"axG",@progbits,_ZN7rocprim17ROCPRIM_400000_NS6detail31init_lookback_scan_state_kernelINS1_19lookback_scan_stateIN3c107complexIdEELb1ELb0EEENS1_16block_id_wrapperIjLb1EEEEEvT_jT0_jPNSA_10value_typeE,comdat
.Lfunc_end202:
	.size	_ZN7rocprim17ROCPRIM_400000_NS6detail31init_lookback_scan_state_kernelINS1_19lookback_scan_stateIN3c107complexIdEELb1ELb0EEENS1_16block_id_wrapperIjLb1EEEEEvT_jT0_jPNSA_10value_typeE, .Lfunc_end202-_ZN7rocprim17ROCPRIM_400000_NS6detail31init_lookback_scan_state_kernelINS1_19lookback_scan_stateIN3c107complexIdEELb1ELb0EEENS1_16block_id_wrapperIjLb1EEEEEvT_jT0_jPNSA_10value_typeE
                                        ; -- End function
	.set _ZN7rocprim17ROCPRIM_400000_NS6detail31init_lookback_scan_state_kernelINS1_19lookback_scan_stateIN3c107complexIdEELb1ELb0EEENS1_16block_id_wrapperIjLb1EEEEEvT_jT0_jPNSA_10value_typeE.num_vgpr, 6
	.set _ZN7rocprim17ROCPRIM_400000_NS6detail31init_lookback_scan_state_kernelINS1_19lookback_scan_stateIN3c107complexIdEELb1ELb0EEENS1_16block_id_wrapperIjLb1EEEEEvT_jT0_jPNSA_10value_typeE.num_agpr, 0
	.set _ZN7rocprim17ROCPRIM_400000_NS6detail31init_lookback_scan_state_kernelINS1_19lookback_scan_stateIN3c107complexIdEELb1ELb0EEENS1_16block_id_wrapperIjLb1EEEEEvT_jT0_jPNSA_10value_typeE.numbered_sgpr, 20
	.set _ZN7rocprim17ROCPRIM_400000_NS6detail31init_lookback_scan_state_kernelINS1_19lookback_scan_stateIN3c107complexIdEELb1ELb0EEENS1_16block_id_wrapperIjLb1EEEEEvT_jT0_jPNSA_10value_typeE.num_named_barrier, 0
	.set _ZN7rocprim17ROCPRIM_400000_NS6detail31init_lookback_scan_state_kernelINS1_19lookback_scan_stateIN3c107complexIdEELb1ELb0EEENS1_16block_id_wrapperIjLb1EEEEEvT_jT0_jPNSA_10value_typeE.private_seg_size, 0
	.set _ZN7rocprim17ROCPRIM_400000_NS6detail31init_lookback_scan_state_kernelINS1_19lookback_scan_stateIN3c107complexIdEELb1ELb0EEENS1_16block_id_wrapperIjLb1EEEEEvT_jT0_jPNSA_10value_typeE.uses_vcc, 1
	.set _ZN7rocprim17ROCPRIM_400000_NS6detail31init_lookback_scan_state_kernelINS1_19lookback_scan_stateIN3c107complexIdEELb1ELb0EEENS1_16block_id_wrapperIjLb1EEEEEvT_jT0_jPNSA_10value_typeE.uses_flat_scratch, 0
	.set _ZN7rocprim17ROCPRIM_400000_NS6detail31init_lookback_scan_state_kernelINS1_19lookback_scan_stateIN3c107complexIdEELb1ELb0EEENS1_16block_id_wrapperIjLb1EEEEEvT_jT0_jPNSA_10value_typeE.has_dyn_sized_stack, 0
	.set _ZN7rocprim17ROCPRIM_400000_NS6detail31init_lookback_scan_state_kernelINS1_19lookback_scan_stateIN3c107complexIdEELb1ELb0EEENS1_16block_id_wrapperIjLb1EEEEEvT_jT0_jPNSA_10value_typeE.has_recursion, 0
	.set _ZN7rocprim17ROCPRIM_400000_NS6detail31init_lookback_scan_state_kernelINS1_19lookback_scan_stateIN3c107complexIdEELb1ELb0EEENS1_16block_id_wrapperIjLb1EEEEEvT_jT0_jPNSA_10value_typeE.has_indirect_call, 0
	.section	.AMDGPU.csdata,"",@progbits
; Kernel info:
; codeLenInByte = 460
; TotalNumSgprs: 26
; NumVgprs: 6
; NumAgprs: 0
; TotalNumVgprs: 6
; ScratchSize: 0
; MemoryBound: 0
; FloatMode: 240
; IeeeMode: 1
; LDSByteSize: 0 bytes/workgroup (compile time only)
; SGPRBlocks: 3
; VGPRBlocks: 0
; NumSGPRsForWavesPerEU: 26
; NumVGPRsForWavesPerEU: 6
; AccumOffset: 8
; Occupancy: 8
; WaveLimiterHint : 0
; COMPUTE_PGM_RSRC2:SCRATCH_EN: 0
; COMPUTE_PGM_RSRC2:USER_SGPR: 2
; COMPUTE_PGM_RSRC2:TRAP_HANDLER: 0
; COMPUTE_PGM_RSRC2:TGID_X_EN: 1
; COMPUTE_PGM_RSRC2:TGID_Y_EN: 0
; COMPUTE_PGM_RSRC2:TGID_Z_EN: 0
; COMPUTE_PGM_RSRC2:TIDIG_COMP_CNT: 0
; COMPUTE_PGM_RSRC3_GFX90A:ACCUM_OFFSET: 1
; COMPUTE_PGM_RSRC3_GFX90A:TG_SPLIT: 0
	.section	.text._ZN7rocprim17ROCPRIM_400000_NS6detail17trampoline_kernelINS0_14default_configENS1_20scan_config_selectorIN3c107complexIdEEEEZZNS1_9scan_implILNS1_25lookback_scan_determinismE0ELb0ELb0ES3_PKS7_PS7_S7_ZZZN2at6native31launch_logcumsumexp_cuda_kernelERKNSE_10TensorBaseESI_lENKUlvE_clEvENKUlvE1_clEvEUlS7_S7_E_S7_EEDaPvRmT3_T4_T5_mT6_P12ihipStream_tbENKUlT_T0_E_clISt17integral_constantIbLb1EESZ_EEDaSU_SV_EUlSU_E_NS1_11comp_targetILNS1_3genE0ELNS1_11target_archE4294967295ELNS1_3gpuE0ELNS1_3repE0EEENS1_30default_config_static_selectorELNS0_4arch9wavefront6targetE1EEEvT1_,"axG",@progbits,_ZN7rocprim17ROCPRIM_400000_NS6detail17trampoline_kernelINS0_14default_configENS1_20scan_config_selectorIN3c107complexIdEEEEZZNS1_9scan_implILNS1_25lookback_scan_determinismE0ELb0ELb0ES3_PKS7_PS7_S7_ZZZN2at6native31launch_logcumsumexp_cuda_kernelERKNSE_10TensorBaseESI_lENKUlvE_clEvENKUlvE1_clEvEUlS7_S7_E_S7_EEDaPvRmT3_T4_T5_mT6_P12ihipStream_tbENKUlT_T0_E_clISt17integral_constantIbLb1EESZ_EEDaSU_SV_EUlSU_E_NS1_11comp_targetILNS1_3genE0ELNS1_11target_archE4294967295ELNS1_3gpuE0ELNS1_3repE0EEENS1_30default_config_static_selectorELNS0_4arch9wavefront6targetE1EEEvT1_,comdat
	.globl	_ZN7rocprim17ROCPRIM_400000_NS6detail17trampoline_kernelINS0_14default_configENS1_20scan_config_selectorIN3c107complexIdEEEEZZNS1_9scan_implILNS1_25lookback_scan_determinismE0ELb0ELb0ES3_PKS7_PS7_S7_ZZZN2at6native31launch_logcumsumexp_cuda_kernelERKNSE_10TensorBaseESI_lENKUlvE_clEvENKUlvE1_clEvEUlS7_S7_E_S7_EEDaPvRmT3_T4_T5_mT6_P12ihipStream_tbENKUlT_T0_E_clISt17integral_constantIbLb1EESZ_EEDaSU_SV_EUlSU_E_NS1_11comp_targetILNS1_3genE0ELNS1_11target_archE4294967295ELNS1_3gpuE0ELNS1_3repE0EEENS1_30default_config_static_selectorELNS0_4arch9wavefront6targetE1EEEvT1_ ; -- Begin function _ZN7rocprim17ROCPRIM_400000_NS6detail17trampoline_kernelINS0_14default_configENS1_20scan_config_selectorIN3c107complexIdEEEEZZNS1_9scan_implILNS1_25lookback_scan_determinismE0ELb0ELb0ES3_PKS7_PS7_S7_ZZZN2at6native31launch_logcumsumexp_cuda_kernelERKNSE_10TensorBaseESI_lENKUlvE_clEvENKUlvE1_clEvEUlS7_S7_E_S7_EEDaPvRmT3_T4_T5_mT6_P12ihipStream_tbENKUlT_T0_E_clISt17integral_constantIbLb1EESZ_EEDaSU_SV_EUlSU_E_NS1_11comp_targetILNS1_3genE0ELNS1_11target_archE4294967295ELNS1_3gpuE0ELNS1_3repE0EEENS1_30default_config_static_selectorELNS0_4arch9wavefront6targetE1EEEvT1_
	.p2align	8
	.type	_ZN7rocprim17ROCPRIM_400000_NS6detail17trampoline_kernelINS0_14default_configENS1_20scan_config_selectorIN3c107complexIdEEEEZZNS1_9scan_implILNS1_25lookback_scan_determinismE0ELb0ELb0ES3_PKS7_PS7_S7_ZZZN2at6native31launch_logcumsumexp_cuda_kernelERKNSE_10TensorBaseESI_lENKUlvE_clEvENKUlvE1_clEvEUlS7_S7_E_S7_EEDaPvRmT3_T4_T5_mT6_P12ihipStream_tbENKUlT_T0_E_clISt17integral_constantIbLb1EESZ_EEDaSU_SV_EUlSU_E_NS1_11comp_targetILNS1_3genE0ELNS1_11target_archE4294967295ELNS1_3gpuE0ELNS1_3repE0EEENS1_30default_config_static_selectorELNS0_4arch9wavefront6targetE1EEEvT1_,@function
_ZN7rocprim17ROCPRIM_400000_NS6detail17trampoline_kernelINS0_14default_configENS1_20scan_config_selectorIN3c107complexIdEEEEZZNS1_9scan_implILNS1_25lookback_scan_determinismE0ELb0ELb0ES3_PKS7_PS7_S7_ZZZN2at6native31launch_logcumsumexp_cuda_kernelERKNSE_10TensorBaseESI_lENKUlvE_clEvENKUlvE1_clEvEUlS7_S7_E_S7_EEDaPvRmT3_T4_T5_mT6_P12ihipStream_tbENKUlT_T0_E_clISt17integral_constantIbLb1EESZ_EEDaSU_SV_EUlSU_E_NS1_11comp_targetILNS1_3genE0ELNS1_11target_archE4294967295ELNS1_3gpuE0ELNS1_3repE0EEENS1_30default_config_static_selectorELNS0_4arch9wavefront6targetE1EEEvT1_: ; @_ZN7rocprim17ROCPRIM_400000_NS6detail17trampoline_kernelINS0_14default_configENS1_20scan_config_selectorIN3c107complexIdEEEEZZNS1_9scan_implILNS1_25lookback_scan_determinismE0ELb0ELb0ES3_PKS7_PS7_S7_ZZZN2at6native31launch_logcumsumexp_cuda_kernelERKNSE_10TensorBaseESI_lENKUlvE_clEvENKUlvE1_clEvEUlS7_S7_E_S7_EEDaPvRmT3_T4_T5_mT6_P12ihipStream_tbENKUlT_T0_E_clISt17integral_constantIbLb1EESZ_EEDaSU_SV_EUlSU_E_NS1_11comp_targetILNS1_3genE0ELNS1_11target_archE4294967295ELNS1_3gpuE0ELNS1_3repE0EEENS1_30default_config_static_selectorELNS0_4arch9wavefront6targetE1EEEvT1_
; %bb.0:
	s_endpgm
	.section	.rodata,"a",@progbits
	.p2align	6, 0x0
	.amdhsa_kernel _ZN7rocprim17ROCPRIM_400000_NS6detail17trampoline_kernelINS0_14default_configENS1_20scan_config_selectorIN3c107complexIdEEEEZZNS1_9scan_implILNS1_25lookback_scan_determinismE0ELb0ELb0ES3_PKS7_PS7_S7_ZZZN2at6native31launch_logcumsumexp_cuda_kernelERKNSE_10TensorBaseESI_lENKUlvE_clEvENKUlvE1_clEvEUlS7_S7_E_S7_EEDaPvRmT3_T4_T5_mT6_P12ihipStream_tbENKUlT_T0_E_clISt17integral_constantIbLb1EESZ_EEDaSU_SV_EUlSU_E_NS1_11comp_targetILNS1_3genE0ELNS1_11target_archE4294967295ELNS1_3gpuE0ELNS1_3repE0EEENS1_30default_config_static_selectorELNS0_4arch9wavefront6targetE1EEEvT1_
		.amdhsa_group_segment_fixed_size 0
		.amdhsa_private_segment_fixed_size 0
		.amdhsa_kernarg_size 128
		.amdhsa_user_sgpr_count 2
		.amdhsa_user_sgpr_dispatch_ptr 0
		.amdhsa_user_sgpr_queue_ptr 0
		.amdhsa_user_sgpr_kernarg_segment_ptr 1
		.amdhsa_user_sgpr_dispatch_id 0
		.amdhsa_user_sgpr_kernarg_preload_length 0
		.amdhsa_user_sgpr_kernarg_preload_offset 0
		.amdhsa_user_sgpr_private_segment_size 0
		.amdhsa_uses_dynamic_stack 0
		.amdhsa_enable_private_segment 0
		.amdhsa_system_sgpr_workgroup_id_x 1
		.amdhsa_system_sgpr_workgroup_id_y 0
		.amdhsa_system_sgpr_workgroup_id_z 0
		.amdhsa_system_sgpr_workgroup_info 0
		.amdhsa_system_vgpr_workitem_id 0
		.amdhsa_next_free_vgpr 1
		.amdhsa_next_free_sgpr 0
		.amdhsa_accum_offset 4
		.amdhsa_reserve_vcc 0
		.amdhsa_float_round_mode_32 0
		.amdhsa_float_round_mode_16_64 0
		.amdhsa_float_denorm_mode_32 3
		.amdhsa_float_denorm_mode_16_64 3
		.amdhsa_dx10_clamp 1
		.amdhsa_ieee_mode 1
		.amdhsa_fp16_overflow 0
		.amdhsa_tg_split 0
		.amdhsa_exception_fp_ieee_invalid_op 0
		.amdhsa_exception_fp_denorm_src 0
		.amdhsa_exception_fp_ieee_div_zero 0
		.amdhsa_exception_fp_ieee_overflow 0
		.amdhsa_exception_fp_ieee_underflow 0
		.amdhsa_exception_fp_ieee_inexact 0
		.amdhsa_exception_int_div_zero 0
	.end_amdhsa_kernel
	.section	.text._ZN7rocprim17ROCPRIM_400000_NS6detail17trampoline_kernelINS0_14default_configENS1_20scan_config_selectorIN3c107complexIdEEEEZZNS1_9scan_implILNS1_25lookback_scan_determinismE0ELb0ELb0ES3_PKS7_PS7_S7_ZZZN2at6native31launch_logcumsumexp_cuda_kernelERKNSE_10TensorBaseESI_lENKUlvE_clEvENKUlvE1_clEvEUlS7_S7_E_S7_EEDaPvRmT3_T4_T5_mT6_P12ihipStream_tbENKUlT_T0_E_clISt17integral_constantIbLb1EESZ_EEDaSU_SV_EUlSU_E_NS1_11comp_targetILNS1_3genE0ELNS1_11target_archE4294967295ELNS1_3gpuE0ELNS1_3repE0EEENS1_30default_config_static_selectorELNS0_4arch9wavefront6targetE1EEEvT1_,"axG",@progbits,_ZN7rocprim17ROCPRIM_400000_NS6detail17trampoline_kernelINS0_14default_configENS1_20scan_config_selectorIN3c107complexIdEEEEZZNS1_9scan_implILNS1_25lookback_scan_determinismE0ELb0ELb0ES3_PKS7_PS7_S7_ZZZN2at6native31launch_logcumsumexp_cuda_kernelERKNSE_10TensorBaseESI_lENKUlvE_clEvENKUlvE1_clEvEUlS7_S7_E_S7_EEDaPvRmT3_T4_T5_mT6_P12ihipStream_tbENKUlT_T0_E_clISt17integral_constantIbLb1EESZ_EEDaSU_SV_EUlSU_E_NS1_11comp_targetILNS1_3genE0ELNS1_11target_archE4294967295ELNS1_3gpuE0ELNS1_3repE0EEENS1_30default_config_static_selectorELNS0_4arch9wavefront6targetE1EEEvT1_,comdat
.Lfunc_end203:
	.size	_ZN7rocprim17ROCPRIM_400000_NS6detail17trampoline_kernelINS0_14default_configENS1_20scan_config_selectorIN3c107complexIdEEEEZZNS1_9scan_implILNS1_25lookback_scan_determinismE0ELb0ELb0ES3_PKS7_PS7_S7_ZZZN2at6native31launch_logcumsumexp_cuda_kernelERKNSE_10TensorBaseESI_lENKUlvE_clEvENKUlvE1_clEvEUlS7_S7_E_S7_EEDaPvRmT3_T4_T5_mT6_P12ihipStream_tbENKUlT_T0_E_clISt17integral_constantIbLb1EESZ_EEDaSU_SV_EUlSU_E_NS1_11comp_targetILNS1_3genE0ELNS1_11target_archE4294967295ELNS1_3gpuE0ELNS1_3repE0EEENS1_30default_config_static_selectorELNS0_4arch9wavefront6targetE1EEEvT1_, .Lfunc_end203-_ZN7rocprim17ROCPRIM_400000_NS6detail17trampoline_kernelINS0_14default_configENS1_20scan_config_selectorIN3c107complexIdEEEEZZNS1_9scan_implILNS1_25lookback_scan_determinismE0ELb0ELb0ES3_PKS7_PS7_S7_ZZZN2at6native31launch_logcumsumexp_cuda_kernelERKNSE_10TensorBaseESI_lENKUlvE_clEvENKUlvE1_clEvEUlS7_S7_E_S7_EEDaPvRmT3_T4_T5_mT6_P12ihipStream_tbENKUlT_T0_E_clISt17integral_constantIbLb1EESZ_EEDaSU_SV_EUlSU_E_NS1_11comp_targetILNS1_3genE0ELNS1_11target_archE4294967295ELNS1_3gpuE0ELNS1_3repE0EEENS1_30default_config_static_selectorELNS0_4arch9wavefront6targetE1EEEvT1_
                                        ; -- End function
	.set _ZN7rocprim17ROCPRIM_400000_NS6detail17trampoline_kernelINS0_14default_configENS1_20scan_config_selectorIN3c107complexIdEEEEZZNS1_9scan_implILNS1_25lookback_scan_determinismE0ELb0ELb0ES3_PKS7_PS7_S7_ZZZN2at6native31launch_logcumsumexp_cuda_kernelERKNSE_10TensorBaseESI_lENKUlvE_clEvENKUlvE1_clEvEUlS7_S7_E_S7_EEDaPvRmT3_T4_T5_mT6_P12ihipStream_tbENKUlT_T0_E_clISt17integral_constantIbLb1EESZ_EEDaSU_SV_EUlSU_E_NS1_11comp_targetILNS1_3genE0ELNS1_11target_archE4294967295ELNS1_3gpuE0ELNS1_3repE0EEENS1_30default_config_static_selectorELNS0_4arch9wavefront6targetE1EEEvT1_.num_vgpr, 0
	.set _ZN7rocprim17ROCPRIM_400000_NS6detail17trampoline_kernelINS0_14default_configENS1_20scan_config_selectorIN3c107complexIdEEEEZZNS1_9scan_implILNS1_25lookback_scan_determinismE0ELb0ELb0ES3_PKS7_PS7_S7_ZZZN2at6native31launch_logcumsumexp_cuda_kernelERKNSE_10TensorBaseESI_lENKUlvE_clEvENKUlvE1_clEvEUlS7_S7_E_S7_EEDaPvRmT3_T4_T5_mT6_P12ihipStream_tbENKUlT_T0_E_clISt17integral_constantIbLb1EESZ_EEDaSU_SV_EUlSU_E_NS1_11comp_targetILNS1_3genE0ELNS1_11target_archE4294967295ELNS1_3gpuE0ELNS1_3repE0EEENS1_30default_config_static_selectorELNS0_4arch9wavefront6targetE1EEEvT1_.num_agpr, 0
	.set _ZN7rocprim17ROCPRIM_400000_NS6detail17trampoline_kernelINS0_14default_configENS1_20scan_config_selectorIN3c107complexIdEEEEZZNS1_9scan_implILNS1_25lookback_scan_determinismE0ELb0ELb0ES3_PKS7_PS7_S7_ZZZN2at6native31launch_logcumsumexp_cuda_kernelERKNSE_10TensorBaseESI_lENKUlvE_clEvENKUlvE1_clEvEUlS7_S7_E_S7_EEDaPvRmT3_T4_T5_mT6_P12ihipStream_tbENKUlT_T0_E_clISt17integral_constantIbLb1EESZ_EEDaSU_SV_EUlSU_E_NS1_11comp_targetILNS1_3genE0ELNS1_11target_archE4294967295ELNS1_3gpuE0ELNS1_3repE0EEENS1_30default_config_static_selectorELNS0_4arch9wavefront6targetE1EEEvT1_.numbered_sgpr, 0
	.set _ZN7rocprim17ROCPRIM_400000_NS6detail17trampoline_kernelINS0_14default_configENS1_20scan_config_selectorIN3c107complexIdEEEEZZNS1_9scan_implILNS1_25lookback_scan_determinismE0ELb0ELb0ES3_PKS7_PS7_S7_ZZZN2at6native31launch_logcumsumexp_cuda_kernelERKNSE_10TensorBaseESI_lENKUlvE_clEvENKUlvE1_clEvEUlS7_S7_E_S7_EEDaPvRmT3_T4_T5_mT6_P12ihipStream_tbENKUlT_T0_E_clISt17integral_constantIbLb1EESZ_EEDaSU_SV_EUlSU_E_NS1_11comp_targetILNS1_3genE0ELNS1_11target_archE4294967295ELNS1_3gpuE0ELNS1_3repE0EEENS1_30default_config_static_selectorELNS0_4arch9wavefront6targetE1EEEvT1_.num_named_barrier, 0
	.set _ZN7rocprim17ROCPRIM_400000_NS6detail17trampoline_kernelINS0_14default_configENS1_20scan_config_selectorIN3c107complexIdEEEEZZNS1_9scan_implILNS1_25lookback_scan_determinismE0ELb0ELb0ES3_PKS7_PS7_S7_ZZZN2at6native31launch_logcumsumexp_cuda_kernelERKNSE_10TensorBaseESI_lENKUlvE_clEvENKUlvE1_clEvEUlS7_S7_E_S7_EEDaPvRmT3_T4_T5_mT6_P12ihipStream_tbENKUlT_T0_E_clISt17integral_constantIbLb1EESZ_EEDaSU_SV_EUlSU_E_NS1_11comp_targetILNS1_3genE0ELNS1_11target_archE4294967295ELNS1_3gpuE0ELNS1_3repE0EEENS1_30default_config_static_selectorELNS0_4arch9wavefront6targetE1EEEvT1_.private_seg_size, 0
	.set _ZN7rocprim17ROCPRIM_400000_NS6detail17trampoline_kernelINS0_14default_configENS1_20scan_config_selectorIN3c107complexIdEEEEZZNS1_9scan_implILNS1_25lookback_scan_determinismE0ELb0ELb0ES3_PKS7_PS7_S7_ZZZN2at6native31launch_logcumsumexp_cuda_kernelERKNSE_10TensorBaseESI_lENKUlvE_clEvENKUlvE1_clEvEUlS7_S7_E_S7_EEDaPvRmT3_T4_T5_mT6_P12ihipStream_tbENKUlT_T0_E_clISt17integral_constantIbLb1EESZ_EEDaSU_SV_EUlSU_E_NS1_11comp_targetILNS1_3genE0ELNS1_11target_archE4294967295ELNS1_3gpuE0ELNS1_3repE0EEENS1_30default_config_static_selectorELNS0_4arch9wavefront6targetE1EEEvT1_.uses_vcc, 0
	.set _ZN7rocprim17ROCPRIM_400000_NS6detail17trampoline_kernelINS0_14default_configENS1_20scan_config_selectorIN3c107complexIdEEEEZZNS1_9scan_implILNS1_25lookback_scan_determinismE0ELb0ELb0ES3_PKS7_PS7_S7_ZZZN2at6native31launch_logcumsumexp_cuda_kernelERKNSE_10TensorBaseESI_lENKUlvE_clEvENKUlvE1_clEvEUlS7_S7_E_S7_EEDaPvRmT3_T4_T5_mT6_P12ihipStream_tbENKUlT_T0_E_clISt17integral_constantIbLb1EESZ_EEDaSU_SV_EUlSU_E_NS1_11comp_targetILNS1_3genE0ELNS1_11target_archE4294967295ELNS1_3gpuE0ELNS1_3repE0EEENS1_30default_config_static_selectorELNS0_4arch9wavefront6targetE1EEEvT1_.uses_flat_scratch, 0
	.set _ZN7rocprim17ROCPRIM_400000_NS6detail17trampoline_kernelINS0_14default_configENS1_20scan_config_selectorIN3c107complexIdEEEEZZNS1_9scan_implILNS1_25lookback_scan_determinismE0ELb0ELb0ES3_PKS7_PS7_S7_ZZZN2at6native31launch_logcumsumexp_cuda_kernelERKNSE_10TensorBaseESI_lENKUlvE_clEvENKUlvE1_clEvEUlS7_S7_E_S7_EEDaPvRmT3_T4_T5_mT6_P12ihipStream_tbENKUlT_T0_E_clISt17integral_constantIbLb1EESZ_EEDaSU_SV_EUlSU_E_NS1_11comp_targetILNS1_3genE0ELNS1_11target_archE4294967295ELNS1_3gpuE0ELNS1_3repE0EEENS1_30default_config_static_selectorELNS0_4arch9wavefront6targetE1EEEvT1_.has_dyn_sized_stack, 0
	.set _ZN7rocprim17ROCPRIM_400000_NS6detail17trampoline_kernelINS0_14default_configENS1_20scan_config_selectorIN3c107complexIdEEEEZZNS1_9scan_implILNS1_25lookback_scan_determinismE0ELb0ELb0ES3_PKS7_PS7_S7_ZZZN2at6native31launch_logcumsumexp_cuda_kernelERKNSE_10TensorBaseESI_lENKUlvE_clEvENKUlvE1_clEvEUlS7_S7_E_S7_EEDaPvRmT3_T4_T5_mT6_P12ihipStream_tbENKUlT_T0_E_clISt17integral_constantIbLb1EESZ_EEDaSU_SV_EUlSU_E_NS1_11comp_targetILNS1_3genE0ELNS1_11target_archE4294967295ELNS1_3gpuE0ELNS1_3repE0EEENS1_30default_config_static_selectorELNS0_4arch9wavefront6targetE1EEEvT1_.has_recursion, 0
	.set _ZN7rocprim17ROCPRIM_400000_NS6detail17trampoline_kernelINS0_14default_configENS1_20scan_config_selectorIN3c107complexIdEEEEZZNS1_9scan_implILNS1_25lookback_scan_determinismE0ELb0ELb0ES3_PKS7_PS7_S7_ZZZN2at6native31launch_logcumsumexp_cuda_kernelERKNSE_10TensorBaseESI_lENKUlvE_clEvENKUlvE1_clEvEUlS7_S7_E_S7_EEDaPvRmT3_T4_T5_mT6_P12ihipStream_tbENKUlT_T0_E_clISt17integral_constantIbLb1EESZ_EEDaSU_SV_EUlSU_E_NS1_11comp_targetILNS1_3genE0ELNS1_11target_archE4294967295ELNS1_3gpuE0ELNS1_3repE0EEENS1_30default_config_static_selectorELNS0_4arch9wavefront6targetE1EEEvT1_.has_indirect_call, 0
	.section	.AMDGPU.csdata,"",@progbits
; Kernel info:
; codeLenInByte = 4
; TotalNumSgprs: 6
; NumVgprs: 0
; NumAgprs: 0
; TotalNumVgprs: 0
; ScratchSize: 0
; MemoryBound: 0
; FloatMode: 240
; IeeeMode: 1
; LDSByteSize: 0 bytes/workgroup (compile time only)
; SGPRBlocks: 0
; VGPRBlocks: 0
; NumSGPRsForWavesPerEU: 6
; NumVGPRsForWavesPerEU: 1
; AccumOffset: 4
; Occupancy: 8
; WaveLimiterHint : 0
; COMPUTE_PGM_RSRC2:SCRATCH_EN: 0
; COMPUTE_PGM_RSRC2:USER_SGPR: 2
; COMPUTE_PGM_RSRC2:TRAP_HANDLER: 0
; COMPUTE_PGM_RSRC2:TGID_X_EN: 1
; COMPUTE_PGM_RSRC2:TGID_Y_EN: 0
; COMPUTE_PGM_RSRC2:TGID_Z_EN: 0
; COMPUTE_PGM_RSRC2:TIDIG_COMP_CNT: 0
; COMPUTE_PGM_RSRC3_GFX90A:ACCUM_OFFSET: 0
; COMPUTE_PGM_RSRC3_GFX90A:TG_SPLIT: 0
	.section	.text._ZN7rocprim17ROCPRIM_400000_NS6detail17trampoline_kernelINS0_14default_configENS1_20scan_config_selectorIN3c107complexIdEEEEZZNS1_9scan_implILNS1_25lookback_scan_determinismE0ELb0ELb0ES3_PKS7_PS7_S7_ZZZN2at6native31launch_logcumsumexp_cuda_kernelERKNSE_10TensorBaseESI_lENKUlvE_clEvENKUlvE1_clEvEUlS7_S7_E_S7_EEDaPvRmT3_T4_T5_mT6_P12ihipStream_tbENKUlT_T0_E_clISt17integral_constantIbLb1EESZ_EEDaSU_SV_EUlSU_E_NS1_11comp_targetILNS1_3genE5ELNS1_11target_archE942ELNS1_3gpuE9ELNS1_3repE0EEENS1_30default_config_static_selectorELNS0_4arch9wavefront6targetE1EEEvT1_,"axG",@progbits,_ZN7rocprim17ROCPRIM_400000_NS6detail17trampoline_kernelINS0_14default_configENS1_20scan_config_selectorIN3c107complexIdEEEEZZNS1_9scan_implILNS1_25lookback_scan_determinismE0ELb0ELb0ES3_PKS7_PS7_S7_ZZZN2at6native31launch_logcumsumexp_cuda_kernelERKNSE_10TensorBaseESI_lENKUlvE_clEvENKUlvE1_clEvEUlS7_S7_E_S7_EEDaPvRmT3_T4_T5_mT6_P12ihipStream_tbENKUlT_T0_E_clISt17integral_constantIbLb1EESZ_EEDaSU_SV_EUlSU_E_NS1_11comp_targetILNS1_3genE5ELNS1_11target_archE942ELNS1_3gpuE9ELNS1_3repE0EEENS1_30default_config_static_selectorELNS0_4arch9wavefront6targetE1EEEvT1_,comdat
	.globl	_ZN7rocprim17ROCPRIM_400000_NS6detail17trampoline_kernelINS0_14default_configENS1_20scan_config_selectorIN3c107complexIdEEEEZZNS1_9scan_implILNS1_25lookback_scan_determinismE0ELb0ELb0ES3_PKS7_PS7_S7_ZZZN2at6native31launch_logcumsumexp_cuda_kernelERKNSE_10TensorBaseESI_lENKUlvE_clEvENKUlvE1_clEvEUlS7_S7_E_S7_EEDaPvRmT3_T4_T5_mT6_P12ihipStream_tbENKUlT_T0_E_clISt17integral_constantIbLb1EESZ_EEDaSU_SV_EUlSU_E_NS1_11comp_targetILNS1_3genE5ELNS1_11target_archE942ELNS1_3gpuE9ELNS1_3repE0EEENS1_30default_config_static_selectorELNS0_4arch9wavefront6targetE1EEEvT1_ ; -- Begin function _ZN7rocprim17ROCPRIM_400000_NS6detail17trampoline_kernelINS0_14default_configENS1_20scan_config_selectorIN3c107complexIdEEEEZZNS1_9scan_implILNS1_25lookback_scan_determinismE0ELb0ELb0ES3_PKS7_PS7_S7_ZZZN2at6native31launch_logcumsumexp_cuda_kernelERKNSE_10TensorBaseESI_lENKUlvE_clEvENKUlvE1_clEvEUlS7_S7_E_S7_EEDaPvRmT3_T4_T5_mT6_P12ihipStream_tbENKUlT_T0_E_clISt17integral_constantIbLb1EESZ_EEDaSU_SV_EUlSU_E_NS1_11comp_targetILNS1_3genE5ELNS1_11target_archE942ELNS1_3gpuE9ELNS1_3repE0EEENS1_30default_config_static_selectorELNS0_4arch9wavefront6targetE1EEEvT1_
	.p2align	8
	.type	_ZN7rocprim17ROCPRIM_400000_NS6detail17trampoline_kernelINS0_14default_configENS1_20scan_config_selectorIN3c107complexIdEEEEZZNS1_9scan_implILNS1_25lookback_scan_determinismE0ELb0ELb0ES3_PKS7_PS7_S7_ZZZN2at6native31launch_logcumsumexp_cuda_kernelERKNSE_10TensorBaseESI_lENKUlvE_clEvENKUlvE1_clEvEUlS7_S7_E_S7_EEDaPvRmT3_T4_T5_mT6_P12ihipStream_tbENKUlT_T0_E_clISt17integral_constantIbLb1EESZ_EEDaSU_SV_EUlSU_E_NS1_11comp_targetILNS1_3genE5ELNS1_11target_archE942ELNS1_3gpuE9ELNS1_3repE0EEENS1_30default_config_static_selectorELNS0_4arch9wavefront6targetE1EEEvT1_,@function
_ZN7rocprim17ROCPRIM_400000_NS6detail17trampoline_kernelINS0_14default_configENS1_20scan_config_selectorIN3c107complexIdEEEEZZNS1_9scan_implILNS1_25lookback_scan_determinismE0ELb0ELb0ES3_PKS7_PS7_S7_ZZZN2at6native31launch_logcumsumexp_cuda_kernelERKNSE_10TensorBaseESI_lENKUlvE_clEvENKUlvE1_clEvEUlS7_S7_E_S7_EEDaPvRmT3_T4_T5_mT6_P12ihipStream_tbENKUlT_T0_E_clISt17integral_constantIbLb1EESZ_EEDaSU_SV_EUlSU_E_NS1_11comp_targetILNS1_3genE5ELNS1_11target_archE942ELNS1_3gpuE9ELNS1_3repE0EEENS1_30default_config_static_selectorELNS0_4arch9wavefront6targetE1EEEvT1_: ; @_ZN7rocprim17ROCPRIM_400000_NS6detail17trampoline_kernelINS0_14default_configENS1_20scan_config_selectorIN3c107complexIdEEEEZZNS1_9scan_implILNS1_25lookback_scan_determinismE0ELb0ELb0ES3_PKS7_PS7_S7_ZZZN2at6native31launch_logcumsumexp_cuda_kernelERKNSE_10TensorBaseESI_lENKUlvE_clEvENKUlvE1_clEvEUlS7_S7_E_S7_EEDaPvRmT3_T4_T5_mT6_P12ihipStream_tbENKUlT_T0_E_clISt17integral_constantIbLb1EESZ_EEDaSU_SV_EUlSU_E_NS1_11comp_targetILNS1_3genE5ELNS1_11target_archE942ELNS1_3gpuE9ELNS1_3repE0EEENS1_30default_config_static_selectorELNS0_4arch9wavefront6targetE1EEEvT1_
; %bb.0:
	.section	.rodata,"a",@progbits
	.p2align	6, 0x0
	.amdhsa_kernel _ZN7rocprim17ROCPRIM_400000_NS6detail17trampoline_kernelINS0_14default_configENS1_20scan_config_selectorIN3c107complexIdEEEEZZNS1_9scan_implILNS1_25lookback_scan_determinismE0ELb0ELb0ES3_PKS7_PS7_S7_ZZZN2at6native31launch_logcumsumexp_cuda_kernelERKNSE_10TensorBaseESI_lENKUlvE_clEvENKUlvE1_clEvEUlS7_S7_E_S7_EEDaPvRmT3_T4_T5_mT6_P12ihipStream_tbENKUlT_T0_E_clISt17integral_constantIbLb1EESZ_EEDaSU_SV_EUlSU_E_NS1_11comp_targetILNS1_3genE5ELNS1_11target_archE942ELNS1_3gpuE9ELNS1_3repE0EEENS1_30default_config_static_selectorELNS0_4arch9wavefront6targetE1EEEvT1_
		.amdhsa_group_segment_fixed_size 0
		.amdhsa_private_segment_fixed_size 0
		.amdhsa_kernarg_size 128
		.amdhsa_user_sgpr_count 2
		.amdhsa_user_sgpr_dispatch_ptr 0
		.amdhsa_user_sgpr_queue_ptr 0
		.amdhsa_user_sgpr_kernarg_segment_ptr 1
		.amdhsa_user_sgpr_dispatch_id 0
		.amdhsa_user_sgpr_kernarg_preload_length 0
		.amdhsa_user_sgpr_kernarg_preload_offset 0
		.amdhsa_user_sgpr_private_segment_size 0
		.amdhsa_uses_dynamic_stack 0
		.amdhsa_enable_private_segment 0
		.amdhsa_system_sgpr_workgroup_id_x 1
		.amdhsa_system_sgpr_workgroup_id_y 0
		.amdhsa_system_sgpr_workgroup_id_z 0
		.amdhsa_system_sgpr_workgroup_info 0
		.amdhsa_system_vgpr_workitem_id 0
		.amdhsa_next_free_vgpr 1
		.amdhsa_next_free_sgpr 0
		.amdhsa_accum_offset 4
		.amdhsa_reserve_vcc 0
		.amdhsa_float_round_mode_32 0
		.amdhsa_float_round_mode_16_64 0
		.amdhsa_float_denorm_mode_32 3
		.amdhsa_float_denorm_mode_16_64 3
		.amdhsa_dx10_clamp 1
		.amdhsa_ieee_mode 1
		.amdhsa_fp16_overflow 0
		.amdhsa_tg_split 0
		.amdhsa_exception_fp_ieee_invalid_op 0
		.amdhsa_exception_fp_denorm_src 0
		.amdhsa_exception_fp_ieee_div_zero 0
		.amdhsa_exception_fp_ieee_overflow 0
		.amdhsa_exception_fp_ieee_underflow 0
		.amdhsa_exception_fp_ieee_inexact 0
		.amdhsa_exception_int_div_zero 0
	.end_amdhsa_kernel
	.section	.text._ZN7rocprim17ROCPRIM_400000_NS6detail17trampoline_kernelINS0_14default_configENS1_20scan_config_selectorIN3c107complexIdEEEEZZNS1_9scan_implILNS1_25lookback_scan_determinismE0ELb0ELb0ES3_PKS7_PS7_S7_ZZZN2at6native31launch_logcumsumexp_cuda_kernelERKNSE_10TensorBaseESI_lENKUlvE_clEvENKUlvE1_clEvEUlS7_S7_E_S7_EEDaPvRmT3_T4_T5_mT6_P12ihipStream_tbENKUlT_T0_E_clISt17integral_constantIbLb1EESZ_EEDaSU_SV_EUlSU_E_NS1_11comp_targetILNS1_3genE5ELNS1_11target_archE942ELNS1_3gpuE9ELNS1_3repE0EEENS1_30default_config_static_selectorELNS0_4arch9wavefront6targetE1EEEvT1_,"axG",@progbits,_ZN7rocprim17ROCPRIM_400000_NS6detail17trampoline_kernelINS0_14default_configENS1_20scan_config_selectorIN3c107complexIdEEEEZZNS1_9scan_implILNS1_25lookback_scan_determinismE0ELb0ELb0ES3_PKS7_PS7_S7_ZZZN2at6native31launch_logcumsumexp_cuda_kernelERKNSE_10TensorBaseESI_lENKUlvE_clEvENKUlvE1_clEvEUlS7_S7_E_S7_EEDaPvRmT3_T4_T5_mT6_P12ihipStream_tbENKUlT_T0_E_clISt17integral_constantIbLb1EESZ_EEDaSU_SV_EUlSU_E_NS1_11comp_targetILNS1_3genE5ELNS1_11target_archE942ELNS1_3gpuE9ELNS1_3repE0EEENS1_30default_config_static_selectorELNS0_4arch9wavefront6targetE1EEEvT1_,comdat
.Lfunc_end204:
	.size	_ZN7rocprim17ROCPRIM_400000_NS6detail17trampoline_kernelINS0_14default_configENS1_20scan_config_selectorIN3c107complexIdEEEEZZNS1_9scan_implILNS1_25lookback_scan_determinismE0ELb0ELb0ES3_PKS7_PS7_S7_ZZZN2at6native31launch_logcumsumexp_cuda_kernelERKNSE_10TensorBaseESI_lENKUlvE_clEvENKUlvE1_clEvEUlS7_S7_E_S7_EEDaPvRmT3_T4_T5_mT6_P12ihipStream_tbENKUlT_T0_E_clISt17integral_constantIbLb1EESZ_EEDaSU_SV_EUlSU_E_NS1_11comp_targetILNS1_3genE5ELNS1_11target_archE942ELNS1_3gpuE9ELNS1_3repE0EEENS1_30default_config_static_selectorELNS0_4arch9wavefront6targetE1EEEvT1_, .Lfunc_end204-_ZN7rocprim17ROCPRIM_400000_NS6detail17trampoline_kernelINS0_14default_configENS1_20scan_config_selectorIN3c107complexIdEEEEZZNS1_9scan_implILNS1_25lookback_scan_determinismE0ELb0ELb0ES3_PKS7_PS7_S7_ZZZN2at6native31launch_logcumsumexp_cuda_kernelERKNSE_10TensorBaseESI_lENKUlvE_clEvENKUlvE1_clEvEUlS7_S7_E_S7_EEDaPvRmT3_T4_T5_mT6_P12ihipStream_tbENKUlT_T0_E_clISt17integral_constantIbLb1EESZ_EEDaSU_SV_EUlSU_E_NS1_11comp_targetILNS1_3genE5ELNS1_11target_archE942ELNS1_3gpuE9ELNS1_3repE0EEENS1_30default_config_static_selectorELNS0_4arch9wavefront6targetE1EEEvT1_
                                        ; -- End function
	.set _ZN7rocprim17ROCPRIM_400000_NS6detail17trampoline_kernelINS0_14default_configENS1_20scan_config_selectorIN3c107complexIdEEEEZZNS1_9scan_implILNS1_25lookback_scan_determinismE0ELb0ELb0ES3_PKS7_PS7_S7_ZZZN2at6native31launch_logcumsumexp_cuda_kernelERKNSE_10TensorBaseESI_lENKUlvE_clEvENKUlvE1_clEvEUlS7_S7_E_S7_EEDaPvRmT3_T4_T5_mT6_P12ihipStream_tbENKUlT_T0_E_clISt17integral_constantIbLb1EESZ_EEDaSU_SV_EUlSU_E_NS1_11comp_targetILNS1_3genE5ELNS1_11target_archE942ELNS1_3gpuE9ELNS1_3repE0EEENS1_30default_config_static_selectorELNS0_4arch9wavefront6targetE1EEEvT1_.num_vgpr, 0
	.set _ZN7rocprim17ROCPRIM_400000_NS6detail17trampoline_kernelINS0_14default_configENS1_20scan_config_selectorIN3c107complexIdEEEEZZNS1_9scan_implILNS1_25lookback_scan_determinismE0ELb0ELb0ES3_PKS7_PS7_S7_ZZZN2at6native31launch_logcumsumexp_cuda_kernelERKNSE_10TensorBaseESI_lENKUlvE_clEvENKUlvE1_clEvEUlS7_S7_E_S7_EEDaPvRmT3_T4_T5_mT6_P12ihipStream_tbENKUlT_T0_E_clISt17integral_constantIbLb1EESZ_EEDaSU_SV_EUlSU_E_NS1_11comp_targetILNS1_3genE5ELNS1_11target_archE942ELNS1_3gpuE9ELNS1_3repE0EEENS1_30default_config_static_selectorELNS0_4arch9wavefront6targetE1EEEvT1_.num_agpr, 0
	.set _ZN7rocprim17ROCPRIM_400000_NS6detail17trampoline_kernelINS0_14default_configENS1_20scan_config_selectorIN3c107complexIdEEEEZZNS1_9scan_implILNS1_25lookback_scan_determinismE0ELb0ELb0ES3_PKS7_PS7_S7_ZZZN2at6native31launch_logcumsumexp_cuda_kernelERKNSE_10TensorBaseESI_lENKUlvE_clEvENKUlvE1_clEvEUlS7_S7_E_S7_EEDaPvRmT3_T4_T5_mT6_P12ihipStream_tbENKUlT_T0_E_clISt17integral_constantIbLb1EESZ_EEDaSU_SV_EUlSU_E_NS1_11comp_targetILNS1_3genE5ELNS1_11target_archE942ELNS1_3gpuE9ELNS1_3repE0EEENS1_30default_config_static_selectorELNS0_4arch9wavefront6targetE1EEEvT1_.numbered_sgpr, 0
	.set _ZN7rocprim17ROCPRIM_400000_NS6detail17trampoline_kernelINS0_14default_configENS1_20scan_config_selectorIN3c107complexIdEEEEZZNS1_9scan_implILNS1_25lookback_scan_determinismE0ELb0ELb0ES3_PKS7_PS7_S7_ZZZN2at6native31launch_logcumsumexp_cuda_kernelERKNSE_10TensorBaseESI_lENKUlvE_clEvENKUlvE1_clEvEUlS7_S7_E_S7_EEDaPvRmT3_T4_T5_mT6_P12ihipStream_tbENKUlT_T0_E_clISt17integral_constantIbLb1EESZ_EEDaSU_SV_EUlSU_E_NS1_11comp_targetILNS1_3genE5ELNS1_11target_archE942ELNS1_3gpuE9ELNS1_3repE0EEENS1_30default_config_static_selectorELNS0_4arch9wavefront6targetE1EEEvT1_.num_named_barrier, 0
	.set _ZN7rocprim17ROCPRIM_400000_NS6detail17trampoline_kernelINS0_14default_configENS1_20scan_config_selectorIN3c107complexIdEEEEZZNS1_9scan_implILNS1_25lookback_scan_determinismE0ELb0ELb0ES3_PKS7_PS7_S7_ZZZN2at6native31launch_logcumsumexp_cuda_kernelERKNSE_10TensorBaseESI_lENKUlvE_clEvENKUlvE1_clEvEUlS7_S7_E_S7_EEDaPvRmT3_T4_T5_mT6_P12ihipStream_tbENKUlT_T0_E_clISt17integral_constantIbLb1EESZ_EEDaSU_SV_EUlSU_E_NS1_11comp_targetILNS1_3genE5ELNS1_11target_archE942ELNS1_3gpuE9ELNS1_3repE0EEENS1_30default_config_static_selectorELNS0_4arch9wavefront6targetE1EEEvT1_.private_seg_size, 0
	.set _ZN7rocprim17ROCPRIM_400000_NS6detail17trampoline_kernelINS0_14default_configENS1_20scan_config_selectorIN3c107complexIdEEEEZZNS1_9scan_implILNS1_25lookback_scan_determinismE0ELb0ELb0ES3_PKS7_PS7_S7_ZZZN2at6native31launch_logcumsumexp_cuda_kernelERKNSE_10TensorBaseESI_lENKUlvE_clEvENKUlvE1_clEvEUlS7_S7_E_S7_EEDaPvRmT3_T4_T5_mT6_P12ihipStream_tbENKUlT_T0_E_clISt17integral_constantIbLb1EESZ_EEDaSU_SV_EUlSU_E_NS1_11comp_targetILNS1_3genE5ELNS1_11target_archE942ELNS1_3gpuE9ELNS1_3repE0EEENS1_30default_config_static_selectorELNS0_4arch9wavefront6targetE1EEEvT1_.uses_vcc, 0
	.set _ZN7rocprim17ROCPRIM_400000_NS6detail17trampoline_kernelINS0_14default_configENS1_20scan_config_selectorIN3c107complexIdEEEEZZNS1_9scan_implILNS1_25lookback_scan_determinismE0ELb0ELb0ES3_PKS7_PS7_S7_ZZZN2at6native31launch_logcumsumexp_cuda_kernelERKNSE_10TensorBaseESI_lENKUlvE_clEvENKUlvE1_clEvEUlS7_S7_E_S7_EEDaPvRmT3_T4_T5_mT6_P12ihipStream_tbENKUlT_T0_E_clISt17integral_constantIbLb1EESZ_EEDaSU_SV_EUlSU_E_NS1_11comp_targetILNS1_3genE5ELNS1_11target_archE942ELNS1_3gpuE9ELNS1_3repE0EEENS1_30default_config_static_selectorELNS0_4arch9wavefront6targetE1EEEvT1_.uses_flat_scratch, 0
	.set _ZN7rocprim17ROCPRIM_400000_NS6detail17trampoline_kernelINS0_14default_configENS1_20scan_config_selectorIN3c107complexIdEEEEZZNS1_9scan_implILNS1_25lookback_scan_determinismE0ELb0ELb0ES3_PKS7_PS7_S7_ZZZN2at6native31launch_logcumsumexp_cuda_kernelERKNSE_10TensorBaseESI_lENKUlvE_clEvENKUlvE1_clEvEUlS7_S7_E_S7_EEDaPvRmT3_T4_T5_mT6_P12ihipStream_tbENKUlT_T0_E_clISt17integral_constantIbLb1EESZ_EEDaSU_SV_EUlSU_E_NS1_11comp_targetILNS1_3genE5ELNS1_11target_archE942ELNS1_3gpuE9ELNS1_3repE0EEENS1_30default_config_static_selectorELNS0_4arch9wavefront6targetE1EEEvT1_.has_dyn_sized_stack, 0
	.set _ZN7rocprim17ROCPRIM_400000_NS6detail17trampoline_kernelINS0_14default_configENS1_20scan_config_selectorIN3c107complexIdEEEEZZNS1_9scan_implILNS1_25lookback_scan_determinismE0ELb0ELb0ES3_PKS7_PS7_S7_ZZZN2at6native31launch_logcumsumexp_cuda_kernelERKNSE_10TensorBaseESI_lENKUlvE_clEvENKUlvE1_clEvEUlS7_S7_E_S7_EEDaPvRmT3_T4_T5_mT6_P12ihipStream_tbENKUlT_T0_E_clISt17integral_constantIbLb1EESZ_EEDaSU_SV_EUlSU_E_NS1_11comp_targetILNS1_3genE5ELNS1_11target_archE942ELNS1_3gpuE9ELNS1_3repE0EEENS1_30default_config_static_selectorELNS0_4arch9wavefront6targetE1EEEvT1_.has_recursion, 0
	.set _ZN7rocprim17ROCPRIM_400000_NS6detail17trampoline_kernelINS0_14default_configENS1_20scan_config_selectorIN3c107complexIdEEEEZZNS1_9scan_implILNS1_25lookback_scan_determinismE0ELb0ELb0ES3_PKS7_PS7_S7_ZZZN2at6native31launch_logcumsumexp_cuda_kernelERKNSE_10TensorBaseESI_lENKUlvE_clEvENKUlvE1_clEvEUlS7_S7_E_S7_EEDaPvRmT3_T4_T5_mT6_P12ihipStream_tbENKUlT_T0_E_clISt17integral_constantIbLb1EESZ_EEDaSU_SV_EUlSU_E_NS1_11comp_targetILNS1_3genE5ELNS1_11target_archE942ELNS1_3gpuE9ELNS1_3repE0EEENS1_30default_config_static_selectorELNS0_4arch9wavefront6targetE1EEEvT1_.has_indirect_call, 0
	.section	.AMDGPU.csdata,"",@progbits
; Kernel info:
; codeLenInByte = 0
; TotalNumSgprs: 6
; NumVgprs: 0
; NumAgprs: 0
; TotalNumVgprs: 0
; ScratchSize: 0
; MemoryBound: 0
; FloatMode: 240
; IeeeMode: 1
; LDSByteSize: 0 bytes/workgroup (compile time only)
; SGPRBlocks: 0
; VGPRBlocks: 0
; NumSGPRsForWavesPerEU: 6
; NumVGPRsForWavesPerEU: 1
; AccumOffset: 4
; Occupancy: 8
; WaveLimiterHint : 0
; COMPUTE_PGM_RSRC2:SCRATCH_EN: 0
; COMPUTE_PGM_RSRC2:USER_SGPR: 2
; COMPUTE_PGM_RSRC2:TRAP_HANDLER: 0
; COMPUTE_PGM_RSRC2:TGID_X_EN: 1
; COMPUTE_PGM_RSRC2:TGID_Y_EN: 0
; COMPUTE_PGM_RSRC2:TGID_Z_EN: 0
; COMPUTE_PGM_RSRC2:TIDIG_COMP_CNT: 0
; COMPUTE_PGM_RSRC3_GFX90A:ACCUM_OFFSET: 0
; COMPUTE_PGM_RSRC3_GFX90A:TG_SPLIT: 0
	.section	.text._ZN7rocprim17ROCPRIM_400000_NS6detail17trampoline_kernelINS0_14default_configENS1_20scan_config_selectorIN3c107complexIdEEEEZZNS1_9scan_implILNS1_25lookback_scan_determinismE0ELb0ELb0ES3_PKS7_PS7_S7_ZZZN2at6native31launch_logcumsumexp_cuda_kernelERKNSE_10TensorBaseESI_lENKUlvE_clEvENKUlvE1_clEvEUlS7_S7_E_S7_EEDaPvRmT3_T4_T5_mT6_P12ihipStream_tbENKUlT_T0_E_clISt17integral_constantIbLb1EESZ_EEDaSU_SV_EUlSU_E_NS1_11comp_targetILNS1_3genE4ELNS1_11target_archE910ELNS1_3gpuE8ELNS1_3repE0EEENS1_30default_config_static_selectorELNS0_4arch9wavefront6targetE1EEEvT1_,"axG",@progbits,_ZN7rocprim17ROCPRIM_400000_NS6detail17trampoline_kernelINS0_14default_configENS1_20scan_config_selectorIN3c107complexIdEEEEZZNS1_9scan_implILNS1_25lookback_scan_determinismE0ELb0ELb0ES3_PKS7_PS7_S7_ZZZN2at6native31launch_logcumsumexp_cuda_kernelERKNSE_10TensorBaseESI_lENKUlvE_clEvENKUlvE1_clEvEUlS7_S7_E_S7_EEDaPvRmT3_T4_T5_mT6_P12ihipStream_tbENKUlT_T0_E_clISt17integral_constantIbLb1EESZ_EEDaSU_SV_EUlSU_E_NS1_11comp_targetILNS1_3genE4ELNS1_11target_archE910ELNS1_3gpuE8ELNS1_3repE0EEENS1_30default_config_static_selectorELNS0_4arch9wavefront6targetE1EEEvT1_,comdat
	.globl	_ZN7rocprim17ROCPRIM_400000_NS6detail17trampoline_kernelINS0_14default_configENS1_20scan_config_selectorIN3c107complexIdEEEEZZNS1_9scan_implILNS1_25lookback_scan_determinismE0ELb0ELb0ES3_PKS7_PS7_S7_ZZZN2at6native31launch_logcumsumexp_cuda_kernelERKNSE_10TensorBaseESI_lENKUlvE_clEvENKUlvE1_clEvEUlS7_S7_E_S7_EEDaPvRmT3_T4_T5_mT6_P12ihipStream_tbENKUlT_T0_E_clISt17integral_constantIbLb1EESZ_EEDaSU_SV_EUlSU_E_NS1_11comp_targetILNS1_3genE4ELNS1_11target_archE910ELNS1_3gpuE8ELNS1_3repE0EEENS1_30default_config_static_selectorELNS0_4arch9wavefront6targetE1EEEvT1_ ; -- Begin function _ZN7rocprim17ROCPRIM_400000_NS6detail17trampoline_kernelINS0_14default_configENS1_20scan_config_selectorIN3c107complexIdEEEEZZNS1_9scan_implILNS1_25lookback_scan_determinismE0ELb0ELb0ES3_PKS7_PS7_S7_ZZZN2at6native31launch_logcumsumexp_cuda_kernelERKNSE_10TensorBaseESI_lENKUlvE_clEvENKUlvE1_clEvEUlS7_S7_E_S7_EEDaPvRmT3_T4_T5_mT6_P12ihipStream_tbENKUlT_T0_E_clISt17integral_constantIbLb1EESZ_EEDaSU_SV_EUlSU_E_NS1_11comp_targetILNS1_3genE4ELNS1_11target_archE910ELNS1_3gpuE8ELNS1_3repE0EEENS1_30default_config_static_selectorELNS0_4arch9wavefront6targetE1EEEvT1_
	.p2align	8
	.type	_ZN7rocprim17ROCPRIM_400000_NS6detail17trampoline_kernelINS0_14default_configENS1_20scan_config_selectorIN3c107complexIdEEEEZZNS1_9scan_implILNS1_25lookback_scan_determinismE0ELb0ELb0ES3_PKS7_PS7_S7_ZZZN2at6native31launch_logcumsumexp_cuda_kernelERKNSE_10TensorBaseESI_lENKUlvE_clEvENKUlvE1_clEvEUlS7_S7_E_S7_EEDaPvRmT3_T4_T5_mT6_P12ihipStream_tbENKUlT_T0_E_clISt17integral_constantIbLb1EESZ_EEDaSU_SV_EUlSU_E_NS1_11comp_targetILNS1_3genE4ELNS1_11target_archE910ELNS1_3gpuE8ELNS1_3repE0EEENS1_30default_config_static_selectorELNS0_4arch9wavefront6targetE1EEEvT1_,@function
_ZN7rocprim17ROCPRIM_400000_NS6detail17trampoline_kernelINS0_14default_configENS1_20scan_config_selectorIN3c107complexIdEEEEZZNS1_9scan_implILNS1_25lookback_scan_determinismE0ELb0ELb0ES3_PKS7_PS7_S7_ZZZN2at6native31launch_logcumsumexp_cuda_kernelERKNSE_10TensorBaseESI_lENKUlvE_clEvENKUlvE1_clEvEUlS7_S7_E_S7_EEDaPvRmT3_T4_T5_mT6_P12ihipStream_tbENKUlT_T0_E_clISt17integral_constantIbLb1EESZ_EEDaSU_SV_EUlSU_E_NS1_11comp_targetILNS1_3genE4ELNS1_11target_archE910ELNS1_3gpuE8ELNS1_3repE0EEENS1_30default_config_static_selectorELNS0_4arch9wavefront6targetE1EEEvT1_: ; @_ZN7rocprim17ROCPRIM_400000_NS6detail17trampoline_kernelINS0_14default_configENS1_20scan_config_selectorIN3c107complexIdEEEEZZNS1_9scan_implILNS1_25lookback_scan_determinismE0ELb0ELb0ES3_PKS7_PS7_S7_ZZZN2at6native31launch_logcumsumexp_cuda_kernelERKNSE_10TensorBaseESI_lENKUlvE_clEvENKUlvE1_clEvEUlS7_S7_E_S7_EEDaPvRmT3_T4_T5_mT6_P12ihipStream_tbENKUlT_T0_E_clISt17integral_constantIbLb1EESZ_EEDaSU_SV_EUlSU_E_NS1_11comp_targetILNS1_3genE4ELNS1_11target_archE910ELNS1_3gpuE8ELNS1_3repE0EEENS1_30default_config_static_selectorELNS0_4arch9wavefront6targetE1EEEvT1_
; %bb.0:
	.section	.rodata,"a",@progbits
	.p2align	6, 0x0
	.amdhsa_kernel _ZN7rocprim17ROCPRIM_400000_NS6detail17trampoline_kernelINS0_14default_configENS1_20scan_config_selectorIN3c107complexIdEEEEZZNS1_9scan_implILNS1_25lookback_scan_determinismE0ELb0ELb0ES3_PKS7_PS7_S7_ZZZN2at6native31launch_logcumsumexp_cuda_kernelERKNSE_10TensorBaseESI_lENKUlvE_clEvENKUlvE1_clEvEUlS7_S7_E_S7_EEDaPvRmT3_T4_T5_mT6_P12ihipStream_tbENKUlT_T0_E_clISt17integral_constantIbLb1EESZ_EEDaSU_SV_EUlSU_E_NS1_11comp_targetILNS1_3genE4ELNS1_11target_archE910ELNS1_3gpuE8ELNS1_3repE0EEENS1_30default_config_static_selectorELNS0_4arch9wavefront6targetE1EEEvT1_
		.amdhsa_group_segment_fixed_size 0
		.amdhsa_private_segment_fixed_size 0
		.amdhsa_kernarg_size 128
		.amdhsa_user_sgpr_count 2
		.amdhsa_user_sgpr_dispatch_ptr 0
		.amdhsa_user_sgpr_queue_ptr 0
		.amdhsa_user_sgpr_kernarg_segment_ptr 1
		.amdhsa_user_sgpr_dispatch_id 0
		.amdhsa_user_sgpr_kernarg_preload_length 0
		.amdhsa_user_sgpr_kernarg_preload_offset 0
		.amdhsa_user_sgpr_private_segment_size 0
		.amdhsa_uses_dynamic_stack 0
		.amdhsa_enable_private_segment 0
		.amdhsa_system_sgpr_workgroup_id_x 1
		.amdhsa_system_sgpr_workgroup_id_y 0
		.amdhsa_system_sgpr_workgroup_id_z 0
		.amdhsa_system_sgpr_workgroup_info 0
		.amdhsa_system_vgpr_workitem_id 0
		.amdhsa_next_free_vgpr 1
		.amdhsa_next_free_sgpr 0
		.amdhsa_accum_offset 4
		.amdhsa_reserve_vcc 0
		.amdhsa_float_round_mode_32 0
		.amdhsa_float_round_mode_16_64 0
		.amdhsa_float_denorm_mode_32 3
		.amdhsa_float_denorm_mode_16_64 3
		.amdhsa_dx10_clamp 1
		.amdhsa_ieee_mode 1
		.amdhsa_fp16_overflow 0
		.amdhsa_tg_split 0
		.amdhsa_exception_fp_ieee_invalid_op 0
		.amdhsa_exception_fp_denorm_src 0
		.amdhsa_exception_fp_ieee_div_zero 0
		.amdhsa_exception_fp_ieee_overflow 0
		.amdhsa_exception_fp_ieee_underflow 0
		.amdhsa_exception_fp_ieee_inexact 0
		.amdhsa_exception_int_div_zero 0
	.end_amdhsa_kernel
	.section	.text._ZN7rocprim17ROCPRIM_400000_NS6detail17trampoline_kernelINS0_14default_configENS1_20scan_config_selectorIN3c107complexIdEEEEZZNS1_9scan_implILNS1_25lookback_scan_determinismE0ELb0ELb0ES3_PKS7_PS7_S7_ZZZN2at6native31launch_logcumsumexp_cuda_kernelERKNSE_10TensorBaseESI_lENKUlvE_clEvENKUlvE1_clEvEUlS7_S7_E_S7_EEDaPvRmT3_T4_T5_mT6_P12ihipStream_tbENKUlT_T0_E_clISt17integral_constantIbLb1EESZ_EEDaSU_SV_EUlSU_E_NS1_11comp_targetILNS1_3genE4ELNS1_11target_archE910ELNS1_3gpuE8ELNS1_3repE0EEENS1_30default_config_static_selectorELNS0_4arch9wavefront6targetE1EEEvT1_,"axG",@progbits,_ZN7rocprim17ROCPRIM_400000_NS6detail17trampoline_kernelINS0_14default_configENS1_20scan_config_selectorIN3c107complexIdEEEEZZNS1_9scan_implILNS1_25lookback_scan_determinismE0ELb0ELb0ES3_PKS7_PS7_S7_ZZZN2at6native31launch_logcumsumexp_cuda_kernelERKNSE_10TensorBaseESI_lENKUlvE_clEvENKUlvE1_clEvEUlS7_S7_E_S7_EEDaPvRmT3_T4_T5_mT6_P12ihipStream_tbENKUlT_T0_E_clISt17integral_constantIbLb1EESZ_EEDaSU_SV_EUlSU_E_NS1_11comp_targetILNS1_3genE4ELNS1_11target_archE910ELNS1_3gpuE8ELNS1_3repE0EEENS1_30default_config_static_selectorELNS0_4arch9wavefront6targetE1EEEvT1_,comdat
.Lfunc_end205:
	.size	_ZN7rocprim17ROCPRIM_400000_NS6detail17trampoline_kernelINS0_14default_configENS1_20scan_config_selectorIN3c107complexIdEEEEZZNS1_9scan_implILNS1_25lookback_scan_determinismE0ELb0ELb0ES3_PKS7_PS7_S7_ZZZN2at6native31launch_logcumsumexp_cuda_kernelERKNSE_10TensorBaseESI_lENKUlvE_clEvENKUlvE1_clEvEUlS7_S7_E_S7_EEDaPvRmT3_T4_T5_mT6_P12ihipStream_tbENKUlT_T0_E_clISt17integral_constantIbLb1EESZ_EEDaSU_SV_EUlSU_E_NS1_11comp_targetILNS1_3genE4ELNS1_11target_archE910ELNS1_3gpuE8ELNS1_3repE0EEENS1_30default_config_static_selectorELNS0_4arch9wavefront6targetE1EEEvT1_, .Lfunc_end205-_ZN7rocprim17ROCPRIM_400000_NS6detail17trampoline_kernelINS0_14default_configENS1_20scan_config_selectorIN3c107complexIdEEEEZZNS1_9scan_implILNS1_25lookback_scan_determinismE0ELb0ELb0ES3_PKS7_PS7_S7_ZZZN2at6native31launch_logcumsumexp_cuda_kernelERKNSE_10TensorBaseESI_lENKUlvE_clEvENKUlvE1_clEvEUlS7_S7_E_S7_EEDaPvRmT3_T4_T5_mT6_P12ihipStream_tbENKUlT_T0_E_clISt17integral_constantIbLb1EESZ_EEDaSU_SV_EUlSU_E_NS1_11comp_targetILNS1_3genE4ELNS1_11target_archE910ELNS1_3gpuE8ELNS1_3repE0EEENS1_30default_config_static_selectorELNS0_4arch9wavefront6targetE1EEEvT1_
                                        ; -- End function
	.set _ZN7rocprim17ROCPRIM_400000_NS6detail17trampoline_kernelINS0_14default_configENS1_20scan_config_selectorIN3c107complexIdEEEEZZNS1_9scan_implILNS1_25lookback_scan_determinismE0ELb0ELb0ES3_PKS7_PS7_S7_ZZZN2at6native31launch_logcumsumexp_cuda_kernelERKNSE_10TensorBaseESI_lENKUlvE_clEvENKUlvE1_clEvEUlS7_S7_E_S7_EEDaPvRmT3_T4_T5_mT6_P12ihipStream_tbENKUlT_T0_E_clISt17integral_constantIbLb1EESZ_EEDaSU_SV_EUlSU_E_NS1_11comp_targetILNS1_3genE4ELNS1_11target_archE910ELNS1_3gpuE8ELNS1_3repE0EEENS1_30default_config_static_selectorELNS0_4arch9wavefront6targetE1EEEvT1_.num_vgpr, 0
	.set _ZN7rocprim17ROCPRIM_400000_NS6detail17trampoline_kernelINS0_14default_configENS1_20scan_config_selectorIN3c107complexIdEEEEZZNS1_9scan_implILNS1_25lookback_scan_determinismE0ELb0ELb0ES3_PKS7_PS7_S7_ZZZN2at6native31launch_logcumsumexp_cuda_kernelERKNSE_10TensorBaseESI_lENKUlvE_clEvENKUlvE1_clEvEUlS7_S7_E_S7_EEDaPvRmT3_T4_T5_mT6_P12ihipStream_tbENKUlT_T0_E_clISt17integral_constantIbLb1EESZ_EEDaSU_SV_EUlSU_E_NS1_11comp_targetILNS1_3genE4ELNS1_11target_archE910ELNS1_3gpuE8ELNS1_3repE0EEENS1_30default_config_static_selectorELNS0_4arch9wavefront6targetE1EEEvT1_.num_agpr, 0
	.set _ZN7rocprim17ROCPRIM_400000_NS6detail17trampoline_kernelINS0_14default_configENS1_20scan_config_selectorIN3c107complexIdEEEEZZNS1_9scan_implILNS1_25lookback_scan_determinismE0ELb0ELb0ES3_PKS7_PS7_S7_ZZZN2at6native31launch_logcumsumexp_cuda_kernelERKNSE_10TensorBaseESI_lENKUlvE_clEvENKUlvE1_clEvEUlS7_S7_E_S7_EEDaPvRmT3_T4_T5_mT6_P12ihipStream_tbENKUlT_T0_E_clISt17integral_constantIbLb1EESZ_EEDaSU_SV_EUlSU_E_NS1_11comp_targetILNS1_3genE4ELNS1_11target_archE910ELNS1_3gpuE8ELNS1_3repE0EEENS1_30default_config_static_selectorELNS0_4arch9wavefront6targetE1EEEvT1_.numbered_sgpr, 0
	.set _ZN7rocprim17ROCPRIM_400000_NS6detail17trampoline_kernelINS0_14default_configENS1_20scan_config_selectorIN3c107complexIdEEEEZZNS1_9scan_implILNS1_25lookback_scan_determinismE0ELb0ELb0ES3_PKS7_PS7_S7_ZZZN2at6native31launch_logcumsumexp_cuda_kernelERKNSE_10TensorBaseESI_lENKUlvE_clEvENKUlvE1_clEvEUlS7_S7_E_S7_EEDaPvRmT3_T4_T5_mT6_P12ihipStream_tbENKUlT_T0_E_clISt17integral_constantIbLb1EESZ_EEDaSU_SV_EUlSU_E_NS1_11comp_targetILNS1_3genE4ELNS1_11target_archE910ELNS1_3gpuE8ELNS1_3repE0EEENS1_30default_config_static_selectorELNS0_4arch9wavefront6targetE1EEEvT1_.num_named_barrier, 0
	.set _ZN7rocprim17ROCPRIM_400000_NS6detail17trampoline_kernelINS0_14default_configENS1_20scan_config_selectorIN3c107complexIdEEEEZZNS1_9scan_implILNS1_25lookback_scan_determinismE0ELb0ELb0ES3_PKS7_PS7_S7_ZZZN2at6native31launch_logcumsumexp_cuda_kernelERKNSE_10TensorBaseESI_lENKUlvE_clEvENKUlvE1_clEvEUlS7_S7_E_S7_EEDaPvRmT3_T4_T5_mT6_P12ihipStream_tbENKUlT_T0_E_clISt17integral_constantIbLb1EESZ_EEDaSU_SV_EUlSU_E_NS1_11comp_targetILNS1_3genE4ELNS1_11target_archE910ELNS1_3gpuE8ELNS1_3repE0EEENS1_30default_config_static_selectorELNS0_4arch9wavefront6targetE1EEEvT1_.private_seg_size, 0
	.set _ZN7rocprim17ROCPRIM_400000_NS6detail17trampoline_kernelINS0_14default_configENS1_20scan_config_selectorIN3c107complexIdEEEEZZNS1_9scan_implILNS1_25lookback_scan_determinismE0ELb0ELb0ES3_PKS7_PS7_S7_ZZZN2at6native31launch_logcumsumexp_cuda_kernelERKNSE_10TensorBaseESI_lENKUlvE_clEvENKUlvE1_clEvEUlS7_S7_E_S7_EEDaPvRmT3_T4_T5_mT6_P12ihipStream_tbENKUlT_T0_E_clISt17integral_constantIbLb1EESZ_EEDaSU_SV_EUlSU_E_NS1_11comp_targetILNS1_3genE4ELNS1_11target_archE910ELNS1_3gpuE8ELNS1_3repE0EEENS1_30default_config_static_selectorELNS0_4arch9wavefront6targetE1EEEvT1_.uses_vcc, 0
	.set _ZN7rocprim17ROCPRIM_400000_NS6detail17trampoline_kernelINS0_14default_configENS1_20scan_config_selectorIN3c107complexIdEEEEZZNS1_9scan_implILNS1_25lookback_scan_determinismE0ELb0ELb0ES3_PKS7_PS7_S7_ZZZN2at6native31launch_logcumsumexp_cuda_kernelERKNSE_10TensorBaseESI_lENKUlvE_clEvENKUlvE1_clEvEUlS7_S7_E_S7_EEDaPvRmT3_T4_T5_mT6_P12ihipStream_tbENKUlT_T0_E_clISt17integral_constantIbLb1EESZ_EEDaSU_SV_EUlSU_E_NS1_11comp_targetILNS1_3genE4ELNS1_11target_archE910ELNS1_3gpuE8ELNS1_3repE0EEENS1_30default_config_static_selectorELNS0_4arch9wavefront6targetE1EEEvT1_.uses_flat_scratch, 0
	.set _ZN7rocprim17ROCPRIM_400000_NS6detail17trampoline_kernelINS0_14default_configENS1_20scan_config_selectorIN3c107complexIdEEEEZZNS1_9scan_implILNS1_25lookback_scan_determinismE0ELb0ELb0ES3_PKS7_PS7_S7_ZZZN2at6native31launch_logcumsumexp_cuda_kernelERKNSE_10TensorBaseESI_lENKUlvE_clEvENKUlvE1_clEvEUlS7_S7_E_S7_EEDaPvRmT3_T4_T5_mT6_P12ihipStream_tbENKUlT_T0_E_clISt17integral_constantIbLb1EESZ_EEDaSU_SV_EUlSU_E_NS1_11comp_targetILNS1_3genE4ELNS1_11target_archE910ELNS1_3gpuE8ELNS1_3repE0EEENS1_30default_config_static_selectorELNS0_4arch9wavefront6targetE1EEEvT1_.has_dyn_sized_stack, 0
	.set _ZN7rocprim17ROCPRIM_400000_NS6detail17trampoline_kernelINS0_14default_configENS1_20scan_config_selectorIN3c107complexIdEEEEZZNS1_9scan_implILNS1_25lookback_scan_determinismE0ELb0ELb0ES3_PKS7_PS7_S7_ZZZN2at6native31launch_logcumsumexp_cuda_kernelERKNSE_10TensorBaseESI_lENKUlvE_clEvENKUlvE1_clEvEUlS7_S7_E_S7_EEDaPvRmT3_T4_T5_mT6_P12ihipStream_tbENKUlT_T0_E_clISt17integral_constantIbLb1EESZ_EEDaSU_SV_EUlSU_E_NS1_11comp_targetILNS1_3genE4ELNS1_11target_archE910ELNS1_3gpuE8ELNS1_3repE0EEENS1_30default_config_static_selectorELNS0_4arch9wavefront6targetE1EEEvT1_.has_recursion, 0
	.set _ZN7rocprim17ROCPRIM_400000_NS6detail17trampoline_kernelINS0_14default_configENS1_20scan_config_selectorIN3c107complexIdEEEEZZNS1_9scan_implILNS1_25lookback_scan_determinismE0ELb0ELb0ES3_PKS7_PS7_S7_ZZZN2at6native31launch_logcumsumexp_cuda_kernelERKNSE_10TensorBaseESI_lENKUlvE_clEvENKUlvE1_clEvEUlS7_S7_E_S7_EEDaPvRmT3_T4_T5_mT6_P12ihipStream_tbENKUlT_T0_E_clISt17integral_constantIbLb1EESZ_EEDaSU_SV_EUlSU_E_NS1_11comp_targetILNS1_3genE4ELNS1_11target_archE910ELNS1_3gpuE8ELNS1_3repE0EEENS1_30default_config_static_selectorELNS0_4arch9wavefront6targetE1EEEvT1_.has_indirect_call, 0
	.section	.AMDGPU.csdata,"",@progbits
; Kernel info:
; codeLenInByte = 0
; TotalNumSgprs: 6
; NumVgprs: 0
; NumAgprs: 0
; TotalNumVgprs: 0
; ScratchSize: 0
; MemoryBound: 0
; FloatMode: 240
; IeeeMode: 1
; LDSByteSize: 0 bytes/workgroup (compile time only)
; SGPRBlocks: 0
; VGPRBlocks: 0
; NumSGPRsForWavesPerEU: 6
; NumVGPRsForWavesPerEU: 1
; AccumOffset: 4
; Occupancy: 8
; WaveLimiterHint : 0
; COMPUTE_PGM_RSRC2:SCRATCH_EN: 0
; COMPUTE_PGM_RSRC2:USER_SGPR: 2
; COMPUTE_PGM_RSRC2:TRAP_HANDLER: 0
; COMPUTE_PGM_RSRC2:TGID_X_EN: 1
; COMPUTE_PGM_RSRC2:TGID_Y_EN: 0
; COMPUTE_PGM_RSRC2:TGID_Z_EN: 0
; COMPUTE_PGM_RSRC2:TIDIG_COMP_CNT: 0
; COMPUTE_PGM_RSRC3_GFX90A:ACCUM_OFFSET: 0
; COMPUTE_PGM_RSRC3_GFX90A:TG_SPLIT: 0
	.section	.text._ZN7rocprim17ROCPRIM_400000_NS6detail17trampoline_kernelINS0_14default_configENS1_20scan_config_selectorIN3c107complexIdEEEEZZNS1_9scan_implILNS1_25lookback_scan_determinismE0ELb0ELb0ES3_PKS7_PS7_S7_ZZZN2at6native31launch_logcumsumexp_cuda_kernelERKNSE_10TensorBaseESI_lENKUlvE_clEvENKUlvE1_clEvEUlS7_S7_E_S7_EEDaPvRmT3_T4_T5_mT6_P12ihipStream_tbENKUlT_T0_E_clISt17integral_constantIbLb1EESZ_EEDaSU_SV_EUlSU_E_NS1_11comp_targetILNS1_3genE3ELNS1_11target_archE908ELNS1_3gpuE7ELNS1_3repE0EEENS1_30default_config_static_selectorELNS0_4arch9wavefront6targetE1EEEvT1_,"axG",@progbits,_ZN7rocprim17ROCPRIM_400000_NS6detail17trampoline_kernelINS0_14default_configENS1_20scan_config_selectorIN3c107complexIdEEEEZZNS1_9scan_implILNS1_25lookback_scan_determinismE0ELb0ELb0ES3_PKS7_PS7_S7_ZZZN2at6native31launch_logcumsumexp_cuda_kernelERKNSE_10TensorBaseESI_lENKUlvE_clEvENKUlvE1_clEvEUlS7_S7_E_S7_EEDaPvRmT3_T4_T5_mT6_P12ihipStream_tbENKUlT_T0_E_clISt17integral_constantIbLb1EESZ_EEDaSU_SV_EUlSU_E_NS1_11comp_targetILNS1_3genE3ELNS1_11target_archE908ELNS1_3gpuE7ELNS1_3repE0EEENS1_30default_config_static_selectorELNS0_4arch9wavefront6targetE1EEEvT1_,comdat
	.globl	_ZN7rocprim17ROCPRIM_400000_NS6detail17trampoline_kernelINS0_14default_configENS1_20scan_config_selectorIN3c107complexIdEEEEZZNS1_9scan_implILNS1_25lookback_scan_determinismE0ELb0ELb0ES3_PKS7_PS7_S7_ZZZN2at6native31launch_logcumsumexp_cuda_kernelERKNSE_10TensorBaseESI_lENKUlvE_clEvENKUlvE1_clEvEUlS7_S7_E_S7_EEDaPvRmT3_T4_T5_mT6_P12ihipStream_tbENKUlT_T0_E_clISt17integral_constantIbLb1EESZ_EEDaSU_SV_EUlSU_E_NS1_11comp_targetILNS1_3genE3ELNS1_11target_archE908ELNS1_3gpuE7ELNS1_3repE0EEENS1_30default_config_static_selectorELNS0_4arch9wavefront6targetE1EEEvT1_ ; -- Begin function _ZN7rocprim17ROCPRIM_400000_NS6detail17trampoline_kernelINS0_14default_configENS1_20scan_config_selectorIN3c107complexIdEEEEZZNS1_9scan_implILNS1_25lookback_scan_determinismE0ELb0ELb0ES3_PKS7_PS7_S7_ZZZN2at6native31launch_logcumsumexp_cuda_kernelERKNSE_10TensorBaseESI_lENKUlvE_clEvENKUlvE1_clEvEUlS7_S7_E_S7_EEDaPvRmT3_T4_T5_mT6_P12ihipStream_tbENKUlT_T0_E_clISt17integral_constantIbLb1EESZ_EEDaSU_SV_EUlSU_E_NS1_11comp_targetILNS1_3genE3ELNS1_11target_archE908ELNS1_3gpuE7ELNS1_3repE0EEENS1_30default_config_static_selectorELNS0_4arch9wavefront6targetE1EEEvT1_
	.p2align	8
	.type	_ZN7rocprim17ROCPRIM_400000_NS6detail17trampoline_kernelINS0_14default_configENS1_20scan_config_selectorIN3c107complexIdEEEEZZNS1_9scan_implILNS1_25lookback_scan_determinismE0ELb0ELb0ES3_PKS7_PS7_S7_ZZZN2at6native31launch_logcumsumexp_cuda_kernelERKNSE_10TensorBaseESI_lENKUlvE_clEvENKUlvE1_clEvEUlS7_S7_E_S7_EEDaPvRmT3_T4_T5_mT6_P12ihipStream_tbENKUlT_T0_E_clISt17integral_constantIbLb1EESZ_EEDaSU_SV_EUlSU_E_NS1_11comp_targetILNS1_3genE3ELNS1_11target_archE908ELNS1_3gpuE7ELNS1_3repE0EEENS1_30default_config_static_selectorELNS0_4arch9wavefront6targetE1EEEvT1_,@function
_ZN7rocprim17ROCPRIM_400000_NS6detail17trampoline_kernelINS0_14default_configENS1_20scan_config_selectorIN3c107complexIdEEEEZZNS1_9scan_implILNS1_25lookback_scan_determinismE0ELb0ELb0ES3_PKS7_PS7_S7_ZZZN2at6native31launch_logcumsumexp_cuda_kernelERKNSE_10TensorBaseESI_lENKUlvE_clEvENKUlvE1_clEvEUlS7_S7_E_S7_EEDaPvRmT3_T4_T5_mT6_P12ihipStream_tbENKUlT_T0_E_clISt17integral_constantIbLb1EESZ_EEDaSU_SV_EUlSU_E_NS1_11comp_targetILNS1_3genE3ELNS1_11target_archE908ELNS1_3gpuE7ELNS1_3repE0EEENS1_30default_config_static_selectorELNS0_4arch9wavefront6targetE1EEEvT1_: ; @_ZN7rocprim17ROCPRIM_400000_NS6detail17trampoline_kernelINS0_14default_configENS1_20scan_config_selectorIN3c107complexIdEEEEZZNS1_9scan_implILNS1_25lookback_scan_determinismE0ELb0ELb0ES3_PKS7_PS7_S7_ZZZN2at6native31launch_logcumsumexp_cuda_kernelERKNSE_10TensorBaseESI_lENKUlvE_clEvENKUlvE1_clEvEUlS7_S7_E_S7_EEDaPvRmT3_T4_T5_mT6_P12ihipStream_tbENKUlT_T0_E_clISt17integral_constantIbLb1EESZ_EEDaSU_SV_EUlSU_E_NS1_11comp_targetILNS1_3genE3ELNS1_11target_archE908ELNS1_3gpuE7ELNS1_3repE0EEENS1_30default_config_static_selectorELNS0_4arch9wavefront6targetE1EEEvT1_
; %bb.0:
	.section	.rodata,"a",@progbits
	.p2align	6, 0x0
	.amdhsa_kernel _ZN7rocprim17ROCPRIM_400000_NS6detail17trampoline_kernelINS0_14default_configENS1_20scan_config_selectorIN3c107complexIdEEEEZZNS1_9scan_implILNS1_25lookback_scan_determinismE0ELb0ELb0ES3_PKS7_PS7_S7_ZZZN2at6native31launch_logcumsumexp_cuda_kernelERKNSE_10TensorBaseESI_lENKUlvE_clEvENKUlvE1_clEvEUlS7_S7_E_S7_EEDaPvRmT3_T4_T5_mT6_P12ihipStream_tbENKUlT_T0_E_clISt17integral_constantIbLb1EESZ_EEDaSU_SV_EUlSU_E_NS1_11comp_targetILNS1_3genE3ELNS1_11target_archE908ELNS1_3gpuE7ELNS1_3repE0EEENS1_30default_config_static_selectorELNS0_4arch9wavefront6targetE1EEEvT1_
		.amdhsa_group_segment_fixed_size 0
		.amdhsa_private_segment_fixed_size 0
		.amdhsa_kernarg_size 128
		.amdhsa_user_sgpr_count 2
		.amdhsa_user_sgpr_dispatch_ptr 0
		.amdhsa_user_sgpr_queue_ptr 0
		.amdhsa_user_sgpr_kernarg_segment_ptr 1
		.amdhsa_user_sgpr_dispatch_id 0
		.amdhsa_user_sgpr_kernarg_preload_length 0
		.amdhsa_user_sgpr_kernarg_preload_offset 0
		.amdhsa_user_sgpr_private_segment_size 0
		.amdhsa_uses_dynamic_stack 0
		.amdhsa_enable_private_segment 0
		.amdhsa_system_sgpr_workgroup_id_x 1
		.amdhsa_system_sgpr_workgroup_id_y 0
		.amdhsa_system_sgpr_workgroup_id_z 0
		.amdhsa_system_sgpr_workgroup_info 0
		.amdhsa_system_vgpr_workitem_id 0
		.amdhsa_next_free_vgpr 1
		.amdhsa_next_free_sgpr 0
		.amdhsa_accum_offset 4
		.amdhsa_reserve_vcc 0
		.amdhsa_float_round_mode_32 0
		.amdhsa_float_round_mode_16_64 0
		.amdhsa_float_denorm_mode_32 3
		.amdhsa_float_denorm_mode_16_64 3
		.amdhsa_dx10_clamp 1
		.amdhsa_ieee_mode 1
		.amdhsa_fp16_overflow 0
		.amdhsa_tg_split 0
		.amdhsa_exception_fp_ieee_invalid_op 0
		.amdhsa_exception_fp_denorm_src 0
		.amdhsa_exception_fp_ieee_div_zero 0
		.amdhsa_exception_fp_ieee_overflow 0
		.amdhsa_exception_fp_ieee_underflow 0
		.amdhsa_exception_fp_ieee_inexact 0
		.amdhsa_exception_int_div_zero 0
	.end_amdhsa_kernel
	.section	.text._ZN7rocprim17ROCPRIM_400000_NS6detail17trampoline_kernelINS0_14default_configENS1_20scan_config_selectorIN3c107complexIdEEEEZZNS1_9scan_implILNS1_25lookback_scan_determinismE0ELb0ELb0ES3_PKS7_PS7_S7_ZZZN2at6native31launch_logcumsumexp_cuda_kernelERKNSE_10TensorBaseESI_lENKUlvE_clEvENKUlvE1_clEvEUlS7_S7_E_S7_EEDaPvRmT3_T4_T5_mT6_P12ihipStream_tbENKUlT_T0_E_clISt17integral_constantIbLb1EESZ_EEDaSU_SV_EUlSU_E_NS1_11comp_targetILNS1_3genE3ELNS1_11target_archE908ELNS1_3gpuE7ELNS1_3repE0EEENS1_30default_config_static_selectorELNS0_4arch9wavefront6targetE1EEEvT1_,"axG",@progbits,_ZN7rocprim17ROCPRIM_400000_NS6detail17trampoline_kernelINS0_14default_configENS1_20scan_config_selectorIN3c107complexIdEEEEZZNS1_9scan_implILNS1_25lookback_scan_determinismE0ELb0ELb0ES3_PKS7_PS7_S7_ZZZN2at6native31launch_logcumsumexp_cuda_kernelERKNSE_10TensorBaseESI_lENKUlvE_clEvENKUlvE1_clEvEUlS7_S7_E_S7_EEDaPvRmT3_T4_T5_mT6_P12ihipStream_tbENKUlT_T0_E_clISt17integral_constantIbLb1EESZ_EEDaSU_SV_EUlSU_E_NS1_11comp_targetILNS1_3genE3ELNS1_11target_archE908ELNS1_3gpuE7ELNS1_3repE0EEENS1_30default_config_static_selectorELNS0_4arch9wavefront6targetE1EEEvT1_,comdat
.Lfunc_end206:
	.size	_ZN7rocprim17ROCPRIM_400000_NS6detail17trampoline_kernelINS0_14default_configENS1_20scan_config_selectorIN3c107complexIdEEEEZZNS1_9scan_implILNS1_25lookback_scan_determinismE0ELb0ELb0ES3_PKS7_PS7_S7_ZZZN2at6native31launch_logcumsumexp_cuda_kernelERKNSE_10TensorBaseESI_lENKUlvE_clEvENKUlvE1_clEvEUlS7_S7_E_S7_EEDaPvRmT3_T4_T5_mT6_P12ihipStream_tbENKUlT_T0_E_clISt17integral_constantIbLb1EESZ_EEDaSU_SV_EUlSU_E_NS1_11comp_targetILNS1_3genE3ELNS1_11target_archE908ELNS1_3gpuE7ELNS1_3repE0EEENS1_30default_config_static_selectorELNS0_4arch9wavefront6targetE1EEEvT1_, .Lfunc_end206-_ZN7rocprim17ROCPRIM_400000_NS6detail17trampoline_kernelINS0_14default_configENS1_20scan_config_selectorIN3c107complexIdEEEEZZNS1_9scan_implILNS1_25lookback_scan_determinismE0ELb0ELb0ES3_PKS7_PS7_S7_ZZZN2at6native31launch_logcumsumexp_cuda_kernelERKNSE_10TensorBaseESI_lENKUlvE_clEvENKUlvE1_clEvEUlS7_S7_E_S7_EEDaPvRmT3_T4_T5_mT6_P12ihipStream_tbENKUlT_T0_E_clISt17integral_constantIbLb1EESZ_EEDaSU_SV_EUlSU_E_NS1_11comp_targetILNS1_3genE3ELNS1_11target_archE908ELNS1_3gpuE7ELNS1_3repE0EEENS1_30default_config_static_selectorELNS0_4arch9wavefront6targetE1EEEvT1_
                                        ; -- End function
	.set _ZN7rocprim17ROCPRIM_400000_NS6detail17trampoline_kernelINS0_14default_configENS1_20scan_config_selectorIN3c107complexIdEEEEZZNS1_9scan_implILNS1_25lookback_scan_determinismE0ELb0ELb0ES3_PKS7_PS7_S7_ZZZN2at6native31launch_logcumsumexp_cuda_kernelERKNSE_10TensorBaseESI_lENKUlvE_clEvENKUlvE1_clEvEUlS7_S7_E_S7_EEDaPvRmT3_T4_T5_mT6_P12ihipStream_tbENKUlT_T0_E_clISt17integral_constantIbLb1EESZ_EEDaSU_SV_EUlSU_E_NS1_11comp_targetILNS1_3genE3ELNS1_11target_archE908ELNS1_3gpuE7ELNS1_3repE0EEENS1_30default_config_static_selectorELNS0_4arch9wavefront6targetE1EEEvT1_.num_vgpr, 0
	.set _ZN7rocprim17ROCPRIM_400000_NS6detail17trampoline_kernelINS0_14default_configENS1_20scan_config_selectorIN3c107complexIdEEEEZZNS1_9scan_implILNS1_25lookback_scan_determinismE0ELb0ELb0ES3_PKS7_PS7_S7_ZZZN2at6native31launch_logcumsumexp_cuda_kernelERKNSE_10TensorBaseESI_lENKUlvE_clEvENKUlvE1_clEvEUlS7_S7_E_S7_EEDaPvRmT3_T4_T5_mT6_P12ihipStream_tbENKUlT_T0_E_clISt17integral_constantIbLb1EESZ_EEDaSU_SV_EUlSU_E_NS1_11comp_targetILNS1_3genE3ELNS1_11target_archE908ELNS1_3gpuE7ELNS1_3repE0EEENS1_30default_config_static_selectorELNS0_4arch9wavefront6targetE1EEEvT1_.num_agpr, 0
	.set _ZN7rocprim17ROCPRIM_400000_NS6detail17trampoline_kernelINS0_14default_configENS1_20scan_config_selectorIN3c107complexIdEEEEZZNS1_9scan_implILNS1_25lookback_scan_determinismE0ELb0ELb0ES3_PKS7_PS7_S7_ZZZN2at6native31launch_logcumsumexp_cuda_kernelERKNSE_10TensorBaseESI_lENKUlvE_clEvENKUlvE1_clEvEUlS7_S7_E_S7_EEDaPvRmT3_T4_T5_mT6_P12ihipStream_tbENKUlT_T0_E_clISt17integral_constantIbLb1EESZ_EEDaSU_SV_EUlSU_E_NS1_11comp_targetILNS1_3genE3ELNS1_11target_archE908ELNS1_3gpuE7ELNS1_3repE0EEENS1_30default_config_static_selectorELNS0_4arch9wavefront6targetE1EEEvT1_.numbered_sgpr, 0
	.set _ZN7rocprim17ROCPRIM_400000_NS6detail17trampoline_kernelINS0_14default_configENS1_20scan_config_selectorIN3c107complexIdEEEEZZNS1_9scan_implILNS1_25lookback_scan_determinismE0ELb0ELb0ES3_PKS7_PS7_S7_ZZZN2at6native31launch_logcumsumexp_cuda_kernelERKNSE_10TensorBaseESI_lENKUlvE_clEvENKUlvE1_clEvEUlS7_S7_E_S7_EEDaPvRmT3_T4_T5_mT6_P12ihipStream_tbENKUlT_T0_E_clISt17integral_constantIbLb1EESZ_EEDaSU_SV_EUlSU_E_NS1_11comp_targetILNS1_3genE3ELNS1_11target_archE908ELNS1_3gpuE7ELNS1_3repE0EEENS1_30default_config_static_selectorELNS0_4arch9wavefront6targetE1EEEvT1_.num_named_barrier, 0
	.set _ZN7rocprim17ROCPRIM_400000_NS6detail17trampoline_kernelINS0_14default_configENS1_20scan_config_selectorIN3c107complexIdEEEEZZNS1_9scan_implILNS1_25lookback_scan_determinismE0ELb0ELb0ES3_PKS7_PS7_S7_ZZZN2at6native31launch_logcumsumexp_cuda_kernelERKNSE_10TensorBaseESI_lENKUlvE_clEvENKUlvE1_clEvEUlS7_S7_E_S7_EEDaPvRmT3_T4_T5_mT6_P12ihipStream_tbENKUlT_T0_E_clISt17integral_constantIbLb1EESZ_EEDaSU_SV_EUlSU_E_NS1_11comp_targetILNS1_3genE3ELNS1_11target_archE908ELNS1_3gpuE7ELNS1_3repE0EEENS1_30default_config_static_selectorELNS0_4arch9wavefront6targetE1EEEvT1_.private_seg_size, 0
	.set _ZN7rocprim17ROCPRIM_400000_NS6detail17trampoline_kernelINS0_14default_configENS1_20scan_config_selectorIN3c107complexIdEEEEZZNS1_9scan_implILNS1_25lookback_scan_determinismE0ELb0ELb0ES3_PKS7_PS7_S7_ZZZN2at6native31launch_logcumsumexp_cuda_kernelERKNSE_10TensorBaseESI_lENKUlvE_clEvENKUlvE1_clEvEUlS7_S7_E_S7_EEDaPvRmT3_T4_T5_mT6_P12ihipStream_tbENKUlT_T0_E_clISt17integral_constantIbLb1EESZ_EEDaSU_SV_EUlSU_E_NS1_11comp_targetILNS1_3genE3ELNS1_11target_archE908ELNS1_3gpuE7ELNS1_3repE0EEENS1_30default_config_static_selectorELNS0_4arch9wavefront6targetE1EEEvT1_.uses_vcc, 0
	.set _ZN7rocprim17ROCPRIM_400000_NS6detail17trampoline_kernelINS0_14default_configENS1_20scan_config_selectorIN3c107complexIdEEEEZZNS1_9scan_implILNS1_25lookback_scan_determinismE0ELb0ELb0ES3_PKS7_PS7_S7_ZZZN2at6native31launch_logcumsumexp_cuda_kernelERKNSE_10TensorBaseESI_lENKUlvE_clEvENKUlvE1_clEvEUlS7_S7_E_S7_EEDaPvRmT3_T4_T5_mT6_P12ihipStream_tbENKUlT_T0_E_clISt17integral_constantIbLb1EESZ_EEDaSU_SV_EUlSU_E_NS1_11comp_targetILNS1_3genE3ELNS1_11target_archE908ELNS1_3gpuE7ELNS1_3repE0EEENS1_30default_config_static_selectorELNS0_4arch9wavefront6targetE1EEEvT1_.uses_flat_scratch, 0
	.set _ZN7rocprim17ROCPRIM_400000_NS6detail17trampoline_kernelINS0_14default_configENS1_20scan_config_selectorIN3c107complexIdEEEEZZNS1_9scan_implILNS1_25lookback_scan_determinismE0ELb0ELb0ES3_PKS7_PS7_S7_ZZZN2at6native31launch_logcumsumexp_cuda_kernelERKNSE_10TensorBaseESI_lENKUlvE_clEvENKUlvE1_clEvEUlS7_S7_E_S7_EEDaPvRmT3_T4_T5_mT6_P12ihipStream_tbENKUlT_T0_E_clISt17integral_constantIbLb1EESZ_EEDaSU_SV_EUlSU_E_NS1_11comp_targetILNS1_3genE3ELNS1_11target_archE908ELNS1_3gpuE7ELNS1_3repE0EEENS1_30default_config_static_selectorELNS0_4arch9wavefront6targetE1EEEvT1_.has_dyn_sized_stack, 0
	.set _ZN7rocprim17ROCPRIM_400000_NS6detail17trampoline_kernelINS0_14default_configENS1_20scan_config_selectorIN3c107complexIdEEEEZZNS1_9scan_implILNS1_25lookback_scan_determinismE0ELb0ELb0ES3_PKS7_PS7_S7_ZZZN2at6native31launch_logcumsumexp_cuda_kernelERKNSE_10TensorBaseESI_lENKUlvE_clEvENKUlvE1_clEvEUlS7_S7_E_S7_EEDaPvRmT3_T4_T5_mT6_P12ihipStream_tbENKUlT_T0_E_clISt17integral_constantIbLb1EESZ_EEDaSU_SV_EUlSU_E_NS1_11comp_targetILNS1_3genE3ELNS1_11target_archE908ELNS1_3gpuE7ELNS1_3repE0EEENS1_30default_config_static_selectorELNS0_4arch9wavefront6targetE1EEEvT1_.has_recursion, 0
	.set _ZN7rocprim17ROCPRIM_400000_NS6detail17trampoline_kernelINS0_14default_configENS1_20scan_config_selectorIN3c107complexIdEEEEZZNS1_9scan_implILNS1_25lookback_scan_determinismE0ELb0ELb0ES3_PKS7_PS7_S7_ZZZN2at6native31launch_logcumsumexp_cuda_kernelERKNSE_10TensorBaseESI_lENKUlvE_clEvENKUlvE1_clEvEUlS7_S7_E_S7_EEDaPvRmT3_T4_T5_mT6_P12ihipStream_tbENKUlT_T0_E_clISt17integral_constantIbLb1EESZ_EEDaSU_SV_EUlSU_E_NS1_11comp_targetILNS1_3genE3ELNS1_11target_archE908ELNS1_3gpuE7ELNS1_3repE0EEENS1_30default_config_static_selectorELNS0_4arch9wavefront6targetE1EEEvT1_.has_indirect_call, 0
	.section	.AMDGPU.csdata,"",@progbits
; Kernel info:
; codeLenInByte = 0
; TotalNumSgprs: 6
; NumVgprs: 0
; NumAgprs: 0
; TotalNumVgprs: 0
; ScratchSize: 0
; MemoryBound: 0
; FloatMode: 240
; IeeeMode: 1
; LDSByteSize: 0 bytes/workgroup (compile time only)
; SGPRBlocks: 0
; VGPRBlocks: 0
; NumSGPRsForWavesPerEU: 6
; NumVGPRsForWavesPerEU: 1
; AccumOffset: 4
; Occupancy: 8
; WaveLimiterHint : 0
; COMPUTE_PGM_RSRC2:SCRATCH_EN: 0
; COMPUTE_PGM_RSRC2:USER_SGPR: 2
; COMPUTE_PGM_RSRC2:TRAP_HANDLER: 0
; COMPUTE_PGM_RSRC2:TGID_X_EN: 1
; COMPUTE_PGM_RSRC2:TGID_Y_EN: 0
; COMPUTE_PGM_RSRC2:TGID_Z_EN: 0
; COMPUTE_PGM_RSRC2:TIDIG_COMP_CNT: 0
; COMPUTE_PGM_RSRC3_GFX90A:ACCUM_OFFSET: 0
; COMPUTE_PGM_RSRC3_GFX90A:TG_SPLIT: 0
	.section	.text._ZN7rocprim17ROCPRIM_400000_NS6detail17trampoline_kernelINS0_14default_configENS1_20scan_config_selectorIN3c107complexIdEEEEZZNS1_9scan_implILNS1_25lookback_scan_determinismE0ELb0ELb0ES3_PKS7_PS7_S7_ZZZN2at6native31launch_logcumsumexp_cuda_kernelERKNSE_10TensorBaseESI_lENKUlvE_clEvENKUlvE1_clEvEUlS7_S7_E_S7_EEDaPvRmT3_T4_T5_mT6_P12ihipStream_tbENKUlT_T0_E_clISt17integral_constantIbLb1EESZ_EEDaSU_SV_EUlSU_E_NS1_11comp_targetILNS1_3genE2ELNS1_11target_archE906ELNS1_3gpuE6ELNS1_3repE0EEENS1_30default_config_static_selectorELNS0_4arch9wavefront6targetE1EEEvT1_,"axG",@progbits,_ZN7rocprim17ROCPRIM_400000_NS6detail17trampoline_kernelINS0_14default_configENS1_20scan_config_selectorIN3c107complexIdEEEEZZNS1_9scan_implILNS1_25lookback_scan_determinismE0ELb0ELb0ES3_PKS7_PS7_S7_ZZZN2at6native31launch_logcumsumexp_cuda_kernelERKNSE_10TensorBaseESI_lENKUlvE_clEvENKUlvE1_clEvEUlS7_S7_E_S7_EEDaPvRmT3_T4_T5_mT6_P12ihipStream_tbENKUlT_T0_E_clISt17integral_constantIbLb1EESZ_EEDaSU_SV_EUlSU_E_NS1_11comp_targetILNS1_3genE2ELNS1_11target_archE906ELNS1_3gpuE6ELNS1_3repE0EEENS1_30default_config_static_selectorELNS0_4arch9wavefront6targetE1EEEvT1_,comdat
	.globl	_ZN7rocprim17ROCPRIM_400000_NS6detail17trampoline_kernelINS0_14default_configENS1_20scan_config_selectorIN3c107complexIdEEEEZZNS1_9scan_implILNS1_25lookback_scan_determinismE0ELb0ELb0ES3_PKS7_PS7_S7_ZZZN2at6native31launch_logcumsumexp_cuda_kernelERKNSE_10TensorBaseESI_lENKUlvE_clEvENKUlvE1_clEvEUlS7_S7_E_S7_EEDaPvRmT3_T4_T5_mT6_P12ihipStream_tbENKUlT_T0_E_clISt17integral_constantIbLb1EESZ_EEDaSU_SV_EUlSU_E_NS1_11comp_targetILNS1_3genE2ELNS1_11target_archE906ELNS1_3gpuE6ELNS1_3repE0EEENS1_30default_config_static_selectorELNS0_4arch9wavefront6targetE1EEEvT1_ ; -- Begin function _ZN7rocprim17ROCPRIM_400000_NS6detail17trampoline_kernelINS0_14default_configENS1_20scan_config_selectorIN3c107complexIdEEEEZZNS1_9scan_implILNS1_25lookback_scan_determinismE0ELb0ELb0ES3_PKS7_PS7_S7_ZZZN2at6native31launch_logcumsumexp_cuda_kernelERKNSE_10TensorBaseESI_lENKUlvE_clEvENKUlvE1_clEvEUlS7_S7_E_S7_EEDaPvRmT3_T4_T5_mT6_P12ihipStream_tbENKUlT_T0_E_clISt17integral_constantIbLb1EESZ_EEDaSU_SV_EUlSU_E_NS1_11comp_targetILNS1_3genE2ELNS1_11target_archE906ELNS1_3gpuE6ELNS1_3repE0EEENS1_30default_config_static_selectorELNS0_4arch9wavefront6targetE1EEEvT1_
	.p2align	8
	.type	_ZN7rocprim17ROCPRIM_400000_NS6detail17trampoline_kernelINS0_14default_configENS1_20scan_config_selectorIN3c107complexIdEEEEZZNS1_9scan_implILNS1_25lookback_scan_determinismE0ELb0ELb0ES3_PKS7_PS7_S7_ZZZN2at6native31launch_logcumsumexp_cuda_kernelERKNSE_10TensorBaseESI_lENKUlvE_clEvENKUlvE1_clEvEUlS7_S7_E_S7_EEDaPvRmT3_T4_T5_mT6_P12ihipStream_tbENKUlT_T0_E_clISt17integral_constantIbLb1EESZ_EEDaSU_SV_EUlSU_E_NS1_11comp_targetILNS1_3genE2ELNS1_11target_archE906ELNS1_3gpuE6ELNS1_3repE0EEENS1_30default_config_static_selectorELNS0_4arch9wavefront6targetE1EEEvT1_,@function
_ZN7rocprim17ROCPRIM_400000_NS6detail17trampoline_kernelINS0_14default_configENS1_20scan_config_selectorIN3c107complexIdEEEEZZNS1_9scan_implILNS1_25lookback_scan_determinismE0ELb0ELb0ES3_PKS7_PS7_S7_ZZZN2at6native31launch_logcumsumexp_cuda_kernelERKNSE_10TensorBaseESI_lENKUlvE_clEvENKUlvE1_clEvEUlS7_S7_E_S7_EEDaPvRmT3_T4_T5_mT6_P12ihipStream_tbENKUlT_T0_E_clISt17integral_constantIbLb1EESZ_EEDaSU_SV_EUlSU_E_NS1_11comp_targetILNS1_3genE2ELNS1_11target_archE906ELNS1_3gpuE6ELNS1_3repE0EEENS1_30default_config_static_selectorELNS0_4arch9wavefront6targetE1EEEvT1_: ; @_ZN7rocprim17ROCPRIM_400000_NS6detail17trampoline_kernelINS0_14default_configENS1_20scan_config_selectorIN3c107complexIdEEEEZZNS1_9scan_implILNS1_25lookback_scan_determinismE0ELb0ELb0ES3_PKS7_PS7_S7_ZZZN2at6native31launch_logcumsumexp_cuda_kernelERKNSE_10TensorBaseESI_lENKUlvE_clEvENKUlvE1_clEvEUlS7_S7_E_S7_EEDaPvRmT3_T4_T5_mT6_P12ihipStream_tbENKUlT_T0_E_clISt17integral_constantIbLb1EESZ_EEDaSU_SV_EUlSU_E_NS1_11comp_targetILNS1_3genE2ELNS1_11target_archE906ELNS1_3gpuE6ELNS1_3repE0EEENS1_30default_config_static_selectorELNS0_4arch9wavefront6targetE1EEEvT1_
; %bb.0:
	.section	.rodata,"a",@progbits
	.p2align	6, 0x0
	.amdhsa_kernel _ZN7rocprim17ROCPRIM_400000_NS6detail17trampoline_kernelINS0_14default_configENS1_20scan_config_selectorIN3c107complexIdEEEEZZNS1_9scan_implILNS1_25lookback_scan_determinismE0ELb0ELb0ES3_PKS7_PS7_S7_ZZZN2at6native31launch_logcumsumexp_cuda_kernelERKNSE_10TensorBaseESI_lENKUlvE_clEvENKUlvE1_clEvEUlS7_S7_E_S7_EEDaPvRmT3_T4_T5_mT6_P12ihipStream_tbENKUlT_T0_E_clISt17integral_constantIbLb1EESZ_EEDaSU_SV_EUlSU_E_NS1_11comp_targetILNS1_3genE2ELNS1_11target_archE906ELNS1_3gpuE6ELNS1_3repE0EEENS1_30default_config_static_selectorELNS0_4arch9wavefront6targetE1EEEvT1_
		.amdhsa_group_segment_fixed_size 0
		.amdhsa_private_segment_fixed_size 0
		.amdhsa_kernarg_size 128
		.amdhsa_user_sgpr_count 2
		.amdhsa_user_sgpr_dispatch_ptr 0
		.amdhsa_user_sgpr_queue_ptr 0
		.amdhsa_user_sgpr_kernarg_segment_ptr 1
		.amdhsa_user_sgpr_dispatch_id 0
		.amdhsa_user_sgpr_kernarg_preload_length 0
		.amdhsa_user_sgpr_kernarg_preload_offset 0
		.amdhsa_user_sgpr_private_segment_size 0
		.amdhsa_uses_dynamic_stack 0
		.amdhsa_enable_private_segment 0
		.amdhsa_system_sgpr_workgroup_id_x 1
		.amdhsa_system_sgpr_workgroup_id_y 0
		.amdhsa_system_sgpr_workgroup_id_z 0
		.amdhsa_system_sgpr_workgroup_info 0
		.amdhsa_system_vgpr_workitem_id 0
		.amdhsa_next_free_vgpr 1
		.amdhsa_next_free_sgpr 0
		.amdhsa_accum_offset 4
		.amdhsa_reserve_vcc 0
		.amdhsa_float_round_mode_32 0
		.amdhsa_float_round_mode_16_64 0
		.amdhsa_float_denorm_mode_32 3
		.amdhsa_float_denorm_mode_16_64 3
		.amdhsa_dx10_clamp 1
		.amdhsa_ieee_mode 1
		.amdhsa_fp16_overflow 0
		.amdhsa_tg_split 0
		.amdhsa_exception_fp_ieee_invalid_op 0
		.amdhsa_exception_fp_denorm_src 0
		.amdhsa_exception_fp_ieee_div_zero 0
		.amdhsa_exception_fp_ieee_overflow 0
		.amdhsa_exception_fp_ieee_underflow 0
		.amdhsa_exception_fp_ieee_inexact 0
		.amdhsa_exception_int_div_zero 0
	.end_amdhsa_kernel
	.section	.text._ZN7rocprim17ROCPRIM_400000_NS6detail17trampoline_kernelINS0_14default_configENS1_20scan_config_selectorIN3c107complexIdEEEEZZNS1_9scan_implILNS1_25lookback_scan_determinismE0ELb0ELb0ES3_PKS7_PS7_S7_ZZZN2at6native31launch_logcumsumexp_cuda_kernelERKNSE_10TensorBaseESI_lENKUlvE_clEvENKUlvE1_clEvEUlS7_S7_E_S7_EEDaPvRmT3_T4_T5_mT6_P12ihipStream_tbENKUlT_T0_E_clISt17integral_constantIbLb1EESZ_EEDaSU_SV_EUlSU_E_NS1_11comp_targetILNS1_3genE2ELNS1_11target_archE906ELNS1_3gpuE6ELNS1_3repE0EEENS1_30default_config_static_selectorELNS0_4arch9wavefront6targetE1EEEvT1_,"axG",@progbits,_ZN7rocprim17ROCPRIM_400000_NS6detail17trampoline_kernelINS0_14default_configENS1_20scan_config_selectorIN3c107complexIdEEEEZZNS1_9scan_implILNS1_25lookback_scan_determinismE0ELb0ELb0ES3_PKS7_PS7_S7_ZZZN2at6native31launch_logcumsumexp_cuda_kernelERKNSE_10TensorBaseESI_lENKUlvE_clEvENKUlvE1_clEvEUlS7_S7_E_S7_EEDaPvRmT3_T4_T5_mT6_P12ihipStream_tbENKUlT_T0_E_clISt17integral_constantIbLb1EESZ_EEDaSU_SV_EUlSU_E_NS1_11comp_targetILNS1_3genE2ELNS1_11target_archE906ELNS1_3gpuE6ELNS1_3repE0EEENS1_30default_config_static_selectorELNS0_4arch9wavefront6targetE1EEEvT1_,comdat
.Lfunc_end207:
	.size	_ZN7rocprim17ROCPRIM_400000_NS6detail17trampoline_kernelINS0_14default_configENS1_20scan_config_selectorIN3c107complexIdEEEEZZNS1_9scan_implILNS1_25lookback_scan_determinismE0ELb0ELb0ES3_PKS7_PS7_S7_ZZZN2at6native31launch_logcumsumexp_cuda_kernelERKNSE_10TensorBaseESI_lENKUlvE_clEvENKUlvE1_clEvEUlS7_S7_E_S7_EEDaPvRmT3_T4_T5_mT6_P12ihipStream_tbENKUlT_T0_E_clISt17integral_constantIbLb1EESZ_EEDaSU_SV_EUlSU_E_NS1_11comp_targetILNS1_3genE2ELNS1_11target_archE906ELNS1_3gpuE6ELNS1_3repE0EEENS1_30default_config_static_selectorELNS0_4arch9wavefront6targetE1EEEvT1_, .Lfunc_end207-_ZN7rocprim17ROCPRIM_400000_NS6detail17trampoline_kernelINS0_14default_configENS1_20scan_config_selectorIN3c107complexIdEEEEZZNS1_9scan_implILNS1_25lookback_scan_determinismE0ELb0ELb0ES3_PKS7_PS7_S7_ZZZN2at6native31launch_logcumsumexp_cuda_kernelERKNSE_10TensorBaseESI_lENKUlvE_clEvENKUlvE1_clEvEUlS7_S7_E_S7_EEDaPvRmT3_T4_T5_mT6_P12ihipStream_tbENKUlT_T0_E_clISt17integral_constantIbLb1EESZ_EEDaSU_SV_EUlSU_E_NS1_11comp_targetILNS1_3genE2ELNS1_11target_archE906ELNS1_3gpuE6ELNS1_3repE0EEENS1_30default_config_static_selectorELNS0_4arch9wavefront6targetE1EEEvT1_
                                        ; -- End function
	.set _ZN7rocprim17ROCPRIM_400000_NS6detail17trampoline_kernelINS0_14default_configENS1_20scan_config_selectorIN3c107complexIdEEEEZZNS1_9scan_implILNS1_25lookback_scan_determinismE0ELb0ELb0ES3_PKS7_PS7_S7_ZZZN2at6native31launch_logcumsumexp_cuda_kernelERKNSE_10TensorBaseESI_lENKUlvE_clEvENKUlvE1_clEvEUlS7_S7_E_S7_EEDaPvRmT3_T4_T5_mT6_P12ihipStream_tbENKUlT_T0_E_clISt17integral_constantIbLb1EESZ_EEDaSU_SV_EUlSU_E_NS1_11comp_targetILNS1_3genE2ELNS1_11target_archE906ELNS1_3gpuE6ELNS1_3repE0EEENS1_30default_config_static_selectorELNS0_4arch9wavefront6targetE1EEEvT1_.num_vgpr, 0
	.set _ZN7rocprim17ROCPRIM_400000_NS6detail17trampoline_kernelINS0_14default_configENS1_20scan_config_selectorIN3c107complexIdEEEEZZNS1_9scan_implILNS1_25lookback_scan_determinismE0ELb0ELb0ES3_PKS7_PS7_S7_ZZZN2at6native31launch_logcumsumexp_cuda_kernelERKNSE_10TensorBaseESI_lENKUlvE_clEvENKUlvE1_clEvEUlS7_S7_E_S7_EEDaPvRmT3_T4_T5_mT6_P12ihipStream_tbENKUlT_T0_E_clISt17integral_constantIbLb1EESZ_EEDaSU_SV_EUlSU_E_NS1_11comp_targetILNS1_3genE2ELNS1_11target_archE906ELNS1_3gpuE6ELNS1_3repE0EEENS1_30default_config_static_selectorELNS0_4arch9wavefront6targetE1EEEvT1_.num_agpr, 0
	.set _ZN7rocprim17ROCPRIM_400000_NS6detail17trampoline_kernelINS0_14default_configENS1_20scan_config_selectorIN3c107complexIdEEEEZZNS1_9scan_implILNS1_25lookback_scan_determinismE0ELb0ELb0ES3_PKS7_PS7_S7_ZZZN2at6native31launch_logcumsumexp_cuda_kernelERKNSE_10TensorBaseESI_lENKUlvE_clEvENKUlvE1_clEvEUlS7_S7_E_S7_EEDaPvRmT3_T4_T5_mT6_P12ihipStream_tbENKUlT_T0_E_clISt17integral_constantIbLb1EESZ_EEDaSU_SV_EUlSU_E_NS1_11comp_targetILNS1_3genE2ELNS1_11target_archE906ELNS1_3gpuE6ELNS1_3repE0EEENS1_30default_config_static_selectorELNS0_4arch9wavefront6targetE1EEEvT1_.numbered_sgpr, 0
	.set _ZN7rocprim17ROCPRIM_400000_NS6detail17trampoline_kernelINS0_14default_configENS1_20scan_config_selectorIN3c107complexIdEEEEZZNS1_9scan_implILNS1_25lookback_scan_determinismE0ELb0ELb0ES3_PKS7_PS7_S7_ZZZN2at6native31launch_logcumsumexp_cuda_kernelERKNSE_10TensorBaseESI_lENKUlvE_clEvENKUlvE1_clEvEUlS7_S7_E_S7_EEDaPvRmT3_T4_T5_mT6_P12ihipStream_tbENKUlT_T0_E_clISt17integral_constantIbLb1EESZ_EEDaSU_SV_EUlSU_E_NS1_11comp_targetILNS1_3genE2ELNS1_11target_archE906ELNS1_3gpuE6ELNS1_3repE0EEENS1_30default_config_static_selectorELNS0_4arch9wavefront6targetE1EEEvT1_.num_named_barrier, 0
	.set _ZN7rocprim17ROCPRIM_400000_NS6detail17trampoline_kernelINS0_14default_configENS1_20scan_config_selectorIN3c107complexIdEEEEZZNS1_9scan_implILNS1_25lookback_scan_determinismE0ELb0ELb0ES3_PKS7_PS7_S7_ZZZN2at6native31launch_logcumsumexp_cuda_kernelERKNSE_10TensorBaseESI_lENKUlvE_clEvENKUlvE1_clEvEUlS7_S7_E_S7_EEDaPvRmT3_T4_T5_mT6_P12ihipStream_tbENKUlT_T0_E_clISt17integral_constantIbLb1EESZ_EEDaSU_SV_EUlSU_E_NS1_11comp_targetILNS1_3genE2ELNS1_11target_archE906ELNS1_3gpuE6ELNS1_3repE0EEENS1_30default_config_static_selectorELNS0_4arch9wavefront6targetE1EEEvT1_.private_seg_size, 0
	.set _ZN7rocprim17ROCPRIM_400000_NS6detail17trampoline_kernelINS0_14default_configENS1_20scan_config_selectorIN3c107complexIdEEEEZZNS1_9scan_implILNS1_25lookback_scan_determinismE0ELb0ELb0ES3_PKS7_PS7_S7_ZZZN2at6native31launch_logcumsumexp_cuda_kernelERKNSE_10TensorBaseESI_lENKUlvE_clEvENKUlvE1_clEvEUlS7_S7_E_S7_EEDaPvRmT3_T4_T5_mT6_P12ihipStream_tbENKUlT_T0_E_clISt17integral_constantIbLb1EESZ_EEDaSU_SV_EUlSU_E_NS1_11comp_targetILNS1_3genE2ELNS1_11target_archE906ELNS1_3gpuE6ELNS1_3repE0EEENS1_30default_config_static_selectorELNS0_4arch9wavefront6targetE1EEEvT1_.uses_vcc, 0
	.set _ZN7rocprim17ROCPRIM_400000_NS6detail17trampoline_kernelINS0_14default_configENS1_20scan_config_selectorIN3c107complexIdEEEEZZNS1_9scan_implILNS1_25lookback_scan_determinismE0ELb0ELb0ES3_PKS7_PS7_S7_ZZZN2at6native31launch_logcumsumexp_cuda_kernelERKNSE_10TensorBaseESI_lENKUlvE_clEvENKUlvE1_clEvEUlS7_S7_E_S7_EEDaPvRmT3_T4_T5_mT6_P12ihipStream_tbENKUlT_T0_E_clISt17integral_constantIbLb1EESZ_EEDaSU_SV_EUlSU_E_NS1_11comp_targetILNS1_3genE2ELNS1_11target_archE906ELNS1_3gpuE6ELNS1_3repE0EEENS1_30default_config_static_selectorELNS0_4arch9wavefront6targetE1EEEvT1_.uses_flat_scratch, 0
	.set _ZN7rocprim17ROCPRIM_400000_NS6detail17trampoline_kernelINS0_14default_configENS1_20scan_config_selectorIN3c107complexIdEEEEZZNS1_9scan_implILNS1_25lookback_scan_determinismE0ELb0ELb0ES3_PKS7_PS7_S7_ZZZN2at6native31launch_logcumsumexp_cuda_kernelERKNSE_10TensorBaseESI_lENKUlvE_clEvENKUlvE1_clEvEUlS7_S7_E_S7_EEDaPvRmT3_T4_T5_mT6_P12ihipStream_tbENKUlT_T0_E_clISt17integral_constantIbLb1EESZ_EEDaSU_SV_EUlSU_E_NS1_11comp_targetILNS1_3genE2ELNS1_11target_archE906ELNS1_3gpuE6ELNS1_3repE0EEENS1_30default_config_static_selectorELNS0_4arch9wavefront6targetE1EEEvT1_.has_dyn_sized_stack, 0
	.set _ZN7rocprim17ROCPRIM_400000_NS6detail17trampoline_kernelINS0_14default_configENS1_20scan_config_selectorIN3c107complexIdEEEEZZNS1_9scan_implILNS1_25lookback_scan_determinismE0ELb0ELb0ES3_PKS7_PS7_S7_ZZZN2at6native31launch_logcumsumexp_cuda_kernelERKNSE_10TensorBaseESI_lENKUlvE_clEvENKUlvE1_clEvEUlS7_S7_E_S7_EEDaPvRmT3_T4_T5_mT6_P12ihipStream_tbENKUlT_T0_E_clISt17integral_constantIbLb1EESZ_EEDaSU_SV_EUlSU_E_NS1_11comp_targetILNS1_3genE2ELNS1_11target_archE906ELNS1_3gpuE6ELNS1_3repE0EEENS1_30default_config_static_selectorELNS0_4arch9wavefront6targetE1EEEvT1_.has_recursion, 0
	.set _ZN7rocprim17ROCPRIM_400000_NS6detail17trampoline_kernelINS0_14default_configENS1_20scan_config_selectorIN3c107complexIdEEEEZZNS1_9scan_implILNS1_25lookback_scan_determinismE0ELb0ELb0ES3_PKS7_PS7_S7_ZZZN2at6native31launch_logcumsumexp_cuda_kernelERKNSE_10TensorBaseESI_lENKUlvE_clEvENKUlvE1_clEvEUlS7_S7_E_S7_EEDaPvRmT3_T4_T5_mT6_P12ihipStream_tbENKUlT_T0_E_clISt17integral_constantIbLb1EESZ_EEDaSU_SV_EUlSU_E_NS1_11comp_targetILNS1_3genE2ELNS1_11target_archE906ELNS1_3gpuE6ELNS1_3repE0EEENS1_30default_config_static_selectorELNS0_4arch9wavefront6targetE1EEEvT1_.has_indirect_call, 0
	.section	.AMDGPU.csdata,"",@progbits
; Kernel info:
; codeLenInByte = 0
; TotalNumSgprs: 6
; NumVgprs: 0
; NumAgprs: 0
; TotalNumVgprs: 0
; ScratchSize: 0
; MemoryBound: 0
; FloatMode: 240
; IeeeMode: 1
; LDSByteSize: 0 bytes/workgroup (compile time only)
; SGPRBlocks: 0
; VGPRBlocks: 0
; NumSGPRsForWavesPerEU: 6
; NumVGPRsForWavesPerEU: 1
; AccumOffset: 4
; Occupancy: 8
; WaveLimiterHint : 0
; COMPUTE_PGM_RSRC2:SCRATCH_EN: 0
; COMPUTE_PGM_RSRC2:USER_SGPR: 2
; COMPUTE_PGM_RSRC2:TRAP_HANDLER: 0
; COMPUTE_PGM_RSRC2:TGID_X_EN: 1
; COMPUTE_PGM_RSRC2:TGID_Y_EN: 0
; COMPUTE_PGM_RSRC2:TGID_Z_EN: 0
; COMPUTE_PGM_RSRC2:TIDIG_COMP_CNT: 0
; COMPUTE_PGM_RSRC3_GFX90A:ACCUM_OFFSET: 0
; COMPUTE_PGM_RSRC3_GFX90A:TG_SPLIT: 0
	.section	.text._ZN7rocprim17ROCPRIM_400000_NS6detail17trampoline_kernelINS0_14default_configENS1_20scan_config_selectorIN3c107complexIdEEEEZZNS1_9scan_implILNS1_25lookback_scan_determinismE0ELb0ELb0ES3_PKS7_PS7_S7_ZZZN2at6native31launch_logcumsumexp_cuda_kernelERKNSE_10TensorBaseESI_lENKUlvE_clEvENKUlvE1_clEvEUlS7_S7_E_S7_EEDaPvRmT3_T4_T5_mT6_P12ihipStream_tbENKUlT_T0_E_clISt17integral_constantIbLb1EESZ_EEDaSU_SV_EUlSU_E_NS1_11comp_targetILNS1_3genE10ELNS1_11target_archE1201ELNS1_3gpuE5ELNS1_3repE0EEENS1_30default_config_static_selectorELNS0_4arch9wavefront6targetE1EEEvT1_,"axG",@progbits,_ZN7rocprim17ROCPRIM_400000_NS6detail17trampoline_kernelINS0_14default_configENS1_20scan_config_selectorIN3c107complexIdEEEEZZNS1_9scan_implILNS1_25lookback_scan_determinismE0ELb0ELb0ES3_PKS7_PS7_S7_ZZZN2at6native31launch_logcumsumexp_cuda_kernelERKNSE_10TensorBaseESI_lENKUlvE_clEvENKUlvE1_clEvEUlS7_S7_E_S7_EEDaPvRmT3_T4_T5_mT6_P12ihipStream_tbENKUlT_T0_E_clISt17integral_constantIbLb1EESZ_EEDaSU_SV_EUlSU_E_NS1_11comp_targetILNS1_3genE10ELNS1_11target_archE1201ELNS1_3gpuE5ELNS1_3repE0EEENS1_30default_config_static_selectorELNS0_4arch9wavefront6targetE1EEEvT1_,comdat
	.globl	_ZN7rocprim17ROCPRIM_400000_NS6detail17trampoline_kernelINS0_14default_configENS1_20scan_config_selectorIN3c107complexIdEEEEZZNS1_9scan_implILNS1_25lookback_scan_determinismE0ELb0ELb0ES3_PKS7_PS7_S7_ZZZN2at6native31launch_logcumsumexp_cuda_kernelERKNSE_10TensorBaseESI_lENKUlvE_clEvENKUlvE1_clEvEUlS7_S7_E_S7_EEDaPvRmT3_T4_T5_mT6_P12ihipStream_tbENKUlT_T0_E_clISt17integral_constantIbLb1EESZ_EEDaSU_SV_EUlSU_E_NS1_11comp_targetILNS1_3genE10ELNS1_11target_archE1201ELNS1_3gpuE5ELNS1_3repE0EEENS1_30default_config_static_selectorELNS0_4arch9wavefront6targetE1EEEvT1_ ; -- Begin function _ZN7rocprim17ROCPRIM_400000_NS6detail17trampoline_kernelINS0_14default_configENS1_20scan_config_selectorIN3c107complexIdEEEEZZNS1_9scan_implILNS1_25lookback_scan_determinismE0ELb0ELb0ES3_PKS7_PS7_S7_ZZZN2at6native31launch_logcumsumexp_cuda_kernelERKNSE_10TensorBaseESI_lENKUlvE_clEvENKUlvE1_clEvEUlS7_S7_E_S7_EEDaPvRmT3_T4_T5_mT6_P12ihipStream_tbENKUlT_T0_E_clISt17integral_constantIbLb1EESZ_EEDaSU_SV_EUlSU_E_NS1_11comp_targetILNS1_3genE10ELNS1_11target_archE1201ELNS1_3gpuE5ELNS1_3repE0EEENS1_30default_config_static_selectorELNS0_4arch9wavefront6targetE1EEEvT1_
	.p2align	8
	.type	_ZN7rocprim17ROCPRIM_400000_NS6detail17trampoline_kernelINS0_14default_configENS1_20scan_config_selectorIN3c107complexIdEEEEZZNS1_9scan_implILNS1_25lookback_scan_determinismE0ELb0ELb0ES3_PKS7_PS7_S7_ZZZN2at6native31launch_logcumsumexp_cuda_kernelERKNSE_10TensorBaseESI_lENKUlvE_clEvENKUlvE1_clEvEUlS7_S7_E_S7_EEDaPvRmT3_T4_T5_mT6_P12ihipStream_tbENKUlT_T0_E_clISt17integral_constantIbLb1EESZ_EEDaSU_SV_EUlSU_E_NS1_11comp_targetILNS1_3genE10ELNS1_11target_archE1201ELNS1_3gpuE5ELNS1_3repE0EEENS1_30default_config_static_selectorELNS0_4arch9wavefront6targetE1EEEvT1_,@function
_ZN7rocprim17ROCPRIM_400000_NS6detail17trampoline_kernelINS0_14default_configENS1_20scan_config_selectorIN3c107complexIdEEEEZZNS1_9scan_implILNS1_25lookback_scan_determinismE0ELb0ELb0ES3_PKS7_PS7_S7_ZZZN2at6native31launch_logcumsumexp_cuda_kernelERKNSE_10TensorBaseESI_lENKUlvE_clEvENKUlvE1_clEvEUlS7_S7_E_S7_EEDaPvRmT3_T4_T5_mT6_P12ihipStream_tbENKUlT_T0_E_clISt17integral_constantIbLb1EESZ_EEDaSU_SV_EUlSU_E_NS1_11comp_targetILNS1_3genE10ELNS1_11target_archE1201ELNS1_3gpuE5ELNS1_3repE0EEENS1_30default_config_static_selectorELNS0_4arch9wavefront6targetE1EEEvT1_: ; @_ZN7rocprim17ROCPRIM_400000_NS6detail17trampoline_kernelINS0_14default_configENS1_20scan_config_selectorIN3c107complexIdEEEEZZNS1_9scan_implILNS1_25lookback_scan_determinismE0ELb0ELb0ES3_PKS7_PS7_S7_ZZZN2at6native31launch_logcumsumexp_cuda_kernelERKNSE_10TensorBaseESI_lENKUlvE_clEvENKUlvE1_clEvEUlS7_S7_E_S7_EEDaPvRmT3_T4_T5_mT6_P12ihipStream_tbENKUlT_T0_E_clISt17integral_constantIbLb1EESZ_EEDaSU_SV_EUlSU_E_NS1_11comp_targetILNS1_3genE10ELNS1_11target_archE1201ELNS1_3gpuE5ELNS1_3repE0EEENS1_30default_config_static_selectorELNS0_4arch9wavefront6targetE1EEEvT1_
; %bb.0:
	.section	.rodata,"a",@progbits
	.p2align	6, 0x0
	.amdhsa_kernel _ZN7rocprim17ROCPRIM_400000_NS6detail17trampoline_kernelINS0_14default_configENS1_20scan_config_selectorIN3c107complexIdEEEEZZNS1_9scan_implILNS1_25lookback_scan_determinismE0ELb0ELb0ES3_PKS7_PS7_S7_ZZZN2at6native31launch_logcumsumexp_cuda_kernelERKNSE_10TensorBaseESI_lENKUlvE_clEvENKUlvE1_clEvEUlS7_S7_E_S7_EEDaPvRmT3_T4_T5_mT6_P12ihipStream_tbENKUlT_T0_E_clISt17integral_constantIbLb1EESZ_EEDaSU_SV_EUlSU_E_NS1_11comp_targetILNS1_3genE10ELNS1_11target_archE1201ELNS1_3gpuE5ELNS1_3repE0EEENS1_30default_config_static_selectorELNS0_4arch9wavefront6targetE1EEEvT1_
		.amdhsa_group_segment_fixed_size 0
		.amdhsa_private_segment_fixed_size 0
		.amdhsa_kernarg_size 128
		.amdhsa_user_sgpr_count 2
		.amdhsa_user_sgpr_dispatch_ptr 0
		.amdhsa_user_sgpr_queue_ptr 0
		.amdhsa_user_sgpr_kernarg_segment_ptr 1
		.amdhsa_user_sgpr_dispatch_id 0
		.amdhsa_user_sgpr_kernarg_preload_length 0
		.amdhsa_user_sgpr_kernarg_preload_offset 0
		.amdhsa_user_sgpr_private_segment_size 0
		.amdhsa_uses_dynamic_stack 0
		.amdhsa_enable_private_segment 0
		.amdhsa_system_sgpr_workgroup_id_x 1
		.amdhsa_system_sgpr_workgroup_id_y 0
		.amdhsa_system_sgpr_workgroup_id_z 0
		.amdhsa_system_sgpr_workgroup_info 0
		.amdhsa_system_vgpr_workitem_id 0
		.amdhsa_next_free_vgpr 1
		.amdhsa_next_free_sgpr 0
		.amdhsa_accum_offset 4
		.amdhsa_reserve_vcc 0
		.amdhsa_float_round_mode_32 0
		.amdhsa_float_round_mode_16_64 0
		.amdhsa_float_denorm_mode_32 3
		.amdhsa_float_denorm_mode_16_64 3
		.amdhsa_dx10_clamp 1
		.amdhsa_ieee_mode 1
		.amdhsa_fp16_overflow 0
		.amdhsa_tg_split 0
		.amdhsa_exception_fp_ieee_invalid_op 0
		.amdhsa_exception_fp_denorm_src 0
		.amdhsa_exception_fp_ieee_div_zero 0
		.amdhsa_exception_fp_ieee_overflow 0
		.amdhsa_exception_fp_ieee_underflow 0
		.amdhsa_exception_fp_ieee_inexact 0
		.amdhsa_exception_int_div_zero 0
	.end_amdhsa_kernel
	.section	.text._ZN7rocprim17ROCPRIM_400000_NS6detail17trampoline_kernelINS0_14default_configENS1_20scan_config_selectorIN3c107complexIdEEEEZZNS1_9scan_implILNS1_25lookback_scan_determinismE0ELb0ELb0ES3_PKS7_PS7_S7_ZZZN2at6native31launch_logcumsumexp_cuda_kernelERKNSE_10TensorBaseESI_lENKUlvE_clEvENKUlvE1_clEvEUlS7_S7_E_S7_EEDaPvRmT3_T4_T5_mT6_P12ihipStream_tbENKUlT_T0_E_clISt17integral_constantIbLb1EESZ_EEDaSU_SV_EUlSU_E_NS1_11comp_targetILNS1_3genE10ELNS1_11target_archE1201ELNS1_3gpuE5ELNS1_3repE0EEENS1_30default_config_static_selectorELNS0_4arch9wavefront6targetE1EEEvT1_,"axG",@progbits,_ZN7rocprim17ROCPRIM_400000_NS6detail17trampoline_kernelINS0_14default_configENS1_20scan_config_selectorIN3c107complexIdEEEEZZNS1_9scan_implILNS1_25lookback_scan_determinismE0ELb0ELb0ES3_PKS7_PS7_S7_ZZZN2at6native31launch_logcumsumexp_cuda_kernelERKNSE_10TensorBaseESI_lENKUlvE_clEvENKUlvE1_clEvEUlS7_S7_E_S7_EEDaPvRmT3_T4_T5_mT6_P12ihipStream_tbENKUlT_T0_E_clISt17integral_constantIbLb1EESZ_EEDaSU_SV_EUlSU_E_NS1_11comp_targetILNS1_3genE10ELNS1_11target_archE1201ELNS1_3gpuE5ELNS1_3repE0EEENS1_30default_config_static_selectorELNS0_4arch9wavefront6targetE1EEEvT1_,comdat
.Lfunc_end208:
	.size	_ZN7rocprim17ROCPRIM_400000_NS6detail17trampoline_kernelINS0_14default_configENS1_20scan_config_selectorIN3c107complexIdEEEEZZNS1_9scan_implILNS1_25lookback_scan_determinismE0ELb0ELb0ES3_PKS7_PS7_S7_ZZZN2at6native31launch_logcumsumexp_cuda_kernelERKNSE_10TensorBaseESI_lENKUlvE_clEvENKUlvE1_clEvEUlS7_S7_E_S7_EEDaPvRmT3_T4_T5_mT6_P12ihipStream_tbENKUlT_T0_E_clISt17integral_constantIbLb1EESZ_EEDaSU_SV_EUlSU_E_NS1_11comp_targetILNS1_3genE10ELNS1_11target_archE1201ELNS1_3gpuE5ELNS1_3repE0EEENS1_30default_config_static_selectorELNS0_4arch9wavefront6targetE1EEEvT1_, .Lfunc_end208-_ZN7rocprim17ROCPRIM_400000_NS6detail17trampoline_kernelINS0_14default_configENS1_20scan_config_selectorIN3c107complexIdEEEEZZNS1_9scan_implILNS1_25lookback_scan_determinismE0ELb0ELb0ES3_PKS7_PS7_S7_ZZZN2at6native31launch_logcumsumexp_cuda_kernelERKNSE_10TensorBaseESI_lENKUlvE_clEvENKUlvE1_clEvEUlS7_S7_E_S7_EEDaPvRmT3_T4_T5_mT6_P12ihipStream_tbENKUlT_T0_E_clISt17integral_constantIbLb1EESZ_EEDaSU_SV_EUlSU_E_NS1_11comp_targetILNS1_3genE10ELNS1_11target_archE1201ELNS1_3gpuE5ELNS1_3repE0EEENS1_30default_config_static_selectorELNS0_4arch9wavefront6targetE1EEEvT1_
                                        ; -- End function
	.set _ZN7rocprim17ROCPRIM_400000_NS6detail17trampoline_kernelINS0_14default_configENS1_20scan_config_selectorIN3c107complexIdEEEEZZNS1_9scan_implILNS1_25lookback_scan_determinismE0ELb0ELb0ES3_PKS7_PS7_S7_ZZZN2at6native31launch_logcumsumexp_cuda_kernelERKNSE_10TensorBaseESI_lENKUlvE_clEvENKUlvE1_clEvEUlS7_S7_E_S7_EEDaPvRmT3_T4_T5_mT6_P12ihipStream_tbENKUlT_T0_E_clISt17integral_constantIbLb1EESZ_EEDaSU_SV_EUlSU_E_NS1_11comp_targetILNS1_3genE10ELNS1_11target_archE1201ELNS1_3gpuE5ELNS1_3repE0EEENS1_30default_config_static_selectorELNS0_4arch9wavefront6targetE1EEEvT1_.num_vgpr, 0
	.set _ZN7rocprim17ROCPRIM_400000_NS6detail17trampoline_kernelINS0_14default_configENS1_20scan_config_selectorIN3c107complexIdEEEEZZNS1_9scan_implILNS1_25lookback_scan_determinismE0ELb0ELb0ES3_PKS7_PS7_S7_ZZZN2at6native31launch_logcumsumexp_cuda_kernelERKNSE_10TensorBaseESI_lENKUlvE_clEvENKUlvE1_clEvEUlS7_S7_E_S7_EEDaPvRmT3_T4_T5_mT6_P12ihipStream_tbENKUlT_T0_E_clISt17integral_constantIbLb1EESZ_EEDaSU_SV_EUlSU_E_NS1_11comp_targetILNS1_3genE10ELNS1_11target_archE1201ELNS1_3gpuE5ELNS1_3repE0EEENS1_30default_config_static_selectorELNS0_4arch9wavefront6targetE1EEEvT1_.num_agpr, 0
	.set _ZN7rocprim17ROCPRIM_400000_NS6detail17trampoline_kernelINS0_14default_configENS1_20scan_config_selectorIN3c107complexIdEEEEZZNS1_9scan_implILNS1_25lookback_scan_determinismE0ELb0ELb0ES3_PKS7_PS7_S7_ZZZN2at6native31launch_logcumsumexp_cuda_kernelERKNSE_10TensorBaseESI_lENKUlvE_clEvENKUlvE1_clEvEUlS7_S7_E_S7_EEDaPvRmT3_T4_T5_mT6_P12ihipStream_tbENKUlT_T0_E_clISt17integral_constantIbLb1EESZ_EEDaSU_SV_EUlSU_E_NS1_11comp_targetILNS1_3genE10ELNS1_11target_archE1201ELNS1_3gpuE5ELNS1_3repE0EEENS1_30default_config_static_selectorELNS0_4arch9wavefront6targetE1EEEvT1_.numbered_sgpr, 0
	.set _ZN7rocprim17ROCPRIM_400000_NS6detail17trampoline_kernelINS0_14default_configENS1_20scan_config_selectorIN3c107complexIdEEEEZZNS1_9scan_implILNS1_25lookback_scan_determinismE0ELb0ELb0ES3_PKS7_PS7_S7_ZZZN2at6native31launch_logcumsumexp_cuda_kernelERKNSE_10TensorBaseESI_lENKUlvE_clEvENKUlvE1_clEvEUlS7_S7_E_S7_EEDaPvRmT3_T4_T5_mT6_P12ihipStream_tbENKUlT_T0_E_clISt17integral_constantIbLb1EESZ_EEDaSU_SV_EUlSU_E_NS1_11comp_targetILNS1_3genE10ELNS1_11target_archE1201ELNS1_3gpuE5ELNS1_3repE0EEENS1_30default_config_static_selectorELNS0_4arch9wavefront6targetE1EEEvT1_.num_named_barrier, 0
	.set _ZN7rocprim17ROCPRIM_400000_NS6detail17trampoline_kernelINS0_14default_configENS1_20scan_config_selectorIN3c107complexIdEEEEZZNS1_9scan_implILNS1_25lookback_scan_determinismE0ELb0ELb0ES3_PKS7_PS7_S7_ZZZN2at6native31launch_logcumsumexp_cuda_kernelERKNSE_10TensorBaseESI_lENKUlvE_clEvENKUlvE1_clEvEUlS7_S7_E_S7_EEDaPvRmT3_T4_T5_mT6_P12ihipStream_tbENKUlT_T0_E_clISt17integral_constantIbLb1EESZ_EEDaSU_SV_EUlSU_E_NS1_11comp_targetILNS1_3genE10ELNS1_11target_archE1201ELNS1_3gpuE5ELNS1_3repE0EEENS1_30default_config_static_selectorELNS0_4arch9wavefront6targetE1EEEvT1_.private_seg_size, 0
	.set _ZN7rocprim17ROCPRIM_400000_NS6detail17trampoline_kernelINS0_14default_configENS1_20scan_config_selectorIN3c107complexIdEEEEZZNS1_9scan_implILNS1_25lookback_scan_determinismE0ELb0ELb0ES3_PKS7_PS7_S7_ZZZN2at6native31launch_logcumsumexp_cuda_kernelERKNSE_10TensorBaseESI_lENKUlvE_clEvENKUlvE1_clEvEUlS7_S7_E_S7_EEDaPvRmT3_T4_T5_mT6_P12ihipStream_tbENKUlT_T0_E_clISt17integral_constantIbLb1EESZ_EEDaSU_SV_EUlSU_E_NS1_11comp_targetILNS1_3genE10ELNS1_11target_archE1201ELNS1_3gpuE5ELNS1_3repE0EEENS1_30default_config_static_selectorELNS0_4arch9wavefront6targetE1EEEvT1_.uses_vcc, 0
	.set _ZN7rocprim17ROCPRIM_400000_NS6detail17trampoline_kernelINS0_14default_configENS1_20scan_config_selectorIN3c107complexIdEEEEZZNS1_9scan_implILNS1_25lookback_scan_determinismE0ELb0ELb0ES3_PKS7_PS7_S7_ZZZN2at6native31launch_logcumsumexp_cuda_kernelERKNSE_10TensorBaseESI_lENKUlvE_clEvENKUlvE1_clEvEUlS7_S7_E_S7_EEDaPvRmT3_T4_T5_mT6_P12ihipStream_tbENKUlT_T0_E_clISt17integral_constantIbLb1EESZ_EEDaSU_SV_EUlSU_E_NS1_11comp_targetILNS1_3genE10ELNS1_11target_archE1201ELNS1_3gpuE5ELNS1_3repE0EEENS1_30default_config_static_selectorELNS0_4arch9wavefront6targetE1EEEvT1_.uses_flat_scratch, 0
	.set _ZN7rocprim17ROCPRIM_400000_NS6detail17trampoline_kernelINS0_14default_configENS1_20scan_config_selectorIN3c107complexIdEEEEZZNS1_9scan_implILNS1_25lookback_scan_determinismE0ELb0ELb0ES3_PKS7_PS7_S7_ZZZN2at6native31launch_logcumsumexp_cuda_kernelERKNSE_10TensorBaseESI_lENKUlvE_clEvENKUlvE1_clEvEUlS7_S7_E_S7_EEDaPvRmT3_T4_T5_mT6_P12ihipStream_tbENKUlT_T0_E_clISt17integral_constantIbLb1EESZ_EEDaSU_SV_EUlSU_E_NS1_11comp_targetILNS1_3genE10ELNS1_11target_archE1201ELNS1_3gpuE5ELNS1_3repE0EEENS1_30default_config_static_selectorELNS0_4arch9wavefront6targetE1EEEvT1_.has_dyn_sized_stack, 0
	.set _ZN7rocprim17ROCPRIM_400000_NS6detail17trampoline_kernelINS0_14default_configENS1_20scan_config_selectorIN3c107complexIdEEEEZZNS1_9scan_implILNS1_25lookback_scan_determinismE0ELb0ELb0ES3_PKS7_PS7_S7_ZZZN2at6native31launch_logcumsumexp_cuda_kernelERKNSE_10TensorBaseESI_lENKUlvE_clEvENKUlvE1_clEvEUlS7_S7_E_S7_EEDaPvRmT3_T4_T5_mT6_P12ihipStream_tbENKUlT_T0_E_clISt17integral_constantIbLb1EESZ_EEDaSU_SV_EUlSU_E_NS1_11comp_targetILNS1_3genE10ELNS1_11target_archE1201ELNS1_3gpuE5ELNS1_3repE0EEENS1_30default_config_static_selectorELNS0_4arch9wavefront6targetE1EEEvT1_.has_recursion, 0
	.set _ZN7rocprim17ROCPRIM_400000_NS6detail17trampoline_kernelINS0_14default_configENS1_20scan_config_selectorIN3c107complexIdEEEEZZNS1_9scan_implILNS1_25lookback_scan_determinismE0ELb0ELb0ES3_PKS7_PS7_S7_ZZZN2at6native31launch_logcumsumexp_cuda_kernelERKNSE_10TensorBaseESI_lENKUlvE_clEvENKUlvE1_clEvEUlS7_S7_E_S7_EEDaPvRmT3_T4_T5_mT6_P12ihipStream_tbENKUlT_T0_E_clISt17integral_constantIbLb1EESZ_EEDaSU_SV_EUlSU_E_NS1_11comp_targetILNS1_3genE10ELNS1_11target_archE1201ELNS1_3gpuE5ELNS1_3repE0EEENS1_30default_config_static_selectorELNS0_4arch9wavefront6targetE1EEEvT1_.has_indirect_call, 0
	.section	.AMDGPU.csdata,"",@progbits
; Kernel info:
; codeLenInByte = 0
; TotalNumSgprs: 6
; NumVgprs: 0
; NumAgprs: 0
; TotalNumVgprs: 0
; ScratchSize: 0
; MemoryBound: 0
; FloatMode: 240
; IeeeMode: 1
; LDSByteSize: 0 bytes/workgroup (compile time only)
; SGPRBlocks: 0
; VGPRBlocks: 0
; NumSGPRsForWavesPerEU: 6
; NumVGPRsForWavesPerEU: 1
; AccumOffset: 4
; Occupancy: 8
; WaveLimiterHint : 0
; COMPUTE_PGM_RSRC2:SCRATCH_EN: 0
; COMPUTE_PGM_RSRC2:USER_SGPR: 2
; COMPUTE_PGM_RSRC2:TRAP_HANDLER: 0
; COMPUTE_PGM_RSRC2:TGID_X_EN: 1
; COMPUTE_PGM_RSRC2:TGID_Y_EN: 0
; COMPUTE_PGM_RSRC2:TGID_Z_EN: 0
; COMPUTE_PGM_RSRC2:TIDIG_COMP_CNT: 0
; COMPUTE_PGM_RSRC3_GFX90A:ACCUM_OFFSET: 0
; COMPUTE_PGM_RSRC3_GFX90A:TG_SPLIT: 0
	.section	.text._ZN7rocprim17ROCPRIM_400000_NS6detail17trampoline_kernelINS0_14default_configENS1_20scan_config_selectorIN3c107complexIdEEEEZZNS1_9scan_implILNS1_25lookback_scan_determinismE0ELb0ELb0ES3_PKS7_PS7_S7_ZZZN2at6native31launch_logcumsumexp_cuda_kernelERKNSE_10TensorBaseESI_lENKUlvE_clEvENKUlvE1_clEvEUlS7_S7_E_S7_EEDaPvRmT3_T4_T5_mT6_P12ihipStream_tbENKUlT_T0_E_clISt17integral_constantIbLb1EESZ_EEDaSU_SV_EUlSU_E_NS1_11comp_targetILNS1_3genE10ELNS1_11target_archE1200ELNS1_3gpuE4ELNS1_3repE0EEENS1_30default_config_static_selectorELNS0_4arch9wavefront6targetE1EEEvT1_,"axG",@progbits,_ZN7rocprim17ROCPRIM_400000_NS6detail17trampoline_kernelINS0_14default_configENS1_20scan_config_selectorIN3c107complexIdEEEEZZNS1_9scan_implILNS1_25lookback_scan_determinismE0ELb0ELb0ES3_PKS7_PS7_S7_ZZZN2at6native31launch_logcumsumexp_cuda_kernelERKNSE_10TensorBaseESI_lENKUlvE_clEvENKUlvE1_clEvEUlS7_S7_E_S7_EEDaPvRmT3_T4_T5_mT6_P12ihipStream_tbENKUlT_T0_E_clISt17integral_constantIbLb1EESZ_EEDaSU_SV_EUlSU_E_NS1_11comp_targetILNS1_3genE10ELNS1_11target_archE1200ELNS1_3gpuE4ELNS1_3repE0EEENS1_30default_config_static_selectorELNS0_4arch9wavefront6targetE1EEEvT1_,comdat
	.globl	_ZN7rocprim17ROCPRIM_400000_NS6detail17trampoline_kernelINS0_14default_configENS1_20scan_config_selectorIN3c107complexIdEEEEZZNS1_9scan_implILNS1_25lookback_scan_determinismE0ELb0ELb0ES3_PKS7_PS7_S7_ZZZN2at6native31launch_logcumsumexp_cuda_kernelERKNSE_10TensorBaseESI_lENKUlvE_clEvENKUlvE1_clEvEUlS7_S7_E_S7_EEDaPvRmT3_T4_T5_mT6_P12ihipStream_tbENKUlT_T0_E_clISt17integral_constantIbLb1EESZ_EEDaSU_SV_EUlSU_E_NS1_11comp_targetILNS1_3genE10ELNS1_11target_archE1200ELNS1_3gpuE4ELNS1_3repE0EEENS1_30default_config_static_selectorELNS0_4arch9wavefront6targetE1EEEvT1_ ; -- Begin function _ZN7rocprim17ROCPRIM_400000_NS6detail17trampoline_kernelINS0_14default_configENS1_20scan_config_selectorIN3c107complexIdEEEEZZNS1_9scan_implILNS1_25lookback_scan_determinismE0ELb0ELb0ES3_PKS7_PS7_S7_ZZZN2at6native31launch_logcumsumexp_cuda_kernelERKNSE_10TensorBaseESI_lENKUlvE_clEvENKUlvE1_clEvEUlS7_S7_E_S7_EEDaPvRmT3_T4_T5_mT6_P12ihipStream_tbENKUlT_T0_E_clISt17integral_constantIbLb1EESZ_EEDaSU_SV_EUlSU_E_NS1_11comp_targetILNS1_3genE10ELNS1_11target_archE1200ELNS1_3gpuE4ELNS1_3repE0EEENS1_30default_config_static_selectorELNS0_4arch9wavefront6targetE1EEEvT1_
	.p2align	8
	.type	_ZN7rocprim17ROCPRIM_400000_NS6detail17trampoline_kernelINS0_14default_configENS1_20scan_config_selectorIN3c107complexIdEEEEZZNS1_9scan_implILNS1_25lookback_scan_determinismE0ELb0ELb0ES3_PKS7_PS7_S7_ZZZN2at6native31launch_logcumsumexp_cuda_kernelERKNSE_10TensorBaseESI_lENKUlvE_clEvENKUlvE1_clEvEUlS7_S7_E_S7_EEDaPvRmT3_T4_T5_mT6_P12ihipStream_tbENKUlT_T0_E_clISt17integral_constantIbLb1EESZ_EEDaSU_SV_EUlSU_E_NS1_11comp_targetILNS1_3genE10ELNS1_11target_archE1200ELNS1_3gpuE4ELNS1_3repE0EEENS1_30default_config_static_selectorELNS0_4arch9wavefront6targetE1EEEvT1_,@function
_ZN7rocprim17ROCPRIM_400000_NS6detail17trampoline_kernelINS0_14default_configENS1_20scan_config_selectorIN3c107complexIdEEEEZZNS1_9scan_implILNS1_25lookback_scan_determinismE0ELb0ELb0ES3_PKS7_PS7_S7_ZZZN2at6native31launch_logcumsumexp_cuda_kernelERKNSE_10TensorBaseESI_lENKUlvE_clEvENKUlvE1_clEvEUlS7_S7_E_S7_EEDaPvRmT3_T4_T5_mT6_P12ihipStream_tbENKUlT_T0_E_clISt17integral_constantIbLb1EESZ_EEDaSU_SV_EUlSU_E_NS1_11comp_targetILNS1_3genE10ELNS1_11target_archE1200ELNS1_3gpuE4ELNS1_3repE0EEENS1_30default_config_static_selectorELNS0_4arch9wavefront6targetE1EEEvT1_: ; @_ZN7rocprim17ROCPRIM_400000_NS6detail17trampoline_kernelINS0_14default_configENS1_20scan_config_selectorIN3c107complexIdEEEEZZNS1_9scan_implILNS1_25lookback_scan_determinismE0ELb0ELb0ES3_PKS7_PS7_S7_ZZZN2at6native31launch_logcumsumexp_cuda_kernelERKNSE_10TensorBaseESI_lENKUlvE_clEvENKUlvE1_clEvEUlS7_S7_E_S7_EEDaPvRmT3_T4_T5_mT6_P12ihipStream_tbENKUlT_T0_E_clISt17integral_constantIbLb1EESZ_EEDaSU_SV_EUlSU_E_NS1_11comp_targetILNS1_3genE10ELNS1_11target_archE1200ELNS1_3gpuE4ELNS1_3repE0EEENS1_30default_config_static_selectorELNS0_4arch9wavefront6targetE1EEEvT1_
; %bb.0:
	.section	.rodata,"a",@progbits
	.p2align	6, 0x0
	.amdhsa_kernel _ZN7rocprim17ROCPRIM_400000_NS6detail17trampoline_kernelINS0_14default_configENS1_20scan_config_selectorIN3c107complexIdEEEEZZNS1_9scan_implILNS1_25lookback_scan_determinismE0ELb0ELb0ES3_PKS7_PS7_S7_ZZZN2at6native31launch_logcumsumexp_cuda_kernelERKNSE_10TensorBaseESI_lENKUlvE_clEvENKUlvE1_clEvEUlS7_S7_E_S7_EEDaPvRmT3_T4_T5_mT6_P12ihipStream_tbENKUlT_T0_E_clISt17integral_constantIbLb1EESZ_EEDaSU_SV_EUlSU_E_NS1_11comp_targetILNS1_3genE10ELNS1_11target_archE1200ELNS1_3gpuE4ELNS1_3repE0EEENS1_30default_config_static_selectorELNS0_4arch9wavefront6targetE1EEEvT1_
		.amdhsa_group_segment_fixed_size 0
		.amdhsa_private_segment_fixed_size 0
		.amdhsa_kernarg_size 128
		.amdhsa_user_sgpr_count 2
		.amdhsa_user_sgpr_dispatch_ptr 0
		.amdhsa_user_sgpr_queue_ptr 0
		.amdhsa_user_sgpr_kernarg_segment_ptr 1
		.amdhsa_user_sgpr_dispatch_id 0
		.amdhsa_user_sgpr_kernarg_preload_length 0
		.amdhsa_user_sgpr_kernarg_preload_offset 0
		.amdhsa_user_sgpr_private_segment_size 0
		.amdhsa_uses_dynamic_stack 0
		.amdhsa_enable_private_segment 0
		.amdhsa_system_sgpr_workgroup_id_x 1
		.amdhsa_system_sgpr_workgroup_id_y 0
		.amdhsa_system_sgpr_workgroup_id_z 0
		.amdhsa_system_sgpr_workgroup_info 0
		.amdhsa_system_vgpr_workitem_id 0
		.amdhsa_next_free_vgpr 1
		.amdhsa_next_free_sgpr 0
		.amdhsa_accum_offset 4
		.amdhsa_reserve_vcc 0
		.amdhsa_float_round_mode_32 0
		.amdhsa_float_round_mode_16_64 0
		.amdhsa_float_denorm_mode_32 3
		.amdhsa_float_denorm_mode_16_64 3
		.amdhsa_dx10_clamp 1
		.amdhsa_ieee_mode 1
		.amdhsa_fp16_overflow 0
		.amdhsa_tg_split 0
		.amdhsa_exception_fp_ieee_invalid_op 0
		.amdhsa_exception_fp_denorm_src 0
		.amdhsa_exception_fp_ieee_div_zero 0
		.amdhsa_exception_fp_ieee_overflow 0
		.amdhsa_exception_fp_ieee_underflow 0
		.amdhsa_exception_fp_ieee_inexact 0
		.amdhsa_exception_int_div_zero 0
	.end_amdhsa_kernel
	.section	.text._ZN7rocprim17ROCPRIM_400000_NS6detail17trampoline_kernelINS0_14default_configENS1_20scan_config_selectorIN3c107complexIdEEEEZZNS1_9scan_implILNS1_25lookback_scan_determinismE0ELb0ELb0ES3_PKS7_PS7_S7_ZZZN2at6native31launch_logcumsumexp_cuda_kernelERKNSE_10TensorBaseESI_lENKUlvE_clEvENKUlvE1_clEvEUlS7_S7_E_S7_EEDaPvRmT3_T4_T5_mT6_P12ihipStream_tbENKUlT_T0_E_clISt17integral_constantIbLb1EESZ_EEDaSU_SV_EUlSU_E_NS1_11comp_targetILNS1_3genE10ELNS1_11target_archE1200ELNS1_3gpuE4ELNS1_3repE0EEENS1_30default_config_static_selectorELNS0_4arch9wavefront6targetE1EEEvT1_,"axG",@progbits,_ZN7rocprim17ROCPRIM_400000_NS6detail17trampoline_kernelINS0_14default_configENS1_20scan_config_selectorIN3c107complexIdEEEEZZNS1_9scan_implILNS1_25lookback_scan_determinismE0ELb0ELb0ES3_PKS7_PS7_S7_ZZZN2at6native31launch_logcumsumexp_cuda_kernelERKNSE_10TensorBaseESI_lENKUlvE_clEvENKUlvE1_clEvEUlS7_S7_E_S7_EEDaPvRmT3_T4_T5_mT6_P12ihipStream_tbENKUlT_T0_E_clISt17integral_constantIbLb1EESZ_EEDaSU_SV_EUlSU_E_NS1_11comp_targetILNS1_3genE10ELNS1_11target_archE1200ELNS1_3gpuE4ELNS1_3repE0EEENS1_30default_config_static_selectorELNS0_4arch9wavefront6targetE1EEEvT1_,comdat
.Lfunc_end209:
	.size	_ZN7rocprim17ROCPRIM_400000_NS6detail17trampoline_kernelINS0_14default_configENS1_20scan_config_selectorIN3c107complexIdEEEEZZNS1_9scan_implILNS1_25lookback_scan_determinismE0ELb0ELb0ES3_PKS7_PS7_S7_ZZZN2at6native31launch_logcumsumexp_cuda_kernelERKNSE_10TensorBaseESI_lENKUlvE_clEvENKUlvE1_clEvEUlS7_S7_E_S7_EEDaPvRmT3_T4_T5_mT6_P12ihipStream_tbENKUlT_T0_E_clISt17integral_constantIbLb1EESZ_EEDaSU_SV_EUlSU_E_NS1_11comp_targetILNS1_3genE10ELNS1_11target_archE1200ELNS1_3gpuE4ELNS1_3repE0EEENS1_30default_config_static_selectorELNS0_4arch9wavefront6targetE1EEEvT1_, .Lfunc_end209-_ZN7rocprim17ROCPRIM_400000_NS6detail17trampoline_kernelINS0_14default_configENS1_20scan_config_selectorIN3c107complexIdEEEEZZNS1_9scan_implILNS1_25lookback_scan_determinismE0ELb0ELb0ES3_PKS7_PS7_S7_ZZZN2at6native31launch_logcumsumexp_cuda_kernelERKNSE_10TensorBaseESI_lENKUlvE_clEvENKUlvE1_clEvEUlS7_S7_E_S7_EEDaPvRmT3_T4_T5_mT6_P12ihipStream_tbENKUlT_T0_E_clISt17integral_constantIbLb1EESZ_EEDaSU_SV_EUlSU_E_NS1_11comp_targetILNS1_3genE10ELNS1_11target_archE1200ELNS1_3gpuE4ELNS1_3repE0EEENS1_30default_config_static_selectorELNS0_4arch9wavefront6targetE1EEEvT1_
                                        ; -- End function
	.set _ZN7rocprim17ROCPRIM_400000_NS6detail17trampoline_kernelINS0_14default_configENS1_20scan_config_selectorIN3c107complexIdEEEEZZNS1_9scan_implILNS1_25lookback_scan_determinismE0ELb0ELb0ES3_PKS7_PS7_S7_ZZZN2at6native31launch_logcumsumexp_cuda_kernelERKNSE_10TensorBaseESI_lENKUlvE_clEvENKUlvE1_clEvEUlS7_S7_E_S7_EEDaPvRmT3_T4_T5_mT6_P12ihipStream_tbENKUlT_T0_E_clISt17integral_constantIbLb1EESZ_EEDaSU_SV_EUlSU_E_NS1_11comp_targetILNS1_3genE10ELNS1_11target_archE1200ELNS1_3gpuE4ELNS1_3repE0EEENS1_30default_config_static_selectorELNS0_4arch9wavefront6targetE1EEEvT1_.num_vgpr, 0
	.set _ZN7rocprim17ROCPRIM_400000_NS6detail17trampoline_kernelINS0_14default_configENS1_20scan_config_selectorIN3c107complexIdEEEEZZNS1_9scan_implILNS1_25lookback_scan_determinismE0ELb0ELb0ES3_PKS7_PS7_S7_ZZZN2at6native31launch_logcumsumexp_cuda_kernelERKNSE_10TensorBaseESI_lENKUlvE_clEvENKUlvE1_clEvEUlS7_S7_E_S7_EEDaPvRmT3_T4_T5_mT6_P12ihipStream_tbENKUlT_T0_E_clISt17integral_constantIbLb1EESZ_EEDaSU_SV_EUlSU_E_NS1_11comp_targetILNS1_3genE10ELNS1_11target_archE1200ELNS1_3gpuE4ELNS1_3repE0EEENS1_30default_config_static_selectorELNS0_4arch9wavefront6targetE1EEEvT1_.num_agpr, 0
	.set _ZN7rocprim17ROCPRIM_400000_NS6detail17trampoline_kernelINS0_14default_configENS1_20scan_config_selectorIN3c107complexIdEEEEZZNS1_9scan_implILNS1_25lookback_scan_determinismE0ELb0ELb0ES3_PKS7_PS7_S7_ZZZN2at6native31launch_logcumsumexp_cuda_kernelERKNSE_10TensorBaseESI_lENKUlvE_clEvENKUlvE1_clEvEUlS7_S7_E_S7_EEDaPvRmT3_T4_T5_mT6_P12ihipStream_tbENKUlT_T0_E_clISt17integral_constantIbLb1EESZ_EEDaSU_SV_EUlSU_E_NS1_11comp_targetILNS1_3genE10ELNS1_11target_archE1200ELNS1_3gpuE4ELNS1_3repE0EEENS1_30default_config_static_selectorELNS0_4arch9wavefront6targetE1EEEvT1_.numbered_sgpr, 0
	.set _ZN7rocprim17ROCPRIM_400000_NS6detail17trampoline_kernelINS0_14default_configENS1_20scan_config_selectorIN3c107complexIdEEEEZZNS1_9scan_implILNS1_25lookback_scan_determinismE0ELb0ELb0ES3_PKS7_PS7_S7_ZZZN2at6native31launch_logcumsumexp_cuda_kernelERKNSE_10TensorBaseESI_lENKUlvE_clEvENKUlvE1_clEvEUlS7_S7_E_S7_EEDaPvRmT3_T4_T5_mT6_P12ihipStream_tbENKUlT_T0_E_clISt17integral_constantIbLb1EESZ_EEDaSU_SV_EUlSU_E_NS1_11comp_targetILNS1_3genE10ELNS1_11target_archE1200ELNS1_3gpuE4ELNS1_3repE0EEENS1_30default_config_static_selectorELNS0_4arch9wavefront6targetE1EEEvT1_.num_named_barrier, 0
	.set _ZN7rocprim17ROCPRIM_400000_NS6detail17trampoline_kernelINS0_14default_configENS1_20scan_config_selectorIN3c107complexIdEEEEZZNS1_9scan_implILNS1_25lookback_scan_determinismE0ELb0ELb0ES3_PKS7_PS7_S7_ZZZN2at6native31launch_logcumsumexp_cuda_kernelERKNSE_10TensorBaseESI_lENKUlvE_clEvENKUlvE1_clEvEUlS7_S7_E_S7_EEDaPvRmT3_T4_T5_mT6_P12ihipStream_tbENKUlT_T0_E_clISt17integral_constantIbLb1EESZ_EEDaSU_SV_EUlSU_E_NS1_11comp_targetILNS1_3genE10ELNS1_11target_archE1200ELNS1_3gpuE4ELNS1_3repE0EEENS1_30default_config_static_selectorELNS0_4arch9wavefront6targetE1EEEvT1_.private_seg_size, 0
	.set _ZN7rocprim17ROCPRIM_400000_NS6detail17trampoline_kernelINS0_14default_configENS1_20scan_config_selectorIN3c107complexIdEEEEZZNS1_9scan_implILNS1_25lookback_scan_determinismE0ELb0ELb0ES3_PKS7_PS7_S7_ZZZN2at6native31launch_logcumsumexp_cuda_kernelERKNSE_10TensorBaseESI_lENKUlvE_clEvENKUlvE1_clEvEUlS7_S7_E_S7_EEDaPvRmT3_T4_T5_mT6_P12ihipStream_tbENKUlT_T0_E_clISt17integral_constantIbLb1EESZ_EEDaSU_SV_EUlSU_E_NS1_11comp_targetILNS1_3genE10ELNS1_11target_archE1200ELNS1_3gpuE4ELNS1_3repE0EEENS1_30default_config_static_selectorELNS0_4arch9wavefront6targetE1EEEvT1_.uses_vcc, 0
	.set _ZN7rocprim17ROCPRIM_400000_NS6detail17trampoline_kernelINS0_14default_configENS1_20scan_config_selectorIN3c107complexIdEEEEZZNS1_9scan_implILNS1_25lookback_scan_determinismE0ELb0ELb0ES3_PKS7_PS7_S7_ZZZN2at6native31launch_logcumsumexp_cuda_kernelERKNSE_10TensorBaseESI_lENKUlvE_clEvENKUlvE1_clEvEUlS7_S7_E_S7_EEDaPvRmT3_T4_T5_mT6_P12ihipStream_tbENKUlT_T0_E_clISt17integral_constantIbLb1EESZ_EEDaSU_SV_EUlSU_E_NS1_11comp_targetILNS1_3genE10ELNS1_11target_archE1200ELNS1_3gpuE4ELNS1_3repE0EEENS1_30default_config_static_selectorELNS0_4arch9wavefront6targetE1EEEvT1_.uses_flat_scratch, 0
	.set _ZN7rocprim17ROCPRIM_400000_NS6detail17trampoline_kernelINS0_14default_configENS1_20scan_config_selectorIN3c107complexIdEEEEZZNS1_9scan_implILNS1_25lookback_scan_determinismE0ELb0ELb0ES3_PKS7_PS7_S7_ZZZN2at6native31launch_logcumsumexp_cuda_kernelERKNSE_10TensorBaseESI_lENKUlvE_clEvENKUlvE1_clEvEUlS7_S7_E_S7_EEDaPvRmT3_T4_T5_mT6_P12ihipStream_tbENKUlT_T0_E_clISt17integral_constantIbLb1EESZ_EEDaSU_SV_EUlSU_E_NS1_11comp_targetILNS1_3genE10ELNS1_11target_archE1200ELNS1_3gpuE4ELNS1_3repE0EEENS1_30default_config_static_selectorELNS0_4arch9wavefront6targetE1EEEvT1_.has_dyn_sized_stack, 0
	.set _ZN7rocprim17ROCPRIM_400000_NS6detail17trampoline_kernelINS0_14default_configENS1_20scan_config_selectorIN3c107complexIdEEEEZZNS1_9scan_implILNS1_25lookback_scan_determinismE0ELb0ELb0ES3_PKS7_PS7_S7_ZZZN2at6native31launch_logcumsumexp_cuda_kernelERKNSE_10TensorBaseESI_lENKUlvE_clEvENKUlvE1_clEvEUlS7_S7_E_S7_EEDaPvRmT3_T4_T5_mT6_P12ihipStream_tbENKUlT_T0_E_clISt17integral_constantIbLb1EESZ_EEDaSU_SV_EUlSU_E_NS1_11comp_targetILNS1_3genE10ELNS1_11target_archE1200ELNS1_3gpuE4ELNS1_3repE0EEENS1_30default_config_static_selectorELNS0_4arch9wavefront6targetE1EEEvT1_.has_recursion, 0
	.set _ZN7rocprim17ROCPRIM_400000_NS6detail17trampoline_kernelINS0_14default_configENS1_20scan_config_selectorIN3c107complexIdEEEEZZNS1_9scan_implILNS1_25lookback_scan_determinismE0ELb0ELb0ES3_PKS7_PS7_S7_ZZZN2at6native31launch_logcumsumexp_cuda_kernelERKNSE_10TensorBaseESI_lENKUlvE_clEvENKUlvE1_clEvEUlS7_S7_E_S7_EEDaPvRmT3_T4_T5_mT6_P12ihipStream_tbENKUlT_T0_E_clISt17integral_constantIbLb1EESZ_EEDaSU_SV_EUlSU_E_NS1_11comp_targetILNS1_3genE10ELNS1_11target_archE1200ELNS1_3gpuE4ELNS1_3repE0EEENS1_30default_config_static_selectorELNS0_4arch9wavefront6targetE1EEEvT1_.has_indirect_call, 0
	.section	.AMDGPU.csdata,"",@progbits
; Kernel info:
; codeLenInByte = 0
; TotalNumSgprs: 6
; NumVgprs: 0
; NumAgprs: 0
; TotalNumVgprs: 0
; ScratchSize: 0
; MemoryBound: 0
; FloatMode: 240
; IeeeMode: 1
; LDSByteSize: 0 bytes/workgroup (compile time only)
; SGPRBlocks: 0
; VGPRBlocks: 0
; NumSGPRsForWavesPerEU: 6
; NumVGPRsForWavesPerEU: 1
; AccumOffset: 4
; Occupancy: 8
; WaveLimiterHint : 0
; COMPUTE_PGM_RSRC2:SCRATCH_EN: 0
; COMPUTE_PGM_RSRC2:USER_SGPR: 2
; COMPUTE_PGM_RSRC2:TRAP_HANDLER: 0
; COMPUTE_PGM_RSRC2:TGID_X_EN: 1
; COMPUTE_PGM_RSRC2:TGID_Y_EN: 0
; COMPUTE_PGM_RSRC2:TGID_Z_EN: 0
; COMPUTE_PGM_RSRC2:TIDIG_COMP_CNT: 0
; COMPUTE_PGM_RSRC3_GFX90A:ACCUM_OFFSET: 0
; COMPUTE_PGM_RSRC3_GFX90A:TG_SPLIT: 0
	.section	.text._ZN7rocprim17ROCPRIM_400000_NS6detail17trampoline_kernelINS0_14default_configENS1_20scan_config_selectorIN3c107complexIdEEEEZZNS1_9scan_implILNS1_25lookback_scan_determinismE0ELb0ELb0ES3_PKS7_PS7_S7_ZZZN2at6native31launch_logcumsumexp_cuda_kernelERKNSE_10TensorBaseESI_lENKUlvE_clEvENKUlvE1_clEvEUlS7_S7_E_S7_EEDaPvRmT3_T4_T5_mT6_P12ihipStream_tbENKUlT_T0_E_clISt17integral_constantIbLb1EESZ_EEDaSU_SV_EUlSU_E_NS1_11comp_targetILNS1_3genE9ELNS1_11target_archE1100ELNS1_3gpuE3ELNS1_3repE0EEENS1_30default_config_static_selectorELNS0_4arch9wavefront6targetE1EEEvT1_,"axG",@progbits,_ZN7rocprim17ROCPRIM_400000_NS6detail17trampoline_kernelINS0_14default_configENS1_20scan_config_selectorIN3c107complexIdEEEEZZNS1_9scan_implILNS1_25lookback_scan_determinismE0ELb0ELb0ES3_PKS7_PS7_S7_ZZZN2at6native31launch_logcumsumexp_cuda_kernelERKNSE_10TensorBaseESI_lENKUlvE_clEvENKUlvE1_clEvEUlS7_S7_E_S7_EEDaPvRmT3_T4_T5_mT6_P12ihipStream_tbENKUlT_T0_E_clISt17integral_constantIbLb1EESZ_EEDaSU_SV_EUlSU_E_NS1_11comp_targetILNS1_3genE9ELNS1_11target_archE1100ELNS1_3gpuE3ELNS1_3repE0EEENS1_30default_config_static_selectorELNS0_4arch9wavefront6targetE1EEEvT1_,comdat
	.globl	_ZN7rocprim17ROCPRIM_400000_NS6detail17trampoline_kernelINS0_14default_configENS1_20scan_config_selectorIN3c107complexIdEEEEZZNS1_9scan_implILNS1_25lookback_scan_determinismE0ELb0ELb0ES3_PKS7_PS7_S7_ZZZN2at6native31launch_logcumsumexp_cuda_kernelERKNSE_10TensorBaseESI_lENKUlvE_clEvENKUlvE1_clEvEUlS7_S7_E_S7_EEDaPvRmT3_T4_T5_mT6_P12ihipStream_tbENKUlT_T0_E_clISt17integral_constantIbLb1EESZ_EEDaSU_SV_EUlSU_E_NS1_11comp_targetILNS1_3genE9ELNS1_11target_archE1100ELNS1_3gpuE3ELNS1_3repE0EEENS1_30default_config_static_selectorELNS0_4arch9wavefront6targetE1EEEvT1_ ; -- Begin function _ZN7rocprim17ROCPRIM_400000_NS6detail17trampoline_kernelINS0_14default_configENS1_20scan_config_selectorIN3c107complexIdEEEEZZNS1_9scan_implILNS1_25lookback_scan_determinismE0ELb0ELb0ES3_PKS7_PS7_S7_ZZZN2at6native31launch_logcumsumexp_cuda_kernelERKNSE_10TensorBaseESI_lENKUlvE_clEvENKUlvE1_clEvEUlS7_S7_E_S7_EEDaPvRmT3_T4_T5_mT6_P12ihipStream_tbENKUlT_T0_E_clISt17integral_constantIbLb1EESZ_EEDaSU_SV_EUlSU_E_NS1_11comp_targetILNS1_3genE9ELNS1_11target_archE1100ELNS1_3gpuE3ELNS1_3repE0EEENS1_30default_config_static_selectorELNS0_4arch9wavefront6targetE1EEEvT1_
	.p2align	8
	.type	_ZN7rocprim17ROCPRIM_400000_NS6detail17trampoline_kernelINS0_14default_configENS1_20scan_config_selectorIN3c107complexIdEEEEZZNS1_9scan_implILNS1_25lookback_scan_determinismE0ELb0ELb0ES3_PKS7_PS7_S7_ZZZN2at6native31launch_logcumsumexp_cuda_kernelERKNSE_10TensorBaseESI_lENKUlvE_clEvENKUlvE1_clEvEUlS7_S7_E_S7_EEDaPvRmT3_T4_T5_mT6_P12ihipStream_tbENKUlT_T0_E_clISt17integral_constantIbLb1EESZ_EEDaSU_SV_EUlSU_E_NS1_11comp_targetILNS1_3genE9ELNS1_11target_archE1100ELNS1_3gpuE3ELNS1_3repE0EEENS1_30default_config_static_selectorELNS0_4arch9wavefront6targetE1EEEvT1_,@function
_ZN7rocprim17ROCPRIM_400000_NS6detail17trampoline_kernelINS0_14default_configENS1_20scan_config_selectorIN3c107complexIdEEEEZZNS1_9scan_implILNS1_25lookback_scan_determinismE0ELb0ELb0ES3_PKS7_PS7_S7_ZZZN2at6native31launch_logcumsumexp_cuda_kernelERKNSE_10TensorBaseESI_lENKUlvE_clEvENKUlvE1_clEvEUlS7_S7_E_S7_EEDaPvRmT3_T4_T5_mT6_P12ihipStream_tbENKUlT_T0_E_clISt17integral_constantIbLb1EESZ_EEDaSU_SV_EUlSU_E_NS1_11comp_targetILNS1_3genE9ELNS1_11target_archE1100ELNS1_3gpuE3ELNS1_3repE0EEENS1_30default_config_static_selectorELNS0_4arch9wavefront6targetE1EEEvT1_: ; @_ZN7rocprim17ROCPRIM_400000_NS6detail17trampoline_kernelINS0_14default_configENS1_20scan_config_selectorIN3c107complexIdEEEEZZNS1_9scan_implILNS1_25lookback_scan_determinismE0ELb0ELb0ES3_PKS7_PS7_S7_ZZZN2at6native31launch_logcumsumexp_cuda_kernelERKNSE_10TensorBaseESI_lENKUlvE_clEvENKUlvE1_clEvEUlS7_S7_E_S7_EEDaPvRmT3_T4_T5_mT6_P12ihipStream_tbENKUlT_T0_E_clISt17integral_constantIbLb1EESZ_EEDaSU_SV_EUlSU_E_NS1_11comp_targetILNS1_3genE9ELNS1_11target_archE1100ELNS1_3gpuE3ELNS1_3repE0EEENS1_30default_config_static_selectorELNS0_4arch9wavefront6targetE1EEEvT1_
; %bb.0:
	.section	.rodata,"a",@progbits
	.p2align	6, 0x0
	.amdhsa_kernel _ZN7rocprim17ROCPRIM_400000_NS6detail17trampoline_kernelINS0_14default_configENS1_20scan_config_selectorIN3c107complexIdEEEEZZNS1_9scan_implILNS1_25lookback_scan_determinismE0ELb0ELb0ES3_PKS7_PS7_S7_ZZZN2at6native31launch_logcumsumexp_cuda_kernelERKNSE_10TensorBaseESI_lENKUlvE_clEvENKUlvE1_clEvEUlS7_S7_E_S7_EEDaPvRmT3_T4_T5_mT6_P12ihipStream_tbENKUlT_T0_E_clISt17integral_constantIbLb1EESZ_EEDaSU_SV_EUlSU_E_NS1_11comp_targetILNS1_3genE9ELNS1_11target_archE1100ELNS1_3gpuE3ELNS1_3repE0EEENS1_30default_config_static_selectorELNS0_4arch9wavefront6targetE1EEEvT1_
		.amdhsa_group_segment_fixed_size 0
		.amdhsa_private_segment_fixed_size 0
		.amdhsa_kernarg_size 128
		.amdhsa_user_sgpr_count 2
		.amdhsa_user_sgpr_dispatch_ptr 0
		.amdhsa_user_sgpr_queue_ptr 0
		.amdhsa_user_sgpr_kernarg_segment_ptr 1
		.amdhsa_user_sgpr_dispatch_id 0
		.amdhsa_user_sgpr_kernarg_preload_length 0
		.amdhsa_user_sgpr_kernarg_preload_offset 0
		.amdhsa_user_sgpr_private_segment_size 0
		.amdhsa_uses_dynamic_stack 0
		.amdhsa_enable_private_segment 0
		.amdhsa_system_sgpr_workgroup_id_x 1
		.amdhsa_system_sgpr_workgroup_id_y 0
		.amdhsa_system_sgpr_workgroup_id_z 0
		.amdhsa_system_sgpr_workgroup_info 0
		.amdhsa_system_vgpr_workitem_id 0
		.amdhsa_next_free_vgpr 1
		.amdhsa_next_free_sgpr 0
		.amdhsa_accum_offset 4
		.amdhsa_reserve_vcc 0
		.amdhsa_float_round_mode_32 0
		.amdhsa_float_round_mode_16_64 0
		.amdhsa_float_denorm_mode_32 3
		.amdhsa_float_denorm_mode_16_64 3
		.amdhsa_dx10_clamp 1
		.amdhsa_ieee_mode 1
		.amdhsa_fp16_overflow 0
		.amdhsa_tg_split 0
		.amdhsa_exception_fp_ieee_invalid_op 0
		.amdhsa_exception_fp_denorm_src 0
		.amdhsa_exception_fp_ieee_div_zero 0
		.amdhsa_exception_fp_ieee_overflow 0
		.amdhsa_exception_fp_ieee_underflow 0
		.amdhsa_exception_fp_ieee_inexact 0
		.amdhsa_exception_int_div_zero 0
	.end_amdhsa_kernel
	.section	.text._ZN7rocprim17ROCPRIM_400000_NS6detail17trampoline_kernelINS0_14default_configENS1_20scan_config_selectorIN3c107complexIdEEEEZZNS1_9scan_implILNS1_25lookback_scan_determinismE0ELb0ELb0ES3_PKS7_PS7_S7_ZZZN2at6native31launch_logcumsumexp_cuda_kernelERKNSE_10TensorBaseESI_lENKUlvE_clEvENKUlvE1_clEvEUlS7_S7_E_S7_EEDaPvRmT3_T4_T5_mT6_P12ihipStream_tbENKUlT_T0_E_clISt17integral_constantIbLb1EESZ_EEDaSU_SV_EUlSU_E_NS1_11comp_targetILNS1_3genE9ELNS1_11target_archE1100ELNS1_3gpuE3ELNS1_3repE0EEENS1_30default_config_static_selectorELNS0_4arch9wavefront6targetE1EEEvT1_,"axG",@progbits,_ZN7rocprim17ROCPRIM_400000_NS6detail17trampoline_kernelINS0_14default_configENS1_20scan_config_selectorIN3c107complexIdEEEEZZNS1_9scan_implILNS1_25lookback_scan_determinismE0ELb0ELb0ES3_PKS7_PS7_S7_ZZZN2at6native31launch_logcumsumexp_cuda_kernelERKNSE_10TensorBaseESI_lENKUlvE_clEvENKUlvE1_clEvEUlS7_S7_E_S7_EEDaPvRmT3_T4_T5_mT6_P12ihipStream_tbENKUlT_T0_E_clISt17integral_constantIbLb1EESZ_EEDaSU_SV_EUlSU_E_NS1_11comp_targetILNS1_3genE9ELNS1_11target_archE1100ELNS1_3gpuE3ELNS1_3repE0EEENS1_30default_config_static_selectorELNS0_4arch9wavefront6targetE1EEEvT1_,comdat
.Lfunc_end210:
	.size	_ZN7rocprim17ROCPRIM_400000_NS6detail17trampoline_kernelINS0_14default_configENS1_20scan_config_selectorIN3c107complexIdEEEEZZNS1_9scan_implILNS1_25lookback_scan_determinismE0ELb0ELb0ES3_PKS7_PS7_S7_ZZZN2at6native31launch_logcumsumexp_cuda_kernelERKNSE_10TensorBaseESI_lENKUlvE_clEvENKUlvE1_clEvEUlS7_S7_E_S7_EEDaPvRmT3_T4_T5_mT6_P12ihipStream_tbENKUlT_T0_E_clISt17integral_constantIbLb1EESZ_EEDaSU_SV_EUlSU_E_NS1_11comp_targetILNS1_3genE9ELNS1_11target_archE1100ELNS1_3gpuE3ELNS1_3repE0EEENS1_30default_config_static_selectorELNS0_4arch9wavefront6targetE1EEEvT1_, .Lfunc_end210-_ZN7rocprim17ROCPRIM_400000_NS6detail17trampoline_kernelINS0_14default_configENS1_20scan_config_selectorIN3c107complexIdEEEEZZNS1_9scan_implILNS1_25lookback_scan_determinismE0ELb0ELb0ES3_PKS7_PS7_S7_ZZZN2at6native31launch_logcumsumexp_cuda_kernelERKNSE_10TensorBaseESI_lENKUlvE_clEvENKUlvE1_clEvEUlS7_S7_E_S7_EEDaPvRmT3_T4_T5_mT6_P12ihipStream_tbENKUlT_T0_E_clISt17integral_constantIbLb1EESZ_EEDaSU_SV_EUlSU_E_NS1_11comp_targetILNS1_3genE9ELNS1_11target_archE1100ELNS1_3gpuE3ELNS1_3repE0EEENS1_30default_config_static_selectorELNS0_4arch9wavefront6targetE1EEEvT1_
                                        ; -- End function
	.set _ZN7rocprim17ROCPRIM_400000_NS6detail17trampoline_kernelINS0_14default_configENS1_20scan_config_selectorIN3c107complexIdEEEEZZNS1_9scan_implILNS1_25lookback_scan_determinismE0ELb0ELb0ES3_PKS7_PS7_S7_ZZZN2at6native31launch_logcumsumexp_cuda_kernelERKNSE_10TensorBaseESI_lENKUlvE_clEvENKUlvE1_clEvEUlS7_S7_E_S7_EEDaPvRmT3_T4_T5_mT6_P12ihipStream_tbENKUlT_T0_E_clISt17integral_constantIbLb1EESZ_EEDaSU_SV_EUlSU_E_NS1_11comp_targetILNS1_3genE9ELNS1_11target_archE1100ELNS1_3gpuE3ELNS1_3repE0EEENS1_30default_config_static_selectorELNS0_4arch9wavefront6targetE1EEEvT1_.num_vgpr, 0
	.set _ZN7rocprim17ROCPRIM_400000_NS6detail17trampoline_kernelINS0_14default_configENS1_20scan_config_selectorIN3c107complexIdEEEEZZNS1_9scan_implILNS1_25lookback_scan_determinismE0ELb0ELb0ES3_PKS7_PS7_S7_ZZZN2at6native31launch_logcumsumexp_cuda_kernelERKNSE_10TensorBaseESI_lENKUlvE_clEvENKUlvE1_clEvEUlS7_S7_E_S7_EEDaPvRmT3_T4_T5_mT6_P12ihipStream_tbENKUlT_T0_E_clISt17integral_constantIbLb1EESZ_EEDaSU_SV_EUlSU_E_NS1_11comp_targetILNS1_3genE9ELNS1_11target_archE1100ELNS1_3gpuE3ELNS1_3repE0EEENS1_30default_config_static_selectorELNS0_4arch9wavefront6targetE1EEEvT1_.num_agpr, 0
	.set _ZN7rocprim17ROCPRIM_400000_NS6detail17trampoline_kernelINS0_14default_configENS1_20scan_config_selectorIN3c107complexIdEEEEZZNS1_9scan_implILNS1_25lookback_scan_determinismE0ELb0ELb0ES3_PKS7_PS7_S7_ZZZN2at6native31launch_logcumsumexp_cuda_kernelERKNSE_10TensorBaseESI_lENKUlvE_clEvENKUlvE1_clEvEUlS7_S7_E_S7_EEDaPvRmT3_T4_T5_mT6_P12ihipStream_tbENKUlT_T0_E_clISt17integral_constantIbLb1EESZ_EEDaSU_SV_EUlSU_E_NS1_11comp_targetILNS1_3genE9ELNS1_11target_archE1100ELNS1_3gpuE3ELNS1_3repE0EEENS1_30default_config_static_selectorELNS0_4arch9wavefront6targetE1EEEvT1_.numbered_sgpr, 0
	.set _ZN7rocprim17ROCPRIM_400000_NS6detail17trampoline_kernelINS0_14default_configENS1_20scan_config_selectorIN3c107complexIdEEEEZZNS1_9scan_implILNS1_25lookback_scan_determinismE0ELb0ELb0ES3_PKS7_PS7_S7_ZZZN2at6native31launch_logcumsumexp_cuda_kernelERKNSE_10TensorBaseESI_lENKUlvE_clEvENKUlvE1_clEvEUlS7_S7_E_S7_EEDaPvRmT3_T4_T5_mT6_P12ihipStream_tbENKUlT_T0_E_clISt17integral_constantIbLb1EESZ_EEDaSU_SV_EUlSU_E_NS1_11comp_targetILNS1_3genE9ELNS1_11target_archE1100ELNS1_3gpuE3ELNS1_3repE0EEENS1_30default_config_static_selectorELNS0_4arch9wavefront6targetE1EEEvT1_.num_named_barrier, 0
	.set _ZN7rocprim17ROCPRIM_400000_NS6detail17trampoline_kernelINS0_14default_configENS1_20scan_config_selectorIN3c107complexIdEEEEZZNS1_9scan_implILNS1_25lookback_scan_determinismE0ELb0ELb0ES3_PKS7_PS7_S7_ZZZN2at6native31launch_logcumsumexp_cuda_kernelERKNSE_10TensorBaseESI_lENKUlvE_clEvENKUlvE1_clEvEUlS7_S7_E_S7_EEDaPvRmT3_T4_T5_mT6_P12ihipStream_tbENKUlT_T0_E_clISt17integral_constantIbLb1EESZ_EEDaSU_SV_EUlSU_E_NS1_11comp_targetILNS1_3genE9ELNS1_11target_archE1100ELNS1_3gpuE3ELNS1_3repE0EEENS1_30default_config_static_selectorELNS0_4arch9wavefront6targetE1EEEvT1_.private_seg_size, 0
	.set _ZN7rocprim17ROCPRIM_400000_NS6detail17trampoline_kernelINS0_14default_configENS1_20scan_config_selectorIN3c107complexIdEEEEZZNS1_9scan_implILNS1_25lookback_scan_determinismE0ELb0ELb0ES3_PKS7_PS7_S7_ZZZN2at6native31launch_logcumsumexp_cuda_kernelERKNSE_10TensorBaseESI_lENKUlvE_clEvENKUlvE1_clEvEUlS7_S7_E_S7_EEDaPvRmT3_T4_T5_mT6_P12ihipStream_tbENKUlT_T0_E_clISt17integral_constantIbLb1EESZ_EEDaSU_SV_EUlSU_E_NS1_11comp_targetILNS1_3genE9ELNS1_11target_archE1100ELNS1_3gpuE3ELNS1_3repE0EEENS1_30default_config_static_selectorELNS0_4arch9wavefront6targetE1EEEvT1_.uses_vcc, 0
	.set _ZN7rocprim17ROCPRIM_400000_NS6detail17trampoline_kernelINS0_14default_configENS1_20scan_config_selectorIN3c107complexIdEEEEZZNS1_9scan_implILNS1_25lookback_scan_determinismE0ELb0ELb0ES3_PKS7_PS7_S7_ZZZN2at6native31launch_logcumsumexp_cuda_kernelERKNSE_10TensorBaseESI_lENKUlvE_clEvENKUlvE1_clEvEUlS7_S7_E_S7_EEDaPvRmT3_T4_T5_mT6_P12ihipStream_tbENKUlT_T0_E_clISt17integral_constantIbLb1EESZ_EEDaSU_SV_EUlSU_E_NS1_11comp_targetILNS1_3genE9ELNS1_11target_archE1100ELNS1_3gpuE3ELNS1_3repE0EEENS1_30default_config_static_selectorELNS0_4arch9wavefront6targetE1EEEvT1_.uses_flat_scratch, 0
	.set _ZN7rocprim17ROCPRIM_400000_NS6detail17trampoline_kernelINS0_14default_configENS1_20scan_config_selectorIN3c107complexIdEEEEZZNS1_9scan_implILNS1_25lookback_scan_determinismE0ELb0ELb0ES3_PKS7_PS7_S7_ZZZN2at6native31launch_logcumsumexp_cuda_kernelERKNSE_10TensorBaseESI_lENKUlvE_clEvENKUlvE1_clEvEUlS7_S7_E_S7_EEDaPvRmT3_T4_T5_mT6_P12ihipStream_tbENKUlT_T0_E_clISt17integral_constantIbLb1EESZ_EEDaSU_SV_EUlSU_E_NS1_11comp_targetILNS1_3genE9ELNS1_11target_archE1100ELNS1_3gpuE3ELNS1_3repE0EEENS1_30default_config_static_selectorELNS0_4arch9wavefront6targetE1EEEvT1_.has_dyn_sized_stack, 0
	.set _ZN7rocprim17ROCPRIM_400000_NS6detail17trampoline_kernelINS0_14default_configENS1_20scan_config_selectorIN3c107complexIdEEEEZZNS1_9scan_implILNS1_25lookback_scan_determinismE0ELb0ELb0ES3_PKS7_PS7_S7_ZZZN2at6native31launch_logcumsumexp_cuda_kernelERKNSE_10TensorBaseESI_lENKUlvE_clEvENKUlvE1_clEvEUlS7_S7_E_S7_EEDaPvRmT3_T4_T5_mT6_P12ihipStream_tbENKUlT_T0_E_clISt17integral_constantIbLb1EESZ_EEDaSU_SV_EUlSU_E_NS1_11comp_targetILNS1_3genE9ELNS1_11target_archE1100ELNS1_3gpuE3ELNS1_3repE0EEENS1_30default_config_static_selectorELNS0_4arch9wavefront6targetE1EEEvT1_.has_recursion, 0
	.set _ZN7rocprim17ROCPRIM_400000_NS6detail17trampoline_kernelINS0_14default_configENS1_20scan_config_selectorIN3c107complexIdEEEEZZNS1_9scan_implILNS1_25lookback_scan_determinismE0ELb0ELb0ES3_PKS7_PS7_S7_ZZZN2at6native31launch_logcumsumexp_cuda_kernelERKNSE_10TensorBaseESI_lENKUlvE_clEvENKUlvE1_clEvEUlS7_S7_E_S7_EEDaPvRmT3_T4_T5_mT6_P12ihipStream_tbENKUlT_T0_E_clISt17integral_constantIbLb1EESZ_EEDaSU_SV_EUlSU_E_NS1_11comp_targetILNS1_3genE9ELNS1_11target_archE1100ELNS1_3gpuE3ELNS1_3repE0EEENS1_30default_config_static_selectorELNS0_4arch9wavefront6targetE1EEEvT1_.has_indirect_call, 0
	.section	.AMDGPU.csdata,"",@progbits
; Kernel info:
; codeLenInByte = 0
; TotalNumSgprs: 6
; NumVgprs: 0
; NumAgprs: 0
; TotalNumVgprs: 0
; ScratchSize: 0
; MemoryBound: 0
; FloatMode: 240
; IeeeMode: 1
; LDSByteSize: 0 bytes/workgroup (compile time only)
; SGPRBlocks: 0
; VGPRBlocks: 0
; NumSGPRsForWavesPerEU: 6
; NumVGPRsForWavesPerEU: 1
; AccumOffset: 4
; Occupancy: 8
; WaveLimiterHint : 0
; COMPUTE_PGM_RSRC2:SCRATCH_EN: 0
; COMPUTE_PGM_RSRC2:USER_SGPR: 2
; COMPUTE_PGM_RSRC2:TRAP_HANDLER: 0
; COMPUTE_PGM_RSRC2:TGID_X_EN: 1
; COMPUTE_PGM_RSRC2:TGID_Y_EN: 0
; COMPUTE_PGM_RSRC2:TGID_Z_EN: 0
; COMPUTE_PGM_RSRC2:TIDIG_COMP_CNT: 0
; COMPUTE_PGM_RSRC3_GFX90A:ACCUM_OFFSET: 0
; COMPUTE_PGM_RSRC3_GFX90A:TG_SPLIT: 0
	.section	.text._ZN7rocprim17ROCPRIM_400000_NS6detail17trampoline_kernelINS0_14default_configENS1_20scan_config_selectorIN3c107complexIdEEEEZZNS1_9scan_implILNS1_25lookback_scan_determinismE0ELb0ELb0ES3_PKS7_PS7_S7_ZZZN2at6native31launch_logcumsumexp_cuda_kernelERKNSE_10TensorBaseESI_lENKUlvE_clEvENKUlvE1_clEvEUlS7_S7_E_S7_EEDaPvRmT3_T4_T5_mT6_P12ihipStream_tbENKUlT_T0_E_clISt17integral_constantIbLb1EESZ_EEDaSU_SV_EUlSU_E_NS1_11comp_targetILNS1_3genE8ELNS1_11target_archE1030ELNS1_3gpuE2ELNS1_3repE0EEENS1_30default_config_static_selectorELNS0_4arch9wavefront6targetE1EEEvT1_,"axG",@progbits,_ZN7rocprim17ROCPRIM_400000_NS6detail17trampoline_kernelINS0_14default_configENS1_20scan_config_selectorIN3c107complexIdEEEEZZNS1_9scan_implILNS1_25lookback_scan_determinismE0ELb0ELb0ES3_PKS7_PS7_S7_ZZZN2at6native31launch_logcumsumexp_cuda_kernelERKNSE_10TensorBaseESI_lENKUlvE_clEvENKUlvE1_clEvEUlS7_S7_E_S7_EEDaPvRmT3_T4_T5_mT6_P12ihipStream_tbENKUlT_T0_E_clISt17integral_constantIbLb1EESZ_EEDaSU_SV_EUlSU_E_NS1_11comp_targetILNS1_3genE8ELNS1_11target_archE1030ELNS1_3gpuE2ELNS1_3repE0EEENS1_30default_config_static_selectorELNS0_4arch9wavefront6targetE1EEEvT1_,comdat
	.globl	_ZN7rocprim17ROCPRIM_400000_NS6detail17trampoline_kernelINS0_14default_configENS1_20scan_config_selectorIN3c107complexIdEEEEZZNS1_9scan_implILNS1_25lookback_scan_determinismE0ELb0ELb0ES3_PKS7_PS7_S7_ZZZN2at6native31launch_logcumsumexp_cuda_kernelERKNSE_10TensorBaseESI_lENKUlvE_clEvENKUlvE1_clEvEUlS7_S7_E_S7_EEDaPvRmT3_T4_T5_mT6_P12ihipStream_tbENKUlT_T0_E_clISt17integral_constantIbLb1EESZ_EEDaSU_SV_EUlSU_E_NS1_11comp_targetILNS1_3genE8ELNS1_11target_archE1030ELNS1_3gpuE2ELNS1_3repE0EEENS1_30default_config_static_selectorELNS0_4arch9wavefront6targetE1EEEvT1_ ; -- Begin function _ZN7rocprim17ROCPRIM_400000_NS6detail17trampoline_kernelINS0_14default_configENS1_20scan_config_selectorIN3c107complexIdEEEEZZNS1_9scan_implILNS1_25lookback_scan_determinismE0ELb0ELb0ES3_PKS7_PS7_S7_ZZZN2at6native31launch_logcumsumexp_cuda_kernelERKNSE_10TensorBaseESI_lENKUlvE_clEvENKUlvE1_clEvEUlS7_S7_E_S7_EEDaPvRmT3_T4_T5_mT6_P12ihipStream_tbENKUlT_T0_E_clISt17integral_constantIbLb1EESZ_EEDaSU_SV_EUlSU_E_NS1_11comp_targetILNS1_3genE8ELNS1_11target_archE1030ELNS1_3gpuE2ELNS1_3repE0EEENS1_30default_config_static_selectorELNS0_4arch9wavefront6targetE1EEEvT1_
	.p2align	8
	.type	_ZN7rocprim17ROCPRIM_400000_NS6detail17trampoline_kernelINS0_14default_configENS1_20scan_config_selectorIN3c107complexIdEEEEZZNS1_9scan_implILNS1_25lookback_scan_determinismE0ELb0ELb0ES3_PKS7_PS7_S7_ZZZN2at6native31launch_logcumsumexp_cuda_kernelERKNSE_10TensorBaseESI_lENKUlvE_clEvENKUlvE1_clEvEUlS7_S7_E_S7_EEDaPvRmT3_T4_T5_mT6_P12ihipStream_tbENKUlT_T0_E_clISt17integral_constantIbLb1EESZ_EEDaSU_SV_EUlSU_E_NS1_11comp_targetILNS1_3genE8ELNS1_11target_archE1030ELNS1_3gpuE2ELNS1_3repE0EEENS1_30default_config_static_selectorELNS0_4arch9wavefront6targetE1EEEvT1_,@function
_ZN7rocprim17ROCPRIM_400000_NS6detail17trampoline_kernelINS0_14default_configENS1_20scan_config_selectorIN3c107complexIdEEEEZZNS1_9scan_implILNS1_25lookback_scan_determinismE0ELb0ELb0ES3_PKS7_PS7_S7_ZZZN2at6native31launch_logcumsumexp_cuda_kernelERKNSE_10TensorBaseESI_lENKUlvE_clEvENKUlvE1_clEvEUlS7_S7_E_S7_EEDaPvRmT3_T4_T5_mT6_P12ihipStream_tbENKUlT_T0_E_clISt17integral_constantIbLb1EESZ_EEDaSU_SV_EUlSU_E_NS1_11comp_targetILNS1_3genE8ELNS1_11target_archE1030ELNS1_3gpuE2ELNS1_3repE0EEENS1_30default_config_static_selectorELNS0_4arch9wavefront6targetE1EEEvT1_: ; @_ZN7rocprim17ROCPRIM_400000_NS6detail17trampoline_kernelINS0_14default_configENS1_20scan_config_selectorIN3c107complexIdEEEEZZNS1_9scan_implILNS1_25lookback_scan_determinismE0ELb0ELb0ES3_PKS7_PS7_S7_ZZZN2at6native31launch_logcumsumexp_cuda_kernelERKNSE_10TensorBaseESI_lENKUlvE_clEvENKUlvE1_clEvEUlS7_S7_E_S7_EEDaPvRmT3_T4_T5_mT6_P12ihipStream_tbENKUlT_T0_E_clISt17integral_constantIbLb1EESZ_EEDaSU_SV_EUlSU_E_NS1_11comp_targetILNS1_3genE8ELNS1_11target_archE1030ELNS1_3gpuE2ELNS1_3repE0EEENS1_30default_config_static_selectorELNS0_4arch9wavefront6targetE1EEEvT1_
; %bb.0:
	.section	.rodata,"a",@progbits
	.p2align	6, 0x0
	.amdhsa_kernel _ZN7rocprim17ROCPRIM_400000_NS6detail17trampoline_kernelINS0_14default_configENS1_20scan_config_selectorIN3c107complexIdEEEEZZNS1_9scan_implILNS1_25lookback_scan_determinismE0ELb0ELb0ES3_PKS7_PS7_S7_ZZZN2at6native31launch_logcumsumexp_cuda_kernelERKNSE_10TensorBaseESI_lENKUlvE_clEvENKUlvE1_clEvEUlS7_S7_E_S7_EEDaPvRmT3_T4_T5_mT6_P12ihipStream_tbENKUlT_T0_E_clISt17integral_constantIbLb1EESZ_EEDaSU_SV_EUlSU_E_NS1_11comp_targetILNS1_3genE8ELNS1_11target_archE1030ELNS1_3gpuE2ELNS1_3repE0EEENS1_30default_config_static_selectorELNS0_4arch9wavefront6targetE1EEEvT1_
		.amdhsa_group_segment_fixed_size 0
		.amdhsa_private_segment_fixed_size 0
		.amdhsa_kernarg_size 128
		.amdhsa_user_sgpr_count 2
		.amdhsa_user_sgpr_dispatch_ptr 0
		.amdhsa_user_sgpr_queue_ptr 0
		.amdhsa_user_sgpr_kernarg_segment_ptr 1
		.amdhsa_user_sgpr_dispatch_id 0
		.amdhsa_user_sgpr_kernarg_preload_length 0
		.amdhsa_user_sgpr_kernarg_preload_offset 0
		.amdhsa_user_sgpr_private_segment_size 0
		.amdhsa_uses_dynamic_stack 0
		.amdhsa_enable_private_segment 0
		.amdhsa_system_sgpr_workgroup_id_x 1
		.amdhsa_system_sgpr_workgroup_id_y 0
		.amdhsa_system_sgpr_workgroup_id_z 0
		.amdhsa_system_sgpr_workgroup_info 0
		.amdhsa_system_vgpr_workitem_id 0
		.amdhsa_next_free_vgpr 1
		.amdhsa_next_free_sgpr 0
		.amdhsa_accum_offset 4
		.amdhsa_reserve_vcc 0
		.amdhsa_float_round_mode_32 0
		.amdhsa_float_round_mode_16_64 0
		.amdhsa_float_denorm_mode_32 3
		.amdhsa_float_denorm_mode_16_64 3
		.amdhsa_dx10_clamp 1
		.amdhsa_ieee_mode 1
		.amdhsa_fp16_overflow 0
		.amdhsa_tg_split 0
		.amdhsa_exception_fp_ieee_invalid_op 0
		.amdhsa_exception_fp_denorm_src 0
		.amdhsa_exception_fp_ieee_div_zero 0
		.amdhsa_exception_fp_ieee_overflow 0
		.amdhsa_exception_fp_ieee_underflow 0
		.amdhsa_exception_fp_ieee_inexact 0
		.amdhsa_exception_int_div_zero 0
	.end_amdhsa_kernel
	.section	.text._ZN7rocprim17ROCPRIM_400000_NS6detail17trampoline_kernelINS0_14default_configENS1_20scan_config_selectorIN3c107complexIdEEEEZZNS1_9scan_implILNS1_25lookback_scan_determinismE0ELb0ELb0ES3_PKS7_PS7_S7_ZZZN2at6native31launch_logcumsumexp_cuda_kernelERKNSE_10TensorBaseESI_lENKUlvE_clEvENKUlvE1_clEvEUlS7_S7_E_S7_EEDaPvRmT3_T4_T5_mT6_P12ihipStream_tbENKUlT_T0_E_clISt17integral_constantIbLb1EESZ_EEDaSU_SV_EUlSU_E_NS1_11comp_targetILNS1_3genE8ELNS1_11target_archE1030ELNS1_3gpuE2ELNS1_3repE0EEENS1_30default_config_static_selectorELNS0_4arch9wavefront6targetE1EEEvT1_,"axG",@progbits,_ZN7rocprim17ROCPRIM_400000_NS6detail17trampoline_kernelINS0_14default_configENS1_20scan_config_selectorIN3c107complexIdEEEEZZNS1_9scan_implILNS1_25lookback_scan_determinismE0ELb0ELb0ES3_PKS7_PS7_S7_ZZZN2at6native31launch_logcumsumexp_cuda_kernelERKNSE_10TensorBaseESI_lENKUlvE_clEvENKUlvE1_clEvEUlS7_S7_E_S7_EEDaPvRmT3_T4_T5_mT6_P12ihipStream_tbENKUlT_T0_E_clISt17integral_constantIbLb1EESZ_EEDaSU_SV_EUlSU_E_NS1_11comp_targetILNS1_3genE8ELNS1_11target_archE1030ELNS1_3gpuE2ELNS1_3repE0EEENS1_30default_config_static_selectorELNS0_4arch9wavefront6targetE1EEEvT1_,comdat
.Lfunc_end211:
	.size	_ZN7rocprim17ROCPRIM_400000_NS6detail17trampoline_kernelINS0_14default_configENS1_20scan_config_selectorIN3c107complexIdEEEEZZNS1_9scan_implILNS1_25lookback_scan_determinismE0ELb0ELb0ES3_PKS7_PS7_S7_ZZZN2at6native31launch_logcumsumexp_cuda_kernelERKNSE_10TensorBaseESI_lENKUlvE_clEvENKUlvE1_clEvEUlS7_S7_E_S7_EEDaPvRmT3_T4_T5_mT6_P12ihipStream_tbENKUlT_T0_E_clISt17integral_constantIbLb1EESZ_EEDaSU_SV_EUlSU_E_NS1_11comp_targetILNS1_3genE8ELNS1_11target_archE1030ELNS1_3gpuE2ELNS1_3repE0EEENS1_30default_config_static_selectorELNS0_4arch9wavefront6targetE1EEEvT1_, .Lfunc_end211-_ZN7rocprim17ROCPRIM_400000_NS6detail17trampoline_kernelINS0_14default_configENS1_20scan_config_selectorIN3c107complexIdEEEEZZNS1_9scan_implILNS1_25lookback_scan_determinismE0ELb0ELb0ES3_PKS7_PS7_S7_ZZZN2at6native31launch_logcumsumexp_cuda_kernelERKNSE_10TensorBaseESI_lENKUlvE_clEvENKUlvE1_clEvEUlS7_S7_E_S7_EEDaPvRmT3_T4_T5_mT6_P12ihipStream_tbENKUlT_T0_E_clISt17integral_constantIbLb1EESZ_EEDaSU_SV_EUlSU_E_NS1_11comp_targetILNS1_3genE8ELNS1_11target_archE1030ELNS1_3gpuE2ELNS1_3repE0EEENS1_30default_config_static_selectorELNS0_4arch9wavefront6targetE1EEEvT1_
                                        ; -- End function
	.set _ZN7rocprim17ROCPRIM_400000_NS6detail17trampoline_kernelINS0_14default_configENS1_20scan_config_selectorIN3c107complexIdEEEEZZNS1_9scan_implILNS1_25lookback_scan_determinismE0ELb0ELb0ES3_PKS7_PS7_S7_ZZZN2at6native31launch_logcumsumexp_cuda_kernelERKNSE_10TensorBaseESI_lENKUlvE_clEvENKUlvE1_clEvEUlS7_S7_E_S7_EEDaPvRmT3_T4_T5_mT6_P12ihipStream_tbENKUlT_T0_E_clISt17integral_constantIbLb1EESZ_EEDaSU_SV_EUlSU_E_NS1_11comp_targetILNS1_3genE8ELNS1_11target_archE1030ELNS1_3gpuE2ELNS1_3repE0EEENS1_30default_config_static_selectorELNS0_4arch9wavefront6targetE1EEEvT1_.num_vgpr, 0
	.set _ZN7rocprim17ROCPRIM_400000_NS6detail17trampoline_kernelINS0_14default_configENS1_20scan_config_selectorIN3c107complexIdEEEEZZNS1_9scan_implILNS1_25lookback_scan_determinismE0ELb0ELb0ES3_PKS7_PS7_S7_ZZZN2at6native31launch_logcumsumexp_cuda_kernelERKNSE_10TensorBaseESI_lENKUlvE_clEvENKUlvE1_clEvEUlS7_S7_E_S7_EEDaPvRmT3_T4_T5_mT6_P12ihipStream_tbENKUlT_T0_E_clISt17integral_constantIbLb1EESZ_EEDaSU_SV_EUlSU_E_NS1_11comp_targetILNS1_3genE8ELNS1_11target_archE1030ELNS1_3gpuE2ELNS1_3repE0EEENS1_30default_config_static_selectorELNS0_4arch9wavefront6targetE1EEEvT1_.num_agpr, 0
	.set _ZN7rocprim17ROCPRIM_400000_NS6detail17trampoline_kernelINS0_14default_configENS1_20scan_config_selectorIN3c107complexIdEEEEZZNS1_9scan_implILNS1_25lookback_scan_determinismE0ELb0ELb0ES3_PKS7_PS7_S7_ZZZN2at6native31launch_logcumsumexp_cuda_kernelERKNSE_10TensorBaseESI_lENKUlvE_clEvENKUlvE1_clEvEUlS7_S7_E_S7_EEDaPvRmT3_T4_T5_mT6_P12ihipStream_tbENKUlT_T0_E_clISt17integral_constantIbLb1EESZ_EEDaSU_SV_EUlSU_E_NS1_11comp_targetILNS1_3genE8ELNS1_11target_archE1030ELNS1_3gpuE2ELNS1_3repE0EEENS1_30default_config_static_selectorELNS0_4arch9wavefront6targetE1EEEvT1_.numbered_sgpr, 0
	.set _ZN7rocprim17ROCPRIM_400000_NS6detail17trampoline_kernelINS0_14default_configENS1_20scan_config_selectorIN3c107complexIdEEEEZZNS1_9scan_implILNS1_25lookback_scan_determinismE0ELb0ELb0ES3_PKS7_PS7_S7_ZZZN2at6native31launch_logcumsumexp_cuda_kernelERKNSE_10TensorBaseESI_lENKUlvE_clEvENKUlvE1_clEvEUlS7_S7_E_S7_EEDaPvRmT3_T4_T5_mT6_P12ihipStream_tbENKUlT_T0_E_clISt17integral_constantIbLb1EESZ_EEDaSU_SV_EUlSU_E_NS1_11comp_targetILNS1_3genE8ELNS1_11target_archE1030ELNS1_3gpuE2ELNS1_3repE0EEENS1_30default_config_static_selectorELNS0_4arch9wavefront6targetE1EEEvT1_.num_named_barrier, 0
	.set _ZN7rocprim17ROCPRIM_400000_NS6detail17trampoline_kernelINS0_14default_configENS1_20scan_config_selectorIN3c107complexIdEEEEZZNS1_9scan_implILNS1_25lookback_scan_determinismE0ELb0ELb0ES3_PKS7_PS7_S7_ZZZN2at6native31launch_logcumsumexp_cuda_kernelERKNSE_10TensorBaseESI_lENKUlvE_clEvENKUlvE1_clEvEUlS7_S7_E_S7_EEDaPvRmT3_T4_T5_mT6_P12ihipStream_tbENKUlT_T0_E_clISt17integral_constantIbLb1EESZ_EEDaSU_SV_EUlSU_E_NS1_11comp_targetILNS1_3genE8ELNS1_11target_archE1030ELNS1_3gpuE2ELNS1_3repE0EEENS1_30default_config_static_selectorELNS0_4arch9wavefront6targetE1EEEvT1_.private_seg_size, 0
	.set _ZN7rocprim17ROCPRIM_400000_NS6detail17trampoline_kernelINS0_14default_configENS1_20scan_config_selectorIN3c107complexIdEEEEZZNS1_9scan_implILNS1_25lookback_scan_determinismE0ELb0ELb0ES3_PKS7_PS7_S7_ZZZN2at6native31launch_logcumsumexp_cuda_kernelERKNSE_10TensorBaseESI_lENKUlvE_clEvENKUlvE1_clEvEUlS7_S7_E_S7_EEDaPvRmT3_T4_T5_mT6_P12ihipStream_tbENKUlT_T0_E_clISt17integral_constantIbLb1EESZ_EEDaSU_SV_EUlSU_E_NS1_11comp_targetILNS1_3genE8ELNS1_11target_archE1030ELNS1_3gpuE2ELNS1_3repE0EEENS1_30default_config_static_selectorELNS0_4arch9wavefront6targetE1EEEvT1_.uses_vcc, 0
	.set _ZN7rocprim17ROCPRIM_400000_NS6detail17trampoline_kernelINS0_14default_configENS1_20scan_config_selectorIN3c107complexIdEEEEZZNS1_9scan_implILNS1_25lookback_scan_determinismE0ELb0ELb0ES3_PKS7_PS7_S7_ZZZN2at6native31launch_logcumsumexp_cuda_kernelERKNSE_10TensorBaseESI_lENKUlvE_clEvENKUlvE1_clEvEUlS7_S7_E_S7_EEDaPvRmT3_T4_T5_mT6_P12ihipStream_tbENKUlT_T0_E_clISt17integral_constantIbLb1EESZ_EEDaSU_SV_EUlSU_E_NS1_11comp_targetILNS1_3genE8ELNS1_11target_archE1030ELNS1_3gpuE2ELNS1_3repE0EEENS1_30default_config_static_selectorELNS0_4arch9wavefront6targetE1EEEvT1_.uses_flat_scratch, 0
	.set _ZN7rocprim17ROCPRIM_400000_NS6detail17trampoline_kernelINS0_14default_configENS1_20scan_config_selectorIN3c107complexIdEEEEZZNS1_9scan_implILNS1_25lookback_scan_determinismE0ELb0ELb0ES3_PKS7_PS7_S7_ZZZN2at6native31launch_logcumsumexp_cuda_kernelERKNSE_10TensorBaseESI_lENKUlvE_clEvENKUlvE1_clEvEUlS7_S7_E_S7_EEDaPvRmT3_T4_T5_mT6_P12ihipStream_tbENKUlT_T0_E_clISt17integral_constantIbLb1EESZ_EEDaSU_SV_EUlSU_E_NS1_11comp_targetILNS1_3genE8ELNS1_11target_archE1030ELNS1_3gpuE2ELNS1_3repE0EEENS1_30default_config_static_selectorELNS0_4arch9wavefront6targetE1EEEvT1_.has_dyn_sized_stack, 0
	.set _ZN7rocprim17ROCPRIM_400000_NS6detail17trampoline_kernelINS0_14default_configENS1_20scan_config_selectorIN3c107complexIdEEEEZZNS1_9scan_implILNS1_25lookback_scan_determinismE0ELb0ELb0ES3_PKS7_PS7_S7_ZZZN2at6native31launch_logcumsumexp_cuda_kernelERKNSE_10TensorBaseESI_lENKUlvE_clEvENKUlvE1_clEvEUlS7_S7_E_S7_EEDaPvRmT3_T4_T5_mT6_P12ihipStream_tbENKUlT_T0_E_clISt17integral_constantIbLb1EESZ_EEDaSU_SV_EUlSU_E_NS1_11comp_targetILNS1_3genE8ELNS1_11target_archE1030ELNS1_3gpuE2ELNS1_3repE0EEENS1_30default_config_static_selectorELNS0_4arch9wavefront6targetE1EEEvT1_.has_recursion, 0
	.set _ZN7rocprim17ROCPRIM_400000_NS6detail17trampoline_kernelINS0_14default_configENS1_20scan_config_selectorIN3c107complexIdEEEEZZNS1_9scan_implILNS1_25lookback_scan_determinismE0ELb0ELb0ES3_PKS7_PS7_S7_ZZZN2at6native31launch_logcumsumexp_cuda_kernelERKNSE_10TensorBaseESI_lENKUlvE_clEvENKUlvE1_clEvEUlS7_S7_E_S7_EEDaPvRmT3_T4_T5_mT6_P12ihipStream_tbENKUlT_T0_E_clISt17integral_constantIbLb1EESZ_EEDaSU_SV_EUlSU_E_NS1_11comp_targetILNS1_3genE8ELNS1_11target_archE1030ELNS1_3gpuE2ELNS1_3repE0EEENS1_30default_config_static_selectorELNS0_4arch9wavefront6targetE1EEEvT1_.has_indirect_call, 0
	.section	.AMDGPU.csdata,"",@progbits
; Kernel info:
; codeLenInByte = 0
; TotalNumSgprs: 6
; NumVgprs: 0
; NumAgprs: 0
; TotalNumVgprs: 0
; ScratchSize: 0
; MemoryBound: 0
; FloatMode: 240
; IeeeMode: 1
; LDSByteSize: 0 bytes/workgroup (compile time only)
; SGPRBlocks: 0
; VGPRBlocks: 0
; NumSGPRsForWavesPerEU: 6
; NumVGPRsForWavesPerEU: 1
; AccumOffset: 4
; Occupancy: 8
; WaveLimiterHint : 0
; COMPUTE_PGM_RSRC2:SCRATCH_EN: 0
; COMPUTE_PGM_RSRC2:USER_SGPR: 2
; COMPUTE_PGM_RSRC2:TRAP_HANDLER: 0
; COMPUTE_PGM_RSRC2:TGID_X_EN: 1
; COMPUTE_PGM_RSRC2:TGID_Y_EN: 0
; COMPUTE_PGM_RSRC2:TGID_Z_EN: 0
; COMPUTE_PGM_RSRC2:TIDIG_COMP_CNT: 0
; COMPUTE_PGM_RSRC3_GFX90A:ACCUM_OFFSET: 0
; COMPUTE_PGM_RSRC3_GFX90A:TG_SPLIT: 0
	.section	.text._ZN7rocprim17ROCPRIM_400000_NS6detail17trampoline_kernelINS0_14default_configENS1_20scan_config_selectorIN3c107complexIdEEEEZZNS1_9scan_implILNS1_25lookback_scan_determinismE0ELb0ELb0ES3_PKS7_PS7_S7_ZZZN2at6native31launch_logcumsumexp_cuda_kernelERKNSE_10TensorBaseESI_lENKUlvE_clEvENKUlvE1_clEvEUlS7_S7_E_S7_EEDaPvRmT3_T4_T5_mT6_P12ihipStream_tbENKUlT_T0_E_clISt17integral_constantIbLb1EESZ_EEDaSU_SV_EUlSU_E0_NS1_11comp_targetILNS1_3genE0ELNS1_11target_archE4294967295ELNS1_3gpuE0ELNS1_3repE0EEENS1_30default_config_static_selectorELNS0_4arch9wavefront6targetE1EEEvT1_,"axG",@progbits,_ZN7rocprim17ROCPRIM_400000_NS6detail17trampoline_kernelINS0_14default_configENS1_20scan_config_selectorIN3c107complexIdEEEEZZNS1_9scan_implILNS1_25lookback_scan_determinismE0ELb0ELb0ES3_PKS7_PS7_S7_ZZZN2at6native31launch_logcumsumexp_cuda_kernelERKNSE_10TensorBaseESI_lENKUlvE_clEvENKUlvE1_clEvEUlS7_S7_E_S7_EEDaPvRmT3_T4_T5_mT6_P12ihipStream_tbENKUlT_T0_E_clISt17integral_constantIbLb1EESZ_EEDaSU_SV_EUlSU_E0_NS1_11comp_targetILNS1_3genE0ELNS1_11target_archE4294967295ELNS1_3gpuE0ELNS1_3repE0EEENS1_30default_config_static_selectorELNS0_4arch9wavefront6targetE1EEEvT1_,comdat
	.globl	_ZN7rocprim17ROCPRIM_400000_NS6detail17trampoline_kernelINS0_14default_configENS1_20scan_config_selectorIN3c107complexIdEEEEZZNS1_9scan_implILNS1_25lookback_scan_determinismE0ELb0ELb0ES3_PKS7_PS7_S7_ZZZN2at6native31launch_logcumsumexp_cuda_kernelERKNSE_10TensorBaseESI_lENKUlvE_clEvENKUlvE1_clEvEUlS7_S7_E_S7_EEDaPvRmT3_T4_T5_mT6_P12ihipStream_tbENKUlT_T0_E_clISt17integral_constantIbLb1EESZ_EEDaSU_SV_EUlSU_E0_NS1_11comp_targetILNS1_3genE0ELNS1_11target_archE4294967295ELNS1_3gpuE0ELNS1_3repE0EEENS1_30default_config_static_selectorELNS0_4arch9wavefront6targetE1EEEvT1_ ; -- Begin function _ZN7rocprim17ROCPRIM_400000_NS6detail17trampoline_kernelINS0_14default_configENS1_20scan_config_selectorIN3c107complexIdEEEEZZNS1_9scan_implILNS1_25lookback_scan_determinismE0ELb0ELb0ES3_PKS7_PS7_S7_ZZZN2at6native31launch_logcumsumexp_cuda_kernelERKNSE_10TensorBaseESI_lENKUlvE_clEvENKUlvE1_clEvEUlS7_S7_E_S7_EEDaPvRmT3_T4_T5_mT6_P12ihipStream_tbENKUlT_T0_E_clISt17integral_constantIbLb1EESZ_EEDaSU_SV_EUlSU_E0_NS1_11comp_targetILNS1_3genE0ELNS1_11target_archE4294967295ELNS1_3gpuE0ELNS1_3repE0EEENS1_30default_config_static_selectorELNS0_4arch9wavefront6targetE1EEEvT1_
	.p2align	8
	.type	_ZN7rocprim17ROCPRIM_400000_NS6detail17trampoline_kernelINS0_14default_configENS1_20scan_config_selectorIN3c107complexIdEEEEZZNS1_9scan_implILNS1_25lookback_scan_determinismE0ELb0ELb0ES3_PKS7_PS7_S7_ZZZN2at6native31launch_logcumsumexp_cuda_kernelERKNSE_10TensorBaseESI_lENKUlvE_clEvENKUlvE1_clEvEUlS7_S7_E_S7_EEDaPvRmT3_T4_T5_mT6_P12ihipStream_tbENKUlT_T0_E_clISt17integral_constantIbLb1EESZ_EEDaSU_SV_EUlSU_E0_NS1_11comp_targetILNS1_3genE0ELNS1_11target_archE4294967295ELNS1_3gpuE0ELNS1_3repE0EEENS1_30default_config_static_selectorELNS0_4arch9wavefront6targetE1EEEvT1_,@function
_ZN7rocprim17ROCPRIM_400000_NS6detail17trampoline_kernelINS0_14default_configENS1_20scan_config_selectorIN3c107complexIdEEEEZZNS1_9scan_implILNS1_25lookback_scan_determinismE0ELb0ELb0ES3_PKS7_PS7_S7_ZZZN2at6native31launch_logcumsumexp_cuda_kernelERKNSE_10TensorBaseESI_lENKUlvE_clEvENKUlvE1_clEvEUlS7_S7_E_S7_EEDaPvRmT3_T4_T5_mT6_P12ihipStream_tbENKUlT_T0_E_clISt17integral_constantIbLb1EESZ_EEDaSU_SV_EUlSU_E0_NS1_11comp_targetILNS1_3genE0ELNS1_11target_archE4294967295ELNS1_3gpuE0ELNS1_3repE0EEENS1_30default_config_static_selectorELNS0_4arch9wavefront6targetE1EEEvT1_: ; @_ZN7rocprim17ROCPRIM_400000_NS6detail17trampoline_kernelINS0_14default_configENS1_20scan_config_selectorIN3c107complexIdEEEEZZNS1_9scan_implILNS1_25lookback_scan_determinismE0ELb0ELb0ES3_PKS7_PS7_S7_ZZZN2at6native31launch_logcumsumexp_cuda_kernelERKNSE_10TensorBaseESI_lENKUlvE_clEvENKUlvE1_clEvEUlS7_S7_E_S7_EEDaPvRmT3_T4_T5_mT6_P12ihipStream_tbENKUlT_T0_E_clISt17integral_constantIbLb1EESZ_EEDaSU_SV_EUlSU_E0_NS1_11comp_targetILNS1_3genE0ELNS1_11target_archE4294967295ELNS1_3gpuE0ELNS1_3repE0EEENS1_30default_config_static_selectorELNS0_4arch9wavefront6targetE1EEEvT1_
; %bb.0:
	s_mov_b64 s[56:57], s[0:1]
	s_load_dwordx4 s[0:3], s[0:1], 0x0
	v_mov_b32_e32 v56, v0
	v_lshlrev_b32_e32 v130, 4, v56
	s_mov_b32 s32, 0
	s_waitcnt lgkmcnt(0)
	s_load_dwordx4 s[4:7], s[0:1], 0x0
	v_cmp_gt_u32_e64 s[34:35], s2, v56
	s_waitcnt lgkmcnt(0)
	v_mov_b64_e32 v[4:5], s[6:7]
	v_mov_b64_e32 v[2:3], s[4:5]
	s_and_saveexec_b64 s[8:9], s[34:35]
	s_cbranch_execz .LBB212_2
; %bb.1:
	global_load_dwordx4 v[2:5], v130, s[0:1]
.LBB212_2:
	s_or_b64 exec, exec, s[8:9]
	v_or_b32_e32 v0, 0x80, v56
	v_cmp_gt_u32_e64 s[36:37], s2, v0
	v_mov_b64_e32 v[8:9], s[6:7]
	v_mov_b64_e32 v[6:7], s[4:5]
	s_and_saveexec_b64 s[8:9], s[36:37]
	s_cbranch_execz .LBB212_4
; %bb.3:
	global_load_dwordx4 v[6:9], v130, s[0:1] offset:2048
.LBB212_4:
	s_or_b64 exec, exec, s[8:9]
	v_or_b32_e32 v0, 0x100, v56
	v_cmp_gt_u32_e64 s[38:39], s2, v0
	v_mov_b64_e32 v[12:13], s[6:7]
	v_mov_b64_e32 v[10:11], s[4:5]
	s_and_saveexec_b64 s[8:9], s[38:39]
	s_cbranch_execz .LBB212_6
; %bb.5:
	v_lshlrev_b32_e32 v0, 4, v0
	global_load_dwordx4 v[10:13], v0, s[0:1]
.LBB212_6:
	s_or_b64 exec, exec, s[8:9]
	v_or_b32_e32 v0, 0x180, v56
	v_cmp_gt_u32_e64 s[42:43], s2, v0
	v_mov_b64_e32 v[16:17], s[6:7]
	v_mov_b64_e32 v[14:15], s[4:5]
	s_and_saveexec_b64 s[8:9], s[42:43]
	s_cbranch_execz .LBB212_8
; %bb.7:
	v_lshlrev_b32_e32 v0, 4, v0
	global_load_dwordx4 v[14:17], v0, s[0:1]
.LBB212_8:
	;; [unrolled: 11-line block ×8, first 2 shown]
	s_or_b64 exec, exec, s[2:3]
	s_movk_i32 s0, 0x90
	v_mad_u32_u24 v0, v56, s0, v130
	s_waitcnt vmcnt(0)
	ds_write_b128 v130, v[2:5]
	ds_write_b128 v130, v[6:9] offset:2048
	ds_write_b128 v130, v[10:13] offset:4096
	;; [unrolled: 1-line block ×9, first 2 shown]
	s_waitcnt lgkmcnt(0)
	s_barrier
	ds_read_b128 v[58:61], v0
	ds_read_b128 v[110:113], v0 offset:16
	ds_read_b128 v[106:109], v0 offset:32
	;; [unrolled: 1-line block ×9, first 2 shown]
	s_getpc_b64 s[58:59]
	s_add_u32 s58, s58, _ZZZZN2at6native31launch_logcumsumexp_cuda_kernelERKNS_10TensorBaseES3_lENKUlvE_clEvENKUlvE1_clEvENKUlN3c107complexIdEES8_E_clES8_S8_@rel32@lo+4
	s_addc_u32 s59, s59, _ZZZZN2at6native31launch_logcumsumexp_cuda_kernelERKNS_10TensorBaseES3_lENKUlvE_clEvENKUlvE1_clEvENKUlN3c107complexIdEES8_E_clES8_S8_@rel32@hi+12
	s_waitcnt lgkmcnt(9)
	v_mov_b32_e32 v0, v58
	v_mov_b32_e32 v1, v59
	;; [unrolled: 1-line block ×4, first 2 shown]
	s_waitcnt lgkmcnt(8)
	v_mov_b32_e32 v4, v110
	v_mov_b32_e32 v5, v111
	;; [unrolled: 1-line block ×4, first 2 shown]
	s_waitcnt lgkmcnt(0)
	s_barrier
	s_swappc_b64 s[30:31], s[58:59]
	v_mov_b32_e32 v4, v106
	v_mov_b32_e32 v5, v107
	v_mov_b32_e32 v6, v108
	v_mov_b32_e32 v7, v109
	v_mov_b32_e32 v66, v0
	v_mov_b32_e32 v67, v1
	v_mov_b32_e32 v68, v2
	v_mov_b32_e32 v69, v3
	s_swappc_b64 s[30:31], s[58:59]
	v_mov_b32_e32 v4, v98
	v_mov_b32_e32 v5, v99
	v_mov_b32_e32 v6, v100
	v_mov_b32_e32 v7, v101
	v_mov_b32_e32 v78, v0
	v_mov_b32_e32 v79, v1
	v_mov_b32_e32 v80, v2
	v_mov_b32_e32 v81, v3
	;; [unrolled: 9-line block ×8, first 2 shown]
	s_swappc_b64 s[30:31], s[58:59]
	v_mov_b32_e32 v40, v0
	v_mbcnt_lo_u32_b32 v0, -1, 0
	v_mbcnt_hi_u32_b32 v57, -1, v0
	v_mov_b32_e32 v41, v1
	v_mov_b32_e32 v42, v2
	;; [unrolled: 1-line block ×3, first 2 shown]
	v_and_b32_e32 v52, 15, v57
	v_mov_b32_dpp v4, v40 row_shr:1 row_mask:0xf bank_mask:0xf
	v_mov_b32_dpp v5, v41 row_shr:1 row_mask:0xf bank_mask:0xf
	;; [unrolled: 1-line block ×4, first 2 shown]
	v_cmp_ne_u32_e32 vcc, 0, v52
	v_mov_b64_e32 v[46:47], v[42:43]
	v_mov_b64_e32 v[44:45], v[40:41]
	v_mov_b32_e32 v0, v40
	s_and_saveexec_b64 s[60:61], vcc
	s_cbranch_execz .LBB212_22
; %bb.21:
	v_mov_b32_e32 v0, v4
	v_mov_b32_e32 v1, v5
	;; [unrolled: 1-line block ×8, first 2 shown]
	s_swappc_b64 s[30:31], s[58:59]
	v_mov_b32_e32 v44, v0
	v_mov_b32_e32 v45, v1
	;; [unrolled: 1-line block ×4, first 2 shown]
.LBB212_22:
	s_or_b64 exec, exec, s[60:61]
	v_mov_b32_dpp v4, v0 row_shr:2 row_mask:0xf bank_mask:0xf
	v_mov_b32_dpp v5, v1 row_shr:2 row_mask:0xf bank_mask:0xf
	v_mov_b32_dpp v6, v2 row_shr:2 row_mask:0xf bank_mask:0xf
	v_mov_b32_dpp v7, v3 row_shr:2 row_mask:0xf bank_mask:0xf
	v_cmp_lt_u32_e32 vcc, 1, v52
	s_and_saveexec_b64 s[58:59], vcc
	s_cbranch_execz .LBB212_24
; %bb.23:
	s_getpc_b64 s[0:1]
	s_add_u32 s0, s0, _ZZZZN2at6native31launch_logcumsumexp_cuda_kernelERKNS_10TensorBaseES3_lENKUlvE_clEvENKUlvE1_clEvENKUlN3c107complexIdEES8_E_clES8_S8_@rel32@lo+4
	s_addc_u32 s1, s1, _ZZZZN2at6native31launch_logcumsumexp_cuda_kernelERKNS_10TensorBaseES3_lENKUlvE_clEvENKUlvE1_clEvENKUlN3c107complexIdEES8_E_clES8_S8_@rel32@hi+12
	v_mov_b32_e32 v0, v4
	v_mov_b32_e32 v1, v5
	v_mov_b32_e32 v2, v6
	v_mov_b32_e32 v3, v7
	v_mov_b32_e32 v4, v44
	v_mov_b32_e32 v5, v45
	v_mov_b32_e32 v6, v46
	v_mov_b32_e32 v7, v47
	s_swappc_b64 s[30:31], s[0:1]
	v_mov_b64_e32 v[46:47], v[2:3]
	v_mov_b64_e32 v[44:45], v[0:1]
.LBB212_24:
	s_or_b64 exec, exec, s[58:59]
	v_mov_b32_dpp v4, v0 row_shr:4 row_mask:0xf bank_mask:0xf
	v_mov_b32_dpp v5, v1 row_shr:4 row_mask:0xf bank_mask:0xf
	v_mov_b32_dpp v6, v2 row_shr:4 row_mask:0xf bank_mask:0xf
	v_mov_b32_dpp v7, v3 row_shr:4 row_mask:0xf bank_mask:0xf
	v_cmp_lt_u32_e32 vcc, 3, v52
	s_and_saveexec_b64 s[58:59], vcc
	s_cbranch_execz .LBB212_26
; %bb.25:
	s_getpc_b64 s[0:1]
	s_add_u32 s0, s0, _ZZZZN2at6native31launch_logcumsumexp_cuda_kernelERKNS_10TensorBaseES3_lENKUlvE_clEvENKUlvE1_clEvENKUlN3c107complexIdEES8_E_clES8_S8_@rel32@lo+4
	s_addc_u32 s1, s1, _ZZZZN2at6native31launch_logcumsumexp_cuda_kernelERKNS_10TensorBaseES3_lENKUlvE_clEvENKUlvE1_clEvENKUlN3c107complexIdEES8_E_clES8_S8_@rel32@hi+12
	v_mov_b32_e32 v0, v4
	v_mov_b32_e32 v1, v5
	v_mov_b32_e32 v2, v6
	v_mov_b32_e32 v3, v7
	v_mov_b32_e32 v4, v44
	v_mov_b32_e32 v5, v45
	v_mov_b32_e32 v6, v46
	v_mov_b32_e32 v7, v47
	s_swappc_b64 s[30:31], s[0:1]
	v_mov_b64_e32 v[46:47], v[2:3]
	v_mov_b64_e32 v[44:45], v[0:1]
.LBB212_26:
	s_or_b64 exec, exec, s[58:59]
	v_mov_b32_dpp v4, v0 row_shr:8 row_mask:0xf bank_mask:0xf
	v_mov_b32_dpp v5, v1 row_shr:8 row_mask:0xf bank_mask:0xf
	v_mov_b32_dpp v6, v2 row_shr:8 row_mask:0xf bank_mask:0xf
	v_mov_b32_dpp v7, v3 row_shr:8 row_mask:0xf bank_mask:0xf
	v_cmp_lt_u32_e32 vcc, 7, v52
	s_and_saveexec_b64 s[58:59], vcc
	s_cbranch_execz .LBB212_28
; %bb.27:
	s_getpc_b64 s[0:1]
	s_add_u32 s0, s0, _ZZZZN2at6native31launch_logcumsumexp_cuda_kernelERKNS_10TensorBaseES3_lENKUlvE_clEvENKUlvE1_clEvENKUlN3c107complexIdEES8_E_clES8_S8_@rel32@lo+4
	s_addc_u32 s1, s1, _ZZZZN2at6native31launch_logcumsumexp_cuda_kernelERKNS_10TensorBaseES3_lENKUlvE_clEvENKUlvE1_clEvENKUlN3c107complexIdEES8_E_clES8_S8_@rel32@hi+12
	v_mov_b32_e32 v0, v4
	v_mov_b32_e32 v1, v5
	v_mov_b32_e32 v2, v6
	v_mov_b32_e32 v3, v7
	v_mov_b32_e32 v4, v44
	v_mov_b32_e32 v5, v45
	v_mov_b32_e32 v6, v46
	v_mov_b32_e32 v7, v47
	s_swappc_b64 s[30:31], s[0:1]
	v_mov_b64_e32 v[46:47], v[2:3]
	v_mov_b64_e32 v[44:45], v[0:1]
.LBB212_28:
	s_or_b64 exec, exec, s[58:59]
	v_and_b32_e32 v8, 16, v57
	v_mov_b32_dpp v4, v0 row_bcast:15 row_mask:0xf bank_mask:0xf
	v_mov_b32_dpp v5, v1 row_bcast:15 row_mask:0xf bank_mask:0xf
	;; [unrolled: 1-line block ×4, first 2 shown]
	v_cmp_ne_u32_e32 vcc, 0, v8
	s_and_saveexec_b64 s[58:59], vcc
	s_cbranch_execz .LBB212_30
; %bb.29:
	s_getpc_b64 s[0:1]
	s_add_u32 s0, s0, _ZZZZN2at6native31launch_logcumsumexp_cuda_kernelERKNS_10TensorBaseES3_lENKUlvE_clEvENKUlvE1_clEvENKUlN3c107complexIdEES8_E_clES8_S8_@rel32@lo+4
	s_addc_u32 s1, s1, _ZZZZN2at6native31launch_logcumsumexp_cuda_kernelERKNS_10TensorBaseES3_lENKUlvE_clEvENKUlvE1_clEvENKUlN3c107complexIdEES8_E_clES8_S8_@rel32@hi+12
	v_mov_b32_e32 v0, v4
	v_mov_b32_e32 v1, v5
	;; [unrolled: 1-line block ×8, first 2 shown]
	s_swappc_b64 s[30:31], s[0:1]
	v_mov_b32_e32 v44, v0
	v_mov_b32_e32 v45, v1
	;; [unrolled: 1-line block ×4, first 2 shown]
.LBB212_30:
	s_or_b64 exec, exec, s[58:59]
	v_mov_b32_dpp v0, v0 row_bcast:31 row_mask:0xf bank_mask:0xf
	v_mov_b32_dpp v1, v1 row_bcast:31 row_mask:0xf bank_mask:0xf
	;; [unrolled: 1-line block ×4, first 2 shown]
	v_cmp_lt_u32_e32 vcc, 31, v57
	s_and_saveexec_b64 s[58:59], vcc
	s_cbranch_execz .LBB212_32
; %bb.31:
	s_getpc_b64 s[0:1]
	s_add_u32 s0, s0, _ZZZZN2at6native31launch_logcumsumexp_cuda_kernelERKNS_10TensorBaseES3_lENKUlvE_clEvENKUlvE1_clEvENKUlN3c107complexIdEES8_E_clES8_S8_@rel32@lo+4
	s_addc_u32 s1, s1, _ZZZZN2at6native31launch_logcumsumexp_cuda_kernelERKNS_10TensorBaseES3_lENKUlvE_clEvENKUlvE1_clEvENKUlN3c107complexIdEES8_E_clES8_S8_@rel32@hi+12
	v_mov_b32_e32 v4, v44
	v_mov_b32_e32 v5, v45
	;; [unrolled: 1-line block ×4, first 2 shown]
	s_swappc_b64 s[30:31], s[0:1]
	v_mov_b32_e32 v44, v0
	v_mov_b32_e32 v45, v1
	;; [unrolled: 1-line block ×4, first 2 shown]
.LBB212_32:
	s_or_b64 exec, exec, s[58:59]
	v_or_b32_e32 v0, 63, v56
	v_lshrrev_b32_e32 v132, 6, v56
	v_cmp_eq_u32_e32 vcc, v56, v0
	s_and_saveexec_b64 s[0:1], vcc
; %bb.33:
	v_lshlrev_b32_e32 v0, 4, v132
	ds_write_b128 v0, v[44:47]
; %bb.34:
	s_or_b64 exec, exec, s[0:1]
	v_cmp_gt_u32_e32 vcc, 2, v56
	s_waitcnt lgkmcnt(0)
	s_barrier
	s_and_saveexec_b64 s[58:59], vcc
	s_cbranch_execz .LBB212_38
; %bb.35:
	ds_read_b128 v[4:7], v130
	v_and_b32_e32 v8, 1, v57
	v_cmp_eq_u32_e32 vcc, 1, v8
	s_waitcnt lgkmcnt(0)
	v_mov_b32_dpp v0, v4 row_shr:1 row_mask:0xf bank_mask:0xf
	v_mov_b32_dpp v1, v5 row_shr:1 row_mask:0xf bank_mask:0xf
	v_mov_b32_dpp v2, v6 row_shr:1 row_mask:0xf bank_mask:0xf
	v_mov_b32_dpp v3, v7 row_shr:1 row_mask:0xf bank_mask:0xf
	s_and_saveexec_b64 s[60:61], vcc
	s_cbranch_execz .LBB212_37
; %bb.36:
	s_getpc_b64 s[0:1]
	s_add_u32 s0, s0, _ZZZZN2at6native31launch_logcumsumexp_cuda_kernelERKNS_10TensorBaseES3_lENKUlvE_clEvENKUlvE1_clEvENKUlN3c107complexIdEES8_E_clES8_S8_@rel32@lo+4
	s_addc_u32 s1, s1, _ZZZZN2at6native31launch_logcumsumexp_cuda_kernelERKNS_10TensorBaseES3_lENKUlvE_clEvENKUlvE1_clEvENKUlN3c107complexIdEES8_E_clES8_S8_@rel32@hi+12
	s_swappc_b64 s[30:31], s[0:1]
	v_mov_b32_e32 v4, v0
	v_mov_b32_e32 v5, v1
	;; [unrolled: 1-line block ×4, first 2 shown]
.LBB212_37:
	s_or_b64 exec, exec, s[60:61]
	ds_write_b128 v130, v[4:7]
.LBB212_38:
	s_or_b64 exec, exec, s[58:59]
	s_load_dwordx2 s[56:57], s[56:57], 0x28
	v_mul_u32_u24_e32 v131, 0x90, v56
	v_cmp_lt_u32_e32 vcc, 63, v56
	v_mov_b64_e32 v[54:55], 0
	v_mov_b64_e32 v[52:53], 0
	s_waitcnt lgkmcnt(0)
	s_barrier
	s_and_saveexec_b64 s[58:59], vcc
	s_cbranch_execz .LBB212_40
; %bb.39:
	v_lshl_add_u32 v0, v132, 4, -16
	ds_read_b128 v[52:55], v0
	s_getpc_b64 s[0:1]
	s_add_u32 s0, s0, _ZZZZN2at6native31launch_logcumsumexp_cuda_kernelERKNS_10TensorBaseES3_lENKUlvE_clEvENKUlvE1_clEvENKUlN3c107complexIdEES8_E_clES8_S8_@rel32@lo+4
	s_addc_u32 s1, s1, _ZZZZN2at6native31launch_logcumsumexp_cuda_kernelERKNS_10TensorBaseES3_lENKUlvE_clEvENKUlvE1_clEvENKUlN3c107complexIdEES8_E_clES8_S8_@rel32@hi+12
	v_mov_b32_e32 v4, v44
	v_mov_b32_e32 v5, v45
	;; [unrolled: 1-line block ×3, first 2 shown]
	s_waitcnt lgkmcnt(0)
	v_mov_b32_e32 v0, v52
	v_mov_b32_e32 v1, v53
	;; [unrolled: 1-line block ×5, first 2 shown]
	s_swappc_b64 s[30:31], s[0:1]
	v_mov_b32_e32 v44, v0
	v_mov_b32_e32 v45, v1
	;; [unrolled: 1-line block ×4, first 2 shown]
.LBB212_40:
	s_or_b64 exec, exec, s[58:59]
	v_add_u32_e32 v0, -1, v57
	v_and_b32_e32 v1, 64, v57
	v_cmp_lt_i32_e32 vcc, v0, v1
	s_nop 1
	v_cndmask_b32_e32 v0, v0, v57, vcc
	v_lshlrev_b32_e32 v3, 2, v0
	ds_bpermute_b32 v0, v3, v44
	ds_bpermute_b32 v1, v3, v45
	;; [unrolled: 1-line block ×4, first 2 shown]
	v_cmp_ne_u32_e32 vcc, 0, v56
	s_and_saveexec_b64 s[58:59], vcc
	s_cbranch_execz .LBB212_42
; %bb.41:
	v_cmp_eq_u32_e32 vcc, 0, v57
	s_getpc_b64 s[60:61]
	s_add_u32 s60, s60, _ZZZZN2at6native31launch_logcumsumexp_cuda_kernelERKNS_10TensorBaseES3_lENKUlvE_clEvENKUlvE1_clEvENKUlN3c107complexIdEES8_E_clES8_S8_@rel32@lo+4
	s_addc_u32 s61, s61, _ZZZZN2at6native31launch_logcumsumexp_cuda_kernelERKNS_10TensorBaseES3_lENKUlvE_clEvENKUlvE1_clEvENKUlN3c107complexIdEES8_E_clES8_S8_@rel32@hi+12
	s_waitcnt lgkmcnt(3)
	v_cndmask_b32_e32 v0, v0, v52, vcc
	s_waitcnt lgkmcnt(2)
	v_cndmask_b32_e32 v1, v1, v53, vcc
	;; [unrolled: 2-line block ×4, first 2 shown]
	v_mov_b32_e32 v4, v58
	v_mov_b32_e32 v5, v59
	v_mov_b32_e32 v6, v60
	v_mov_b32_e32 v7, v61
	s_swappc_b64 s[30:31], s[60:61]
	v_mov_b32_e32 v4, v110
	v_mov_b32_e32 v5, v111
	v_mov_b32_e32 v6, v112
	v_mov_b32_e32 v7, v113
	v_mov_b32_e32 v58, v0
	v_mov_b32_e32 v59, v1
	v_mov_b32_e32 v60, v2
	v_mov_b32_e32 v61, v3
	;;#ASMSTART
	;;#ASMEND
	s_swappc_b64 s[30:31], s[60:61]
	v_mov_b32_e32 v4, v106
	v_mov_b32_e32 v5, v107
	v_mov_b32_e32 v6, v108
	v_mov_b32_e32 v7, v109
	v_mov_b32_e32 v66, v0
	v_mov_b32_e32 v67, v1
	v_mov_b32_e32 v68, v2
	v_mov_b32_e32 v69, v3
	s_swappc_b64 s[30:31], s[60:61]
	v_mov_b32_e32 v4, v98
	v_mov_b32_e32 v5, v99
	v_mov_b32_e32 v6, v100
	v_mov_b32_e32 v7, v101
	v_mov_b32_e32 v78, v0
	v_mov_b32_e32 v79, v1
	v_mov_b32_e32 v80, v2
	v_mov_b32_e32 v81, v3
	;; [unrolled: 9-line block ×8, first 2 shown]
	s_swappc_b64 s[30:31], s[60:61]
	v_mov_b32_e32 v40, v0
	v_mov_b32_e32 v41, v1
	;; [unrolled: 1-line block ×4, first 2 shown]
.LBB212_42:
	s_or_b64 exec, exec, s[58:59]
	s_waitcnt lgkmcnt(3)
	v_add_u32_e32 v0, v130, v131
	s_waitcnt lgkmcnt(0)
	s_barrier
	ds_write_b128 v0, v[58:61]
	ds_write_b128 v0, v[66:69] offset:16
	ds_write_b128 v0, v[78:81] offset:32
	;; [unrolled: 1-line block ×9, first 2 shown]
	s_waitcnt lgkmcnt(0)
	s_barrier
	ds_read_b128 v[32:35], v130 offset:2048
	ds_read_b128 v[28:31], v130 offset:4096
	;; [unrolled: 1-line block ×9, first 2 shown]
	v_mov_b32_e32 v131, 0
	v_lshl_add_u64 v[36:37], s[56:57], 0, v[130:131]
	s_and_saveexec_b64 s[0:1], s[34:35]
	s_cbranch_execnz .LBB212_53
; %bb.43:
	s_or_b64 exec, exec, s[0:1]
	s_and_saveexec_b64 s[0:1], s[36:37]
	s_cbranch_execnz .LBB212_54
.LBB212_44:
	s_or_b64 exec, exec, s[0:1]
	s_and_saveexec_b64 s[0:1], s[38:39]
	s_cbranch_execnz .LBB212_55
.LBB212_45:
	s_or_b64 exec, exec, s[0:1]
	s_and_saveexec_b64 s[0:1], s[42:43]
	s_cbranch_execnz .LBB212_56
.LBB212_46:
	s_or_b64 exec, exec, s[0:1]
	s_and_saveexec_b64 s[0:1], s[44:45]
	s_cbranch_execnz .LBB212_57
.LBB212_47:
	s_or_b64 exec, exec, s[0:1]
	s_and_saveexec_b64 s[0:1], s[46:47]
	s_cbranch_execnz .LBB212_58
.LBB212_48:
	s_or_b64 exec, exec, s[0:1]
	s_and_saveexec_b64 s[0:1], s[48:49]
	s_cbranch_execnz .LBB212_59
.LBB212_49:
	s_or_b64 exec, exec, s[0:1]
	s_and_saveexec_b64 s[0:1], s[50:51]
	s_cbranch_execnz .LBB212_60
.LBB212_50:
	s_or_b64 exec, exec, s[0:1]
	s_and_saveexec_b64 s[0:1], s[52:53]
	s_cbranch_execnz .LBB212_61
.LBB212_51:
	s_or_b64 exec, exec, s[0:1]
	s_and_saveexec_b64 s[0:1], s[54:55]
	s_cbranch_execnz .LBB212_62
.LBB212_52:
	s_endpgm
.LBB212_53:
	ds_read_b128 v[38:41], v130
	s_waitcnt lgkmcnt(0)
	global_store_dwordx4 v[36:37], v[38:41], off
	s_or_b64 exec, exec, s[0:1]
	s_and_saveexec_b64 s[0:1], s[36:37]
	s_cbranch_execz .LBB212_44
.LBB212_54:
	s_waitcnt lgkmcnt(8)
	global_store_dwordx4 v[36:37], v[32:35], off offset:2048
	s_or_b64 exec, exec, s[0:1]
	s_and_saveexec_b64 s[0:1], s[38:39]
	s_cbranch_execz .LBB212_45
.LBB212_55:
	s_waitcnt lgkmcnt(8)
	v_add_co_u32_e32 v32, vcc, 0x1000, v36
	s_nop 1
	v_addc_co_u32_e32 v33, vcc, 0, v37, vcc
	s_waitcnt lgkmcnt(7)
	global_store_dwordx4 v[32:33], v[28:31], off
	s_or_b64 exec, exec, s[0:1]
	s_and_saveexec_b64 s[0:1], s[42:43]
	s_cbranch_execz .LBB212_46
.LBB212_56:
	s_waitcnt lgkmcnt(7)
	v_add_co_u32_e32 v28, vcc, 0x1000, v36
	s_nop 1
	v_addc_co_u32_e32 v29, vcc, 0, v37, vcc
	s_waitcnt lgkmcnt(6)
	global_store_dwordx4 v[28:29], v[24:27], off offset:2048
	s_or_b64 exec, exec, s[0:1]
	s_and_saveexec_b64 s[0:1], s[44:45]
	s_cbranch_execz .LBB212_47
.LBB212_57:
	s_waitcnt lgkmcnt(6)
	v_add_co_u32_e32 v24, vcc, 0x2000, v36
	s_nop 1
	v_addc_co_u32_e32 v25, vcc, 0, v37, vcc
	s_waitcnt lgkmcnt(5)
	global_store_dwordx4 v[24:25], v[20:23], off
	s_or_b64 exec, exec, s[0:1]
	s_and_saveexec_b64 s[0:1], s[46:47]
	s_cbranch_execz .LBB212_48
.LBB212_58:
	s_waitcnt lgkmcnt(5)
	v_add_co_u32_e32 v20, vcc, 0x2000, v36
	s_nop 1
	v_addc_co_u32_e32 v21, vcc, 0, v37, vcc
	s_waitcnt lgkmcnt(4)
	global_store_dwordx4 v[20:21], v[16:19], off offset:2048
	s_or_b64 exec, exec, s[0:1]
	s_and_saveexec_b64 s[0:1], s[48:49]
	s_cbranch_execz .LBB212_49
.LBB212_59:
	s_waitcnt lgkmcnt(4)
	v_add_co_u32_e32 v16, vcc, 0x3000, v36
	s_nop 1
	v_addc_co_u32_e32 v17, vcc, 0, v37, vcc
	s_waitcnt lgkmcnt(3)
	global_store_dwordx4 v[16:17], v[12:15], off
	s_or_b64 exec, exec, s[0:1]
	s_and_saveexec_b64 s[0:1], s[50:51]
	s_cbranch_execz .LBB212_50
.LBB212_60:
	s_waitcnt lgkmcnt(3)
	v_add_co_u32_e32 v12, vcc, 0x3000, v36
	s_nop 1
	v_addc_co_u32_e32 v13, vcc, 0, v37, vcc
	s_waitcnt lgkmcnt(2)
	global_store_dwordx4 v[12:13], v[8:11], off offset:2048
	s_or_b64 exec, exec, s[0:1]
	s_and_saveexec_b64 s[0:1], s[52:53]
	s_cbranch_execz .LBB212_51
.LBB212_61:
	s_waitcnt lgkmcnt(2)
	v_add_co_u32_e32 v8, vcc, 0x4000, v36
	s_nop 1
	v_addc_co_u32_e32 v9, vcc, 0, v37, vcc
	s_waitcnt lgkmcnt(1)
	global_store_dwordx4 v[8:9], v[4:7], off
	s_or_b64 exec, exec, s[0:1]
	s_and_saveexec_b64 s[0:1], s[54:55]
	s_cbranch_execz .LBB212_52
.LBB212_62:
	s_waitcnt lgkmcnt(1)
	v_add_co_u32_e32 v4, vcc, 0x4000, v36
	s_nop 1
	v_addc_co_u32_e32 v5, vcc, 0, v37, vcc
	s_waitcnt lgkmcnt(0)
	global_store_dwordx4 v[4:5], v[0:3], off offset:2048
	s_endpgm
	.section	.rodata,"a",@progbits
	.p2align	6, 0x0
	.amdhsa_kernel _ZN7rocprim17ROCPRIM_400000_NS6detail17trampoline_kernelINS0_14default_configENS1_20scan_config_selectorIN3c107complexIdEEEEZZNS1_9scan_implILNS1_25lookback_scan_determinismE0ELb0ELb0ES3_PKS7_PS7_S7_ZZZN2at6native31launch_logcumsumexp_cuda_kernelERKNSE_10TensorBaseESI_lENKUlvE_clEvENKUlvE1_clEvEUlS7_S7_E_S7_EEDaPvRmT3_T4_T5_mT6_P12ihipStream_tbENKUlT_T0_E_clISt17integral_constantIbLb1EESZ_EEDaSU_SV_EUlSU_E0_NS1_11comp_targetILNS1_3genE0ELNS1_11target_archE4294967295ELNS1_3gpuE0ELNS1_3repE0EEENS1_30default_config_static_selectorELNS0_4arch9wavefront6targetE1EEEvT1_
		.amdhsa_group_segment_fixed_size 20480
		.amdhsa_private_segment_fixed_size 0
		.amdhsa_kernarg_size 48
		.amdhsa_user_sgpr_count 2
		.amdhsa_user_sgpr_dispatch_ptr 0
		.amdhsa_user_sgpr_queue_ptr 0
		.amdhsa_user_sgpr_kernarg_segment_ptr 1
		.amdhsa_user_sgpr_dispatch_id 0
		.amdhsa_user_sgpr_kernarg_preload_length 0
		.amdhsa_user_sgpr_kernarg_preload_offset 0
		.amdhsa_user_sgpr_private_segment_size 0
		.amdhsa_uses_dynamic_stack 0
		.amdhsa_enable_private_segment 0
		.amdhsa_system_sgpr_workgroup_id_x 1
		.amdhsa_system_sgpr_workgroup_id_y 0
		.amdhsa_system_sgpr_workgroup_id_z 0
		.amdhsa_system_sgpr_workgroup_info 0
		.amdhsa_system_vgpr_workitem_id 0
		.amdhsa_next_free_vgpr 133
		.amdhsa_next_free_sgpr 96
		.amdhsa_accum_offset 136
		.amdhsa_reserve_vcc 1
		.amdhsa_float_round_mode_32 0
		.amdhsa_float_round_mode_16_64 0
		.amdhsa_float_denorm_mode_32 3
		.amdhsa_float_denorm_mode_16_64 3
		.amdhsa_dx10_clamp 1
		.amdhsa_ieee_mode 1
		.amdhsa_fp16_overflow 0
		.amdhsa_tg_split 0
		.amdhsa_exception_fp_ieee_invalid_op 0
		.amdhsa_exception_fp_denorm_src 0
		.amdhsa_exception_fp_ieee_div_zero 0
		.amdhsa_exception_fp_ieee_overflow 0
		.amdhsa_exception_fp_ieee_underflow 0
		.amdhsa_exception_fp_ieee_inexact 0
		.amdhsa_exception_int_div_zero 0
	.end_amdhsa_kernel
	.section	.text._ZN7rocprim17ROCPRIM_400000_NS6detail17trampoline_kernelINS0_14default_configENS1_20scan_config_selectorIN3c107complexIdEEEEZZNS1_9scan_implILNS1_25lookback_scan_determinismE0ELb0ELb0ES3_PKS7_PS7_S7_ZZZN2at6native31launch_logcumsumexp_cuda_kernelERKNSE_10TensorBaseESI_lENKUlvE_clEvENKUlvE1_clEvEUlS7_S7_E_S7_EEDaPvRmT3_T4_T5_mT6_P12ihipStream_tbENKUlT_T0_E_clISt17integral_constantIbLb1EESZ_EEDaSU_SV_EUlSU_E0_NS1_11comp_targetILNS1_3genE0ELNS1_11target_archE4294967295ELNS1_3gpuE0ELNS1_3repE0EEENS1_30default_config_static_selectorELNS0_4arch9wavefront6targetE1EEEvT1_,"axG",@progbits,_ZN7rocprim17ROCPRIM_400000_NS6detail17trampoline_kernelINS0_14default_configENS1_20scan_config_selectorIN3c107complexIdEEEEZZNS1_9scan_implILNS1_25lookback_scan_determinismE0ELb0ELb0ES3_PKS7_PS7_S7_ZZZN2at6native31launch_logcumsumexp_cuda_kernelERKNSE_10TensorBaseESI_lENKUlvE_clEvENKUlvE1_clEvEUlS7_S7_E_S7_EEDaPvRmT3_T4_T5_mT6_P12ihipStream_tbENKUlT_T0_E_clISt17integral_constantIbLb1EESZ_EEDaSU_SV_EUlSU_E0_NS1_11comp_targetILNS1_3genE0ELNS1_11target_archE4294967295ELNS1_3gpuE0ELNS1_3repE0EEENS1_30default_config_static_selectorELNS0_4arch9wavefront6targetE1EEEvT1_,comdat
.Lfunc_end212:
	.size	_ZN7rocprim17ROCPRIM_400000_NS6detail17trampoline_kernelINS0_14default_configENS1_20scan_config_selectorIN3c107complexIdEEEEZZNS1_9scan_implILNS1_25lookback_scan_determinismE0ELb0ELb0ES3_PKS7_PS7_S7_ZZZN2at6native31launch_logcumsumexp_cuda_kernelERKNSE_10TensorBaseESI_lENKUlvE_clEvENKUlvE1_clEvEUlS7_S7_E_S7_EEDaPvRmT3_T4_T5_mT6_P12ihipStream_tbENKUlT_T0_E_clISt17integral_constantIbLb1EESZ_EEDaSU_SV_EUlSU_E0_NS1_11comp_targetILNS1_3genE0ELNS1_11target_archE4294967295ELNS1_3gpuE0ELNS1_3repE0EEENS1_30default_config_static_selectorELNS0_4arch9wavefront6targetE1EEEvT1_, .Lfunc_end212-_ZN7rocprim17ROCPRIM_400000_NS6detail17trampoline_kernelINS0_14default_configENS1_20scan_config_selectorIN3c107complexIdEEEEZZNS1_9scan_implILNS1_25lookback_scan_determinismE0ELb0ELb0ES3_PKS7_PS7_S7_ZZZN2at6native31launch_logcumsumexp_cuda_kernelERKNSE_10TensorBaseESI_lENKUlvE_clEvENKUlvE1_clEvEUlS7_S7_E_S7_EEDaPvRmT3_T4_T5_mT6_P12ihipStream_tbENKUlT_T0_E_clISt17integral_constantIbLb1EESZ_EEDaSU_SV_EUlSU_E0_NS1_11comp_targetILNS1_3genE0ELNS1_11target_archE4294967295ELNS1_3gpuE0ELNS1_3repE0EEENS1_30default_config_static_selectorELNS0_4arch9wavefront6targetE1EEEvT1_
                                        ; -- End function
	.set _ZN7rocprim17ROCPRIM_400000_NS6detail17trampoline_kernelINS0_14default_configENS1_20scan_config_selectorIN3c107complexIdEEEEZZNS1_9scan_implILNS1_25lookback_scan_determinismE0ELb0ELb0ES3_PKS7_PS7_S7_ZZZN2at6native31launch_logcumsumexp_cuda_kernelERKNSE_10TensorBaseESI_lENKUlvE_clEvENKUlvE1_clEvEUlS7_S7_E_S7_EEDaPvRmT3_T4_T5_mT6_P12ihipStream_tbENKUlT_T0_E_clISt17integral_constantIbLb1EESZ_EEDaSU_SV_EUlSU_E0_NS1_11comp_targetILNS1_3genE0ELNS1_11target_archE4294967295ELNS1_3gpuE0ELNS1_3repE0EEENS1_30default_config_static_selectorELNS0_4arch9wavefront6targetE1EEEvT1_.num_vgpr, max(133, .L_ZZZZN2at6native31launch_logcumsumexp_cuda_kernelERKNS_10TensorBaseES3_lENKUlvE_clEvENKUlvE1_clEvENKUlN3c107complexIdEES8_E_clES8_S8_.num_vgpr)
	.set _ZN7rocprim17ROCPRIM_400000_NS6detail17trampoline_kernelINS0_14default_configENS1_20scan_config_selectorIN3c107complexIdEEEEZZNS1_9scan_implILNS1_25lookback_scan_determinismE0ELb0ELb0ES3_PKS7_PS7_S7_ZZZN2at6native31launch_logcumsumexp_cuda_kernelERKNSE_10TensorBaseESI_lENKUlvE_clEvENKUlvE1_clEvEUlS7_S7_E_S7_EEDaPvRmT3_T4_T5_mT6_P12ihipStream_tbENKUlT_T0_E_clISt17integral_constantIbLb1EESZ_EEDaSU_SV_EUlSU_E0_NS1_11comp_targetILNS1_3genE0ELNS1_11target_archE4294967295ELNS1_3gpuE0ELNS1_3repE0EEENS1_30default_config_static_selectorELNS0_4arch9wavefront6targetE1EEEvT1_.num_agpr, max(0, .L_ZZZZN2at6native31launch_logcumsumexp_cuda_kernelERKNS_10TensorBaseES3_lENKUlvE_clEvENKUlvE1_clEvENKUlN3c107complexIdEES8_E_clES8_S8_.num_agpr)
	.set _ZN7rocprim17ROCPRIM_400000_NS6detail17trampoline_kernelINS0_14default_configENS1_20scan_config_selectorIN3c107complexIdEEEEZZNS1_9scan_implILNS1_25lookback_scan_determinismE0ELb0ELb0ES3_PKS7_PS7_S7_ZZZN2at6native31launch_logcumsumexp_cuda_kernelERKNSE_10TensorBaseESI_lENKUlvE_clEvENKUlvE1_clEvEUlS7_S7_E_S7_EEDaPvRmT3_T4_T5_mT6_P12ihipStream_tbENKUlT_T0_E_clISt17integral_constantIbLb1EESZ_EEDaSU_SV_EUlSU_E0_NS1_11comp_targetILNS1_3genE0ELNS1_11target_archE4294967295ELNS1_3gpuE0ELNS1_3repE0EEENS1_30default_config_static_selectorELNS0_4arch9wavefront6targetE1EEEvT1_.numbered_sgpr, max(62, .L_ZZZZN2at6native31launch_logcumsumexp_cuda_kernelERKNS_10TensorBaseES3_lENKUlvE_clEvENKUlvE1_clEvENKUlN3c107complexIdEES8_E_clES8_S8_.numbered_sgpr)
	.set _ZN7rocprim17ROCPRIM_400000_NS6detail17trampoline_kernelINS0_14default_configENS1_20scan_config_selectorIN3c107complexIdEEEEZZNS1_9scan_implILNS1_25lookback_scan_determinismE0ELb0ELb0ES3_PKS7_PS7_S7_ZZZN2at6native31launch_logcumsumexp_cuda_kernelERKNSE_10TensorBaseESI_lENKUlvE_clEvENKUlvE1_clEvEUlS7_S7_E_S7_EEDaPvRmT3_T4_T5_mT6_P12ihipStream_tbENKUlT_T0_E_clISt17integral_constantIbLb1EESZ_EEDaSU_SV_EUlSU_E0_NS1_11comp_targetILNS1_3genE0ELNS1_11target_archE4294967295ELNS1_3gpuE0ELNS1_3repE0EEENS1_30default_config_static_selectorELNS0_4arch9wavefront6targetE1EEEvT1_.num_named_barrier, max(0, .L_ZZZZN2at6native31launch_logcumsumexp_cuda_kernelERKNS_10TensorBaseES3_lENKUlvE_clEvENKUlvE1_clEvENKUlN3c107complexIdEES8_E_clES8_S8_.num_named_barrier)
	.set _ZN7rocprim17ROCPRIM_400000_NS6detail17trampoline_kernelINS0_14default_configENS1_20scan_config_selectorIN3c107complexIdEEEEZZNS1_9scan_implILNS1_25lookback_scan_determinismE0ELb0ELb0ES3_PKS7_PS7_S7_ZZZN2at6native31launch_logcumsumexp_cuda_kernelERKNSE_10TensorBaseESI_lENKUlvE_clEvENKUlvE1_clEvEUlS7_S7_E_S7_EEDaPvRmT3_T4_T5_mT6_P12ihipStream_tbENKUlT_T0_E_clISt17integral_constantIbLb1EESZ_EEDaSU_SV_EUlSU_E0_NS1_11comp_targetILNS1_3genE0ELNS1_11target_archE4294967295ELNS1_3gpuE0ELNS1_3repE0EEENS1_30default_config_static_selectorELNS0_4arch9wavefront6targetE1EEEvT1_.private_seg_size, 0+max(.L_ZZZZN2at6native31launch_logcumsumexp_cuda_kernelERKNS_10TensorBaseES3_lENKUlvE_clEvENKUlvE1_clEvENKUlN3c107complexIdEES8_E_clES8_S8_.private_seg_size)
	.set _ZN7rocprim17ROCPRIM_400000_NS6detail17trampoline_kernelINS0_14default_configENS1_20scan_config_selectorIN3c107complexIdEEEEZZNS1_9scan_implILNS1_25lookback_scan_determinismE0ELb0ELb0ES3_PKS7_PS7_S7_ZZZN2at6native31launch_logcumsumexp_cuda_kernelERKNSE_10TensorBaseESI_lENKUlvE_clEvENKUlvE1_clEvEUlS7_S7_E_S7_EEDaPvRmT3_T4_T5_mT6_P12ihipStream_tbENKUlT_T0_E_clISt17integral_constantIbLb1EESZ_EEDaSU_SV_EUlSU_E0_NS1_11comp_targetILNS1_3genE0ELNS1_11target_archE4294967295ELNS1_3gpuE0ELNS1_3repE0EEENS1_30default_config_static_selectorELNS0_4arch9wavefront6targetE1EEEvT1_.uses_vcc, or(1, .L_ZZZZN2at6native31launch_logcumsumexp_cuda_kernelERKNS_10TensorBaseES3_lENKUlvE_clEvENKUlvE1_clEvENKUlN3c107complexIdEES8_E_clES8_S8_.uses_vcc)
	.set _ZN7rocprim17ROCPRIM_400000_NS6detail17trampoline_kernelINS0_14default_configENS1_20scan_config_selectorIN3c107complexIdEEEEZZNS1_9scan_implILNS1_25lookback_scan_determinismE0ELb0ELb0ES3_PKS7_PS7_S7_ZZZN2at6native31launch_logcumsumexp_cuda_kernelERKNSE_10TensorBaseESI_lENKUlvE_clEvENKUlvE1_clEvEUlS7_S7_E_S7_EEDaPvRmT3_T4_T5_mT6_P12ihipStream_tbENKUlT_T0_E_clISt17integral_constantIbLb1EESZ_EEDaSU_SV_EUlSU_E0_NS1_11comp_targetILNS1_3genE0ELNS1_11target_archE4294967295ELNS1_3gpuE0ELNS1_3repE0EEENS1_30default_config_static_selectorELNS0_4arch9wavefront6targetE1EEEvT1_.uses_flat_scratch, or(0, .L_ZZZZN2at6native31launch_logcumsumexp_cuda_kernelERKNS_10TensorBaseES3_lENKUlvE_clEvENKUlvE1_clEvENKUlN3c107complexIdEES8_E_clES8_S8_.uses_flat_scratch)
	.set _ZN7rocprim17ROCPRIM_400000_NS6detail17trampoline_kernelINS0_14default_configENS1_20scan_config_selectorIN3c107complexIdEEEEZZNS1_9scan_implILNS1_25lookback_scan_determinismE0ELb0ELb0ES3_PKS7_PS7_S7_ZZZN2at6native31launch_logcumsumexp_cuda_kernelERKNSE_10TensorBaseESI_lENKUlvE_clEvENKUlvE1_clEvEUlS7_S7_E_S7_EEDaPvRmT3_T4_T5_mT6_P12ihipStream_tbENKUlT_T0_E_clISt17integral_constantIbLb1EESZ_EEDaSU_SV_EUlSU_E0_NS1_11comp_targetILNS1_3genE0ELNS1_11target_archE4294967295ELNS1_3gpuE0ELNS1_3repE0EEENS1_30default_config_static_selectorELNS0_4arch9wavefront6targetE1EEEvT1_.has_dyn_sized_stack, or(0, .L_ZZZZN2at6native31launch_logcumsumexp_cuda_kernelERKNS_10TensorBaseES3_lENKUlvE_clEvENKUlvE1_clEvENKUlN3c107complexIdEES8_E_clES8_S8_.has_dyn_sized_stack)
	.set _ZN7rocprim17ROCPRIM_400000_NS6detail17trampoline_kernelINS0_14default_configENS1_20scan_config_selectorIN3c107complexIdEEEEZZNS1_9scan_implILNS1_25lookback_scan_determinismE0ELb0ELb0ES3_PKS7_PS7_S7_ZZZN2at6native31launch_logcumsumexp_cuda_kernelERKNSE_10TensorBaseESI_lENKUlvE_clEvENKUlvE1_clEvEUlS7_S7_E_S7_EEDaPvRmT3_T4_T5_mT6_P12ihipStream_tbENKUlT_T0_E_clISt17integral_constantIbLb1EESZ_EEDaSU_SV_EUlSU_E0_NS1_11comp_targetILNS1_3genE0ELNS1_11target_archE4294967295ELNS1_3gpuE0ELNS1_3repE0EEENS1_30default_config_static_selectorELNS0_4arch9wavefront6targetE1EEEvT1_.has_recursion, or(0, .L_ZZZZN2at6native31launch_logcumsumexp_cuda_kernelERKNS_10TensorBaseES3_lENKUlvE_clEvENKUlvE1_clEvENKUlN3c107complexIdEES8_E_clES8_S8_.has_recursion)
	.set _ZN7rocprim17ROCPRIM_400000_NS6detail17trampoline_kernelINS0_14default_configENS1_20scan_config_selectorIN3c107complexIdEEEEZZNS1_9scan_implILNS1_25lookback_scan_determinismE0ELb0ELb0ES3_PKS7_PS7_S7_ZZZN2at6native31launch_logcumsumexp_cuda_kernelERKNSE_10TensorBaseESI_lENKUlvE_clEvENKUlvE1_clEvEUlS7_S7_E_S7_EEDaPvRmT3_T4_T5_mT6_P12ihipStream_tbENKUlT_T0_E_clISt17integral_constantIbLb1EESZ_EEDaSU_SV_EUlSU_E0_NS1_11comp_targetILNS1_3genE0ELNS1_11target_archE4294967295ELNS1_3gpuE0ELNS1_3repE0EEENS1_30default_config_static_selectorELNS0_4arch9wavefront6targetE1EEEvT1_.has_indirect_call, or(0, .L_ZZZZN2at6native31launch_logcumsumexp_cuda_kernelERKNS_10TensorBaseES3_lENKUlvE_clEvENKUlvE1_clEvENKUlN3c107complexIdEES8_E_clES8_S8_.has_indirect_call)
	.section	.AMDGPU.csdata,"",@progbits
; Kernel info:
; codeLenInByte = 3264
; TotalNumSgprs: 68
; NumVgprs: 133
; NumAgprs: 0
; TotalNumVgprs: 133
; ScratchSize: 0
; MemoryBound: 1
; FloatMode: 240
; IeeeMode: 1
; LDSByteSize: 20480 bytes/workgroup (compile time only)
; SGPRBlocks: 12
; VGPRBlocks: 16
; NumSGPRsForWavesPerEU: 102
; NumVGPRsForWavesPerEU: 133
; AccumOffset: 136
; Occupancy: 3
; WaveLimiterHint : 0
; COMPUTE_PGM_RSRC2:SCRATCH_EN: 0
; COMPUTE_PGM_RSRC2:USER_SGPR: 2
; COMPUTE_PGM_RSRC2:TRAP_HANDLER: 0
; COMPUTE_PGM_RSRC2:TGID_X_EN: 1
; COMPUTE_PGM_RSRC2:TGID_Y_EN: 0
; COMPUTE_PGM_RSRC2:TGID_Z_EN: 0
; COMPUTE_PGM_RSRC2:TIDIG_COMP_CNT: 0
; COMPUTE_PGM_RSRC3_GFX90A:ACCUM_OFFSET: 33
; COMPUTE_PGM_RSRC3_GFX90A:TG_SPLIT: 0
	.section	.text._ZN7rocprim17ROCPRIM_400000_NS6detail17trampoline_kernelINS0_14default_configENS1_20scan_config_selectorIN3c107complexIdEEEEZZNS1_9scan_implILNS1_25lookback_scan_determinismE0ELb0ELb0ES3_PKS7_PS7_S7_ZZZN2at6native31launch_logcumsumexp_cuda_kernelERKNSE_10TensorBaseESI_lENKUlvE_clEvENKUlvE1_clEvEUlS7_S7_E_S7_EEDaPvRmT3_T4_T5_mT6_P12ihipStream_tbENKUlT_T0_E_clISt17integral_constantIbLb1EESZ_EEDaSU_SV_EUlSU_E0_NS1_11comp_targetILNS1_3genE5ELNS1_11target_archE942ELNS1_3gpuE9ELNS1_3repE0EEENS1_30default_config_static_selectorELNS0_4arch9wavefront6targetE1EEEvT1_,"axG",@progbits,_ZN7rocprim17ROCPRIM_400000_NS6detail17trampoline_kernelINS0_14default_configENS1_20scan_config_selectorIN3c107complexIdEEEEZZNS1_9scan_implILNS1_25lookback_scan_determinismE0ELb0ELb0ES3_PKS7_PS7_S7_ZZZN2at6native31launch_logcumsumexp_cuda_kernelERKNSE_10TensorBaseESI_lENKUlvE_clEvENKUlvE1_clEvEUlS7_S7_E_S7_EEDaPvRmT3_T4_T5_mT6_P12ihipStream_tbENKUlT_T0_E_clISt17integral_constantIbLb1EESZ_EEDaSU_SV_EUlSU_E0_NS1_11comp_targetILNS1_3genE5ELNS1_11target_archE942ELNS1_3gpuE9ELNS1_3repE0EEENS1_30default_config_static_selectorELNS0_4arch9wavefront6targetE1EEEvT1_,comdat
	.globl	_ZN7rocprim17ROCPRIM_400000_NS6detail17trampoline_kernelINS0_14default_configENS1_20scan_config_selectorIN3c107complexIdEEEEZZNS1_9scan_implILNS1_25lookback_scan_determinismE0ELb0ELb0ES3_PKS7_PS7_S7_ZZZN2at6native31launch_logcumsumexp_cuda_kernelERKNSE_10TensorBaseESI_lENKUlvE_clEvENKUlvE1_clEvEUlS7_S7_E_S7_EEDaPvRmT3_T4_T5_mT6_P12ihipStream_tbENKUlT_T0_E_clISt17integral_constantIbLb1EESZ_EEDaSU_SV_EUlSU_E0_NS1_11comp_targetILNS1_3genE5ELNS1_11target_archE942ELNS1_3gpuE9ELNS1_3repE0EEENS1_30default_config_static_selectorELNS0_4arch9wavefront6targetE1EEEvT1_ ; -- Begin function _ZN7rocprim17ROCPRIM_400000_NS6detail17trampoline_kernelINS0_14default_configENS1_20scan_config_selectorIN3c107complexIdEEEEZZNS1_9scan_implILNS1_25lookback_scan_determinismE0ELb0ELb0ES3_PKS7_PS7_S7_ZZZN2at6native31launch_logcumsumexp_cuda_kernelERKNSE_10TensorBaseESI_lENKUlvE_clEvENKUlvE1_clEvEUlS7_S7_E_S7_EEDaPvRmT3_T4_T5_mT6_P12ihipStream_tbENKUlT_T0_E_clISt17integral_constantIbLb1EESZ_EEDaSU_SV_EUlSU_E0_NS1_11comp_targetILNS1_3genE5ELNS1_11target_archE942ELNS1_3gpuE9ELNS1_3repE0EEENS1_30default_config_static_selectorELNS0_4arch9wavefront6targetE1EEEvT1_
	.p2align	8
	.type	_ZN7rocprim17ROCPRIM_400000_NS6detail17trampoline_kernelINS0_14default_configENS1_20scan_config_selectorIN3c107complexIdEEEEZZNS1_9scan_implILNS1_25lookback_scan_determinismE0ELb0ELb0ES3_PKS7_PS7_S7_ZZZN2at6native31launch_logcumsumexp_cuda_kernelERKNSE_10TensorBaseESI_lENKUlvE_clEvENKUlvE1_clEvEUlS7_S7_E_S7_EEDaPvRmT3_T4_T5_mT6_P12ihipStream_tbENKUlT_T0_E_clISt17integral_constantIbLb1EESZ_EEDaSU_SV_EUlSU_E0_NS1_11comp_targetILNS1_3genE5ELNS1_11target_archE942ELNS1_3gpuE9ELNS1_3repE0EEENS1_30default_config_static_selectorELNS0_4arch9wavefront6targetE1EEEvT1_,@function
_ZN7rocprim17ROCPRIM_400000_NS6detail17trampoline_kernelINS0_14default_configENS1_20scan_config_selectorIN3c107complexIdEEEEZZNS1_9scan_implILNS1_25lookback_scan_determinismE0ELb0ELb0ES3_PKS7_PS7_S7_ZZZN2at6native31launch_logcumsumexp_cuda_kernelERKNSE_10TensorBaseESI_lENKUlvE_clEvENKUlvE1_clEvEUlS7_S7_E_S7_EEDaPvRmT3_T4_T5_mT6_P12ihipStream_tbENKUlT_T0_E_clISt17integral_constantIbLb1EESZ_EEDaSU_SV_EUlSU_E0_NS1_11comp_targetILNS1_3genE5ELNS1_11target_archE942ELNS1_3gpuE9ELNS1_3repE0EEENS1_30default_config_static_selectorELNS0_4arch9wavefront6targetE1EEEvT1_: ; @_ZN7rocprim17ROCPRIM_400000_NS6detail17trampoline_kernelINS0_14default_configENS1_20scan_config_selectorIN3c107complexIdEEEEZZNS1_9scan_implILNS1_25lookback_scan_determinismE0ELb0ELb0ES3_PKS7_PS7_S7_ZZZN2at6native31launch_logcumsumexp_cuda_kernelERKNSE_10TensorBaseESI_lENKUlvE_clEvENKUlvE1_clEvEUlS7_S7_E_S7_EEDaPvRmT3_T4_T5_mT6_P12ihipStream_tbENKUlT_T0_E_clISt17integral_constantIbLb1EESZ_EEDaSU_SV_EUlSU_E0_NS1_11comp_targetILNS1_3genE5ELNS1_11target_archE942ELNS1_3gpuE9ELNS1_3repE0EEENS1_30default_config_static_selectorELNS0_4arch9wavefront6targetE1EEEvT1_
; %bb.0:
	.section	.rodata,"a",@progbits
	.p2align	6, 0x0
	.amdhsa_kernel _ZN7rocprim17ROCPRIM_400000_NS6detail17trampoline_kernelINS0_14default_configENS1_20scan_config_selectorIN3c107complexIdEEEEZZNS1_9scan_implILNS1_25lookback_scan_determinismE0ELb0ELb0ES3_PKS7_PS7_S7_ZZZN2at6native31launch_logcumsumexp_cuda_kernelERKNSE_10TensorBaseESI_lENKUlvE_clEvENKUlvE1_clEvEUlS7_S7_E_S7_EEDaPvRmT3_T4_T5_mT6_P12ihipStream_tbENKUlT_T0_E_clISt17integral_constantIbLb1EESZ_EEDaSU_SV_EUlSU_E0_NS1_11comp_targetILNS1_3genE5ELNS1_11target_archE942ELNS1_3gpuE9ELNS1_3repE0EEENS1_30default_config_static_selectorELNS0_4arch9wavefront6targetE1EEEvT1_
		.amdhsa_group_segment_fixed_size 0
		.amdhsa_private_segment_fixed_size 0
		.amdhsa_kernarg_size 48
		.amdhsa_user_sgpr_count 2
		.amdhsa_user_sgpr_dispatch_ptr 0
		.amdhsa_user_sgpr_queue_ptr 0
		.amdhsa_user_sgpr_kernarg_segment_ptr 1
		.amdhsa_user_sgpr_dispatch_id 0
		.amdhsa_user_sgpr_kernarg_preload_length 0
		.amdhsa_user_sgpr_kernarg_preload_offset 0
		.amdhsa_user_sgpr_private_segment_size 0
		.amdhsa_uses_dynamic_stack 0
		.amdhsa_enable_private_segment 0
		.amdhsa_system_sgpr_workgroup_id_x 1
		.amdhsa_system_sgpr_workgroup_id_y 0
		.amdhsa_system_sgpr_workgroup_id_z 0
		.amdhsa_system_sgpr_workgroup_info 0
		.amdhsa_system_vgpr_workitem_id 0
		.amdhsa_next_free_vgpr 1
		.amdhsa_next_free_sgpr 0
		.amdhsa_accum_offset 4
		.amdhsa_reserve_vcc 0
		.amdhsa_float_round_mode_32 0
		.amdhsa_float_round_mode_16_64 0
		.amdhsa_float_denorm_mode_32 3
		.amdhsa_float_denorm_mode_16_64 3
		.amdhsa_dx10_clamp 1
		.amdhsa_ieee_mode 1
		.amdhsa_fp16_overflow 0
		.amdhsa_tg_split 0
		.amdhsa_exception_fp_ieee_invalid_op 0
		.amdhsa_exception_fp_denorm_src 0
		.amdhsa_exception_fp_ieee_div_zero 0
		.amdhsa_exception_fp_ieee_overflow 0
		.amdhsa_exception_fp_ieee_underflow 0
		.amdhsa_exception_fp_ieee_inexact 0
		.amdhsa_exception_int_div_zero 0
	.end_amdhsa_kernel
	.section	.text._ZN7rocprim17ROCPRIM_400000_NS6detail17trampoline_kernelINS0_14default_configENS1_20scan_config_selectorIN3c107complexIdEEEEZZNS1_9scan_implILNS1_25lookback_scan_determinismE0ELb0ELb0ES3_PKS7_PS7_S7_ZZZN2at6native31launch_logcumsumexp_cuda_kernelERKNSE_10TensorBaseESI_lENKUlvE_clEvENKUlvE1_clEvEUlS7_S7_E_S7_EEDaPvRmT3_T4_T5_mT6_P12ihipStream_tbENKUlT_T0_E_clISt17integral_constantIbLb1EESZ_EEDaSU_SV_EUlSU_E0_NS1_11comp_targetILNS1_3genE5ELNS1_11target_archE942ELNS1_3gpuE9ELNS1_3repE0EEENS1_30default_config_static_selectorELNS0_4arch9wavefront6targetE1EEEvT1_,"axG",@progbits,_ZN7rocprim17ROCPRIM_400000_NS6detail17trampoline_kernelINS0_14default_configENS1_20scan_config_selectorIN3c107complexIdEEEEZZNS1_9scan_implILNS1_25lookback_scan_determinismE0ELb0ELb0ES3_PKS7_PS7_S7_ZZZN2at6native31launch_logcumsumexp_cuda_kernelERKNSE_10TensorBaseESI_lENKUlvE_clEvENKUlvE1_clEvEUlS7_S7_E_S7_EEDaPvRmT3_T4_T5_mT6_P12ihipStream_tbENKUlT_T0_E_clISt17integral_constantIbLb1EESZ_EEDaSU_SV_EUlSU_E0_NS1_11comp_targetILNS1_3genE5ELNS1_11target_archE942ELNS1_3gpuE9ELNS1_3repE0EEENS1_30default_config_static_selectorELNS0_4arch9wavefront6targetE1EEEvT1_,comdat
.Lfunc_end213:
	.size	_ZN7rocprim17ROCPRIM_400000_NS6detail17trampoline_kernelINS0_14default_configENS1_20scan_config_selectorIN3c107complexIdEEEEZZNS1_9scan_implILNS1_25lookback_scan_determinismE0ELb0ELb0ES3_PKS7_PS7_S7_ZZZN2at6native31launch_logcumsumexp_cuda_kernelERKNSE_10TensorBaseESI_lENKUlvE_clEvENKUlvE1_clEvEUlS7_S7_E_S7_EEDaPvRmT3_T4_T5_mT6_P12ihipStream_tbENKUlT_T0_E_clISt17integral_constantIbLb1EESZ_EEDaSU_SV_EUlSU_E0_NS1_11comp_targetILNS1_3genE5ELNS1_11target_archE942ELNS1_3gpuE9ELNS1_3repE0EEENS1_30default_config_static_selectorELNS0_4arch9wavefront6targetE1EEEvT1_, .Lfunc_end213-_ZN7rocprim17ROCPRIM_400000_NS6detail17trampoline_kernelINS0_14default_configENS1_20scan_config_selectorIN3c107complexIdEEEEZZNS1_9scan_implILNS1_25lookback_scan_determinismE0ELb0ELb0ES3_PKS7_PS7_S7_ZZZN2at6native31launch_logcumsumexp_cuda_kernelERKNSE_10TensorBaseESI_lENKUlvE_clEvENKUlvE1_clEvEUlS7_S7_E_S7_EEDaPvRmT3_T4_T5_mT6_P12ihipStream_tbENKUlT_T0_E_clISt17integral_constantIbLb1EESZ_EEDaSU_SV_EUlSU_E0_NS1_11comp_targetILNS1_3genE5ELNS1_11target_archE942ELNS1_3gpuE9ELNS1_3repE0EEENS1_30default_config_static_selectorELNS0_4arch9wavefront6targetE1EEEvT1_
                                        ; -- End function
	.set _ZN7rocprim17ROCPRIM_400000_NS6detail17trampoline_kernelINS0_14default_configENS1_20scan_config_selectorIN3c107complexIdEEEEZZNS1_9scan_implILNS1_25lookback_scan_determinismE0ELb0ELb0ES3_PKS7_PS7_S7_ZZZN2at6native31launch_logcumsumexp_cuda_kernelERKNSE_10TensorBaseESI_lENKUlvE_clEvENKUlvE1_clEvEUlS7_S7_E_S7_EEDaPvRmT3_T4_T5_mT6_P12ihipStream_tbENKUlT_T0_E_clISt17integral_constantIbLb1EESZ_EEDaSU_SV_EUlSU_E0_NS1_11comp_targetILNS1_3genE5ELNS1_11target_archE942ELNS1_3gpuE9ELNS1_3repE0EEENS1_30default_config_static_selectorELNS0_4arch9wavefront6targetE1EEEvT1_.num_vgpr, 0
	.set _ZN7rocprim17ROCPRIM_400000_NS6detail17trampoline_kernelINS0_14default_configENS1_20scan_config_selectorIN3c107complexIdEEEEZZNS1_9scan_implILNS1_25lookback_scan_determinismE0ELb0ELb0ES3_PKS7_PS7_S7_ZZZN2at6native31launch_logcumsumexp_cuda_kernelERKNSE_10TensorBaseESI_lENKUlvE_clEvENKUlvE1_clEvEUlS7_S7_E_S7_EEDaPvRmT3_T4_T5_mT6_P12ihipStream_tbENKUlT_T0_E_clISt17integral_constantIbLb1EESZ_EEDaSU_SV_EUlSU_E0_NS1_11comp_targetILNS1_3genE5ELNS1_11target_archE942ELNS1_3gpuE9ELNS1_3repE0EEENS1_30default_config_static_selectorELNS0_4arch9wavefront6targetE1EEEvT1_.num_agpr, 0
	.set _ZN7rocprim17ROCPRIM_400000_NS6detail17trampoline_kernelINS0_14default_configENS1_20scan_config_selectorIN3c107complexIdEEEEZZNS1_9scan_implILNS1_25lookback_scan_determinismE0ELb0ELb0ES3_PKS7_PS7_S7_ZZZN2at6native31launch_logcumsumexp_cuda_kernelERKNSE_10TensorBaseESI_lENKUlvE_clEvENKUlvE1_clEvEUlS7_S7_E_S7_EEDaPvRmT3_T4_T5_mT6_P12ihipStream_tbENKUlT_T0_E_clISt17integral_constantIbLb1EESZ_EEDaSU_SV_EUlSU_E0_NS1_11comp_targetILNS1_3genE5ELNS1_11target_archE942ELNS1_3gpuE9ELNS1_3repE0EEENS1_30default_config_static_selectorELNS0_4arch9wavefront6targetE1EEEvT1_.numbered_sgpr, 0
	.set _ZN7rocprim17ROCPRIM_400000_NS6detail17trampoline_kernelINS0_14default_configENS1_20scan_config_selectorIN3c107complexIdEEEEZZNS1_9scan_implILNS1_25lookback_scan_determinismE0ELb0ELb0ES3_PKS7_PS7_S7_ZZZN2at6native31launch_logcumsumexp_cuda_kernelERKNSE_10TensorBaseESI_lENKUlvE_clEvENKUlvE1_clEvEUlS7_S7_E_S7_EEDaPvRmT3_T4_T5_mT6_P12ihipStream_tbENKUlT_T0_E_clISt17integral_constantIbLb1EESZ_EEDaSU_SV_EUlSU_E0_NS1_11comp_targetILNS1_3genE5ELNS1_11target_archE942ELNS1_3gpuE9ELNS1_3repE0EEENS1_30default_config_static_selectorELNS0_4arch9wavefront6targetE1EEEvT1_.num_named_barrier, 0
	.set _ZN7rocprim17ROCPRIM_400000_NS6detail17trampoline_kernelINS0_14default_configENS1_20scan_config_selectorIN3c107complexIdEEEEZZNS1_9scan_implILNS1_25lookback_scan_determinismE0ELb0ELb0ES3_PKS7_PS7_S7_ZZZN2at6native31launch_logcumsumexp_cuda_kernelERKNSE_10TensorBaseESI_lENKUlvE_clEvENKUlvE1_clEvEUlS7_S7_E_S7_EEDaPvRmT3_T4_T5_mT6_P12ihipStream_tbENKUlT_T0_E_clISt17integral_constantIbLb1EESZ_EEDaSU_SV_EUlSU_E0_NS1_11comp_targetILNS1_3genE5ELNS1_11target_archE942ELNS1_3gpuE9ELNS1_3repE0EEENS1_30default_config_static_selectorELNS0_4arch9wavefront6targetE1EEEvT1_.private_seg_size, 0
	.set _ZN7rocprim17ROCPRIM_400000_NS6detail17trampoline_kernelINS0_14default_configENS1_20scan_config_selectorIN3c107complexIdEEEEZZNS1_9scan_implILNS1_25lookback_scan_determinismE0ELb0ELb0ES3_PKS7_PS7_S7_ZZZN2at6native31launch_logcumsumexp_cuda_kernelERKNSE_10TensorBaseESI_lENKUlvE_clEvENKUlvE1_clEvEUlS7_S7_E_S7_EEDaPvRmT3_T4_T5_mT6_P12ihipStream_tbENKUlT_T0_E_clISt17integral_constantIbLb1EESZ_EEDaSU_SV_EUlSU_E0_NS1_11comp_targetILNS1_3genE5ELNS1_11target_archE942ELNS1_3gpuE9ELNS1_3repE0EEENS1_30default_config_static_selectorELNS0_4arch9wavefront6targetE1EEEvT1_.uses_vcc, 0
	.set _ZN7rocprim17ROCPRIM_400000_NS6detail17trampoline_kernelINS0_14default_configENS1_20scan_config_selectorIN3c107complexIdEEEEZZNS1_9scan_implILNS1_25lookback_scan_determinismE0ELb0ELb0ES3_PKS7_PS7_S7_ZZZN2at6native31launch_logcumsumexp_cuda_kernelERKNSE_10TensorBaseESI_lENKUlvE_clEvENKUlvE1_clEvEUlS7_S7_E_S7_EEDaPvRmT3_T4_T5_mT6_P12ihipStream_tbENKUlT_T0_E_clISt17integral_constantIbLb1EESZ_EEDaSU_SV_EUlSU_E0_NS1_11comp_targetILNS1_3genE5ELNS1_11target_archE942ELNS1_3gpuE9ELNS1_3repE0EEENS1_30default_config_static_selectorELNS0_4arch9wavefront6targetE1EEEvT1_.uses_flat_scratch, 0
	.set _ZN7rocprim17ROCPRIM_400000_NS6detail17trampoline_kernelINS0_14default_configENS1_20scan_config_selectorIN3c107complexIdEEEEZZNS1_9scan_implILNS1_25lookback_scan_determinismE0ELb0ELb0ES3_PKS7_PS7_S7_ZZZN2at6native31launch_logcumsumexp_cuda_kernelERKNSE_10TensorBaseESI_lENKUlvE_clEvENKUlvE1_clEvEUlS7_S7_E_S7_EEDaPvRmT3_T4_T5_mT6_P12ihipStream_tbENKUlT_T0_E_clISt17integral_constantIbLb1EESZ_EEDaSU_SV_EUlSU_E0_NS1_11comp_targetILNS1_3genE5ELNS1_11target_archE942ELNS1_3gpuE9ELNS1_3repE0EEENS1_30default_config_static_selectorELNS0_4arch9wavefront6targetE1EEEvT1_.has_dyn_sized_stack, 0
	.set _ZN7rocprim17ROCPRIM_400000_NS6detail17trampoline_kernelINS0_14default_configENS1_20scan_config_selectorIN3c107complexIdEEEEZZNS1_9scan_implILNS1_25lookback_scan_determinismE0ELb0ELb0ES3_PKS7_PS7_S7_ZZZN2at6native31launch_logcumsumexp_cuda_kernelERKNSE_10TensorBaseESI_lENKUlvE_clEvENKUlvE1_clEvEUlS7_S7_E_S7_EEDaPvRmT3_T4_T5_mT6_P12ihipStream_tbENKUlT_T0_E_clISt17integral_constantIbLb1EESZ_EEDaSU_SV_EUlSU_E0_NS1_11comp_targetILNS1_3genE5ELNS1_11target_archE942ELNS1_3gpuE9ELNS1_3repE0EEENS1_30default_config_static_selectorELNS0_4arch9wavefront6targetE1EEEvT1_.has_recursion, 0
	.set _ZN7rocprim17ROCPRIM_400000_NS6detail17trampoline_kernelINS0_14default_configENS1_20scan_config_selectorIN3c107complexIdEEEEZZNS1_9scan_implILNS1_25lookback_scan_determinismE0ELb0ELb0ES3_PKS7_PS7_S7_ZZZN2at6native31launch_logcumsumexp_cuda_kernelERKNSE_10TensorBaseESI_lENKUlvE_clEvENKUlvE1_clEvEUlS7_S7_E_S7_EEDaPvRmT3_T4_T5_mT6_P12ihipStream_tbENKUlT_T0_E_clISt17integral_constantIbLb1EESZ_EEDaSU_SV_EUlSU_E0_NS1_11comp_targetILNS1_3genE5ELNS1_11target_archE942ELNS1_3gpuE9ELNS1_3repE0EEENS1_30default_config_static_selectorELNS0_4arch9wavefront6targetE1EEEvT1_.has_indirect_call, 0
	.section	.AMDGPU.csdata,"",@progbits
; Kernel info:
; codeLenInByte = 0
; TotalNumSgprs: 6
; NumVgprs: 0
; NumAgprs: 0
; TotalNumVgprs: 0
; ScratchSize: 0
; MemoryBound: 0
; FloatMode: 240
; IeeeMode: 1
; LDSByteSize: 0 bytes/workgroup (compile time only)
; SGPRBlocks: 0
; VGPRBlocks: 0
; NumSGPRsForWavesPerEU: 6
; NumVGPRsForWavesPerEU: 1
; AccumOffset: 4
; Occupancy: 8
; WaveLimiterHint : 0
; COMPUTE_PGM_RSRC2:SCRATCH_EN: 0
; COMPUTE_PGM_RSRC2:USER_SGPR: 2
; COMPUTE_PGM_RSRC2:TRAP_HANDLER: 0
; COMPUTE_PGM_RSRC2:TGID_X_EN: 1
; COMPUTE_PGM_RSRC2:TGID_Y_EN: 0
; COMPUTE_PGM_RSRC2:TGID_Z_EN: 0
; COMPUTE_PGM_RSRC2:TIDIG_COMP_CNT: 0
; COMPUTE_PGM_RSRC3_GFX90A:ACCUM_OFFSET: 0
; COMPUTE_PGM_RSRC3_GFX90A:TG_SPLIT: 0
	.section	.text._ZN7rocprim17ROCPRIM_400000_NS6detail17trampoline_kernelINS0_14default_configENS1_20scan_config_selectorIN3c107complexIdEEEEZZNS1_9scan_implILNS1_25lookback_scan_determinismE0ELb0ELb0ES3_PKS7_PS7_S7_ZZZN2at6native31launch_logcumsumexp_cuda_kernelERKNSE_10TensorBaseESI_lENKUlvE_clEvENKUlvE1_clEvEUlS7_S7_E_S7_EEDaPvRmT3_T4_T5_mT6_P12ihipStream_tbENKUlT_T0_E_clISt17integral_constantIbLb1EESZ_EEDaSU_SV_EUlSU_E0_NS1_11comp_targetILNS1_3genE4ELNS1_11target_archE910ELNS1_3gpuE8ELNS1_3repE0EEENS1_30default_config_static_selectorELNS0_4arch9wavefront6targetE1EEEvT1_,"axG",@progbits,_ZN7rocprim17ROCPRIM_400000_NS6detail17trampoline_kernelINS0_14default_configENS1_20scan_config_selectorIN3c107complexIdEEEEZZNS1_9scan_implILNS1_25lookback_scan_determinismE0ELb0ELb0ES3_PKS7_PS7_S7_ZZZN2at6native31launch_logcumsumexp_cuda_kernelERKNSE_10TensorBaseESI_lENKUlvE_clEvENKUlvE1_clEvEUlS7_S7_E_S7_EEDaPvRmT3_T4_T5_mT6_P12ihipStream_tbENKUlT_T0_E_clISt17integral_constantIbLb1EESZ_EEDaSU_SV_EUlSU_E0_NS1_11comp_targetILNS1_3genE4ELNS1_11target_archE910ELNS1_3gpuE8ELNS1_3repE0EEENS1_30default_config_static_selectorELNS0_4arch9wavefront6targetE1EEEvT1_,comdat
	.globl	_ZN7rocprim17ROCPRIM_400000_NS6detail17trampoline_kernelINS0_14default_configENS1_20scan_config_selectorIN3c107complexIdEEEEZZNS1_9scan_implILNS1_25lookback_scan_determinismE0ELb0ELb0ES3_PKS7_PS7_S7_ZZZN2at6native31launch_logcumsumexp_cuda_kernelERKNSE_10TensorBaseESI_lENKUlvE_clEvENKUlvE1_clEvEUlS7_S7_E_S7_EEDaPvRmT3_T4_T5_mT6_P12ihipStream_tbENKUlT_T0_E_clISt17integral_constantIbLb1EESZ_EEDaSU_SV_EUlSU_E0_NS1_11comp_targetILNS1_3genE4ELNS1_11target_archE910ELNS1_3gpuE8ELNS1_3repE0EEENS1_30default_config_static_selectorELNS0_4arch9wavefront6targetE1EEEvT1_ ; -- Begin function _ZN7rocprim17ROCPRIM_400000_NS6detail17trampoline_kernelINS0_14default_configENS1_20scan_config_selectorIN3c107complexIdEEEEZZNS1_9scan_implILNS1_25lookback_scan_determinismE0ELb0ELb0ES3_PKS7_PS7_S7_ZZZN2at6native31launch_logcumsumexp_cuda_kernelERKNSE_10TensorBaseESI_lENKUlvE_clEvENKUlvE1_clEvEUlS7_S7_E_S7_EEDaPvRmT3_T4_T5_mT6_P12ihipStream_tbENKUlT_T0_E_clISt17integral_constantIbLb1EESZ_EEDaSU_SV_EUlSU_E0_NS1_11comp_targetILNS1_3genE4ELNS1_11target_archE910ELNS1_3gpuE8ELNS1_3repE0EEENS1_30default_config_static_selectorELNS0_4arch9wavefront6targetE1EEEvT1_
	.p2align	8
	.type	_ZN7rocprim17ROCPRIM_400000_NS6detail17trampoline_kernelINS0_14default_configENS1_20scan_config_selectorIN3c107complexIdEEEEZZNS1_9scan_implILNS1_25lookback_scan_determinismE0ELb0ELb0ES3_PKS7_PS7_S7_ZZZN2at6native31launch_logcumsumexp_cuda_kernelERKNSE_10TensorBaseESI_lENKUlvE_clEvENKUlvE1_clEvEUlS7_S7_E_S7_EEDaPvRmT3_T4_T5_mT6_P12ihipStream_tbENKUlT_T0_E_clISt17integral_constantIbLb1EESZ_EEDaSU_SV_EUlSU_E0_NS1_11comp_targetILNS1_3genE4ELNS1_11target_archE910ELNS1_3gpuE8ELNS1_3repE0EEENS1_30default_config_static_selectorELNS0_4arch9wavefront6targetE1EEEvT1_,@function
_ZN7rocprim17ROCPRIM_400000_NS6detail17trampoline_kernelINS0_14default_configENS1_20scan_config_selectorIN3c107complexIdEEEEZZNS1_9scan_implILNS1_25lookback_scan_determinismE0ELb0ELb0ES3_PKS7_PS7_S7_ZZZN2at6native31launch_logcumsumexp_cuda_kernelERKNSE_10TensorBaseESI_lENKUlvE_clEvENKUlvE1_clEvEUlS7_S7_E_S7_EEDaPvRmT3_T4_T5_mT6_P12ihipStream_tbENKUlT_T0_E_clISt17integral_constantIbLb1EESZ_EEDaSU_SV_EUlSU_E0_NS1_11comp_targetILNS1_3genE4ELNS1_11target_archE910ELNS1_3gpuE8ELNS1_3repE0EEENS1_30default_config_static_selectorELNS0_4arch9wavefront6targetE1EEEvT1_: ; @_ZN7rocprim17ROCPRIM_400000_NS6detail17trampoline_kernelINS0_14default_configENS1_20scan_config_selectorIN3c107complexIdEEEEZZNS1_9scan_implILNS1_25lookback_scan_determinismE0ELb0ELb0ES3_PKS7_PS7_S7_ZZZN2at6native31launch_logcumsumexp_cuda_kernelERKNSE_10TensorBaseESI_lENKUlvE_clEvENKUlvE1_clEvEUlS7_S7_E_S7_EEDaPvRmT3_T4_T5_mT6_P12ihipStream_tbENKUlT_T0_E_clISt17integral_constantIbLb1EESZ_EEDaSU_SV_EUlSU_E0_NS1_11comp_targetILNS1_3genE4ELNS1_11target_archE910ELNS1_3gpuE8ELNS1_3repE0EEENS1_30default_config_static_selectorELNS0_4arch9wavefront6targetE1EEEvT1_
; %bb.0:
	.section	.rodata,"a",@progbits
	.p2align	6, 0x0
	.amdhsa_kernel _ZN7rocprim17ROCPRIM_400000_NS6detail17trampoline_kernelINS0_14default_configENS1_20scan_config_selectorIN3c107complexIdEEEEZZNS1_9scan_implILNS1_25lookback_scan_determinismE0ELb0ELb0ES3_PKS7_PS7_S7_ZZZN2at6native31launch_logcumsumexp_cuda_kernelERKNSE_10TensorBaseESI_lENKUlvE_clEvENKUlvE1_clEvEUlS7_S7_E_S7_EEDaPvRmT3_T4_T5_mT6_P12ihipStream_tbENKUlT_T0_E_clISt17integral_constantIbLb1EESZ_EEDaSU_SV_EUlSU_E0_NS1_11comp_targetILNS1_3genE4ELNS1_11target_archE910ELNS1_3gpuE8ELNS1_3repE0EEENS1_30default_config_static_selectorELNS0_4arch9wavefront6targetE1EEEvT1_
		.amdhsa_group_segment_fixed_size 0
		.amdhsa_private_segment_fixed_size 0
		.amdhsa_kernarg_size 48
		.amdhsa_user_sgpr_count 2
		.amdhsa_user_sgpr_dispatch_ptr 0
		.amdhsa_user_sgpr_queue_ptr 0
		.amdhsa_user_sgpr_kernarg_segment_ptr 1
		.amdhsa_user_sgpr_dispatch_id 0
		.amdhsa_user_sgpr_kernarg_preload_length 0
		.amdhsa_user_sgpr_kernarg_preload_offset 0
		.amdhsa_user_sgpr_private_segment_size 0
		.amdhsa_uses_dynamic_stack 0
		.amdhsa_enable_private_segment 0
		.amdhsa_system_sgpr_workgroup_id_x 1
		.amdhsa_system_sgpr_workgroup_id_y 0
		.amdhsa_system_sgpr_workgroup_id_z 0
		.amdhsa_system_sgpr_workgroup_info 0
		.amdhsa_system_vgpr_workitem_id 0
		.amdhsa_next_free_vgpr 1
		.amdhsa_next_free_sgpr 0
		.amdhsa_accum_offset 4
		.amdhsa_reserve_vcc 0
		.amdhsa_float_round_mode_32 0
		.amdhsa_float_round_mode_16_64 0
		.amdhsa_float_denorm_mode_32 3
		.amdhsa_float_denorm_mode_16_64 3
		.amdhsa_dx10_clamp 1
		.amdhsa_ieee_mode 1
		.amdhsa_fp16_overflow 0
		.amdhsa_tg_split 0
		.amdhsa_exception_fp_ieee_invalid_op 0
		.amdhsa_exception_fp_denorm_src 0
		.amdhsa_exception_fp_ieee_div_zero 0
		.amdhsa_exception_fp_ieee_overflow 0
		.amdhsa_exception_fp_ieee_underflow 0
		.amdhsa_exception_fp_ieee_inexact 0
		.amdhsa_exception_int_div_zero 0
	.end_amdhsa_kernel
	.section	.text._ZN7rocprim17ROCPRIM_400000_NS6detail17trampoline_kernelINS0_14default_configENS1_20scan_config_selectorIN3c107complexIdEEEEZZNS1_9scan_implILNS1_25lookback_scan_determinismE0ELb0ELb0ES3_PKS7_PS7_S7_ZZZN2at6native31launch_logcumsumexp_cuda_kernelERKNSE_10TensorBaseESI_lENKUlvE_clEvENKUlvE1_clEvEUlS7_S7_E_S7_EEDaPvRmT3_T4_T5_mT6_P12ihipStream_tbENKUlT_T0_E_clISt17integral_constantIbLb1EESZ_EEDaSU_SV_EUlSU_E0_NS1_11comp_targetILNS1_3genE4ELNS1_11target_archE910ELNS1_3gpuE8ELNS1_3repE0EEENS1_30default_config_static_selectorELNS0_4arch9wavefront6targetE1EEEvT1_,"axG",@progbits,_ZN7rocprim17ROCPRIM_400000_NS6detail17trampoline_kernelINS0_14default_configENS1_20scan_config_selectorIN3c107complexIdEEEEZZNS1_9scan_implILNS1_25lookback_scan_determinismE0ELb0ELb0ES3_PKS7_PS7_S7_ZZZN2at6native31launch_logcumsumexp_cuda_kernelERKNSE_10TensorBaseESI_lENKUlvE_clEvENKUlvE1_clEvEUlS7_S7_E_S7_EEDaPvRmT3_T4_T5_mT6_P12ihipStream_tbENKUlT_T0_E_clISt17integral_constantIbLb1EESZ_EEDaSU_SV_EUlSU_E0_NS1_11comp_targetILNS1_3genE4ELNS1_11target_archE910ELNS1_3gpuE8ELNS1_3repE0EEENS1_30default_config_static_selectorELNS0_4arch9wavefront6targetE1EEEvT1_,comdat
.Lfunc_end214:
	.size	_ZN7rocprim17ROCPRIM_400000_NS6detail17trampoline_kernelINS0_14default_configENS1_20scan_config_selectorIN3c107complexIdEEEEZZNS1_9scan_implILNS1_25lookback_scan_determinismE0ELb0ELb0ES3_PKS7_PS7_S7_ZZZN2at6native31launch_logcumsumexp_cuda_kernelERKNSE_10TensorBaseESI_lENKUlvE_clEvENKUlvE1_clEvEUlS7_S7_E_S7_EEDaPvRmT3_T4_T5_mT6_P12ihipStream_tbENKUlT_T0_E_clISt17integral_constantIbLb1EESZ_EEDaSU_SV_EUlSU_E0_NS1_11comp_targetILNS1_3genE4ELNS1_11target_archE910ELNS1_3gpuE8ELNS1_3repE0EEENS1_30default_config_static_selectorELNS0_4arch9wavefront6targetE1EEEvT1_, .Lfunc_end214-_ZN7rocprim17ROCPRIM_400000_NS6detail17trampoline_kernelINS0_14default_configENS1_20scan_config_selectorIN3c107complexIdEEEEZZNS1_9scan_implILNS1_25lookback_scan_determinismE0ELb0ELb0ES3_PKS7_PS7_S7_ZZZN2at6native31launch_logcumsumexp_cuda_kernelERKNSE_10TensorBaseESI_lENKUlvE_clEvENKUlvE1_clEvEUlS7_S7_E_S7_EEDaPvRmT3_T4_T5_mT6_P12ihipStream_tbENKUlT_T0_E_clISt17integral_constantIbLb1EESZ_EEDaSU_SV_EUlSU_E0_NS1_11comp_targetILNS1_3genE4ELNS1_11target_archE910ELNS1_3gpuE8ELNS1_3repE0EEENS1_30default_config_static_selectorELNS0_4arch9wavefront6targetE1EEEvT1_
                                        ; -- End function
	.set _ZN7rocprim17ROCPRIM_400000_NS6detail17trampoline_kernelINS0_14default_configENS1_20scan_config_selectorIN3c107complexIdEEEEZZNS1_9scan_implILNS1_25lookback_scan_determinismE0ELb0ELb0ES3_PKS7_PS7_S7_ZZZN2at6native31launch_logcumsumexp_cuda_kernelERKNSE_10TensorBaseESI_lENKUlvE_clEvENKUlvE1_clEvEUlS7_S7_E_S7_EEDaPvRmT3_T4_T5_mT6_P12ihipStream_tbENKUlT_T0_E_clISt17integral_constantIbLb1EESZ_EEDaSU_SV_EUlSU_E0_NS1_11comp_targetILNS1_3genE4ELNS1_11target_archE910ELNS1_3gpuE8ELNS1_3repE0EEENS1_30default_config_static_selectorELNS0_4arch9wavefront6targetE1EEEvT1_.num_vgpr, 0
	.set _ZN7rocprim17ROCPRIM_400000_NS6detail17trampoline_kernelINS0_14default_configENS1_20scan_config_selectorIN3c107complexIdEEEEZZNS1_9scan_implILNS1_25lookback_scan_determinismE0ELb0ELb0ES3_PKS7_PS7_S7_ZZZN2at6native31launch_logcumsumexp_cuda_kernelERKNSE_10TensorBaseESI_lENKUlvE_clEvENKUlvE1_clEvEUlS7_S7_E_S7_EEDaPvRmT3_T4_T5_mT6_P12ihipStream_tbENKUlT_T0_E_clISt17integral_constantIbLb1EESZ_EEDaSU_SV_EUlSU_E0_NS1_11comp_targetILNS1_3genE4ELNS1_11target_archE910ELNS1_3gpuE8ELNS1_3repE0EEENS1_30default_config_static_selectorELNS0_4arch9wavefront6targetE1EEEvT1_.num_agpr, 0
	.set _ZN7rocprim17ROCPRIM_400000_NS6detail17trampoline_kernelINS0_14default_configENS1_20scan_config_selectorIN3c107complexIdEEEEZZNS1_9scan_implILNS1_25lookback_scan_determinismE0ELb0ELb0ES3_PKS7_PS7_S7_ZZZN2at6native31launch_logcumsumexp_cuda_kernelERKNSE_10TensorBaseESI_lENKUlvE_clEvENKUlvE1_clEvEUlS7_S7_E_S7_EEDaPvRmT3_T4_T5_mT6_P12ihipStream_tbENKUlT_T0_E_clISt17integral_constantIbLb1EESZ_EEDaSU_SV_EUlSU_E0_NS1_11comp_targetILNS1_3genE4ELNS1_11target_archE910ELNS1_3gpuE8ELNS1_3repE0EEENS1_30default_config_static_selectorELNS0_4arch9wavefront6targetE1EEEvT1_.numbered_sgpr, 0
	.set _ZN7rocprim17ROCPRIM_400000_NS6detail17trampoline_kernelINS0_14default_configENS1_20scan_config_selectorIN3c107complexIdEEEEZZNS1_9scan_implILNS1_25lookback_scan_determinismE0ELb0ELb0ES3_PKS7_PS7_S7_ZZZN2at6native31launch_logcumsumexp_cuda_kernelERKNSE_10TensorBaseESI_lENKUlvE_clEvENKUlvE1_clEvEUlS7_S7_E_S7_EEDaPvRmT3_T4_T5_mT6_P12ihipStream_tbENKUlT_T0_E_clISt17integral_constantIbLb1EESZ_EEDaSU_SV_EUlSU_E0_NS1_11comp_targetILNS1_3genE4ELNS1_11target_archE910ELNS1_3gpuE8ELNS1_3repE0EEENS1_30default_config_static_selectorELNS0_4arch9wavefront6targetE1EEEvT1_.num_named_barrier, 0
	.set _ZN7rocprim17ROCPRIM_400000_NS6detail17trampoline_kernelINS0_14default_configENS1_20scan_config_selectorIN3c107complexIdEEEEZZNS1_9scan_implILNS1_25lookback_scan_determinismE0ELb0ELb0ES3_PKS7_PS7_S7_ZZZN2at6native31launch_logcumsumexp_cuda_kernelERKNSE_10TensorBaseESI_lENKUlvE_clEvENKUlvE1_clEvEUlS7_S7_E_S7_EEDaPvRmT3_T4_T5_mT6_P12ihipStream_tbENKUlT_T0_E_clISt17integral_constantIbLb1EESZ_EEDaSU_SV_EUlSU_E0_NS1_11comp_targetILNS1_3genE4ELNS1_11target_archE910ELNS1_3gpuE8ELNS1_3repE0EEENS1_30default_config_static_selectorELNS0_4arch9wavefront6targetE1EEEvT1_.private_seg_size, 0
	.set _ZN7rocprim17ROCPRIM_400000_NS6detail17trampoline_kernelINS0_14default_configENS1_20scan_config_selectorIN3c107complexIdEEEEZZNS1_9scan_implILNS1_25lookback_scan_determinismE0ELb0ELb0ES3_PKS7_PS7_S7_ZZZN2at6native31launch_logcumsumexp_cuda_kernelERKNSE_10TensorBaseESI_lENKUlvE_clEvENKUlvE1_clEvEUlS7_S7_E_S7_EEDaPvRmT3_T4_T5_mT6_P12ihipStream_tbENKUlT_T0_E_clISt17integral_constantIbLb1EESZ_EEDaSU_SV_EUlSU_E0_NS1_11comp_targetILNS1_3genE4ELNS1_11target_archE910ELNS1_3gpuE8ELNS1_3repE0EEENS1_30default_config_static_selectorELNS0_4arch9wavefront6targetE1EEEvT1_.uses_vcc, 0
	.set _ZN7rocprim17ROCPRIM_400000_NS6detail17trampoline_kernelINS0_14default_configENS1_20scan_config_selectorIN3c107complexIdEEEEZZNS1_9scan_implILNS1_25lookback_scan_determinismE0ELb0ELb0ES3_PKS7_PS7_S7_ZZZN2at6native31launch_logcumsumexp_cuda_kernelERKNSE_10TensorBaseESI_lENKUlvE_clEvENKUlvE1_clEvEUlS7_S7_E_S7_EEDaPvRmT3_T4_T5_mT6_P12ihipStream_tbENKUlT_T0_E_clISt17integral_constantIbLb1EESZ_EEDaSU_SV_EUlSU_E0_NS1_11comp_targetILNS1_3genE4ELNS1_11target_archE910ELNS1_3gpuE8ELNS1_3repE0EEENS1_30default_config_static_selectorELNS0_4arch9wavefront6targetE1EEEvT1_.uses_flat_scratch, 0
	.set _ZN7rocprim17ROCPRIM_400000_NS6detail17trampoline_kernelINS0_14default_configENS1_20scan_config_selectorIN3c107complexIdEEEEZZNS1_9scan_implILNS1_25lookback_scan_determinismE0ELb0ELb0ES3_PKS7_PS7_S7_ZZZN2at6native31launch_logcumsumexp_cuda_kernelERKNSE_10TensorBaseESI_lENKUlvE_clEvENKUlvE1_clEvEUlS7_S7_E_S7_EEDaPvRmT3_T4_T5_mT6_P12ihipStream_tbENKUlT_T0_E_clISt17integral_constantIbLb1EESZ_EEDaSU_SV_EUlSU_E0_NS1_11comp_targetILNS1_3genE4ELNS1_11target_archE910ELNS1_3gpuE8ELNS1_3repE0EEENS1_30default_config_static_selectorELNS0_4arch9wavefront6targetE1EEEvT1_.has_dyn_sized_stack, 0
	.set _ZN7rocprim17ROCPRIM_400000_NS6detail17trampoline_kernelINS0_14default_configENS1_20scan_config_selectorIN3c107complexIdEEEEZZNS1_9scan_implILNS1_25lookback_scan_determinismE0ELb0ELb0ES3_PKS7_PS7_S7_ZZZN2at6native31launch_logcumsumexp_cuda_kernelERKNSE_10TensorBaseESI_lENKUlvE_clEvENKUlvE1_clEvEUlS7_S7_E_S7_EEDaPvRmT3_T4_T5_mT6_P12ihipStream_tbENKUlT_T0_E_clISt17integral_constantIbLb1EESZ_EEDaSU_SV_EUlSU_E0_NS1_11comp_targetILNS1_3genE4ELNS1_11target_archE910ELNS1_3gpuE8ELNS1_3repE0EEENS1_30default_config_static_selectorELNS0_4arch9wavefront6targetE1EEEvT1_.has_recursion, 0
	.set _ZN7rocprim17ROCPRIM_400000_NS6detail17trampoline_kernelINS0_14default_configENS1_20scan_config_selectorIN3c107complexIdEEEEZZNS1_9scan_implILNS1_25lookback_scan_determinismE0ELb0ELb0ES3_PKS7_PS7_S7_ZZZN2at6native31launch_logcumsumexp_cuda_kernelERKNSE_10TensorBaseESI_lENKUlvE_clEvENKUlvE1_clEvEUlS7_S7_E_S7_EEDaPvRmT3_T4_T5_mT6_P12ihipStream_tbENKUlT_T0_E_clISt17integral_constantIbLb1EESZ_EEDaSU_SV_EUlSU_E0_NS1_11comp_targetILNS1_3genE4ELNS1_11target_archE910ELNS1_3gpuE8ELNS1_3repE0EEENS1_30default_config_static_selectorELNS0_4arch9wavefront6targetE1EEEvT1_.has_indirect_call, 0
	.section	.AMDGPU.csdata,"",@progbits
; Kernel info:
; codeLenInByte = 0
; TotalNumSgprs: 6
; NumVgprs: 0
; NumAgprs: 0
; TotalNumVgprs: 0
; ScratchSize: 0
; MemoryBound: 0
; FloatMode: 240
; IeeeMode: 1
; LDSByteSize: 0 bytes/workgroup (compile time only)
; SGPRBlocks: 0
; VGPRBlocks: 0
; NumSGPRsForWavesPerEU: 6
; NumVGPRsForWavesPerEU: 1
; AccumOffset: 4
; Occupancy: 8
; WaveLimiterHint : 0
; COMPUTE_PGM_RSRC2:SCRATCH_EN: 0
; COMPUTE_PGM_RSRC2:USER_SGPR: 2
; COMPUTE_PGM_RSRC2:TRAP_HANDLER: 0
; COMPUTE_PGM_RSRC2:TGID_X_EN: 1
; COMPUTE_PGM_RSRC2:TGID_Y_EN: 0
; COMPUTE_PGM_RSRC2:TGID_Z_EN: 0
; COMPUTE_PGM_RSRC2:TIDIG_COMP_CNT: 0
; COMPUTE_PGM_RSRC3_GFX90A:ACCUM_OFFSET: 0
; COMPUTE_PGM_RSRC3_GFX90A:TG_SPLIT: 0
	.section	.text._ZN7rocprim17ROCPRIM_400000_NS6detail17trampoline_kernelINS0_14default_configENS1_20scan_config_selectorIN3c107complexIdEEEEZZNS1_9scan_implILNS1_25lookback_scan_determinismE0ELb0ELb0ES3_PKS7_PS7_S7_ZZZN2at6native31launch_logcumsumexp_cuda_kernelERKNSE_10TensorBaseESI_lENKUlvE_clEvENKUlvE1_clEvEUlS7_S7_E_S7_EEDaPvRmT3_T4_T5_mT6_P12ihipStream_tbENKUlT_T0_E_clISt17integral_constantIbLb1EESZ_EEDaSU_SV_EUlSU_E0_NS1_11comp_targetILNS1_3genE3ELNS1_11target_archE908ELNS1_3gpuE7ELNS1_3repE0EEENS1_30default_config_static_selectorELNS0_4arch9wavefront6targetE1EEEvT1_,"axG",@progbits,_ZN7rocprim17ROCPRIM_400000_NS6detail17trampoline_kernelINS0_14default_configENS1_20scan_config_selectorIN3c107complexIdEEEEZZNS1_9scan_implILNS1_25lookback_scan_determinismE0ELb0ELb0ES3_PKS7_PS7_S7_ZZZN2at6native31launch_logcumsumexp_cuda_kernelERKNSE_10TensorBaseESI_lENKUlvE_clEvENKUlvE1_clEvEUlS7_S7_E_S7_EEDaPvRmT3_T4_T5_mT6_P12ihipStream_tbENKUlT_T0_E_clISt17integral_constantIbLb1EESZ_EEDaSU_SV_EUlSU_E0_NS1_11comp_targetILNS1_3genE3ELNS1_11target_archE908ELNS1_3gpuE7ELNS1_3repE0EEENS1_30default_config_static_selectorELNS0_4arch9wavefront6targetE1EEEvT1_,comdat
	.globl	_ZN7rocprim17ROCPRIM_400000_NS6detail17trampoline_kernelINS0_14default_configENS1_20scan_config_selectorIN3c107complexIdEEEEZZNS1_9scan_implILNS1_25lookback_scan_determinismE0ELb0ELb0ES3_PKS7_PS7_S7_ZZZN2at6native31launch_logcumsumexp_cuda_kernelERKNSE_10TensorBaseESI_lENKUlvE_clEvENKUlvE1_clEvEUlS7_S7_E_S7_EEDaPvRmT3_T4_T5_mT6_P12ihipStream_tbENKUlT_T0_E_clISt17integral_constantIbLb1EESZ_EEDaSU_SV_EUlSU_E0_NS1_11comp_targetILNS1_3genE3ELNS1_11target_archE908ELNS1_3gpuE7ELNS1_3repE0EEENS1_30default_config_static_selectorELNS0_4arch9wavefront6targetE1EEEvT1_ ; -- Begin function _ZN7rocprim17ROCPRIM_400000_NS6detail17trampoline_kernelINS0_14default_configENS1_20scan_config_selectorIN3c107complexIdEEEEZZNS1_9scan_implILNS1_25lookback_scan_determinismE0ELb0ELb0ES3_PKS7_PS7_S7_ZZZN2at6native31launch_logcumsumexp_cuda_kernelERKNSE_10TensorBaseESI_lENKUlvE_clEvENKUlvE1_clEvEUlS7_S7_E_S7_EEDaPvRmT3_T4_T5_mT6_P12ihipStream_tbENKUlT_T0_E_clISt17integral_constantIbLb1EESZ_EEDaSU_SV_EUlSU_E0_NS1_11comp_targetILNS1_3genE3ELNS1_11target_archE908ELNS1_3gpuE7ELNS1_3repE0EEENS1_30default_config_static_selectorELNS0_4arch9wavefront6targetE1EEEvT1_
	.p2align	8
	.type	_ZN7rocprim17ROCPRIM_400000_NS6detail17trampoline_kernelINS0_14default_configENS1_20scan_config_selectorIN3c107complexIdEEEEZZNS1_9scan_implILNS1_25lookback_scan_determinismE0ELb0ELb0ES3_PKS7_PS7_S7_ZZZN2at6native31launch_logcumsumexp_cuda_kernelERKNSE_10TensorBaseESI_lENKUlvE_clEvENKUlvE1_clEvEUlS7_S7_E_S7_EEDaPvRmT3_T4_T5_mT6_P12ihipStream_tbENKUlT_T0_E_clISt17integral_constantIbLb1EESZ_EEDaSU_SV_EUlSU_E0_NS1_11comp_targetILNS1_3genE3ELNS1_11target_archE908ELNS1_3gpuE7ELNS1_3repE0EEENS1_30default_config_static_selectorELNS0_4arch9wavefront6targetE1EEEvT1_,@function
_ZN7rocprim17ROCPRIM_400000_NS6detail17trampoline_kernelINS0_14default_configENS1_20scan_config_selectorIN3c107complexIdEEEEZZNS1_9scan_implILNS1_25lookback_scan_determinismE0ELb0ELb0ES3_PKS7_PS7_S7_ZZZN2at6native31launch_logcumsumexp_cuda_kernelERKNSE_10TensorBaseESI_lENKUlvE_clEvENKUlvE1_clEvEUlS7_S7_E_S7_EEDaPvRmT3_T4_T5_mT6_P12ihipStream_tbENKUlT_T0_E_clISt17integral_constantIbLb1EESZ_EEDaSU_SV_EUlSU_E0_NS1_11comp_targetILNS1_3genE3ELNS1_11target_archE908ELNS1_3gpuE7ELNS1_3repE0EEENS1_30default_config_static_selectorELNS0_4arch9wavefront6targetE1EEEvT1_: ; @_ZN7rocprim17ROCPRIM_400000_NS6detail17trampoline_kernelINS0_14default_configENS1_20scan_config_selectorIN3c107complexIdEEEEZZNS1_9scan_implILNS1_25lookback_scan_determinismE0ELb0ELb0ES3_PKS7_PS7_S7_ZZZN2at6native31launch_logcumsumexp_cuda_kernelERKNSE_10TensorBaseESI_lENKUlvE_clEvENKUlvE1_clEvEUlS7_S7_E_S7_EEDaPvRmT3_T4_T5_mT6_P12ihipStream_tbENKUlT_T0_E_clISt17integral_constantIbLb1EESZ_EEDaSU_SV_EUlSU_E0_NS1_11comp_targetILNS1_3genE3ELNS1_11target_archE908ELNS1_3gpuE7ELNS1_3repE0EEENS1_30default_config_static_selectorELNS0_4arch9wavefront6targetE1EEEvT1_
; %bb.0:
	.section	.rodata,"a",@progbits
	.p2align	6, 0x0
	.amdhsa_kernel _ZN7rocprim17ROCPRIM_400000_NS6detail17trampoline_kernelINS0_14default_configENS1_20scan_config_selectorIN3c107complexIdEEEEZZNS1_9scan_implILNS1_25lookback_scan_determinismE0ELb0ELb0ES3_PKS7_PS7_S7_ZZZN2at6native31launch_logcumsumexp_cuda_kernelERKNSE_10TensorBaseESI_lENKUlvE_clEvENKUlvE1_clEvEUlS7_S7_E_S7_EEDaPvRmT3_T4_T5_mT6_P12ihipStream_tbENKUlT_T0_E_clISt17integral_constantIbLb1EESZ_EEDaSU_SV_EUlSU_E0_NS1_11comp_targetILNS1_3genE3ELNS1_11target_archE908ELNS1_3gpuE7ELNS1_3repE0EEENS1_30default_config_static_selectorELNS0_4arch9wavefront6targetE1EEEvT1_
		.amdhsa_group_segment_fixed_size 0
		.amdhsa_private_segment_fixed_size 0
		.amdhsa_kernarg_size 48
		.amdhsa_user_sgpr_count 2
		.amdhsa_user_sgpr_dispatch_ptr 0
		.amdhsa_user_sgpr_queue_ptr 0
		.amdhsa_user_sgpr_kernarg_segment_ptr 1
		.amdhsa_user_sgpr_dispatch_id 0
		.amdhsa_user_sgpr_kernarg_preload_length 0
		.amdhsa_user_sgpr_kernarg_preload_offset 0
		.amdhsa_user_sgpr_private_segment_size 0
		.amdhsa_uses_dynamic_stack 0
		.amdhsa_enable_private_segment 0
		.amdhsa_system_sgpr_workgroup_id_x 1
		.amdhsa_system_sgpr_workgroup_id_y 0
		.amdhsa_system_sgpr_workgroup_id_z 0
		.amdhsa_system_sgpr_workgroup_info 0
		.amdhsa_system_vgpr_workitem_id 0
		.amdhsa_next_free_vgpr 1
		.amdhsa_next_free_sgpr 0
		.amdhsa_accum_offset 4
		.amdhsa_reserve_vcc 0
		.amdhsa_float_round_mode_32 0
		.amdhsa_float_round_mode_16_64 0
		.amdhsa_float_denorm_mode_32 3
		.amdhsa_float_denorm_mode_16_64 3
		.amdhsa_dx10_clamp 1
		.amdhsa_ieee_mode 1
		.amdhsa_fp16_overflow 0
		.amdhsa_tg_split 0
		.amdhsa_exception_fp_ieee_invalid_op 0
		.amdhsa_exception_fp_denorm_src 0
		.amdhsa_exception_fp_ieee_div_zero 0
		.amdhsa_exception_fp_ieee_overflow 0
		.amdhsa_exception_fp_ieee_underflow 0
		.amdhsa_exception_fp_ieee_inexact 0
		.amdhsa_exception_int_div_zero 0
	.end_amdhsa_kernel
	.section	.text._ZN7rocprim17ROCPRIM_400000_NS6detail17trampoline_kernelINS0_14default_configENS1_20scan_config_selectorIN3c107complexIdEEEEZZNS1_9scan_implILNS1_25lookback_scan_determinismE0ELb0ELb0ES3_PKS7_PS7_S7_ZZZN2at6native31launch_logcumsumexp_cuda_kernelERKNSE_10TensorBaseESI_lENKUlvE_clEvENKUlvE1_clEvEUlS7_S7_E_S7_EEDaPvRmT3_T4_T5_mT6_P12ihipStream_tbENKUlT_T0_E_clISt17integral_constantIbLb1EESZ_EEDaSU_SV_EUlSU_E0_NS1_11comp_targetILNS1_3genE3ELNS1_11target_archE908ELNS1_3gpuE7ELNS1_3repE0EEENS1_30default_config_static_selectorELNS0_4arch9wavefront6targetE1EEEvT1_,"axG",@progbits,_ZN7rocprim17ROCPRIM_400000_NS6detail17trampoline_kernelINS0_14default_configENS1_20scan_config_selectorIN3c107complexIdEEEEZZNS1_9scan_implILNS1_25lookback_scan_determinismE0ELb0ELb0ES3_PKS7_PS7_S7_ZZZN2at6native31launch_logcumsumexp_cuda_kernelERKNSE_10TensorBaseESI_lENKUlvE_clEvENKUlvE1_clEvEUlS7_S7_E_S7_EEDaPvRmT3_T4_T5_mT6_P12ihipStream_tbENKUlT_T0_E_clISt17integral_constantIbLb1EESZ_EEDaSU_SV_EUlSU_E0_NS1_11comp_targetILNS1_3genE3ELNS1_11target_archE908ELNS1_3gpuE7ELNS1_3repE0EEENS1_30default_config_static_selectorELNS0_4arch9wavefront6targetE1EEEvT1_,comdat
.Lfunc_end215:
	.size	_ZN7rocprim17ROCPRIM_400000_NS6detail17trampoline_kernelINS0_14default_configENS1_20scan_config_selectorIN3c107complexIdEEEEZZNS1_9scan_implILNS1_25lookback_scan_determinismE0ELb0ELb0ES3_PKS7_PS7_S7_ZZZN2at6native31launch_logcumsumexp_cuda_kernelERKNSE_10TensorBaseESI_lENKUlvE_clEvENKUlvE1_clEvEUlS7_S7_E_S7_EEDaPvRmT3_T4_T5_mT6_P12ihipStream_tbENKUlT_T0_E_clISt17integral_constantIbLb1EESZ_EEDaSU_SV_EUlSU_E0_NS1_11comp_targetILNS1_3genE3ELNS1_11target_archE908ELNS1_3gpuE7ELNS1_3repE0EEENS1_30default_config_static_selectorELNS0_4arch9wavefront6targetE1EEEvT1_, .Lfunc_end215-_ZN7rocprim17ROCPRIM_400000_NS6detail17trampoline_kernelINS0_14default_configENS1_20scan_config_selectorIN3c107complexIdEEEEZZNS1_9scan_implILNS1_25lookback_scan_determinismE0ELb0ELb0ES3_PKS7_PS7_S7_ZZZN2at6native31launch_logcumsumexp_cuda_kernelERKNSE_10TensorBaseESI_lENKUlvE_clEvENKUlvE1_clEvEUlS7_S7_E_S7_EEDaPvRmT3_T4_T5_mT6_P12ihipStream_tbENKUlT_T0_E_clISt17integral_constantIbLb1EESZ_EEDaSU_SV_EUlSU_E0_NS1_11comp_targetILNS1_3genE3ELNS1_11target_archE908ELNS1_3gpuE7ELNS1_3repE0EEENS1_30default_config_static_selectorELNS0_4arch9wavefront6targetE1EEEvT1_
                                        ; -- End function
	.set _ZN7rocprim17ROCPRIM_400000_NS6detail17trampoline_kernelINS0_14default_configENS1_20scan_config_selectorIN3c107complexIdEEEEZZNS1_9scan_implILNS1_25lookback_scan_determinismE0ELb0ELb0ES3_PKS7_PS7_S7_ZZZN2at6native31launch_logcumsumexp_cuda_kernelERKNSE_10TensorBaseESI_lENKUlvE_clEvENKUlvE1_clEvEUlS7_S7_E_S7_EEDaPvRmT3_T4_T5_mT6_P12ihipStream_tbENKUlT_T0_E_clISt17integral_constantIbLb1EESZ_EEDaSU_SV_EUlSU_E0_NS1_11comp_targetILNS1_3genE3ELNS1_11target_archE908ELNS1_3gpuE7ELNS1_3repE0EEENS1_30default_config_static_selectorELNS0_4arch9wavefront6targetE1EEEvT1_.num_vgpr, 0
	.set _ZN7rocprim17ROCPRIM_400000_NS6detail17trampoline_kernelINS0_14default_configENS1_20scan_config_selectorIN3c107complexIdEEEEZZNS1_9scan_implILNS1_25lookback_scan_determinismE0ELb0ELb0ES3_PKS7_PS7_S7_ZZZN2at6native31launch_logcumsumexp_cuda_kernelERKNSE_10TensorBaseESI_lENKUlvE_clEvENKUlvE1_clEvEUlS7_S7_E_S7_EEDaPvRmT3_T4_T5_mT6_P12ihipStream_tbENKUlT_T0_E_clISt17integral_constantIbLb1EESZ_EEDaSU_SV_EUlSU_E0_NS1_11comp_targetILNS1_3genE3ELNS1_11target_archE908ELNS1_3gpuE7ELNS1_3repE0EEENS1_30default_config_static_selectorELNS0_4arch9wavefront6targetE1EEEvT1_.num_agpr, 0
	.set _ZN7rocprim17ROCPRIM_400000_NS6detail17trampoline_kernelINS0_14default_configENS1_20scan_config_selectorIN3c107complexIdEEEEZZNS1_9scan_implILNS1_25lookback_scan_determinismE0ELb0ELb0ES3_PKS7_PS7_S7_ZZZN2at6native31launch_logcumsumexp_cuda_kernelERKNSE_10TensorBaseESI_lENKUlvE_clEvENKUlvE1_clEvEUlS7_S7_E_S7_EEDaPvRmT3_T4_T5_mT6_P12ihipStream_tbENKUlT_T0_E_clISt17integral_constantIbLb1EESZ_EEDaSU_SV_EUlSU_E0_NS1_11comp_targetILNS1_3genE3ELNS1_11target_archE908ELNS1_3gpuE7ELNS1_3repE0EEENS1_30default_config_static_selectorELNS0_4arch9wavefront6targetE1EEEvT1_.numbered_sgpr, 0
	.set _ZN7rocprim17ROCPRIM_400000_NS6detail17trampoline_kernelINS0_14default_configENS1_20scan_config_selectorIN3c107complexIdEEEEZZNS1_9scan_implILNS1_25lookback_scan_determinismE0ELb0ELb0ES3_PKS7_PS7_S7_ZZZN2at6native31launch_logcumsumexp_cuda_kernelERKNSE_10TensorBaseESI_lENKUlvE_clEvENKUlvE1_clEvEUlS7_S7_E_S7_EEDaPvRmT3_T4_T5_mT6_P12ihipStream_tbENKUlT_T0_E_clISt17integral_constantIbLb1EESZ_EEDaSU_SV_EUlSU_E0_NS1_11comp_targetILNS1_3genE3ELNS1_11target_archE908ELNS1_3gpuE7ELNS1_3repE0EEENS1_30default_config_static_selectorELNS0_4arch9wavefront6targetE1EEEvT1_.num_named_barrier, 0
	.set _ZN7rocprim17ROCPRIM_400000_NS6detail17trampoline_kernelINS0_14default_configENS1_20scan_config_selectorIN3c107complexIdEEEEZZNS1_9scan_implILNS1_25lookback_scan_determinismE0ELb0ELb0ES3_PKS7_PS7_S7_ZZZN2at6native31launch_logcumsumexp_cuda_kernelERKNSE_10TensorBaseESI_lENKUlvE_clEvENKUlvE1_clEvEUlS7_S7_E_S7_EEDaPvRmT3_T4_T5_mT6_P12ihipStream_tbENKUlT_T0_E_clISt17integral_constantIbLb1EESZ_EEDaSU_SV_EUlSU_E0_NS1_11comp_targetILNS1_3genE3ELNS1_11target_archE908ELNS1_3gpuE7ELNS1_3repE0EEENS1_30default_config_static_selectorELNS0_4arch9wavefront6targetE1EEEvT1_.private_seg_size, 0
	.set _ZN7rocprim17ROCPRIM_400000_NS6detail17trampoline_kernelINS0_14default_configENS1_20scan_config_selectorIN3c107complexIdEEEEZZNS1_9scan_implILNS1_25lookback_scan_determinismE0ELb0ELb0ES3_PKS7_PS7_S7_ZZZN2at6native31launch_logcumsumexp_cuda_kernelERKNSE_10TensorBaseESI_lENKUlvE_clEvENKUlvE1_clEvEUlS7_S7_E_S7_EEDaPvRmT3_T4_T5_mT6_P12ihipStream_tbENKUlT_T0_E_clISt17integral_constantIbLb1EESZ_EEDaSU_SV_EUlSU_E0_NS1_11comp_targetILNS1_3genE3ELNS1_11target_archE908ELNS1_3gpuE7ELNS1_3repE0EEENS1_30default_config_static_selectorELNS0_4arch9wavefront6targetE1EEEvT1_.uses_vcc, 0
	.set _ZN7rocprim17ROCPRIM_400000_NS6detail17trampoline_kernelINS0_14default_configENS1_20scan_config_selectorIN3c107complexIdEEEEZZNS1_9scan_implILNS1_25lookback_scan_determinismE0ELb0ELb0ES3_PKS7_PS7_S7_ZZZN2at6native31launch_logcumsumexp_cuda_kernelERKNSE_10TensorBaseESI_lENKUlvE_clEvENKUlvE1_clEvEUlS7_S7_E_S7_EEDaPvRmT3_T4_T5_mT6_P12ihipStream_tbENKUlT_T0_E_clISt17integral_constantIbLb1EESZ_EEDaSU_SV_EUlSU_E0_NS1_11comp_targetILNS1_3genE3ELNS1_11target_archE908ELNS1_3gpuE7ELNS1_3repE0EEENS1_30default_config_static_selectorELNS0_4arch9wavefront6targetE1EEEvT1_.uses_flat_scratch, 0
	.set _ZN7rocprim17ROCPRIM_400000_NS6detail17trampoline_kernelINS0_14default_configENS1_20scan_config_selectorIN3c107complexIdEEEEZZNS1_9scan_implILNS1_25lookback_scan_determinismE0ELb0ELb0ES3_PKS7_PS7_S7_ZZZN2at6native31launch_logcumsumexp_cuda_kernelERKNSE_10TensorBaseESI_lENKUlvE_clEvENKUlvE1_clEvEUlS7_S7_E_S7_EEDaPvRmT3_T4_T5_mT6_P12ihipStream_tbENKUlT_T0_E_clISt17integral_constantIbLb1EESZ_EEDaSU_SV_EUlSU_E0_NS1_11comp_targetILNS1_3genE3ELNS1_11target_archE908ELNS1_3gpuE7ELNS1_3repE0EEENS1_30default_config_static_selectorELNS0_4arch9wavefront6targetE1EEEvT1_.has_dyn_sized_stack, 0
	.set _ZN7rocprim17ROCPRIM_400000_NS6detail17trampoline_kernelINS0_14default_configENS1_20scan_config_selectorIN3c107complexIdEEEEZZNS1_9scan_implILNS1_25lookback_scan_determinismE0ELb0ELb0ES3_PKS7_PS7_S7_ZZZN2at6native31launch_logcumsumexp_cuda_kernelERKNSE_10TensorBaseESI_lENKUlvE_clEvENKUlvE1_clEvEUlS7_S7_E_S7_EEDaPvRmT3_T4_T5_mT6_P12ihipStream_tbENKUlT_T0_E_clISt17integral_constantIbLb1EESZ_EEDaSU_SV_EUlSU_E0_NS1_11comp_targetILNS1_3genE3ELNS1_11target_archE908ELNS1_3gpuE7ELNS1_3repE0EEENS1_30default_config_static_selectorELNS0_4arch9wavefront6targetE1EEEvT1_.has_recursion, 0
	.set _ZN7rocprim17ROCPRIM_400000_NS6detail17trampoline_kernelINS0_14default_configENS1_20scan_config_selectorIN3c107complexIdEEEEZZNS1_9scan_implILNS1_25lookback_scan_determinismE0ELb0ELb0ES3_PKS7_PS7_S7_ZZZN2at6native31launch_logcumsumexp_cuda_kernelERKNSE_10TensorBaseESI_lENKUlvE_clEvENKUlvE1_clEvEUlS7_S7_E_S7_EEDaPvRmT3_T4_T5_mT6_P12ihipStream_tbENKUlT_T0_E_clISt17integral_constantIbLb1EESZ_EEDaSU_SV_EUlSU_E0_NS1_11comp_targetILNS1_3genE3ELNS1_11target_archE908ELNS1_3gpuE7ELNS1_3repE0EEENS1_30default_config_static_selectorELNS0_4arch9wavefront6targetE1EEEvT1_.has_indirect_call, 0
	.section	.AMDGPU.csdata,"",@progbits
; Kernel info:
; codeLenInByte = 0
; TotalNumSgprs: 6
; NumVgprs: 0
; NumAgprs: 0
; TotalNumVgprs: 0
; ScratchSize: 0
; MemoryBound: 0
; FloatMode: 240
; IeeeMode: 1
; LDSByteSize: 0 bytes/workgroup (compile time only)
; SGPRBlocks: 0
; VGPRBlocks: 0
; NumSGPRsForWavesPerEU: 6
; NumVGPRsForWavesPerEU: 1
; AccumOffset: 4
; Occupancy: 8
; WaveLimiterHint : 0
; COMPUTE_PGM_RSRC2:SCRATCH_EN: 0
; COMPUTE_PGM_RSRC2:USER_SGPR: 2
; COMPUTE_PGM_RSRC2:TRAP_HANDLER: 0
; COMPUTE_PGM_RSRC2:TGID_X_EN: 1
; COMPUTE_PGM_RSRC2:TGID_Y_EN: 0
; COMPUTE_PGM_RSRC2:TGID_Z_EN: 0
; COMPUTE_PGM_RSRC2:TIDIG_COMP_CNT: 0
; COMPUTE_PGM_RSRC3_GFX90A:ACCUM_OFFSET: 0
; COMPUTE_PGM_RSRC3_GFX90A:TG_SPLIT: 0
	.section	.text._ZN7rocprim17ROCPRIM_400000_NS6detail17trampoline_kernelINS0_14default_configENS1_20scan_config_selectorIN3c107complexIdEEEEZZNS1_9scan_implILNS1_25lookback_scan_determinismE0ELb0ELb0ES3_PKS7_PS7_S7_ZZZN2at6native31launch_logcumsumexp_cuda_kernelERKNSE_10TensorBaseESI_lENKUlvE_clEvENKUlvE1_clEvEUlS7_S7_E_S7_EEDaPvRmT3_T4_T5_mT6_P12ihipStream_tbENKUlT_T0_E_clISt17integral_constantIbLb1EESZ_EEDaSU_SV_EUlSU_E0_NS1_11comp_targetILNS1_3genE2ELNS1_11target_archE906ELNS1_3gpuE6ELNS1_3repE0EEENS1_30default_config_static_selectorELNS0_4arch9wavefront6targetE1EEEvT1_,"axG",@progbits,_ZN7rocprim17ROCPRIM_400000_NS6detail17trampoline_kernelINS0_14default_configENS1_20scan_config_selectorIN3c107complexIdEEEEZZNS1_9scan_implILNS1_25lookback_scan_determinismE0ELb0ELb0ES3_PKS7_PS7_S7_ZZZN2at6native31launch_logcumsumexp_cuda_kernelERKNSE_10TensorBaseESI_lENKUlvE_clEvENKUlvE1_clEvEUlS7_S7_E_S7_EEDaPvRmT3_T4_T5_mT6_P12ihipStream_tbENKUlT_T0_E_clISt17integral_constantIbLb1EESZ_EEDaSU_SV_EUlSU_E0_NS1_11comp_targetILNS1_3genE2ELNS1_11target_archE906ELNS1_3gpuE6ELNS1_3repE0EEENS1_30default_config_static_selectorELNS0_4arch9wavefront6targetE1EEEvT1_,comdat
	.globl	_ZN7rocprim17ROCPRIM_400000_NS6detail17trampoline_kernelINS0_14default_configENS1_20scan_config_selectorIN3c107complexIdEEEEZZNS1_9scan_implILNS1_25lookback_scan_determinismE0ELb0ELb0ES3_PKS7_PS7_S7_ZZZN2at6native31launch_logcumsumexp_cuda_kernelERKNSE_10TensorBaseESI_lENKUlvE_clEvENKUlvE1_clEvEUlS7_S7_E_S7_EEDaPvRmT3_T4_T5_mT6_P12ihipStream_tbENKUlT_T0_E_clISt17integral_constantIbLb1EESZ_EEDaSU_SV_EUlSU_E0_NS1_11comp_targetILNS1_3genE2ELNS1_11target_archE906ELNS1_3gpuE6ELNS1_3repE0EEENS1_30default_config_static_selectorELNS0_4arch9wavefront6targetE1EEEvT1_ ; -- Begin function _ZN7rocprim17ROCPRIM_400000_NS6detail17trampoline_kernelINS0_14default_configENS1_20scan_config_selectorIN3c107complexIdEEEEZZNS1_9scan_implILNS1_25lookback_scan_determinismE0ELb0ELb0ES3_PKS7_PS7_S7_ZZZN2at6native31launch_logcumsumexp_cuda_kernelERKNSE_10TensorBaseESI_lENKUlvE_clEvENKUlvE1_clEvEUlS7_S7_E_S7_EEDaPvRmT3_T4_T5_mT6_P12ihipStream_tbENKUlT_T0_E_clISt17integral_constantIbLb1EESZ_EEDaSU_SV_EUlSU_E0_NS1_11comp_targetILNS1_3genE2ELNS1_11target_archE906ELNS1_3gpuE6ELNS1_3repE0EEENS1_30default_config_static_selectorELNS0_4arch9wavefront6targetE1EEEvT1_
	.p2align	8
	.type	_ZN7rocprim17ROCPRIM_400000_NS6detail17trampoline_kernelINS0_14default_configENS1_20scan_config_selectorIN3c107complexIdEEEEZZNS1_9scan_implILNS1_25lookback_scan_determinismE0ELb0ELb0ES3_PKS7_PS7_S7_ZZZN2at6native31launch_logcumsumexp_cuda_kernelERKNSE_10TensorBaseESI_lENKUlvE_clEvENKUlvE1_clEvEUlS7_S7_E_S7_EEDaPvRmT3_T4_T5_mT6_P12ihipStream_tbENKUlT_T0_E_clISt17integral_constantIbLb1EESZ_EEDaSU_SV_EUlSU_E0_NS1_11comp_targetILNS1_3genE2ELNS1_11target_archE906ELNS1_3gpuE6ELNS1_3repE0EEENS1_30default_config_static_selectorELNS0_4arch9wavefront6targetE1EEEvT1_,@function
_ZN7rocprim17ROCPRIM_400000_NS6detail17trampoline_kernelINS0_14default_configENS1_20scan_config_selectorIN3c107complexIdEEEEZZNS1_9scan_implILNS1_25lookback_scan_determinismE0ELb0ELb0ES3_PKS7_PS7_S7_ZZZN2at6native31launch_logcumsumexp_cuda_kernelERKNSE_10TensorBaseESI_lENKUlvE_clEvENKUlvE1_clEvEUlS7_S7_E_S7_EEDaPvRmT3_T4_T5_mT6_P12ihipStream_tbENKUlT_T0_E_clISt17integral_constantIbLb1EESZ_EEDaSU_SV_EUlSU_E0_NS1_11comp_targetILNS1_3genE2ELNS1_11target_archE906ELNS1_3gpuE6ELNS1_3repE0EEENS1_30default_config_static_selectorELNS0_4arch9wavefront6targetE1EEEvT1_: ; @_ZN7rocprim17ROCPRIM_400000_NS6detail17trampoline_kernelINS0_14default_configENS1_20scan_config_selectorIN3c107complexIdEEEEZZNS1_9scan_implILNS1_25lookback_scan_determinismE0ELb0ELb0ES3_PKS7_PS7_S7_ZZZN2at6native31launch_logcumsumexp_cuda_kernelERKNSE_10TensorBaseESI_lENKUlvE_clEvENKUlvE1_clEvEUlS7_S7_E_S7_EEDaPvRmT3_T4_T5_mT6_P12ihipStream_tbENKUlT_T0_E_clISt17integral_constantIbLb1EESZ_EEDaSU_SV_EUlSU_E0_NS1_11comp_targetILNS1_3genE2ELNS1_11target_archE906ELNS1_3gpuE6ELNS1_3repE0EEENS1_30default_config_static_selectorELNS0_4arch9wavefront6targetE1EEEvT1_
; %bb.0:
	.section	.rodata,"a",@progbits
	.p2align	6, 0x0
	.amdhsa_kernel _ZN7rocprim17ROCPRIM_400000_NS6detail17trampoline_kernelINS0_14default_configENS1_20scan_config_selectorIN3c107complexIdEEEEZZNS1_9scan_implILNS1_25lookback_scan_determinismE0ELb0ELb0ES3_PKS7_PS7_S7_ZZZN2at6native31launch_logcumsumexp_cuda_kernelERKNSE_10TensorBaseESI_lENKUlvE_clEvENKUlvE1_clEvEUlS7_S7_E_S7_EEDaPvRmT3_T4_T5_mT6_P12ihipStream_tbENKUlT_T0_E_clISt17integral_constantIbLb1EESZ_EEDaSU_SV_EUlSU_E0_NS1_11comp_targetILNS1_3genE2ELNS1_11target_archE906ELNS1_3gpuE6ELNS1_3repE0EEENS1_30default_config_static_selectorELNS0_4arch9wavefront6targetE1EEEvT1_
		.amdhsa_group_segment_fixed_size 0
		.amdhsa_private_segment_fixed_size 0
		.amdhsa_kernarg_size 48
		.amdhsa_user_sgpr_count 2
		.amdhsa_user_sgpr_dispatch_ptr 0
		.amdhsa_user_sgpr_queue_ptr 0
		.amdhsa_user_sgpr_kernarg_segment_ptr 1
		.amdhsa_user_sgpr_dispatch_id 0
		.amdhsa_user_sgpr_kernarg_preload_length 0
		.amdhsa_user_sgpr_kernarg_preload_offset 0
		.amdhsa_user_sgpr_private_segment_size 0
		.amdhsa_uses_dynamic_stack 0
		.amdhsa_enable_private_segment 0
		.amdhsa_system_sgpr_workgroup_id_x 1
		.amdhsa_system_sgpr_workgroup_id_y 0
		.amdhsa_system_sgpr_workgroup_id_z 0
		.amdhsa_system_sgpr_workgroup_info 0
		.amdhsa_system_vgpr_workitem_id 0
		.amdhsa_next_free_vgpr 1
		.amdhsa_next_free_sgpr 0
		.amdhsa_accum_offset 4
		.amdhsa_reserve_vcc 0
		.amdhsa_float_round_mode_32 0
		.amdhsa_float_round_mode_16_64 0
		.amdhsa_float_denorm_mode_32 3
		.amdhsa_float_denorm_mode_16_64 3
		.amdhsa_dx10_clamp 1
		.amdhsa_ieee_mode 1
		.amdhsa_fp16_overflow 0
		.amdhsa_tg_split 0
		.amdhsa_exception_fp_ieee_invalid_op 0
		.amdhsa_exception_fp_denorm_src 0
		.amdhsa_exception_fp_ieee_div_zero 0
		.amdhsa_exception_fp_ieee_overflow 0
		.amdhsa_exception_fp_ieee_underflow 0
		.amdhsa_exception_fp_ieee_inexact 0
		.amdhsa_exception_int_div_zero 0
	.end_amdhsa_kernel
	.section	.text._ZN7rocprim17ROCPRIM_400000_NS6detail17trampoline_kernelINS0_14default_configENS1_20scan_config_selectorIN3c107complexIdEEEEZZNS1_9scan_implILNS1_25lookback_scan_determinismE0ELb0ELb0ES3_PKS7_PS7_S7_ZZZN2at6native31launch_logcumsumexp_cuda_kernelERKNSE_10TensorBaseESI_lENKUlvE_clEvENKUlvE1_clEvEUlS7_S7_E_S7_EEDaPvRmT3_T4_T5_mT6_P12ihipStream_tbENKUlT_T0_E_clISt17integral_constantIbLb1EESZ_EEDaSU_SV_EUlSU_E0_NS1_11comp_targetILNS1_3genE2ELNS1_11target_archE906ELNS1_3gpuE6ELNS1_3repE0EEENS1_30default_config_static_selectorELNS0_4arch9wavefront6targetE1EEEvT1_,"axG",@progbits,_ZN7rocprim17ROCPRIM_400000_NS6detail17trampoline_kernelINS0_14default_configENS1_20scan_config_selectorIN3c107complexIdEEEEZZNS1_9scan_implILNS1_25lookback_scan_determinismE0ELb0ELb0ES3_PKS7_PS7_S7_ZZZN2at6native31launch_logcumsumexp_cuda_kernelERKNSE_10TensorBaseESI_lENKUlvE_clEvENKUlvE1_clEvEUlS7_S7_E_S7_EEDaPvRmT3_T4_T5_mT6_P12ihipStream_tbENKUlT_T0_E_clISt17integral_constantIbLb1EESZ_EEDaSU_SV_EUlSU_E0_NS1_11comp_targetILNS1_3genE2ELNS1_11target_archE906ELNS1_3gpuE6ELNS1_3repE0EEENS1_30default_config_static_selectorELNS0_4arch9wavefront6targetE1EEEvT1_,comdat
.Lfunc_end216:
	.size	_ZN7rocprim17ROCPRIM_400000_NS6detail17trampoline_kernelINS0_14default_configENS1_20scan_config_selectorIN3c107complexIdEEEEZZNS1_9scan_implILNS1_25lookback_scan_determinismE0ELb0ELb0ES3_PKS7_PS7_S7_ZZZN2at6native31launch_logcumsumexp_cuda_kernelERKNSE_10TensorBaseESI_lENKUlvE_clEvENKUlvE1_clEvEUlS7_S7_E_S7_EEDaPvRmT3_T4_T5_mT6_P12ihipStream_tbENKUlT_T0_E_clISt17integral_constantIbLb1EESZ_EEDaSU_SV_EUlSU_E0_NS1_11comp_targetILNS1_3genE2ELNS1_11target_archE906ELNS1_3gpuE6ELNS1_3repE0EEENS1_30default_config_static_selectorELNS0_4arch9wavefront6targetE1EEEvT1_, .Lfunc_end216-_ZN7rocprim17ROCPRIM_400000_NS6detail17trampoline_kernelINS0_14default_configENS1_20scan_config_selectorIN3c107complexIdEEEEZZNS1_9scan_implILNS1_25lookback_scan_determinismE0ELb0ELb0ES3_PKS7_PS7_S7_ZZZN2at6native31launch_logcumsumexp_cuda_kernelERKNSE_10TensorBaseESI_lENKUlvE_clEvENKUlvE1_clEvEUlS7_S7_E_S7_EEDaPvRmT3_T4_T5_mT6_P12ihipStream_tbENKUlT_T0_E_clISt17integral_constantIbLb1EESZ_EEDaSU_SV_EUlSU_E0_NS1_11comp_targetILNS1_3genE2ELNS1_11target_archE906ELNS1_3gpuE6ELNS1_3repE0EEENS1_30default_config_static_selectorELNS0_4arch9wavefront6targetE1EEEvT1_
                                        ; -- End function
	.set _ZN7rocprim17ROCPRIM_400000_NS6detail17trampoline_kernelINS0_14default_configENS1_20scan_config_selectorIN3c107complexIdEEEEZZNS1_9scan_implILNS1_25lookback_scan_determinismE0ELb0ELb0ES3_PKS7_PS7_S7_ZZZN2at6native31launch_logcumsumexp_cuda_kernelERKNSE_10TensorBaseESI_lENKUlvE_clEvENKUlvE1_clEvEUlS7_S7_E_S7_EEDaPvRmT3_T4_T5_mT6_P12ihipStream_tbENKUlT_T0_E_clISt17integral_constantIbLb1EESZ_EEDaSU_SV_EUlSU_E0_NS1_11comp_targetILNS1_3genE2ELNS1_11target_archE906ELNS1_3gpuE6ELNS1_3repE0EEENS1_30default_config_static_selectorELNS0_4arch9wavefront6targetE1EEEvT1_.num_vgpr, 0
	.set _ZN7rocprim17ROCPRIM_400000_NS6detail17trampoline_kernelINS0_14default_configENS1_20scan_config_selectorIN3c107complexIdEEEEZZNS1_9scan_implILNS1_25lookback_scan_determinismE0ELb0ELb0ES3_PKS7_PS7_S7_ZZZN2at6native31launch_logcumsumexp_cuda_kernelERKNSE_10TensorBaseESI_lENKUlvE_clEvENKUlvE1_clEvEUlS7_S7_E_S7_EEDaPvRmT3_T4_T5_mT6_P12ihipStream_tbENKUlT_T0_E_clISt17integral_constantIbLb1EESZ_EEDaSU_SV_EUlSU_E0_NS1_11comp_targetILNS1_3genE2ELNS1_11target_archE906ELNS1_3gpuE6ELNS1_3repE0EEENS1_30default_config_static_selectorELNS0_4arch9wavefront6targetE1EEEvT1_.num_agpr, 0
	.set _ZN7rocprim17ROCPRIM_400000_NS6detail17trampoline_kernelINS0_14default_configENS1_20scan_config_selectorIN3c107complexIdEEEEZZNS1_9scan_implILNS1_25lookback_scan_determinismE0ELb0ELb0ES3_PKS7_PS7_S7_ZZZN2at6native31launch_logcumsumexp_cuda_kernelERKNSE_10TensorBaseESI_lENKUlvE_clEvENKUlvE1_clEvEUlS7_S7_E_S7_EEDaPvRmT3_T4_T5_mT6_P12ihipStream_tbENKUlT_T0_E_clISt17integral_constantIbLb1EESZ_EEDaSU_SV_EUlSU_E0_NS1_11comp_targetILNS1_3genE2ELNS1_11target_archE906ELNS1_3gpuE6ELNS1_3repE0EEENS1_30default_config_static_selectorELNS0_4arch9wavefront6targetE1EEEvT1_.numbered_sgpr, 0
	.set _ZN7rocprim17ROCPRIM_400000_NS6detail17trampoline_kernelINS0_14default_configENS1_20scan_config_selectorIN3c107complexIdEEEEZZNS1_9scan_implILNS1_25lookback_scan_determinismE0ELb0ELb0ES3_PKS7_PS7_S7_ZZZN2at6native31launch_logcumsumexp_cuda_kernelERKNSE_10TensorBaseESI_lENKUlvE_clEvENKUlvE1_clEvEUlS7_S7_E_S7_EEDaPvRmT3_T4_T5_mT6_P12ihipStream_tbENKUlT_T0_E_clISt17integral_constantIbLb1EESZ_EEDaSU_SV_EUlSU_E0_NS1_11comp_targetILNS1_3genE2ELNS1_11target_archE906ELNS1_3gpuE6ELNS1_3repE0EEENS1_30default_config_static_selectorELNS0_4arch9wavefront6targetE1EEEvT1_.num_named_barrier, 0
	.set _ZN7rocprim17ROCPRIM_400000_NS6detail17trampoline_kernelINS0_14default_configENS1_20scan_config_selectorIN3c107complexIdEEEEZZNS1_9scan_implILNS1_25lookback_scan_determinismE0ELb0ELb0ES3_PKS7_PS7_S7_ZZZN2at6native31launch_logcumsumexp_cuda_kernelERKNSE_10TensorBaseESI_lENKUlvE_clEvENKUlvE1_clEvEUlS7_S7_E_S7_EEDaPvRmT3_T4_T5_mT6_P12ihipStream_tbENKUlT_T0_E_clISt17integral_constantIbLb1EESZ_EEDaSU_SV_EUlSU_E0_NS1_11comp_targetILNS1_3genE2ELNS1_11target_archE906ELNS1_3gpuE6ELNS1_3repE0EEENS1_30default_config_static_selectorELNS0_4arch9wavefront6targetE1EEEvT1_.private_seg_size, 0
	.set _ZN7rocprim17ROCPRIM_400000_NS6detail17trampoline_kernelINS0_14default_configENS1_20scan_config_selectorIN3c107complexIdEEEEZZNS1_9scan_implILNS1_25lookback_scan_determinismE0ELb0ELb0ES3_PKS7_PS7_S7_ZZZN2at6native31launch_logcumsumexp_cuda_kernelERKNSE_10TensorBaseESI_lENKUlvE_clEvENKUlvE1_clEvEUlS7_S7_E_S7_EEDaPvRmT3_T4_T5_mT6_P12ihipStream_tbENKUlT_T0_E_clISt17integral_constantIbLb1EESZ_EEDaSU_SV_EUlSU_E0_NS1_11comp_targetILNS1_3genE2ELNS1_11target_archE906ELNS1_3gpuE6ELNS1_3repE0EEENS1_30default_config_static_selectorELNS0_4arch9wavefront6targetE1EEEvT1_.uses_vcc, 0
	.set _ZN7rocprim17ROCPRIM_400000_NS6detail17trampoline_kernelINS0_14default_configENS1_20scan_config_selectorIN3c107complexIdEEEEZZNS1_9scan_implILNS1_25lookback_scan_determinismE0ELb0ELb0ES3_PKS7_PS7_S7_ZZZN2at6native31launch_logcumsumexp_cuda_kernelERKNSE_10TensorBaseESI_lENKUlvE_clEvENKUlvE1_clEvEUlS7_S7_E_S7_EEDaPvRmT3_T4_T5_mT6_P12ihipStream_tbENKUlT_T0_E_clISt17integral_constantIbLb1EESZ_EEDaSU_SV_EUlSU_E0_NS1_11comp_targetILNS1_3genE2ELNS1_11target_archE906ELNS1_3gpuE6ELNS1_3repE0EEENS1_30default_config_static_selectorELNS0_4arch9wavefront6targetE1EEEvT1_.uses_flat_scratch, 0
	.set _ZN7rocprim17ROCPRIM_400000_NS6detail17trampoline_kernelINS0_14default_configENS1_20scan_config_selectorIN3c107complexIdEEEEZZNS1_9scan_implILNS1_25lookback_scan_determinismE0ELb0ELb0ES3_PKS7_PS7_S7_ZZZN2at6native31launch_logcumsumexp_cuda_kernelERKNSE_10TensorBaseESI_lENKUlvE_clEvENKUlvE1_clEvEUlS7_S7_E_S7_EEDaPvRmT3_T4_T5_mT6_P12ihipStream_tbENKUlT_T0_E_clISt17integral_constantIbLb1EESZ_EEDaSU_SV_EUlSU_E0_NS1_11comp_targetILNS1_3genE2ELNS1_11target_archE906ELNS1_3gpuE6ELNS1_3repE0EEENS1_30default_config_static_selectorELNS0_4arch9wavefront6targetE1EEEvT1_.has_dyn_sized_stack, 0
	.set _ZN7rocprim17ROCPRIM_400000_NS6detail17trampoline_kernelINS0_14default_configENS1_20scan_config_selectorIN3c107complexIdEEEEZZNS1_9scan_implILNS1_25lookback_scan_determinismE0ELb0ELb0ES3_PKS7_PS7_S7_ZZZN2at6native31launch_logcumsumexp_cuda_kernelERKNSE_10TensorBaseESI_lENKUlvE_clEvENKUlvE1_clEvEUlS7_S7_E_S7_EEDaPvRmT3_T4_T5_mT6_P12ihipStream_tbENKUlT_T0_E_clISt17integral_constantIbLb1EESZ_EEDaSU_SV_EUlSU_E0_NS1_11comp_targetILNS1_3genE2ELNS1_11target_archE906ELNS1_3gpuE6ELNS1_3repE0EEENS1_30default_config_static_selectorELNS0_4arch9wavefront6targetE1EEEvT1_.has_recursion, 0
	.set _ZN7rocprim17ROCPRIM_400000_NS6detail17trampoline_kernelINS0_14default_configENS1_20scan_config_selectorIN3c107complexIdEEEEZZNS1_9scan_implILNS1_25lookback_scan_determinismE0ELb0ELb0ES3_PKS7_PS7_S7_ZZZN2at6native31launch_logcumsumexp_cuda_kernelERKNSE_10TensorBaseESI_lENKUlvE_clEvENKUlvE1_clEvEUlS7_S7_E_S7_EEDaPvRmT3_T4_T5_mT6_P12ihipStream_tbENKUlT_T0_E_clISt17integral_constantIbLb1EESZ_EEDaSU_SV_EUlSU_E0_NS1_11comp_targetILNS1_3genE2ELNS1_11target_archE906ELNS1_3gpuE6ELNS1_3repE0EEENS1_30default_config_static_selectorELNS0_4arch9wavefront6targetE1EEEvT1_.has_indirect_call, 0
	.section	.AMDGPU.csdata,"",@progbits
; Kernel info:
; codeLenInByte = 0
; TotalNumSgprs: 6
; NumVgprs: 0
; NumAgprs: 0
; TotalNumVgprs: 0
; ScratchSize: 0
; MemoryBound: 0
; FloatMode: 240
; IeeeMode: 1
; LDSByteSize: 0 bytes/workgroup (compile time only)
; SGPRBlocks: 0
; VGPRBlocks: 0
; NumSGPRsForWavesPerEU: 6
; NumVGPRsForWavesPerEU: 1
; AccumOffset: 4
; Occupancy: 8
; WaveLimiterHint : 0
; COMPUTE_PGM_RSRC2:SCRATCH_EN: 0
; COMPUTE_PGM_RSRC2:USER_SGPR: 2
; COMPUTE_PGM_RSRC2:TRAP_HANDLER: 0
; COMPUTE_PGM_RSRC2:TGID_X_EN: 1
; COMPUTE_PGM_RSRC2:TGID_Y_EN: 0
; COMPUTE_PGM_RSRC2:TGID_Z_EN: 0
; COMPUTE_PGM_RSRC2:TIDIG_COMP_CNT: 0
; COMPUTE_PGM_RSRC3_GFX90A:ACCUM_OFFSET: 0
; COMPUTE_PGM_RSRC3_GFX90A:TG_SPLIT: 0
	.section	.text._ZN7rocprim17ROCPRIM_400000_NS6detail17trampoline_kernelINS0_14default_configENS1_20scan_config_selectorIN3c107complexIdEEEEZZNS1_9scan_implILNS1_25lookback_scan_determinismE0ELb0ELb0ES3_PKS7_PS7_S7_ZZZN2at6native31launch_logcumsumexp_cuda_kernelERKNSE_10TensorBaseESI_lENKUlvE_clEvENKUlvE1_clEvEUlS7_S7_E_S7_EEDaPvRmT3_T4_T5_mT6_P12ihipStream_tbENKUlT_T0_E_clISt17integral_constantIbLb1EESZ_EEDaSU_SV_EUlSU_E0_NS1_11comp_targetILNS1_3genE10ELNS1_11target_archE1201ELNS1_3gpuE5ELNS1_3repE0EEENS1_30default_config_static_selectorELNS0_4arch9wavefront6targetE1EEEvT1_,"axG",@progbits,_ZN7rocprim17ROCPRIM_400000_NS6detail17trampoline_kernelINS0_14default_configENS1_20scan_config_selectorIN3c107complexIdEEEEZZNS1_9scan_implILNS1_25lookback_scan_determinismE0ELb0ELb0ES3_PKS7_PS7_S7_ZZZN2at6native31launch_logcumsumexp_cuda_kernelERKNSE_10TensorBaseESI_lENKUlvE_clEvENKUlvE1_clEvEUlS7_S7_E_S7_EEDaPvRmT3_T4_T5_mT6_P12ihipStream_tbENKUlT_T0_E_clISt17integral_constantIbLb1EESZ_EEDaSU_SV_EUlSU_E0_NS1_11comp_targetILNS1_3genE10ELNS1_11target_archE1201ELNS1_3gpuE5ELNS1_3repE0EEENS1_30default_config_static_selectorELNS0_4arch9wavefront6targetE1EEEvT1_,comdat
	.globl	_ZN7rocprim17ROCPRIM_400000_NS6detail17trampoline_kernelINS0_14default_configENS1_20scan_config_selectorIN3c107complexIdEEEEZZNS1_9scan_implILNS1_25lookback_scan_determinismE0ELb0ELb0ES3_PKS7_PS7_S7_ZZZN2at6native31launch_logcumsumexp_cuda_kernelERKNSE_10TensorBaseESI_lENKUlvE_clEvENKUlvE1_clEvEUlS7_S7_E_S7_EEDaPvRmT3_T4_T5_mT6_P12ihipStream_tbENKUlT_T0_E_clISt17integral_constantIbLb1EESZ_EEDaSU_SV_EUlSU_E0_NS1_11comp_targetILNS1_3genE10ELNS1_11target_archE1201ELNS1_3gpuE5ELNS1_3repE0EEENS1_30default_config_static_selectorELNS0_4arch9wavefront6targetE1EEEvT1_ ; -- Begin function _ZN7rocprim17ROCPRIM_400000_NS6detail17trampoline_kernelINS0_14default_configENS1_20scan_config_selectorIN3c107complexIdEEEEZZNS1_9scan_implILNS1_25lookback_scan_determinismE0ELb0ELb0ES3_PKS7_PS7_S7_ZZZN2at6native31launch_logcumsumexp_cuda_kernelERKNSE_10TensorBaseESI_lENKUlvE_clEvENKUlvE1_clEvEUlS7_S7_E_S7_EEDaPvRmT3_T4_T5_mT6_P12ihipStream_tbENKUlT_T0_E_clISt17integral_constantIbLb1EESZ_EEDaSU_SV_EUlSU_E0_NS1_11comp_targetILNS1_3genE10ELNS1_11target_archE1201ELNS1_3gpuE5ELNS1_3repE0EEENS1_30default_config_static_selectorELNS0_4arch9wavefront6targetE1EEEvT1_
	.p2align	8
	.type	_ZN7rocprim17ROCPRIM_400000_NS6detail17trampoline_kernelINS0_14default_configENS1_20scan_config_selectorIN3c107complexIdEEEEZZNS1_9scan_implILNS1_25lookback_scan_determinismE0ELb0ELb0ES3_PKS7_PS7_S7_ZZZN2at6native31launch_logcumsumexp_cuda_kernelERKNSE_10TensorBaseESI_lENKUlvE_clEvENKUlvE1_clEvEUlS7_S7_E_S7_EEDaPvRmT3_T4_T5_mT6_P12ihipStream_tbENKUlT_T0_E_clISt17integral_constantIbLb1EESZ_EEDaSU_SV_EUlSU_E0_NS1_11comp_targetILNS1_3genE10ELNS1_11target_archE1201ELNS1_3gpuE5ELNS1_3repE0EEENS1_30default_config_static_selectorELNS0_4arch9wavefront6targetE1EEEvT1_,@function
_ZN7rocprim17ROCPRIM_400000_NS6detail17trampoline_kernelINS0_14default_configENS1_20scan_config_selectorIN3c107complexIdEEEEZZNS1_9scan_implILNS1_25lookback_scan_determinismE0ELb0ELb0ES3_PKS7_PS7_S7_ZZZN2at6native31launch_logcumsumexp_cuda_kernelERKNSE_10TensorBaseESI_lENKUlvE_clEvENKUlvE1_clEvEUlS7_S7_E_S7_EEDaPvRmT3_T4_T5_mT6_P12ihipStream_tbENKUlT_T0_E_clISt17integral_constantIbLb1EESZ_EEDaSU_SV_EUlSU_E0_NS1_11comp_targetILNS1_3genE10ELNS1_11target_archE1201ELNS1_3gpuE5ELNS1_3repE0EEENS1_30default_config_static_selectorELNS0_4arch9wavefront6targetE1EEEvT1_: ; @_ZN7rocprim17ROCPRIM_400000_NS6detail17trampoline_kernelINS0_14default_configENS1_20scan_config_selectorIN3c107complexIdEEEEZZNS1_9scan_implILNS1_25lookback_scan_determinismE0ELb0ELb0ES3_PKS7_PS7_S7_ZZZN2at6native31launch_logcumsumexp_cuda_kernelERKNSE_10TensorBaseESI_lENKUlvE_clEvENKUlvE1_clEvEUlS7_S7_E_S7_EEDaPvRmT3_T4_T5_mT6_P12ihipStream_tbENKUlT_T0_E_clISt17integral_constantIbLb1EESZ_EEDaSU_SV_EUlSU_E0_NS1_11comp_targetILNS1_3genE10ELNS1_11target_archE1201ELNS1_3gpuE5ELNS1_3repE0EEENS1_30default_config_static_selectorELNS0_4arch9wavefront6targetE1EEEvT1_
; %bb.0:
	.section	.rodata,"a",@progbits
	.p2align	6, 0x0
	.amdhsa_kernel _ZN7rocprim17ROCPRIM_400000_NS6detail17trampoline_kernelINS0_14default_configENS1_20scan_config_selectorIN3c107complexIdEEEEZZNS1_9scan_implILNS1_25lookback_scan_determinismE0ELb0ELb0ES3_PKS7_PS7_S7_ZZZN2at6native31launch_logcumsumexp_cuda_kernelERKNSE_10TensorBaseESI_lENKUlvE_clEvENKUlvE1_clEvEUlS7_S7_E_S7_EEDaPvRmT3_T4_T5_mT6_P12ihipStream_tbENKUlT_T0_E_clISt17integral_constantIbLb1EESZ_EEDaSU_SV_EUlSU_E0_NS1_11comp_targetILNS1_3genE10ELNS1_11target_archE1201ELNS1_3gpuE5ELNS1_3repE0EEENS1_30default_config_static_selectorELNS0_4arch9wavefront6targetE1EEEvT1_
		.amdhsa_group_segment_fixed_size 0
		.amdhsa_private_segment_fixed_size 0
		.amdhsa_kernarg_size 48
		.amdhsa_user_sgpr_count 2
		.amdhsa_user_sgpr_dispatch_ptr 0
		.amdhsa_user_sgpr_queue_ptr 0
		.amdhsa_user_sgpr_kernarg_segment_ptr 1
		.amdhsa_user_sgpr_dispatch_id 0
		.amdhsa_user_sgpr_kernarg_preload_length 0
		.amdhsa_user_sgpr_kernarg_preload_offset 0
		.amdhsa_user_sgpr_private_segment_size 0
		.amdhsa_uses_dynamic_stack 0
		.amdhsa_enable_private_segment 0
		.amdhsa_system_sgpr_workgroup_id_x 1
		.amdhsa_system_sgpr_workgroup_id_y 0
		.amdhsa_system_sgpr_workgroup_id_z 0
		.amdhsa_system_sgpr_workgroup_info 0
		.amdhsa_system_vgpr_workitem_id 0
		.amdhsa_next_free_vgpr 1
		.amdhsa_next_free_sgpr 0
		.amdhsa_accum_offset 4
		.amdhsa_reserve_vcc 0
		.amdhsa_float_round_mode_32 0
		.amdhsa_float_round_mode_16_64 0
		.amdhsa_float_denorm_mode_32 3
		.amdhsa_float_denorm_mode_16_64 3
		.amdhsa_dx10_clamp 1
		.amdhsa_ieee_mode 1
		.amdhsa_fp16_overflow 0
		.amdhsa_tg_split 0
		.amdhsa_exception_fp_ieee_invalid_op 0
		.amdhsa_exception_fp_denorm_src 0
		.amdhsa_exception_fp_ieee_div_zero 0
		.amdhsa_exception_fp_ieee_overflow 0
		.amdhsa_exception_fp_ieee_underflow 0
		.amdhsa_exception_fp_ieee_inexact 0
		.amdhsa_exception_int_div_zero 0
	.end_amdhsa_kernel
	.section	.text._ZN7rocprim17ROCPRIM_400000_NS6detail17trampoline_kernelINS0_14default_configENS1_20scan_config_selectorIN3c107complexIdEEEEZZNS1_9scan_implILNS1_25lookback_scan_determinismE0ELb0ELb0ES3_PKS7_PS7_S7_ZZZN2at6native31launch_logcumsumexp_cuda_kernelERKNSE_10TensorBaseESI_lENKUlvE_clEvENKUlvE1_clEvEUlS7_S7_E_S7_EEDaPvRmT3_T4_T5_mT6_P12ihipStream_tbENKUlT_T0_E_clISt17integral_constantIbLb1EESZ_EEDaSU_SV_EUlSU_E0_NS1_11comp_targetILNS1_3genE10ELNS1_11target_archE1201ELNS1_3gpuE5ELNS1_3repE0EEENS1_30default_config_static_selectorELNS0_4arch9wavefront6targetE1EEEvT1_,"axG",@progbits,_ZN7rocprim17ROCPRIM_400000_NS6detail17trampoline_kernelINS0_14default_configENS1_20scan_config_selectorIN3c107complexIdEEEEZZNS1_9scan_implILNS1_25lookback_scan_determinismE0ELb0ELb0ES3_PKS7_PS7_S7_ZZZN2at6native31launch_logcumsumexp_cuda_kernelERKNSE_10TensorBaseESI_lENKUlvE_clEvENKUlvE1_clEvEUlS7_S7_E_S7_EEDaPvRmT3_T4_T5_mT6_P12ihipStream_tbENKUlT_T0_E_clISt17integral_constantIbLb1EESZ_EEDaSU_SV_EUlSU_E0_NS1_11comp_targetILNS1_3genE10ELNS1_11target_archE1201ELNS1_3gpuE5ELNS1_3repE0EEENS1_30default_config_static_selectorELNS0_4arch9wavefront6targetE1EEEvT1_,comdat
.Lfunc_end217:
	.size	_ZN7rocprim17ROCPRIM_400000_NS6detail17trampoline_kernelINS0_14default_configENS1_20scan_config_selectorIN3c107complexIdEEEEZZNS1_9scan_implILNS1_25lookback_scan_determinismE0ELb0ELb0ES3_PKS7_PS7_S7_ZZZN2at6native31launch_logcumsumexp_cuda_kernelERKNSE_10TensorBaseESI_lENKUlvE_clEvENKUlvE1_clEvEUlS7_S7_E_S7_EEDaPvRmT3_T4_T5_mT6_P12ihipStream_tbENKUlT_T0_E_clISt17integral_constantIbLb1EESZ_EEDaSU_SV_EUlSU_E0_NS1_11comp_targetILNS1_3genE10ELNS1_11target_archE1201ELNS1_3gpuE5ELNS1_3repE0EEENS1_30default_config_static_selectorELNS0_4arch9wavefront6targetE1EEEvT1_, .Lfunc_end217-_ZN7rocprim17ROCPRIM_400000_NS6detail17trampoline_kernelINS0_14default_configENS1_20scan_config_selectorIN3c107complexIdEEEEZZNS1_9scan_implILNS1_25lookback_scan_determinismE0ELb0ELb0ES3_PKS7_PS7_S7_ZZZN2at6native31launch_logcumsumexp_cuda_kernelERKNSE_10TensorBaseESI_lENKUlvE_clEvENKUlvE1_clEvEUlS7_S7_E_S7_EEDaPvRmT3_T4_T5_mT6_P12ihipStream_tbENKUlT_T0_E_clISt17integral_constantIbLb1EESZ_EEDaSU_SV_EUlSU_E0_NS1_11comp_targetILNS1_3genE10ELNS1_11target_archE1201ELNS1_3gpuE5ELNS1_3repE0EEENS1_30default_config_static_selectorELNS0_4arch9wavefront6targetE1EEEvT1_
                                        ; -- End function
	.set _ZN7rocprim17ROCPRIM_400000_NS6detail17trampoline_kernelINS0_14default_configENS1_20scan_config_selectorIN3c107complexIdEEEEZZNS1_9scan_implILNS1_25lookback_scan_determinismE0ELb0ELb0ES3_PKS7_PS7_S7_ZZZN2at6native31launch_logcumsumexp_cuda_kernelERKNSE_10TensorBaseESI_lENKUlvE_clEvENKUlvE1_clEvEUlS7_S7_E_S7_EEDaPvRmT3_T4_T5_mT6_P12ihipStream_tbENKUlT_T0_E_clISt17integral_constantIbLb1EESZ_EEDaSU_SV_EUlSU_E0_NS1_11comp_targetILNS1_3genE10ELNS1_11target_archE1201ELNS1_3gpuE5ELNS1_3repE0EEENS1_30default_config_static_selectorELNS0_4arch9wavefront6targetE1EEEvT1_.num_vgpr, 0
	.set _ZN7rocprim17ROCPRIM_400000_NS6detail17trampoline_kernelINS0_14default_configENS1_20scan_config_selectorIN3c107complexIdEEEEZZNS1_9scan_implILNS1_25lookback_scan_determinismE0ELb0ELb0ES3_PKS7_PS7_S7_ZZZN2at6native31launch_logcumsumexp_cuda_kernelERKNSE_10TensorBaseESI_lENKUlvE_clEvENKUlvE1_clEvEUlS7_S7_E_S7_EEDaPvRmT3_T4_T5_mT6_P12ihipStream_tbENKUlT_T0_E_clISt17integral_constantIbLb1EESZ_EEDaSU_SV_EUlSU_E0_NS1_11comp_targetILNS1_3genE10ELNS1_11target_archE1201ELNS1_3gpuE5ELNS1_3repE0EEENS1_30default_config_static_selectorELNS0_4arch9wavefront6targetE1EEEvT1_.num_agpr, 0
	.set _ZN7rocprim17ROCPRIM_400000_NS6detail17trampoline_kernelINS0_14default_configENS1_20scan_config_selectorIN3c107complexIdEEEEZZNS1_9scan_implILNS1_25lookback_scan_determinismE0ELb0ELb0ES3_PKS7_PS7_S7_ZZZN2at6native31launch_logcumsumexp_cuda_kernelERKNSE_10TensorBaseESI_lENKUlvE_clEvENKUlvE1_clEvEUlS7_S7_E_S7_EEDaPvRmT3_T4_T5_mT6_P12ihipStream_tbENKUlT_T0_E_clISt17integral_constantIbLb1EESZ_EEDaSU_SV_EUlSU_E0_NS1_11comp_targetILNS1_3genE10ELNS1_11target_archE1201ELNS1_3gpuE5ELNS1_3repE0EEENS1_30default_config_static_selectorELNS0_4arch9wavefront6targetE1EEEvT1_.numbered_sgpr, 0
	.set _ZN7rocprim17ROCPRIM_400000_NS6detail17trampoline_kernelINS0_14default_configENS1_20scan_config_selectorIN3c107complexIdEEEEZZNS1_9scan_implILNS1_25lookback_scan_determinismE0ELb0ELb0ES3_PKS7_PS7_S7_ZZZN2at6native31launch_logcumsumexp_cuda_kernelERKNSE_10TensorBaseESI_lENKUlvE_clEvENKUlvE1_clEvEUlS7_S7_E_S7_EEDaPvRmT3_T4_T5_mT6_P12ihipStream_tbENKUlT_T0_E_clISt17integral_constantIbLb1EESZ_EEDaSU_SV_EUlSU_E0_NS1_11comp_targetILNS1_3genE10ELNS1_11target_archE1201ELNS1_3gpuE5ELNS1_3repE0EEENS1_30default_config_static_selectorELNS0_4arch9wavefront6targetE1EEEvT1_.num_named_barrier, 0
	.set _ZN7rocprim17ROCPRIM_400000_NS6detail17trampoline_kernelINS0_14default_configENS1_20scan_config_selectorIN3c107complexIdEEEEZZNS1_9scan_implILNS1_25lookback_scan_determinismE0ELb0ELb0ES3_PKS7_PS7_S7_ZZZN2at6native31launch_logcumsumexp_cuda_kernelERKNSE_10TensorBaseESI_lENKUlvE_clEvENKUlvE1_clEvEUlS7_S7_E_S7_EEDaPvRmT3_T4_T5_mT6_P12ihipStream_tbENKUlT_T0_E_clISt17integral_constantIbLb1EESZ_EEDaSU_SV_EUlSU_E0_NS1_11comp_targetILNS1_3genE10ELNS1_11target_archE1201ELNS1_3gpuE5ELNS1_3repE0EEENS1_30default_config_static_selectorELNS0_4arch9wavefront6targetE1EEEvT1_.private_seg_size, 0
	.set _ZN7rocprim17ROCPRIM_400000_NS6detail17trampoline_kernelINS0_14default_configENS1_20scan_config_selectorIN3c107complexIdEEEEZZNS1_9scan_implILNS1_25lookback_scan_determinismE0ELb0ELb0ES3_PKS7_PS7_S7_ZZZN2at6native31launch_logcumsumexp_cuda_kernelERKNSE_10TensorBaseESI_lENKUlvE_clEvENKUlvE1_clEvEUlS7_S7_E_S7_EEDaPvRmT3_T4_T5_mT6_P12ihipStream_tbENKUlT_T0_E_clISt17integral_constantIbLb1EESZ_EEDaSU_SV_EUlSU_E0_NS1_11comp_targetILNS1_3genE10ELNS1_11target_archE1201ELNS1_3gpuE5ELNS1_3repE0EEENS1_30default_config_static_selectorELNS0_4arch9wavefront6targetE1EEEvT1_.uses_vcc, 0
	.set _ZN7rocprim17ROCPRIM_400000_NS6detail17trampoline_kernelINS0_14default_configENS1_20scan_config_selectorIN3c107complexIdEEEEZZNS1_9scan_implILNS1_25lookback_scan_determinismE0ELb0ELb0ES3_PKS7_PS7_S7_ZZZN2at6native31launch_logcumsumexp_cuda_kernelERKNSE_10TensorBaseESI_lENKUlvE_clEvENKUlvE1_clEvEUlS7_S7_E_S7_EEDaPvRmT3_T4_T5_mT6_P12ihipStream_tbENKUlT_T0_E_clISt17integral_constantIbLb1EESZ_EEDaSU_SV_EUlSU_E0_NS1_11comp_targetILNS1_3genE10ELNS1_11target_archE1201ELNS1_3gpuE5ELNS1_3repE0EEENS1_30default_config_static_selectorELNS0_4arch9wavefront6targetE1EEEvT1_.uses_flat_scratch, 0
	.set _ZN7rocprim17ROCPRIM_400000_NS6detail17trampoline_kernelINS0_14default_configENS1_20scan_config_selectorIN3c107complexIdEEEEZZNS1_9scan_implILNS1_25lookback_scan_determinismE0ELb0ELb0ES3_PKS7_PS7_S7_ZZZN2at6native31launch_logcumsumexp_cuda_kernelERKNSE_10TensorBaseESI_lENKUlvE_clEvENKUlvE1_clEvEUlS7_S7_E_S7_EEDaPvRmT3_T4_T5_mT6_P12ihipStream_tbENKUlT_T0_E_clISt17integral_constantIbLb1EESZ_EEDaSU_SV_EUlSU_E0_NS1_11comp_targetILNS1_3genE10ELNS1_11target_archE1201ELNS1_3gpuE5ELNS1_3repE0EEENS1_30default_config_static_selectorELNS0_4arch9wavefront6targetE1EEEvT1_.has_dyn_sized_stack, 0
	.set _ZN7rocprim17ROCPRIM_400000_NS6detail17trampoline_kernelINS0_14default_configENS1_20scan_config_selectorIN3c107complexIdEEEEZZNS1_9scan_implILNS1_25lookback_scan_determinismE0ELb0ELb0ES3_PKS7_PS7_S7_ZZZN2at6native31launch_logcumsumexp_cuda_kernelERKNSE_10TensorBaseESI_lENKUlvE_clEvENKUlvE1_clEvEUlS7_S7_E_S7_EEDaPvRmT3_T4_T5_mT6_P12ihipStream_tbENKUlT_T0_E_clISt17integral_constantIbLb1EESZ_EEDaSU_SV_EUlSU_E0_NS1_11comp_targetILNS1_3genE10ELNS1_11target_archE1201ELNS1_3gpuE5ELNS1_3repE0EEENS1_30default_config_static_selectorELNS0_4arch9wavefront6targetE1EEEvT1_.has_recursion, 0
	.set _ZN7rocprim17ROCPRIM_400000_NS6detail17trampoline_kernelINS0_14default_configENS1_20scan_config_selectorIN3c107complexIdEEEEZZNS1_9scan_implILNS1_25lookback_scan_determinismE0ELb0ELb0ES3_PKS7_PS7_S7_ZZZN2at6native31launch_logcumsumexp_cuda_kernelERKNSE_10TensorBaseESI_lENKUlvE_clEvENKUlvE1_clEvEUlS7_S7_E_S7_EEDaPvRmT3_T4_T5_mT6_P12ihipStream_tbENKUlT_T0_E_clISt17integral_constantIbLb1EESZ_EEDaSU_SV_EUlSU_E0_NS1_11comp_targetILNS1_3genE10ELNS1_11target_archE1201ELNS1_3gpuE5ELNS1_3repE0EEENS1_30default_config_static_selectorELNS0_4arch9wavefront6targetE1EEEvT1_.has_indirect_call, 0
	.section	.AMDGPU.csdata,"",@progbits
; Kernel info:
; codeLenInByte = 0
; TotalNumSgprs: 6
; NumVgprs: 0
; NumAgprs: 0
; TotalNumVgprs: 0
; ScratchSize: 0
; MemoryBound: 0
; FloatMode: 240
; IeeeMode: 1
; LDSByteSize: 0 bytes/workgroup (compile time only)
; SGPRBlocks: 0
; VGPRBlocks: 0
; NumSGPRsForWavesPerEU: 6
; NumVGPRsForWavesPerEU: 1
; AccumOffset: 4
; Occupancy: 8
; WaveLimiterHint : 0
; COMPUTE_PGM_RSRC2:SCRATCH_EN: 0
; COMPUTE_PGM_RSRC2:USER_SGPR: 2
; COMPUTE_PGM_RSRC2:TRAP_HANDLER: 0
; COMPUTE_PGM_RSRC2:TGID_X_EN: 1
; COMPUTE_PGM_RSRC2:TGID_Y_EN: 0
; COMPUTE_PGM_RSRC2:TGID_Z_EN: 0
; COMPUTE_PGM_RSRC2:TIDIG_COMP_CNT: 0
; COMPUTE_PGM_RSRC3_GFX90A:ACCUM_OFFSET: 0
; COMPUTE_PGM_RSRC3_GFX90A:TG_SPLIT: 0
	.section	.text._ZN7rocprim17ROCPRIM_400000_NS6detail17trampoline_kernelINS0_14default_configENS1_20scan_config_selectorIN3c107complexIdEEEEZZNS1_9scan_implILNS1_25lookback_scan_determinismE0ELb0ELb0ES3_PKS7_PS7_S7_ZZZN2at6native31launch_logcumsumexp_cuda_kernelERKNSE_10TensorBaseESI_lENKUlvE_clEvENKUlvE1_clEvEUlS7_S7_E_S7_EEDaPvRmT3_T4_T5_mT6_P12ihipStream_tbENKUlT_T0_E_clISt17integral_constantIbLb1EESZ_EEDaSU_SV_EUlSU_E0_NS1_11comp_targetILNS1_3genE10ELNS1_11target_archE1200ELNS1_3gpuE4ELNS1_3repE0EEENS1_30default_config_static_selectorELNS0_4arch9wavefront6targetE1EEEvT1_,"axG",@progbits,_ZN7rocprim17ROCPRIM_400000_NS6detail17trampoline_kernelINS0_14default_configENS1_20scan_config_selectorIN3c107complexIdEEEEZZNS1_9scan_implILNS1_25lookback_scan_determinismE0ELb0ELb0ES3_PKS7_PS7_S7_ZZZN2at6native31launch_logcumsumexp_cuda_kernelERKNSE_10TensorBaseESI_lENKUlvE_clEvENKUlvE1_clEvEUlS7_S7_E_S7_EEDaPvRmT3_T4_T5_mT6_P12ihipStream_tbENKUlT_T0_E_clISt17integral_constantIbLb1EESZ_EEDaSU_SV_EUlSU_E0_NS1_11comp_targetILNS1_3genE10ELNS1_11target_archE1200ELNS1_3gpuE4ELNS1_3repE0EEENS1_30default_config_static_selectorELNS0_4arch9wavefront6targetE1EEEvT1_,comdat
	.globl	_ZN7rocprim17ROCPRIM_400000_NS6detail17trampoline_kernelINS0_14default_configENS1_20scan_config_selectorIN3c107complexIdEEEEZZNS1_9scan_implILNS1_25lookback_scan_determinismE0ELb0ELb0ES3_PKS7_PS7_S7_ZZZN2at6native31launch_logcumsumexp_cuda_kernelERKNSE_10TensorBaseESI_lENKUlvE_clEvENKUlvE1_clEvEUlS7_S7_E_S7_EEDaPvRmT3_T4_T5_mT6_P12ihipStream_tbENKUlT_T0_E_clISt17integral_constantIbLb1EESZ_EEDaSU_SV_EUlSU_E0_NS1_11comp_targetILNS1_3genE10ELNS1_11target_archE1200ELNS1_3gpuE4ELNS1_3repE0EEENS1_30default_config_static_selectorELNS0_4arch9wavefront6targetE1EEEvT1_ ; -- Begin function _ZN7rocprim17ROCPRIM_400000_NS6detail17trampoline_kernelINS0_14default_configENS1_20scan_config_selectorIN3c107complexIdEEEEZZNS1_9scan_implILNS1_25lookback_scan_determinismE0ELb0ELb0ES3_PKS7_PS7_S7_ZZZN2at6native31launch_logcumsumexp_cuda_kernelERKNSE_10TensorBaseESI_lENKUlvE_clEvENKUlvE1_clEvEUlS7_S7_E_S7_EEDaPvRmT3_T4_T5_mT6_P12ihipStream_tbENKUlT_T0_E_clISt17integral_constantIbLb1EESZ_EEDaSU_SV_EUlSU_E0_NS1_11comp_targetILNS1_3genE10ELNS1_11target_archE1200ELNS1_3gpuE4ELNS1_3repE0EEENS1_30default_config_static_selectorELNS0_4arch9wavefront6targetE1EEEvT1_
	.p2align	8
	.type	_ZN7rocprim17ROCPRIM_400000_NS6detail17trampoline_kernelINS0_14default_configENS1_20scan_config_selectorIN3c107complexIdEEEEZZNS1_9scan_implILNS1_25lookback_scan_determinismE0ELb0ELb0ES3_PKS7_PS7_S7_ZZZN2at6native31launch_logcumsumexp_cuda_kernelERKNSE_10TensorBaseESI_lENKUlvE_clEvENKUlvE1_clEvEUlS7_S7_E_S7_EEDaPvRmT3_T4_T5_mT6_P12ihipStream_tbENKUlT_T0_E_clISt17integral_constantIbLb1EESZ_EEDaSU_SV_EUlSU_E0_NS1_11comp_targetILNS1_3genE10ELNS1_11target_archE1200ELNS1_3gpuE4ELNS1_3repE0EEENS1_30default_config_static_selectorELNS0_4arch9wavefront6targetE1EEEvT1_,@function
_ZN7rocprim17ROCPRIM_400000_NS6detail17trampoline_kernelINS0_14default_configENS1_20scan_config_selectorIN3c107complexIdEEEEZZNS1_9scan_implILNS1_25lookback_scan_determinismE0ELb0ELb0ES3_PKS7_PS7_S7_ZZZN2at6native31launch_logcumsumexp_cuda_kernelERKNSE_10TensorBaseESI_lENKUlvE_clEvENKUlvE1_clEvEUlS7_S7_E_S7_EEDaPvRmT3_T4_T5_mT6_P12ihipStream_tbENKUlT_T0_E_clISt17integral_constantIbLb1EESZ_EEDaSU_SV_EUlSU_E0_NS1_11comp_targetILNS1_3genE10ELNS1_11target_archE1200ELNS1_3gpuE4ELNS1_3repE0EEENS1_30default_config_static_selectorELNS0_4arch9wavefront6targetE1EEEvT1_: ; @_ZN7rocprim17ROCPRIM_400000_NS6detail17trampoline_kernelINS0_14default_configENS1_20scan_config_selectorIN3c107complexIdEEEEZZNS1_9scan_implILNS1_25lookback_scan_determinismE0ELb0ELb0ES3_PKS7_PS7_S7_ZZZN2at6native31launch_logcumsumexp_cuda_kernelERKNSE_10TensorBaseESI_lENKUlvE_clEvENKUlvE1_clEvEUlS7_S7_E_S7_EEDaPvRmT3_T4_T5_mT6_P12ihipStream_tbENKUlT_T0_E_clISt17integral_constantIbLb1EESZ_EEDaSU_SV_EUlSU_E0_NS1_11comp_targetILNS1_3genE10ELNS1_11target_archE1200ELNS1_3gpuE4ELNS1_3repE0EEENS1_30default_config_static_selectorELNS0_4arch9wavefront6targetE1EEEvT1_
; %bb.0:
	.section	.rodata,"a",@progbits
	.p2align	6, 0x0
	.amdhsa_kernel _ZN7rocprim17ROCPRIM_400000_NS6detail17trampoline_kernelINS0_14default_configENS1_20scan_config_selectorIN3c107complexIdEEEEZZNS1_9scan_implILNS1_25lookback_scan_determinismE0ELb0ELb0ES3_PKS7_PS7_S7_ZZZN2at6native31launch_logcumsumexp_cuda_kernelERKNSE_10TensorBaseESI_lENKUlvE_clEvENKUlvE1_clEvEUlS7_S7_E_S7_EEDaPvRmT3_T4_T5_mT6_P12ihipStream_tbENKUlT_T0_E_clISt17integral_constantIbLb1EESZ_EEDaSU_SV_EUlSU_E0_NS1_11comp_targetILNS1_3genE10ELNS1_11target_archE1200ELNS1_3gpuE4ELNS1_3repE0EEENS1_30default_config_static_selectorELNS0_4arch9wavefront6targetE1EEEvT1_
		.amdhsa_group_segment_fixed_size 0
		.amdhsa_private_segment_fixed_size 0
		.amdhsa_kernarg_size 48
		.amdhsa_user_sgpr_count 2
		.amdhsa_user_sgpr_dispatch_ptr 0
		.amdhsa_user_sgpr_queue_ptr 0
		.amdhsa_user_sgpr_kernarg_segment_ptr 1
		.amdhsa_user_sgpr_dispatch_id 0
		.amdhsa_user_sgpr_kernarg_preload_length 0
		.amdhsa_user_sgpr_kernarg_preload_offset 0
		.amdhsa_user_sgpr_private_segment_size 0
		.amdhsa_uses_dynamic_stack 0
		.amdhsa_enable_private_segment 0
		.amdhsa_system_sgpr_workgroup_id_x 1
		.amdhsa_system_sgpr_workgroup_id_y 0
		.amdhsa_system_sgpr_workgroup_id_z 0
		.amdhsa_system_sgpr_workgroup_info 0
		.amdhsa_system_vgpr_workitem_id 0
		.amdhsa_next_free_vgpr 1
		.amdhsa_next_free_sgpr 0
		.amdhsa_accum_offset 4
		.amdhsa_reserve_vcc 0
		.amdhsa_float_round_mode_32 0
		.amdhsa_float_round_mode_16_64 0
		.amdhsa_float_denorm_mode_32 3
		.amdhsa_float_denorm_mode_16_64 3
		.amdhsa_dx10_clamp 1
		.amdhsa_ieee_mode 1
		.amdhsa_fp16_overflow 0
		.amdhsa_tg_split 0
		.amdhsa_exception_fp_ieee_invalid_op 0
		.amdhsa_exception_fp_denorm_src 0
		.amdhsa_exception_fp_ieee_div_zero 0
		.amdhsa_exception_fp_ieee_overflow 0
		.amdhsa_exception_fp_ieee_underflow 0
		.amdhsa_exception_fp_ieee_inexact 0
		.amdhsa_exception_int_div_zero 0
	.end_amdhsa_kernel
	.section	.text._ZN7rocprim17ROCPRIM_400000_NS6detail17trampoline_kernelINS0_14default_configENS1_20scan_config_selectorIN3c107complexIdEEEEZZNS1_9scan_implILNS1_25lookback_scan_determinismE0ELb0ELb0ES3_PKS7_PS7_S7_ZZZN2at6native31launch_logcumsumexp_cuda_kernelERKNSE_10TensorBaseESI_lENKUlvE_clEvENKUlvE1_clEvEUlS7_S7_E_S7_EEDaPvRmT3_T4_T5_mT6_P12ihipStream_tbENKUlT_T0_E_clISt17integral_constantIbLb1EESZ_EEDaSU_SV_EUlSU_E0_NS1_11comp_targetILNS1_3genE10ELNS1_11target_archE1200ELNS1_3gpuE4ELNS1_3repE0EEENS1_30default_config_static_selectorELNS0_4arch9wavefront6targetE1EEEvT1_,"axG",@progbits,_ZN7rocprim17ROCPRIM_400000_NS6detail17trampoline_kernelINS0_14default_configENS1_20scan_config_selectorIN3c107complexIdEEEEZZNS1_9scan_implILNS1_25lookback_scan_determinismE0ELb0ELb0ES3_PKS7_PS7_S7_ZZZN2at6native31launch_logcumsumexp_cuda_kernelERKNSE_10TensorBaseESI_lENKUlvE_clEvENKUlvE1_clEvEUlS7_S7_E_S7_EEDaPvRmT3_T4_T5_mT6_P12ihipStream_tbENKUlT_T0_E_clISt17integral_constantIbLb1EESZ_EEDaSU_SV_EUlSU_E0_NS1_11comp_targetILNS1_3genE10ELNS1_11target_archE1200ELNS1_3gpuE4ELNS1_3repE0EEENS1_30default_config_static_selectorELNS0_4arch9wavefront6targetE1EEEvT1_,comdat
.Lfunc_end218:
	.size	_ZN7rocprim17ROCPRIM_400000_NS6detail17trampoline_kernelINS0_14default_configENS1_20scan_config_selectorIN3c107complexIdEEEEZZNS1_9scan_implILNS1_25lookback_scan_determinismE0ELb0ELb0ES3_PKS7_PS7_S7_ZZZN2at6native31launch_logcumsumexp_cuda_kernelERKNSE_10TensorBaseESI_lENKUlvE_clEvENKUlvE1_clEvEUlS7_S7_E_S7_EEDaPvRmT3_T4_T5_mT6_P12ihipStream_tbENKUlT_T0_E_clISt17integral_constantIbLb1EESZ_EEDaSU_SV_EUlSU_E0_NS1_11comp_targetILNS1_3genE10ELNS1_11target_archE1200ELNS1_3gpuE4ELNS1_3repE0EEENS1_30default_config_static_selectorELNS0_4arch9wavefront6targetE1EEEvT1_, .Lfunc_end218-_ZN7rocprim17ROCPRIM_400000_NS6detail17trampoline_kernelINS0_14default_configENS1_20scan_config_selectorIN3c107complexIdEEEEZZNS1_9scan_implILNS1_25lookback_scan_determinismE0ELb0ELb0ES3_PKS7_PS7_S7_ZZZN2at6native31launch_logcumsumexp_cuda_kernelERKNSE_10TensorBaseESI_lENKUlvE_clEvENKUlvE1_clEvEUlS7_S7_E_S7_EEDaPvRmT3_T4_T5_mT6_P12ihipStream_tbENKUlT_T0_E_clISt17integral_constantIbLb1EESZ_EEDaSU_SV_EUlSU_E0_NS1_11comp_targetILNS1_3genE10ELNS1_11target_archE1200ELNS1_3gpuE4ELNS1_3repE0EEENS1_30default_config_static_selectorELNS0_4arch9wavefront6targetE1EEEvT1_
                                        ; -- End function
	.set _ZN7rocprim17ROCPRIM_400000_NS6detail17trampoline_kernelINS0_14default_configENS1_20scan_config_selectorIN3c107complexIdEEEEZZNS1_9scan_implILNS1_25lookback_scan_determinismE0ELb0ELb0ES3_PKS7_PS7_S7_ZZZN2at6native31launch_logcumsumexp_cuda_kernelERKNSE_10TensorBaseESI_lENKUlvE_clEvENKUlvE1_clEvEUlS7_S7_E_S7_EEDaPvRmT3_T4_T5_mT6_P12ihipStream_tbENKUlT_T0_E_clISt17integral_constantIbLb1EESZ_EEDaSU_SV_EUlSU_E0_NS1_11comp_targetILNS1_3genE10ELNS1_11target_archE1200ELNS1_3gpuE4ELNS1_3repE0EEENS1_30default_config_static_selectorELNS0_4arch9wavefront6targetE1EEEvT1_.num_vgpr, 0
	.set _ZN7rocprim17ROCPRIM_400000_NS6detail17trampoline_kernelINS0_14default_configENS1_20scan_config_selectorIN3c107complexIdEEEEZZNS1_9scan_implILNS1_25lookback_scan_determinismE0ELb0ELb0ES3_PKS7_PS7_S7_ZZZN2at6native31launch_logcumsumexp_cuda_kernelERKNSE_10TensorBaseESI_lENKUlvE_clEvENKUlvE1_clEvEUlS7_S7_E_S7_EEDaPvRmT3_T4_T5_mT6_P12ihipStream_tbENKUlT_T0_E_clISt17integral_constantIbLb1EESZ_EEDaSU_SV_EUlSU_E0_NS1_11comp_targetILNS1_3genE10ELNS1_11target_archE1200ELNS1_3gpuE4ELNS1_3repE0EEENS1_30default_config_static_selectorELNS0_4arch9wavefront6targetE1EEEvT1_.num_agpr, 0
	.set _ZN7rocprim17ROCPRIM_400000_NS6detail17trampoline_kernelINS0_14default_configENS1_20scan_config_selectorIN3c107complexIdEEEEZZNS1_9scan_implILNS1_25lookback_scan_determinismE0ELb0ELb0ES3_PKS7_PS7_S7_ZZZN2at6native31launch_logcumsumexp_cuda_kernelERKNSE_10TensorBaseESI_lENKUlvE_clEvENKUlvE1_clEvEUlS7_S7_E_S7_EEDaPvRmT3_T4_T5_mT6_P12ihipStream_tbENKUlT_T0_E_clISt17integral_constantIbLb1EESZ_EEDaSU_SV_EUlSU_E0_NS1_11comp_targetILNS1_3genE10ELNS1_11target_archE1200ELNS1_3gpuE4ELNS1_3repE0EEENS1_30default_config_static_selectorELNS0_4arch9wavefront6targetE1EEEvT1_.numbered_sgpr, 0
	.set _ZN7rocprim17ROCPRIM_400000_NS6detail17trampoline_kernelINS0_14default_configENS1_20scan_config_selectorIN3c107complexIdEEEEZZNS1_9scan_implILNS1_25lookback_scan_determinismE0ELb0ELb0ES3_PKS7_PS7_S7_ZZZN2at6native31launch_logcumsumexp_cuda_kernelERKNSE_10TensorBaseESI_lENKUlvE_clEvENKUlvE1_clEvEUlS7_S7_E_S7_EEDaPvRmT3_T4_T5_mT6_P12ihipStream_tbENKUlT_T0_E_clISt17integral_constantIbLb1EESZ_EEDaSU_SV_EUlSU_E0_NS1_11comp_targetILNS1_3genE10ELNS1_11target_archE1200ELNS1_3gpuE4ELNS1_3repE0EEENS1_30default_config_static_selectorELNS0_4arch9wavefront6targetE1EEEvT1_.num_named_barrier, 0
	.set _ZN7rocprim17ROCPRIM_400000_NS6detail17trampoline_kernelINS0_14default_configENS1_20scan_config_selectorIN3c107complexIdEEEEZZNS1_9scan_implILNS1_25lookback_scan_determinismE0ELb0ELb0ES3_PKS7_PS7_S7_ZZZN2at6native31launch_logcumsumexp_cuda_kernelERKNSE_10TensorBaseESI_lENKUlvE_clEvENKUlvE1_clEvEUlS7_S7_E_S7_EEDaPvRmT3_T4_T5_mT6_P12ihipStream_tbENKUlT_T0_E_clISt17integral_constantIbLb1EESZ_EEDaSU_SV_EUlSU_E0_NS1_11comp_targetILNS1_3genE10ELNS1_11target_archE1200ELNS1_3gpuE4ELNS1_3repE0EEENS1_30default_config_static_selectorELNS0_4arch9wavefront6targetE1EEEvT1_.private_seg_size, 0
	.set _ZN7rocprim17ROCPRIM_400000_NS6detail17trampoline_kernelINS0_14default_configENS1_20scan_config_selectorIN3c107complexIdEEEEZZNS1_9scan_implILNS1_25lookback_scan_determinismE0ELb0ELb0ES3_PKS7_PS7_S7_ZZZN2at6native31launch_logcumsumexp_cuda_kernelERKNSE_10TensorBaseESI_lENKUlvE_clEvENKUlvE1_clEvEUlS7_S7_E_S7_EEDaPvRmT3_T4_T5_mT6_P12ihipStream_tbENKUlT_T0_E_clISt17integral_constantIbLb1EESZ_EEDaSU_SV_EUlSU_E0_NS1_11comp_targetILNS1_3genE10ELNS1_11target_archE1200ELNS1_3gpuE4ELNS1_3repE0EEENS1_30default_config_static_selectorELNS0_4arch9wavefront6targetE1EEEvT1_.uses_vcc, 0
	.set _ZN7rocprim17ROCPRIM_400000_NS6detail17trampoline_kernelINS0_14default_configENS1_20scan_config_selectorIN3c107complexIdEEEEZZNS1_9scan_implILNS1_25lookback_scan_determinismE0ELb0ELb0ES3_PKS7_PS7_S7_ZZZN2at6native31launch_logcumsumexp_cuda_kernelERKNSE_10TensorBaseESI_lENKUlvE_clEvENKUlvE1_clEvEUlS7_S7_E_S7_EEDaPvRmT3_T4_T5_mT6_P12ihipStream_tbENKUlT_T0_E_clISt17integral_constantIbLb1EESZ_EEDaSU_SV_EUlSU_E0_NS1_11comp_targetILNS1_3genE10ELNS1_11target_archE1200ELNS1_3gpuE4ELNS1_3repE0EEENS1_30default_config_static_selectorELNS0_4arch9wavefront6targetE1EEEvT1_.uses_flat_scratch, 0
	.set _ZN7rocprim17ROCPRIM_400000_NS6detail17trampoline_kernelINS0_14default_configENS1_20scan_config_selectorIN3c107complexIdEEEEZZNS1_9scan_implILNS1_25lookback_scan_determinismE0ELb0ELb0ES3_PKS7_PS7_S7_ZZZN2at6native31launch_logcumsumexp_cuda_kernelERKNSE_10TensorBaseESI_lENKUlvE_clEvENKUlvE1_clEvEUlS7_S7_E_S7_EEDaPvRmT3_T4_T5_mT6_P12ihipStream_tbENKUlT_T0_E_clISt17integral_constantIbLb1EESZ_EEDaSU_SV_EUlSU_E0_NS1_11comp_targetILNS1_3genE10ELNS1_11target_archE1200ELNS1_3gpuE4ELNS1_3repE0EEENS1_30default_config_static_selectorELNS0_4arch9wavefront6targetE1EEEvT1_.has_dyn_sized_stack, 0
	.set _ZN7rocprim17ROCPRIM_400000_NS6detail17trampoline_kernelINS0_14default_configENS1_20scan_config_selectorIN3c107complexIdEEEEZZNS1_9scan_implILNS1_25lookback_scan_determinismE0ELb0ELb0ES3_PKS7_PS7_S7_ZZZN2at6native31launch_logcumsumexp_cuda_kernelERKNSE_10TensorBaseESI_lENKUlvE_clEvENKUlvE1_clEvEUlS7_S7_E_S7_EEDaPvRmT3_T4_T5_mT6_P12ihipStream_tbENKUlT_T0_E_clISt17integral_constantIbLb1EESZ_EEDaSU_SV_EUlSU_E0_NS1_11comp_targetILNS1_3genE10ELNS1_11target_archE1200ELNS1_3gpuE4ELNS1_3repE0EEENS1_30default_config_static_selectorELNS0_4arch9wavefront6targetE1EEEvT1_.has_recursion, 0
	.set _ZN7rocprim17ROCPRIM_400000_NS6detail17trampoline_kernelINS0_14default_configENS1_20scan_config_selectorIN3c107complexIdEEEEZZNS1_9scan_implILNS1_25lookback_scan_determinismE0ELb0ELb0ES3_PKS7_PS7_S7_ZZZN2at6native31launch_logcumsumexp_cuda_kernelERKNSE_10TensorBaseESI_lENKUlvE_clEvENKUlvE1_clEvEUlS7_S7_E_S7_EEDaPvRmT3_T4_T5_mT6_P12ihipStream_tbENKUlT_T0_E_clISt17integral_constantIbLb1EESZ_EEDaSU_SV_EUlSU_E0_NS1_11comp_targetILNS1_3genE10ELNS1_11target_archE1200ELNS1_3gpuE4ELNS1_3repE0EEENS1_30default_config_static_selectorELNS0_4arch9wavefront6targetE1EEEvT1_.has_indirect_call, 0
	.section	.AMDGPU.csdata,"",@progbits
; Kernel info:
; codeLenInByte = 0
; TotalNumSgprs: 6
; NumVgprs: 0
; NumAgprs: 0
; TotalNumVgprs: 0
; ScratchSize: 0
; MemoryBound: 0
; FloatMode: 240
; IeeeMode: 1
; LDSByteSize: 0 bytes/workgroup (compile time only)
; SGPRBlocks: 0
; VGPRBlocks: 0
; NumSGPRsForWavesPerEU: 6
; NumVGPRsForWavesPerEU: 1
; AccumOffset: 4
; Occupancy: 8
; WaveLimiterHint : 0
; COMPUTE_PGM_RSRC2:SCRATCH_EN: 0
; COMPUTE_PGM_RSRC2:USER_SGPR: 2
; COMPUTE_PGM_RSRC2:TRAP_HANDLER: 0
; COMPUTE_PGM_RSRC2:TGID_X_EN: 1
; COMPUTE_PGM_RSRC2:TGID_Y_EN: 0
; COMPUTE_PGM_RSRC2:TGID_Z_EN: 0
; COMPUTE_PGM_RSRC2:TIDIG_COMP_CNT: 0
; COMPUTE_PGM_RSRC3_GFX90A:ACCUM_OFFSET: 0
; COMPUTE_PGM_RSRC3_GFX90A:TG_SPLIT: 0
	.section	.text._ZN7rocprim17ROCPRIM_400000_NS6detail17trampoline_kernelINS0_14default_configENS1_20scan_config_selectorIN3c107complexIdEEEEZZNS1_9scan_implILNS1_25lookback_scan_determinismE0ELb0ELb0ES3_PKS7_PS7_S7_ZZZN2at6native31launch_logcumsumexp_cuda_kernelERKNSE_10TensorBaseESI_lENKUlvE_clEvENKUlvE1_clEvEUlS7_S7_E_S7_EEDaPvRmT3_T4_T5_mT6_P12ihipStream_tbENKUlT_T0_E_clISt17integral_constantIbLb1EESZ_EEDaSU_SV_EUlSU_E0_NS1_11comp_targetILNS1_3genE9ELNS1_11target_archE1100ELNS1_3gpuE3ELNS1_3repE0EEENS1_30default_config_static_selectorELNS0_4arch9wavefront6targetE1EEEvT1_,"axG",@progbits,_ZN7rocprim17ROCPRIM_400000_NS6detail17trampoline_kernelINS0_14default_configENS1_20scan_config_selectorIN3c107complexIdEEEEZZNS1_9scan_implILNS1_25lookback_scan_determinismE0ELb0ELb0ES3_PKS7_PS7_S7_ZZZN2at6native31launch_logcumsumexp_cuda_kernelERKNSE_10TensorBaseESI_lENKUlvE_clEvENKUlvE1_clEvEUlS7_S7_E_S7_EEDaPvRmT3_T4_T5_mT6_P12ihipStream_tbENKUlT_T0_E_clISt17integral_constantIbLb1EESZ_EEDaSU_SV_EUlSU_E0_NS1_11comp_targetILNS1_3genE9ELNS1_11target_archE1100ELNS1_3gpuE3ELNS1_3repE0EEENS1_30default_config_static_selectorELNS0_4arch9wavefront6targetE1EEEvT1_,comdat
	.globl	_ZN7rocprim17ROCPRIM_400000_NS6detail17trampoline_kernelINS0_14default_configENS1_20scan_config_selectorIN3c107complexIdEEEEZZNS1_9scan_implILNS1_25lookback_scan_determinismE0ELb0ELb0ES3_PKS7_PS7_S7_ZZZN2at6native31launch_logcumsumexp_cuda_kernelERKNSE_10TensorBaseESI_lENKUlvE_clEvENKUlvE1_clEvEUlS7_S7_E_S7_EEDaPvRmT3_T4_T5_mT6_P12ihipStream_tbENKUlT_T0_E_clISt17integral_constantIbLb1EESZ_EEDaSU_SV_EUlSU_E0_NS1_11comp_targetILNS1_3genE9ELNS1_11target_archE1100ELNS1_3gpuE3ELNS1_3repE0EEENS1_30default_config_static_selectorELNS0_4arch9wavefront6targetE1EEEvT1_ ; -- Begin function _ZN7rocprim17ROCPRIM_400000_NS6detail17trampoline_kernelINS0_14default_configENS1_20scan_config_selectorIN3c107complexIdEEEEZZNS1_9scan_implILNS1_25lookback_scan_determinismE0ELb0ELb0ES3_PKS7_PS7_S7_ZZZN2at6native31launch_logcumsumexp_cuda_kernelERKNSE_10TensorBaseESI_lENKUlvE_clEvENKUlvE1_clEvEUlS7_S7_E_S7_EEDaPvRmT3_T4_T5_mT6_P12ihipStream_tbENKUlT_T0_E_clISt17integral_constantIbLb1EESZ_EEDaSU_SV_EUlSU_E0_NS1_11comp_targetILNS1_3genE9ELNS1_11target_archE1100ELNS1_3gpuE3ELNS1_3repE0EEENS1_30default_config_static_selectorELNS0_4arch9wavefront6targetE1EEEvT1_
	.p2align	8
	.type	_ZN7rocprim17ROCPRIM_400000_NS6detail17trampoline_kernelINS0_14default_configENS1_20scan_config_selectorIN3c107complexIdEEEEZZNS1_9scan_implILNS1_25lookback_scan_determinismE0ELb0ELb0ES3_PKS7_PS7_S7_ZZZN2at6native31launch_logcumsumexp_cuda_kernelERKNSE_10TensorBaseESI_lENKUlvE_clEvENKUlvE1_clEvEUlS7_S7_E_S7_EEDaPvRmT3_T4_T5_mT6_P12ihipStream_tbENKUlT_T0_E_clISt17integral_constantIbLb1EESZ_EEDaSU_SV_EUlSU_E0_NS1_11comp_targetILNS1_3genE9ELNS1_11target_archE1100ELNS1_3gpuE3ELNS1_3repE0EEENS1_30default_config_static_selectorELNS0_4arch9wavefront6targetE1EEEvT1_,@function
_ZN7rocprim17ROCPRIM_400000_NS6detail17trampoline_kernelINS0_14default_configENS1_20scan_config_selectorIN3c107complexIdEEEEZZNS1_9scan_implILNS1_25lookback_scan_determinismE0ELb0ELb0ES3_PKS7_PS7_S7_ZZZN2at6native31launch_logcumsumexp_cuda_kernelERKNSE_10TensorBaseESI_lENKUlvE_clEvENKUlvE1_clEvEUlS7_S7_E_S7_EEDaPvRmT3_T4_T5_mT6_P12ihipStream_tbENKUlT_T0_E_clISt17integral_constantIbLb1EESZ_EEDaSU_SV_EUlSU_E0_NS1_11comp_targetILNS1_3genE9ELNS1_11target_archE1100ELNS1_3gpuE3ELNS1_3repE0EEENS1_30default_config_static_selectorELNS0_4arch9wavefront6targetE1EEEvT1_: ; @_ZN7rocprim17ROCPRIM_400000_NS6detail17trampoline_kernelINS0_14default_configENS1_20scan_config_selectorIN3c107complexIdEEEEZZNS1_9scan_implILNS1_25lookback_scan_determinismE0ELb0ELb0ES3_PKS7_PS7_S7_ZZZN2at6native31launch_logcumsumexp_cuda_kernelERKNSE_10TensorBaseESI_lENKUlvE_clEvENKUlvE1_clEvEUlS7_S7_E_S7_EEDaPvRmT3_T4_T5_mT6_P12ihipStream_tbENKUlT_T0_E_clISt17integral_constantIbLb1EESZ_EEDaSU_SV_EUlSU_E0_NS1_11comp_targetILNS1_3genE9ELNS1_11target_archE1100ELNS1_3gpuE3ELNS1_3repE0EEENS1_30default_config_static_selectorELNS0_4arch9wavefront6targetE1EEEvT1_
; %bb.0:
	.section	.rodata,"a",@progbits
	.p2align	6, 0x0
	.amdhsa_kernel _ZN7rocprim17ROCPRIM_400000_NS6detail17trampoline_kernelINS0_14default_configENS1_20scan_config_selectorIN3c107complexIdEEEEZZNS1_9scan_implILNS1_25lookback_scan_determinismE0ELb0ELb0ES3_PKS7_PS7_S7_ZZZN2at6native31launch_logcumsumexp_cuda_kernelERKNSE_10TensorBaseESI_lENKUlvE_clEvENKUlvE1_clEvEUlS7_S7_E_S7_EEDaPvRmT3_T4_T5_mT6_P12ihipStream_tbENKUlT_T0_E_clISt17integral_constantIbLb1EESZ_EEDaSU_SV_EUlSU_E0_NS1_11comp_targetILNS1_3genE9ELNS1_11target_archE1100ELNS1_3gpuE3ELNS1_3repE0EEENS1_30default_config_static_selectorELNS0_4arch9wavefront6targetE1EEEvT1_
		.amdhsa_group_segment_fixed_size 0
		.amdhsa_private_segment_fixed_size 0
		.amdhsa_kernarg_size 48
		.amdhsa_user_sgpr_count 2
		.amdhsa_user_sgpr_dispatch_ptr 0
		.amdhsa_user_sgpr_queue_ptr 0
		.amdhsa_user_sgpr_kernarg_segment_ptr 1
		.amdhsa_user_sgpr_dispatch_id 0
		.amdhsa_user_sgpr_kernarg_preload_length 0
		.amdhsa_user_sgpr_kernarg_preload_offset 0
		.amdhsa_user_sgpr_private_segment_size 0
		.amdhsa_uses_dynamic_stack 0
		.amdhsa_enable_private_segment 0
		.amdhsa_system_sgpr_workgroup_id_x 1
		.amdhsa_system_sgpr_workgroup_id_y 0
		.amdhsa_system_sgpr_workgroup_id_z 0
		.amdhsa_system_sgpr_workgroup_info 0
		.amdhsa_system_vgpr_workitem_id 0
		.amdhsa_next_free_vgpr 1
		.amdhsa_next_free_sgpr 0
		.amdhsa_accum_offset 4
		.amdhsa_reserve_vcc 0
		.amdhsa_float_round_mode_32 0
		.amdhsa_float_round_mode_16_64 0
		.amdhsa_float_denorm_mode_32 3
		.amdhsa_float_denorm_mode_16_64 3
		.amdhsa_dx10_clamp 1
		.amdhsa_ieee_mode 1
		.amdhsa_fp16_overflow 0
		.amdhsa_tg_split 0
		.amdhsa_exception_fp_ieee_invalid_op 0
		.amdhsa_exception_fp_denorm_src 0
		.amdhsa_exception_fp_ieee_div_zero 0
		.amdhsa_exception_fp_ieee_overflow 0
		.amdhsa_exception_fp_ieee_underflow 0
		.amdhsa_exception_fp_ieee_inexact 0
		.amdhsa_exception_int_div_zero 0
	.end_amdhsa_kernel
	.section	.text._ZN7rocprim17ROCPRIM_400000_NS6detail17trampoline_kernelINS0_14default_configENS1_20scan_config_selectorIN3c107complexIdEEEEZZNS1_9scan_implILNS1_25lookback_scan_determinismE0ELb0ELb0ES3_PKS7_PS7_S7_ZZZN2at6native31launch_logcumsumexp_cuda_kernelERKNSE_10TensorBaseESI_lENKUlvE_clEvENKUlvE1_clEvEUlS7_S7_E_S7_EEDaPvRmT3_T4_T5_mT6_P12ihipStream_tbENKUlT_T0_E_clISt17integral_constantIbLb1EESZ_EEDaSU_SV_EUlSU_E0_NS1_11comp_targetILNS1_3genE9ELNS1_11target_archE1100ELNS1_3gpuE3ELNS1_3repE0EEENS1_30default_config_static_selectorELNS0_4arch9wavefront6targetE1EEEvT1_,"axG",@progbits,_ZN7rocprim17ROCPRIM_400000_NS6detail17trampoline_kernelINS0_14default_configENS1_20scan_config_selectorIN3c107complexIdEEEEZZNS1_9scan_implILNS1_25lookback_scan_determinismE0ELb0ELb0ES3_PKS7_PS7_S7_ZZZN2at6native31launch_logcumsumexp_cuda_kernelERKNSE_10TensorBaseESI_lENKUlvE_clEvENKUlvE1_clEvEUlS7_S7_E_S7_EEDaPvRmT3_T4_T5_mT6_P12ihipStream_tbENKUlT_T0_E_clISt17integral_constantIbLb1EESZ_EEDaSU_SV_EUlSU_E0_NS1_11comp_targetILNS1_3genE9ELNS1_11target_archE1100ELNS1_3gpuE3ELNS1_3repE0EEENS1_30default_config_static_selectorELNS0_4arch9wavefront6targetE1EEEvT1_,comdat
.Lfunc_end219:
	.size	_ZN7rocprim17ROCPRIM_400000_NS6detail17trampoline_kernelINS0_14default_configENS1_20scan_config_selectorIN3c107complexIdEEEEZZNS1_9scan_implILNS1_25lookback_scan_determinismE0ELb0ELb0ES3_PKS7_PS7_S7_ZZZN2at6native31launch_logcumsumexp_cuda_kernelERKNSE_10TensorBaseESI_lENKUlvE_clEvENKUlvE1_clEvEUlS7_S7_E_S7_EEDaPvRmT3_T4_T5_mT6_P12ihipStream_tbENKUlT_T0_E_clISt17integral_constantIbLb1EESZ_EEDaSU_SV_EUlSU_E0_NS1_11comp_targetILNS1_3genE9ELNS1_11target_archE1100ELNS1_3gpuE3ELNS1_3repE0EEENS1_30default_config_static_selectorELNS0_4arch9wavefront6targetE1EEEvT1_, .Lfunc_end219-_ZN7rocprim17ROCPRIM_400000_NS6detail17trampoline_kernelINS0_14default_configENS1_20scan_config_selectorIN3c107complexIdEEEEZZNS1_9scan_implILNS1_25lookback_scan_determinismE0ELb0ELb0ES3_PKS7_PS7_S7_ZZZN2at6native31launch_logcumsumexp_cuda_kernelERKNSE_10TensorBaseESI_lENKUlvE_clEvENKUlvE1_clEvEUlS7_S7_E_S7_EEDaPvRmT3_T4_T5_mT6_P12ihipStream_tbENKUlT_T0_E_clISt17integral_constantIbLb1EESZ_EEDaSU_SV_EUlSU_E0_NS1_11comp_targetILNS1_3genE9ELNS1_11target_archE1100ELNS1_3gpuE3ELNS1_3repE0EEENS1_30default_config_static_selectorELNS0_4arch9wavefront6targetE1EEEvT1_
                                        ; -- End function
	.set _ZN7rocprim17ROCPRIM_400000_NS6detail17trampoline_kernelINS0_14default_configENS1_20scan_config_selectorIN3c107complexIdEEEEZZNS1_9scan_implILNS1_25lookback_scan_determinismE0ELb0ELb0ES3_PKS7_PS7_S7_ZZZN2at6native31launch_logcumsumexp_cuda_kernelERKNSE_10TensorBaseESI_lENKUlvE_clEvENKUlvE1_clEvEUlS7_S7_E_S7_EEDaPvRmT3_T4_T5_mT6_P12ihipStream_tbENKUlT_T0_E_clISt17integral_constantIbLb1EESZ_EEDaSU_SV_EUlSU_E0_NS1_11comp_targetILNS1_3genE9ELNS1_11target_archE1100ELNS1_3gpuE3ELNS1_3repE0EEENS1_30default_config_static_selectorELNS0_4arch9wavefront6targetE1EEEvT1_.num_vgpr, 0
	.set _ZN7rocprim17ROCPRIM_400000_NS6detail17trampoline_kernelINS0_14default_configENS1_20scan_config_selectorIN3c107complexIdEEEEZZNS1_9scan_implILNS1_25lookback_scan_determinismE0ELb0ELb0ES3_PKS7_PS7_S7_ZZZN2at6native31launch_logcumsumexp_cuda_kernelERKNSE_10TensorBaseESI_lENKUlvE_clEvENKUlvE1_clEvEUlS7_S7_E_S7_EEDaPvRmT3_T4_T5_mT6_P12ihipStream_tbENKUlT_T0_E_clISt17integral_constantIbLb1EESZ_EEDaSU_SV_EUlSU_E0_NS1_11comp_targetILNS1_3genE9ELNS1_11target_archE1100ELNS1_3gpuE3ELNS1_3repE0EEENS1_30default_config_static_selectorELNS0_4arch9wavefront6targetE1EEEvT1_.num_agpr, 0
	.set _ZN7rocprim17ROCPRIM_400000_NS6detail17trampoline_kernelINS0_14default_configENS1_20scan_config_selectorIN3c107complexIdEEEEZZNS1_9scan_implILNS1_25lookback_scan_determinismE0ELb0ELb0ES3_PKS7_PS7_S7_ZZZN2at6native31launch_logcumsumexp_cuda_kernelERKNSE_10TensorBaseESI_lENKUlvE_clEvENKUlvE1_clEvEUlS7_S7_E_S7_EEDaPvRmT3_T4_T5_mT6_P12ihipStream_tbENKUlT_T0_E_clISt17integral_constantIbLb1EESZ_EEDaSU_SV_EUlSU_E0_NS1_11comp_targetILNS1_3genE9ELNS1_11target_archE1100ELNS1_3gpuE3ELNS1_3repE0EEENS1_30default_config_static_selectorELNS0_4arch9wavefront6targetE1EEEvT1_.numbered_sgpr, 0
	.set _ZN7rocprim17ROCPRIM_400000_NS6detail17trampoline_kernelINS0_14default_configENS1_20scan_config_selectorIN3c107complexIdEEEEZZNS1_9scan_implILNS1_25lookback_scan_determinismE0ELb0ELb0ES3_PKS7_PS7_S7_ZZZN2at6native31launch_logcumsumexp_cuda_kernelERKNSE_10TensorBaseESI_lENKUlvE_clEvENKUlvE1_clEvEUlS7_S7_E_S7_EEDaPvRmT3_T4_T5_mT6_P12ihipStream_tbENKUlT_T0_E_clISt17integral_constantIbLb1EESZ_EEDaSU_SV_EUlSU_E0_NS1_11comp_targetILNS1_3genE9ELNS1_11target_archE1100ELNS1_3gpuE3ELNS1_3repE0EEENS1_30default_config_static_selectorELNS0_4arch9wavefront6targetE1EEEvT1_.num_named_barrier, 0
	.set _ZN7rocprim17ROCPRIM_400000_NS6detail17trampoline_kernelINS0_14default_configENS1_20scan_config_selectorIN3c107complexIdEEEEZZNS1_9scan_implILNS1_25lookback_scan_determinismE0ELb0ELb0ES3_PKS7_PS7_S7_ZZZN2at6native31launch_logcumsumexp_cuda_kernelERKNSE_10TensorBaseESI_lENKUlvE_clEvENKUlvE1_clEvEUlS7_S7_E_S7_EEDaPvRmT3_T4_T5_mT6_P12ihipStream_tbENKUlT_T0_E_clISt17integral_constantIbLb1EESZ_EEDaSU_SV_EUlSU_E0_NS1_11comp_targetILNS1_3genE9ELNS1_11target_archE1100ELNS1_3gpuE3ELNS1_3repE0EEENS1_30default_config_static_selectorELNS0_4arch9wavefront6targetE1EEEvT1_.private_seg_size, 0
	.set _ZN7rocprim17ROCPRIM_400000_NS6detail17trampoline_kernelINS0_14default_configENS1_20scan_config_selectorIN3c107complexIdEEEEZZNS1_9scan_implILNS1_25lookback_scan_determinismE0ELb0ELb0ES3_PKS7_PS7_S7_ZZZN2at6native31launch_logcumsumexp_cuda_kernelERKNSE_10TensorBaseESI_lENKUlvE_clEvENKUlvE1_clEvEUlS7_S7_E_S7_EEDaPvRmT3_T4_T5_mT6_P12ihipStream_tbENKUlT_T0_E_clISt17integral_constantIbLb1EESZ_EEDaSU_SV_EUlSU_E0_NS1_11comp_targetILNS1_3genE9ELNS1_11target_archE1100ELNS1_3gpuE3ELNS1_3repE0EEENS1_30default_config_static_selectorELNS0_4arch9wavefront6targetE1EEEvT1_.uses_vcc, 0
	.set _ZN7rocprim17ROCPRIM_400000_NS6detail17trampoline_kernelINS0_14default_configENS1_20scan_config_selectorIN3c107complexIdEEEEZZNS1_9scan_implILNS1_25lookback_scan_determinismE0ELb0ELb0ES3_PKS7_PS7_S7_ZZZN2at6native31launch_logcumsumexp_cuda_kernelERKNSE_10TensorBaseESI_lENKUlvE_clEvENKUlvE1_clEvEUlS7_S7_E_S7_EEDaPvRmT3_T4_T5_mT6_P12ihipStream_tbENKUlT_T0_E_clISt17integral_constantIbLb1EESZ_EEDaSU_SV_EUlSU_E0_NS1_11comp_targetILNS1_3genE9ELNS1_11target_archE1100ELNS1_3gpuE3ELNS1_3repE0EEENS1_30default_config_static_selectorELNS0_4arch9wavefront6targetE1EEEvT1_.uses_flat_scratch, 0
	.set _ZN7rocprim17ROCPRIM_400000_NS6detail17trampoline_kernelINS0_14default_configENS1_20scan_config_selectorIN3c107complexIdEEEEZZNS1_9scan_implILNS1_25lookback_scan_determinismE0ELb0ELb0ES3_PKS7_PS7_S7_ZZZN2at6native31launch_logcumsumexp_cuda_kernelERKNSE_10TensorBaseESI_lENKUlvE_clEvENKUlvE1_clEvEUlS7_S7_E_S7_EEDaPvRmT3_T4_T5_mT6_P12ihipStream_tbENKUlT_T0_E_clISt17integral_constantIbLb1EESZ_EEDaSU_SV_EUlSU_E0_NS1_11comp_targetILNS1_3genE9ELNS1_11target_archE1100ELNS1_3gpuE3ELNS1_3repE0EEENS1_30default_config_static_selectorELNS0_4arch9wavefront6targetE1EEEvT1_.has_dyn_sized_stack, 0
	.set _ZN7rocprim17ROCPRIM_400000_NS6detail17trampoline_kernelINS0_14default_configENS1_20scan_config_selectorIN3c107complexIdEEEEZZNS1_9scan_implILNS1_25lookback_scan_determinismE0ELb0ELb0ES3_PKS7_PS7_S7_ZZZN2at6native31launch_logcumsumexp_cuda_kernelERKNSE_10TensorBaseESI_lENKUlvE_clEvENKUlvE1_clEvEUlS7_S7_E_S7_EEDaPvRmT3_T4_T5_mT6_P12ihipStream_tbENKUlT_T0_E_clISt17integral_constantIbLb1EESZ_EEDaSU_SV_EUlSU_E0_NS1_11comp_targetILNS1_3genE9ELNS1_11target_archE1100ELNS1_3gpuE3ELNS1_3repE0EEENS1_30default_config_static_selectorELNS0_4arch9wavefront6targetE1EEEvT1_.has_recursion, 0
	.set _ZN7rocprim17ROCPRIM_400000_NS6detail17trampoline_kernelINS0_14default_configENS1_20scan_config_selectorIN3c107complexIdEEEEZZNS1_9scan_implILNS1_25lookback_scan_determinismE0ELb0ELb0ES3_PKS7_PS7_S7_ZZZN2at6native31launch_logcumsumexp_cuda_kernelERKNSE_10TensorBaseESI_lENKUlvE_clEvENKUlvE1_clEvEUlS7_S7_E_S7_EEDaPvRmT3_T4_T5_mT6_P12ihipStream_tbENKUlT_T0_E_clISt17integral_constantIbLb1EESZ_EEDaSU_SV_EUlSU_E0_NS1_11comp_targetILNS1_3genE9ELNS1_11target_archE1100ELNS1_3gpuE3ELNS1_3repE0EEENS1_30default_config_static_selectorELNS0_4arch9wavefront6targetE1EEEvT1_.has_indirect_call, 0
	.section	.AMDGPU.csdata,"",@progbits
; Kernel info:
; codeLenInByte = 0
; TotalNumSgprs: 6
; NumVgprs: 0
; NumAgprs: 0
; TotalNumVgprs: 0
; ScratchSize: 0
; MemoryBound: 0
; FloatMode: 240
; IeeeMode: 1
; LDSByteSize: 0 bytes/workgroup (compile time only)
; SGPRBlocks: 0
; VGPRBlocks: 0
; NumSGPRsForWavesPerEU: 6
; NumVGPRsForWavesPerEU: 1
; AccumOffset: 4
; Occupancy: 8
; WaveLimiterHint : 0
; COMPUTE_PGM_RSRC2:SCRATCH_EN: 0
; COMPUTE_PGM_RSRC2:USER_SGPR: 2
; COMPUTE_PGM_RSRC2:TRAP_HANDLER: 0
; COMPUTE_PGM_RSRC2:TGID_X_EN: 1
; COMPUTE_PGM_RSRC2:TGID_Y_EN: 0
; COMPUTE_PGM_RSRC2:TGID_Z_EN: 0
; COMPUTE_PGM_RSRC2:TIDIG_COMP_CNT: 0
; COMPUTE_PGM_RSRC3_GFX90A:ACCUM_OFFSET: 0
; COMPUTE_PGM_RSRC3_GFX90A:TG_SPLIT: 0
	.section	.text._ZN7rocprim17ROCPRIM_400000_NS6detail17trampoline_kernelINS0_14default_configENS1_20scan_config_selectorIN3c107complexIdEEEEZZNS1_9scan_implILNS1_25lookback_scan_determinismE0ELb0ELb0ES3_PKS7_PS7_S7_ZZZN2at6native31launch_logcumsumexp_cuda_kernelERKNSE_10TensorBaseESI_lENKUlvE_clEvENKUlvE1_clEvEUlS7_S7_E_S7_EEDaPvRmT3_T4_T5_mT6_P12ihipStream_tbENKUlT_T0_E_clISt17integral_constantIbLb1EESZ_EEDaSU_SV_EUlSU_E0_NS1_11comp_targetILNS1_3genE8ELNS1_11target_archE1030ELNS1_3gpuE2ELNS1_3repE0EEENS1_30default_config_static_selectorELNS0_4arch9wavefront6targetE1EEEvT1_,"axG",@progbits,_ZN7rocprim17ROCPRIM_400000_NS6detail17trampoline_kernelINS0_14default_configENS1_20scan_config_selectorIN3c107complexIdEEEEZZNS1_9scan_implILNS1_25lookback_scan_determinismE0ELb0ELb0ES3_PKS7_PS7_S7_ZZZN2at6native31launch_logcumsumexp_cuda_kernelERKNSE_10TensorBaseESI_lENKUlvE_clEvENKUlvE1_clEvEUlS7_S7_E_S7_EEDaPvRmT3_T4_T5_mT6_P12ihipStream_tbENKUlT_T0_E_clISt17integral_constantIbLb1EESZ_EEDaSU_SV_EUlSU_E0_NS1_11comp_targetILNS1_3genE8ELNS1_11target_archE1030ELNS1_3gpuE2ELNS1_3repE0EEENS1_30default_config_static_selectorELNS0_4arch9wavefront6targetE1EEEvT1_,comdat
	.globl	_ZN7rocprim17ROCPRIM_400000_NS6detail17trampoline_kernelINS0_14default_configENS1_20scan_config_selectorIN3c107complexIdEEEEZZNS1_9scan_implILNS1_25lookback_scan_determinismE0ELb0ELb0ES3_PKS7_PS7_S7_ZZZN2at6native31launch_logcumsumexp_cuda_kernelERKNSE_10TensorBaseESI_lENKUlvE_clEvENKUlvE1_clEvEUlS7_S7_E_S7_EEDaPvRmT3_T4_T5_mT6_P12ihipStream_tbENKUlT_T0_E_clISt17integral_constantIbLb1EESZ_EEDaSU_SV_EUlSU_E0_NS1_11comp_targetILNS1_3genE8ELNS1_11target_archE1030ELNS1_3gpuE2ELNS1_3repE0EEENS1_30default_config_static_selectorELNS0_4arch9wavefront6targetE1EEEvT1_ ; -- Begin function _ZN7rocprim17ROCPRIM_400000_NS6detail17trampoline_kernelINS0_14default_configENS1_20scan_config_selectorIN3c107complexIdEEEEZZNS1_9scan_implILNS1_25lookback_scan_determinismE0ELb0ELb0ES3_PKS7_PS7_S7_ZZZN2at6native31launch_logcumsumexp_cuda_kernelERKNSE_10TensorBaseESI_lENKUlvE_clEvENKUlvE1_clEvEUlS7_S7_E_S7_EEDaPvRmT3_T4_T5_mT6_P12ihipStream_tbENKUlT_T0_E_clISt17integral_constantIbLb1EESZ_EEDaSU_SV_EUlSU_E0_NS1_11comp_targetILNS1_3genE8ELNS1_11target_archE1030ELNS1_3gpuE2ELNS1_3repE0EEENS1_30default_config_static_selectorELNS0_4arch9wavefront6targetE1EEEvT1_
	.p2align	8
	.type	_ZN7rocprim17ROCPRIM_400000_NS6detail17trampoline_kernelINS0_14default_configENS1_20scan_config_selectorIN3c107complexIdEEEEZZNS1_9scan_implILNS1_25lookback_scan_determinismE0ELb0ELb0ES3_PKS7_PS7_S7_ZZZN2at6native31launch_logcumsumexp_cuda_kernelERKNSE_10TensorBaseESI_lENKUlvE_clEvENKUlvE1_clEvEUlS7_S7_E_S7_EEDaPvRmT3_T4_T5_mT6_P12ihipStream_tbENKUlT_T0_E_clISt17integral_constantIbLb1EESZ_EEDaSU_SV_EUlSU_E0_NS1_11comp_targetILNS1_3genE8ELNS1_11target_archE1030ELNS1_3gpuE2ELNS1_3repE0EEENS1_30default_config_static_selectorELNS0_4arch9wavefront6targetE1EEEvT1_,@function
_ZN7rocprim17ROCPRIM_400000_NS6detail17trampoline_kernelINS0_14default_configENS1_20scan_config_selectorIN3c107complexIdEEEEZZNS1_9scan_implILNS1_25lookback_scan_determinismE0ELb0ELb0ES3_PKS7_PS7_S7_ZZZN2at6native31launch_logcumsumexp_cuda_kernelERKNSE_10TensorBaseESI_lENKUlvE_clEvENKUlvE1_clEvEUlS7_S7_E_S7_EEDaPvRmT3_T4_T5_mT6_P12ihipStream_tbENKUlT_T0_E_clISt17integral_constantIbLb1EESZ_EEDaSU_SV_EUlSU_E0_NS1_11comp_targetILNS1_3genE8ELNS1_11target_archE1030ELNS1_3gpuE2ELNS1_3repE0EEENS1_30default_config_static_selectorELNS0_4arch9wavefront6targetE1EEEvT1_: ; @_ZN7rocprim17ROCPRIM_400000_NS6detail17trampoline_kernelINS0_14default_configENS1_20scan_config_selectorIN3c107complexIdEEEEZZNS1_9scan_implILNS1_25lookback_scan_determinismE0ELb0ELb0ES3_PKS7_PS7_S7_ZZZN2at6native31launch_logcumsumexp_cuda_kernelERKNSE_10TensorBaseESI_lENKUlvE_clEvENKUlvE1_clEvEUlS7_S7_E_S7_EEDaPvRmT3_T4_T5_mT6_P12ihipStream_tbENKUlT_T0_E_clISt17integral_constantIbLb1EESZ_EEDaSU_SV_EUlSU_E0_NS1_11comp_targetILNS1_3genE8ELNS1_11target_archE1030ELNS1_3gpuE2ELNS1_3repE0EEENS1_30default_config_static_selectorELNS0_4arch9wavefront6targetE1EEEvT1_
; %bb.0:
	.section	.rodata,"a",@progbits
	.p2align	6, 0x0
	.amdhsa_kernel _ZN7rocprim17ROCPRIM_400000_NS6detail17trampoline_kernelINS0_14default_configENS1_20scan_config_selectorIN3c107complexIdEEEEZZNS1_9scan_implILNS1_25lookback_scan_determinismE0ELb0ELb0ES3_PKS7_PS7_S7_ZZZN2at6native31launch_logcumsumexp_cuda_kernelERKNSE_10TensorBaseESI_lENKUlvE_clEvENKUlvE1_clEvEUlS7_S7_E_S7_EEDaPvRmT3_T4_T5_mT6_P12ihipStream_tbENKUlT_T0_E_clISt17integral_constantIbLb1EESZ_EEDaSU_SV_EUlSU_E0_NS1_11comp_targetILNS1_3genE8ELNS1_11target_archE1030ELNS1_3gpuE2ELNS1_3repE0EEENS1_30default_config_static_selectorELNS0_4arch9wavefront6targetE1EEEvT1_
		.amdhsa_group_segment_fixed_size 0
		.amdhsa_private_segment_fixed_size 0
		.amdhsa_kernarg_size 48
		.amdhsa_user_sgpr_count 2
		.amdhsa_user_sgpr_dispatch_ptr 0
		.amdhsa_user_sgpr_queue_ptr 0
		.amdhsa_user_sgpr_kernarg_segment_ptr 1
		.amdhsa_user_sgpr_dispatch_id 0
		.amdhsa_user_sgpr_kernarg_preload_length 0
		.amdhsa_user_sgpr_kernarg_preload_offset 0
		.amdhsa_user_sgpr_private_segment_size 0
		.amdhsa_uses_dynamic_stack 0
		.amdhsa_enable_private_segment 0
		.amdhsa_system_sgpr_workgroup_id_x 1
		.amdhsa_system_sgpr_workgroup_id_y 0
		.amdhsa_system_sgpr_workgroup_id_z 0
		.amdhsa_system_sgpr_workgroup_info 0
		.amdhsa_system_vgpr_workitem_id 0
		.amdhsa_next_free_vgpr 1
		.amdhsa_next_free_sgpr 0
		.amdhsa_accum_offset 4
		.amdhsa_reserve_vcc 0
		.amdhsa_float_round_mode_32 0
		.amdhsa_float_round_mode_16_64 0
		.amdhsa_float_denorm_mode_32 3
		.amdhsa_float_denorm_mode_16_64 3
		.amdhsa_dx10_clamp 1
		.amdhsa_ieee_mode 1
		.amdhsa_fp16_overflow 0
		.amdhsa_tg_split 0
		.amdhsa_exception_fp_ieee_invalid_op 0
		.amdhsa_exception_fp_denorm_src 0
		.amdhsa_exception_fp_ieee_div_zero 0
		.amdhsa_exception_fp_ieee_overflow 0
		.amdhsa_exception_fp_ieee_underflow 0
		.amdhsa_exception_fp_ieee_inexact 0
		.amdhsa_exception_int_div_zero 0
	.end_amdhsa_kernel
	.section	.text._ZN7rocprim17ROCPRIM_400000_NS6detail17trampoline_kernelINS0_14default_configENS1_20scan_config_selectorIN3c107complexIdEEEEZZNS1_9scan_implILNS1_25lookback_scan_determinismE0ELb0ELb0ES3_PKS7_PS7_S7_ZZZN2at6native31launch_logcumsumexp_cuda_kernelERKNSE_10TensorBaseESI_lENKUlvE_clEvENKUlvE1_clEvEUlS7_S7_E_S7_EEDaPvRmT3_T4_T5_mT6_P12ihipStream_tbENKUlT_T0_E_clISt17integral_constantIbLb1EESZ_EEDaSU_SV_EUlSU_E0_NS1_11comp_targetILNS1_3genE8ELNS1_11target_archE1030ELNS1_3gpuE2ELNS1_3repE0EEENS1_30default_config_static_selectorELNS0_4arch9wavefront6targetE1EEEvT1_,"axG",@progbits,_ZN7rocprim17ROCPRIM_400000_NS6detail17trampoline_kernelINS0_14default_configENS1_20scan_config_selectorIN3c107complexIdEEEEZZNS1_9scan_implILNS1_25lookback_scan_determinismE0ELb0ELb0ES3_PKS7_PS7_S7_ZZZN2at6native31launch_logcumsumexp_cuda_kernelERKNSE_10TensorBaseESI_lENKUlvE_clEvENKUlvE1_clEvEUlS7_S7_E_S7_EEDaPvRmT3_T4_T5_mT6_P12ihipStream_tbENKUlT_T0_E_clISt17integral_constantIbLb1EESZ_EEDaSU_SV_EUlSU_E0_NS1_11comp_targetILNS1_3genE8ELNS1_11target_archE1030ELNS1_3gpuE2ELNS1_3repE0EEENS1_30default_config_static_selectorELNS0_4arch9wavefront6targetE1EEEvT1_,comdat
.Lfunc_end220:
	.size	_ZN7rocprim17ROCPRIM_400000_NS6detail17trampoline_kernelINS0_14default_configENS1_20scan_config_selectorIN3c107complexIdEEEEZZNS1_9scan_implILNS1_25lookback_scan_determinismE0ELb0ELb0ES3_PKS7_PS7_S7_ZZZN2at6native31launch_logcumsumexp_cuda_kernelERKNSE_10TensorBaseESI_lENKUlvE_clEvENKUlvE1_clEvEUlS7_S7_E_S7_EEDaPvRmT3_T4_T5_mT6_P12ihipStream_tbENKUlT_T0_E_clISt17integral_constantIbLb1EESZ_EEDaSU_SV_EUlSU_E0_NS1_11comp_targetILNS1_3genE8ELNS1_11target_archE1030ELNS1_3gpuE2ELNS1_3repE0EEENS1_30default_config_static_selectorELNS0_4arch9wavefront6targetE1EEEvT1_, .Lfunc_end220-_ZN7rocprim17ROCPRIM_400000_NS6detail17trampoline_kernelINS0_14default_configENS1_20scan_config_selectorIN3c107complexIdEEEEZZNS1_9scan_implILNS1_25lookback_scan_determinismE0ELb0ELb0ES3_PKS7_PS7_S7_ZZZN2at6native31launch_logcumsumexp_cuda_kernelERKNSE_10TensorBaseESI_lENKUlvE_clEvENKUlvE1_clEvEUlS7_S7_E_S7_EEDaPvRmT3_T4_T5_mT6_P12ihipStream_tbENKUlT_T0_E_clISt17integral_constantIbLb1EESZ_EEDaSU_SV_EUlSU_E0_NS1_11comp_targetILNS1_3genE8ELNS1_11target_archE1030ELNS1_3gpuE2ELNS1_3repE0EEENS1_30default_config_static_selectorELNS0_4arch9wavefront6targetE1EEEvT1_
                                        ; -- End function
	.set _ZN7rocprim17ROCPRIM_400000_NS6detail17trampoline_kernelINS0_14default_configENS1_20scan_config_selectorIN3c107complexIdEEEEZZNS1_9scan_implILNS1_25lookback_scan_determinismE0ELb0ELb0ES3_PKS7_PS7_S7_ZZZN2at6native31launch_logcumsumexp_cuda_kernelERKNSE_10TensorBaseESI_lENKUlvE_clEvENKUlvE1_clEvEUlS7_S7_E_S7_EEDaPvRmT3_T4_T5_mT6_P12ihipStream_tbENKUlT_T0_E_clISt17integral_constantIbLb1EESZ_EEDaSU_SV_EUlSU_E0_NS1_11comp_targetILNS1_3genE8ELNS1_11target_archE1030ELNS1_3gpuE2ELNS1_3repE0EEENS1_30default_config_static_selectorELNS0_4arch9wavefront6targetE1EEEvT1_.num_vgpr, 0
	.set _ZN7rocprim17ROCPRIM_400000_NS6detail17trampoline_kernelINS0_14default_configENS1_20scan_config_selectorIN3c107complexIdEEEEZZNS1_9scan_implILNS1_25lookback_scan_determinismE0ELb0ELb0ES3_PKS7_PS7_S7_ZZZN2at6native31launch_logcumsumexp_cuda_kernelERKNSE_10TensorBaseESI_lENKUlvE_clEvENKUlvE1_clEvEUlS7_S7_E_S7_EEDaPvRmT3_T4_T5_mT6_P12ihipStream_tbENKUlT_T0_E_clISt17integral_constantIbLb1EESZ_EEDaSU_SV_EUlSU_E0_NS1_11comp_targetILNS1_3genE8ELNS1_11target_archE1030ELNS1_3gpuE2ELNS1_3repE0EEENS1_30default_config_static_selectorELNS0_4arch9wavefront6targetE1EEEvT1_.num_agpr, 0
	.set _ZN7rocprim17ROCPRIM_400000_NS6detail17trampoline_kernelINS0_14default_configENS1_20scan_config_selectorIN3c107complexIdEEEEZZNS1_9scan_implILNS1_25lookback_scan_determinismE0ELb0ELb0ES3_PKS7_PS7_S7_ZZZN2at6native31launch_logcumsumexp_cuda_kernelERKNSE_10TensorBaseESI_lENKUlvE_clEvENKUlvE1_clEvEUlS7_S7_E_S7_EEDaPvRmT3_T4_T5_mT6_P12ihipStream_tbENKUlT_T0_E_clISt17integral_constantIbLb1EESZ_EEDaSU_SV_EUlSU_E0_NS1_11comp_targetILNS1_3genE8ELNS1_11target_archE1030ELNS1_3gpuE2ELNS1_3repE0EEENS1_30default_config_static_selectorELNS0_4arch9wavefront6targetE1EEEvT1_.numbered_sgpr, 0
	.set _ZN7rocprim17ROCPRIM_400000_NS6detail17trampoline_kernelINS0_14default_configENS1_20scan_config_selectorIN3c107complexIdEEEEZZNS1_9scan_implILNS1_25lookback_scan_determinismE0ELb0ELb0ES3_PKS7_PS7_S7_ZZZN2at6native31launch_logcumsumexp_cuda_kernelERKNSE_10TensorBaseESI_lENKUlvE_clEvENKUlvE1_clEvEUlS7_S7_E_S7_EEDaPvRmT3_T4_T5_mT6_P12ihipStream_tbENKUlT_T0_E_clISt17integral_constantIbLb1EESZ_EEDaSU_SV_EUlSU_E0_NS1_11comp_targetILNS1_3genE8ELNS1_11target_archE1030ELNS1_3gpuE2ELNS1_3repE0EEENS1_30default_config_static_selectorELNS0_4arch9wavefront6targetE1EEEvT1_.num_named_barrier, 0
	.set _ZN7rocprim17ROCPRIM_400000_NS6detail17trampoline_kernelINS0_14default_configENS1_20scan_config_selectorIN3c107complexIdEEEEZZNS1_9scan_implILNS1_25lookback_scan_determinismE0ELb0ELb0ES3_PKS7_PS7_S7_ZZZN2at6native31launch_logcumsumexp_cuda_kernelERKNSE_10TensorBaseESI_lENKUlvE_clEvENKUlvE1_clEvEUlS7_S7_E_S7_EEDaPvRmT3_T4_T5_mT6_P12ihipStream_tbENKUlT_T0_E_clISt17integral_constantIbLb1EESZ_EEDaSU_SV_EUlSU_E0_NS1_11comp_targetILNS1_3genE8ELNS1_11target_archE1030ELNS1_3gpuE2ELNS1_3repE0EEENS1_30default_config_static_selectorELNS0_4arch9wavefront6targetE1EEEvT1_.private_seg_size, 0
	.set _ZN7rocprim17ROCPRIM_400000_NS6detail17trampoline_kernelINS0_14default_configENS1_20scan_config_selectorIN3c107complexIdEEEEZZNS1_9scan_implILNS1_25lookback_scan_determinismE0ELb0ELb0ES3_PKS7_PS7_S7_ZZZN2at6native31launch_logcumsumexp_cuda_kernelERKNSE_10TensorBaseESI_lENKUlvE_clEvENKUlvE1_clEvEUlS7_S7_E_S7_EEDaPvRmT3_T4_T5_mT6_P12ihipStream_tbENKUlT_T0_E_clISt17integral_constantIbLb1EESZ_EEDaSU_SV_EUlSU_E0_NS1_11comp_targetILNS1_3genE8ELNS1_11target_archE1030ELNS1_3gpuE2ELNS1_3repE0EEENS1_30default_config_static_selectorELNS0_4arch9wavefront6targetE1EEEvT1_.uses_vcc, 0
	.set _ZN7rocprim17ROCPRIM_400000_NS6detail17trampoline_kernelINS0_14default_configENS1_20scan_config_selectorIN3c107complexIdEEEEZZNS1_9scan_implILNS1_25lookback_scan_determinismE0ELb0ELb0ES3_PKS7_PS7_S7_ZZZN2at6native31launch_logcumsumexp_cuda_kernelERKNSE_10TensorBaseESI_lENKUlvE_clEvENKUlvE1_clEvEUlS7_S7_E_S7_EEDaPvRmT3_T4_T5_mT6_P12ihipStream_tbENKUlT_T0_E_clISt17integral_constantIbLb1EESZ_EEDaSU_SV_EUlSU_E0_NS1_11comp_targetILNS1_3genE8ELNS1_11target_archE1030ELNS1_3gpuE2ELNS1_3repE0EEENS1_30default_config_static_selectorELNS0_4arch9wavefront6targetE1EEEvT1_.uses_flat_scratch, 0
	.set _ZN7rocprim17ROCPRIM_400000_NS6detail17trampoline_kernelINS0_14default_configENS1_20scan_config_selectorIN3c107complexIdEEEEZZNS1_9scan_implILNS1_25lookback_scan_determinismE0ELb0ELb0ES3_PKS7_PS7_S7_ZZZN2at6native31launch_logcumsumexp_cuda_kernelERKNSE_10TensorBaseESI_lENKUlvE_clEvENKUlvE1_clEvEUlS7_S7_E_S7_EEDaPvRmT3_T4_T5_mT6_P12ihipStream_tbENKUlT_T0_E_clISt17integral_constantIbLb1EESZ_EEDaSU_SV_EUlSU_E0_NS1_11comp_targetILNS1_3genE8ELNS1_11target_archE1030ELNS1_3gpuE2ELNS1_3repE0EEENS1_30default_config_static_selectorELNS0_4arch9wavefront6targetE1EEEvT1_.has_dyn_sized_stack, 0
	.set _ZN7rocprim17ROCPRIM_400000_NS6detail17trampoline_kernelINS0_14default_configENS1_20scan_config_selectorIN3c107complexIdEEEEZZNS1_9scan_implILNS1_25lookback_scan_determinismE0ELb0ELb0ES3_PKS7_PS7_S7_ZZZN2at6native31launch_logcumsumexp_cuda_kernelERKNSE_10TensorBaseESI_lENKUlvE_clEvENKUlvE1_clEvEUlS7_S7_E_S7_EEDaPvRmT3_T4_T5_mT6_P12ihipStream_tbENKUlT_T0_E_clISt17integral_constantIbLb1EESZ_EEDaSU_SV_EUlSU_E0_NS1_11comp_targetILNS1_3genE8ELNS1_11target_archE1030ELNS1_3gpuE2ELNS1_3repE0EEENS1_30default_config_static_selectorELNS0_4arch9wavefront6targetE1EEEvT1_.has_recursion, 0
	.set _ZN7rocprim17ROCPRIM_400000_NS6detail17trampoline_kernelINS0_14default_configENS1_20scan_config_selectorIN3c107complexIdEEEEZZNS1_9scan_implILNS1_25lookback_scan_determinismE0ELb0ELb0ES3_PKS7_PS7_S7_ZZZN2at6native31launch_logcumsumexp_cuda_kernelERKNSE_10TensorBaseESI_lENKUlvE_clEvENKUlvE1_clEvEUlS7_S7_E_S7_EEDaPvRmT3_T4_T5_mT6_P12ihipStream_tbENKUlT_T0_E_clISt17integral_constantIbLb1EESZ_EEDaSU_SV_EUlSU_E0_NS1_11comp_targetILNS1_3genE8ELNS1_11target_archE1030ELNS1_3gpuE2ELNS1_3repE0EEENS1_30default_config_static_selectorELNS0_4arch9wavefront6targetE1EEEvT1_.has_indirect_call, 0
	.section	.AMDGPU.csdata,"",@progbits
; Kernel info:
; codeLenInByte = 0
; TotalNumSgprs: 6
; NumVgprs: 0
; NumAgprs: 0
; TotalNumVgprs: 0
; ScratchSize: 0
; MemoryBound: 0
; FloatMode: 240
; IeeeMode: 1
; LDSByteSize: 0 bytes/workgroup (compile time only)
; SGPRBlocks: 0
; VGPRBlocks: 0
; NumSGPRsForWavesPerEU: 6
; NumVGPRsForWavesPerEU: 1
; AccumOffset: 4
; Occupancy: 8
; WaveLimiterHint : 0
; COMPUTE_PGM_RSRC2:SCRATCH_EN: 0
; COMPUTE_PGM_RSRC2:USER_SGPR: 2
; COMPUTE_PGM_RSRC2:TRAP_HANDLER: 0
; COMPUTE_PGM_RSRC2:TGID_X_EN: 1
; COMPUTE_PGM_RSRC2:TGID_Y_EN: 0
; COMPUTE_PGM_RSRC2:TGID_Z_EN: 0
; COMPUTE_PGM_RSRC2:TIDIG_COMP_CNT: 0
; COMPUTE_PGM_RSRC3_GFX90A:ACCUM_OFFSET: 0
; COMPUTE_PGM_RSRC3_GFX90A:TG_SPLIT: 0
	.section	.text._ZN7rocprim17ROCPRIM_400000_NS6detail31init_lookback_scan_state_kernelINS1_19lookback_scan_stateIN3c107complexIdEELb1ELb0EEENS1_16block_id_wrapperIjLb0EEEEEvT_jT0_jPNSA_10value_typeE,"axG",@progbits,_ZN7rocprim17ROCPRIM_400000_NS6detail31init_lookback_scan_state_kernelINS1_19lookback_scan_stateIN3c107complexIdEELb1ELb0EEENS1_16block_id_wrapperIjLb0EEEEEvT_jT0_jPNSA_10value_typeE,comdat
	.protected	_ZN7rocprim17ROCPRIM_400000_NS6detail31init_lookback_scan_state_kernelINS1_19lookback_scan_stateIN3c107complexIdEELb1ELb0EEENS1_16block_id_wrapperIjLb0EEEEEvT_jT0_jPNSA_10value_typeE ; -- Begin function _ZN7rocprim17ROCPRIM_400000_NS6detail31init_lookback_scan_state_kernelINS1_19lookback_scan_stateIN3c107complexIdEELb1ELb0EEENS1_16block_id_wrapperIjLb0EEEEEvT_jT0_jPNSA_10value_typeE
	.globl	_ZN7rocprim17ROCPRIM_400000_NS6detail31init_lookback_scan_state_kernelINS1_19lookback_scan_stateIN3c107complexIdEELb1ELb0EEENS1_16block_id_wrapperIjLb0EEEEEvT_jT0_jPNSA_10value_typeE
	.p2align	8
	.type	_ZN7rocprim17ROCPRIM_400000_NS6detail31init_lookback_scan_state_kernelINS1_19lookback_scan_stateIN3c107complexIdEELb1ELb0EEENS1_16block_id_wrapperIjLb0EEEEEvT_jT0_jPNSA_10value_typeE,@function
_ZN7rocprim17ROCPRIM_400000_NS6detail31init_lookback_scan_state_kernelINS1_19lookback_scan_stateIN3c107complexIdEELb1ELb0EEENS1_16block_id_wrapperIjLb0EEEEEvT_jT0_jPNSA_10value_typeE: ; @_ZN7rocprim17ROCPRIM_400000_NS6detail31init_lookback_scan_state_kernelINS1_19lookback_scan_stateIN3c107complexIdEELb1ELb0EEENS1_16block_id_wrapperIjLb0EEEEEvT_jT0_jPNSA_10value_typeE
; %bb.0:
	s_load_dword s3, s[0:1], 0x3c
	s_load_dwordx2 s[10:11], s[0:1], 0x28
	s_load_dwordx2 s[8:9], s[0:1], 0x10
	s_load_dword s14, s[0:1], 0x18
	s_waitcnt lgkmcnt(0)
	s_and_b32 s3, s3, 0xffff
	s_mul_i32 s2, s2, s3
	s_cmp_eq_u64 s[10:11], 0
	v_add_u32_e32 v0, s2, v0
	s_cbranch_scc1 .LBB221_9
; %bb.1:
	s_load_dword s4, s[0:1], 0x20
	s_mov_b32 s13, 0
	s_waitcnt lgkmcnt(0)
	s_cmp_lt_u32 s4, s14
	s_cselect_b32 s2, s4, 0
	v_cmp_eq_u32_e32 vcc, s2, v0
	s_and_saveexec_b64 s[2:3], vcc
	s_cbranch_execz .LBB221_8
; %bb.2:
	s_add_i32 s12, s4, 64
	v_mov_b32_e32 v1, s12
	global_load_ubyte v2, v1, s[8:9] sc1
	s_load_dwordx4 s[4:7], s[0:1], 0x0
	v_mov_b32_e32 v1, 0
	s_add_u32 s0, s8, s12
	s_addc_u32 s1, s9, 0
	s_waitcnt vmcnt(0)
	v_cmp_ne_u32_sdwa s[16:17], v2, v1 src0_sel:WORD_0 src1_sel:DWORD
	s_and_b64 vcc, exec, s[16:17]
	v_readfirstlane_b32 s16, v2
	s_cbranch_vccnz .LBB221_7
; %bb.3:
	s_mov_b32 s15, 1
.LBB221_4:                              ; =>This Loop Header: Depth=1
                                        ;     Child Loop BB221_5 Depth 2
	s_mov_b32 s16, s15
.LBB221_5:                              ;   Parent Loop BB221_4 Depth=1
                                        ; =>  This Inner Loop Header: Depth=2
	s_add_i32 s16, s16, -1
	s_cmp_eq_u32 s16, 0
	s_sleep 1
	s_cbranch_scc0 .LBB221_5
; %bb.6:                                ;   in Loop: Header=BB221_4 Depth=1
	global_load_ubyte v2, v1, s[0:1] sc1
	s_cmp_lt_u32 s15, 32
	s_cselect_b64 s[16:17], -1, 0
	s_cmp_lg_u64 s[16:17], 0
	s_addc_u32 s15, s15, 0
	s_waitcnt vmcnt(0)
	v_cmp_ne_u32_sdwa s[16:17], v2, v1 src0_sel:WORD_0 src1_sel:DWORD
	s_and_b64 vcc, exec, s[16:17]
	v_readfirstlane_b32 s16, v2
	s_cbranch_vccz .LBB221_4
.LBB221_7:
	s_and_b32 s0, 0xffff, s16
	s_cmp_eq_u32 s0, 1
	s_waitcnt lgkmcnt(0)
	s_cselect_b32 s5, s5, s7
	s_cselect_b32 s4, s4, s6
	s_lshl_b64 s[0:1], s[12:13], 4
	s_add_u32 s0, s4, s0
	s_addc_u32 s1, s5, s1
	v_mov_b32_e32 v1, 0
	s_waitcnt vmcnt(0)
	global_load_dword v2, v1, s[0:1] sc1
	global_load_dword v3, v1, s[0:1] offset:4 sc1
	global_load_dword v4, v1, s[0:1] offset:8 sc1
	;; [unrolled: 1-line block ×3, first 2 shown]
	s_waitcnt vmcnt(0)
	global_store_dwordx4 v1, v[2:5], s[10:11]
.LBB221_8:
	s_or_b64 exec, exec, s[2:3]
.LBB221_9:
	v_cmp_gt_u32_e32 vcc, s14, v0
	s_and_saveexec_b64 s[0:1], vcc
	s_cbranch_execnz .LBB221_12
; %bb.10:
	s_or_b64 exec, exec, s[0:1]
	v_cmp_gt_u32_e32 vcc, 64, v0
	s_and_saveexec_b64 s[0:1], vcc
	s_cbranch_execnz .LBB221_13
.LBB221_11:
	s_endpgm
.LBB221_12:
	v_add_u32_e32 v1, 64, v0
	v_mov_b32_e32 v2, 0
	global_store_byte v1, v2, s[8:9]
	s_or_b64 exec, exec, s[0:1]
	v_cmp_gt_u32_e32 vcc, 64, v0
	s_and_saveexec_b64 s[0:1], vcc
	s_cbranch_execz .LBB221_11
.LBB221_13:
	v_mov_b32_e32 v1, 0xff
	global_store_byte v0, v1, s[8:9]
	s_endpgm
	.section	.rodata,"a",@progbits
	.p2align	6, 0x0
	.amdhsa_kernel _ZN7rocprim17ROCPRIM_400000_NS6detail31init_lookback_scan_state_kernelINS1_19lookback_scan_stateIN3c107complexIdEELb1ELb0EEENS1_16block_id_wrapperIjLb0EEEEEvT_jT0_jPNSA_10value_typeE
		.amdhsa_group_segment_fixed_size 0
		.amdhsa_private_segment_fixed_size 0
		.amdhsa_kernarg_size 304
		.amdhsa_user_sgpr_count 2
		.amdhsa_user_sgpr_dispatch_ptr 0
		.amdhsa_user_sgpr_queue_ptr 0
		.amdhsa_user_sgpr_kernarg_segment_ptr 1
		.amdhsa_user_sgpr_dispatch_id 0
		.amdhsa_user_sgpr_kernarg_preload_length 0
		.amdhsa_user_sgpr_kernarg_preload_offset 0
		.amdhsa_user_sgpr_private_segment_size 0
		.amdhsa_uses_dynamic_stack 0
		.amdhsa_enable_private_segment 0
		.amdhsa_system_sgpr_workgroup_id_x 1
		.amdhsa_system_sgpr_workgroup_id_y 0
		.amdhsa_system_sgpr_workgroup_id_z 0
		.amdhsa_system_sgpr_workgroup_info 0
		.amdhsa_system_vgpr_workitem_id 0
		.amdhsa_next_free_vgpr 6
		.amdhsa_next_free_sgpr 18
		.amdhsa_accum_offset 8
		.amdhsa_reserve_vcc 1
		.amdhsa_float_round_mode_32 0
		.amdhsa_float_round_mode_16_64 0
		.amdhsa_float_denorm_mode_32 3
		.amdhsa_float_denorm_mode_16_64 3
		.amdhsa_dx10_clamp 1
		.amdhsa_ieee_mode 1
		.amdhsa_fp16_overflow 0
		.amdhsa_tg_split 0
		.amdhsa_exception_fp_ieee_invalid_op 0
		.amdhsa_exception_fp_denorm_src 0
		.amdhsa_exception_fp_ieee_div_zero 0
		.amdhsa_exception_fp_ieee_overflow 0
		.amdhsa_exception_fp_ieee_underflow 0
		.amdhsa_exception_fp_ieee_inexact 0
		.amdhsa_exception_int_div_zero 0
	.end_amdhsa_kernel
	.section	.text._ZN7rocprim17ROCPRIM_400000_NS6detail31init_lookback_scan_state_kernelINS1_19lookback_scan_stateIN3c107complexIdEELb1ELb0EEENS1_16block_id_wrapperIjLb0EEEEEvT_jT0_jPNSA_10value_typeE,"axG",@progbits,_ZN7rocprim17ROCPRIM_400000_NS6detail31init_lookback_scan_state_kernelINS1_19lookback_scan_stateIN3c107complexIdEELb1ELb0EEENS1_16block_id_wrapperIjLb0EEEEEvT_jT0_jPNSA_10value_typeE,comdat
.Lfunc_end221:
	.size	_ZN7rocprim17ROCPRIM_400000_NS6detail31init_lookback_scan_state_kernelINS1_19lookback_scan_stateIN3c107complexIdEELb1ELb0EEENS1_16block_id_wrapperIjLb0EEEEEvT_jT0_jPNSA_10value_typeE, .Lfunc_end221-_ZN7rocprim17ROCPRIM_400000_NS6detail31init_lookback_scan_state_kernelINS1_19lookback_scan_stateIN3c107complexIdEELb1ELb0EEENS1_16block_id_wrapperIjLb0EEEEEvT_jT0_jPNSA_10value_typeE
                                        ; -- End function
	.set _ZN7rocprim17ROCPRIM_400000_NS6detail31init_lookback_scan_state_kernelINS1_19lookback_scan_stateIN3c107complexIdEELb1ELb0EEENS1_16block_id_wrapperIjLb0EEEEEvT_jT0_jPNSA_10value_typeE.num_vgpr, 6
	.set _ZN7rocprim17ROCPRIM_400000_NS6detail31init_lookback_scan_state_kernelINS1_19lookback_scan_stateIN3c107complexIdEELb1ELb0EEENS1_16block_id_wrapperIjLb0EEEEEvT_jT0_jPNSA_10value_typeE.num_agpr, 0
	.set _ZN7rocprim17ROCPRIM_400000_NS6detail31init_lookback_scan_state_kernelINS1_19lookback_scan_stateIN3c107complexIdEELb1ELb0EEENS1_16block_id_wrapperIjLb0EEEEEvT_jT0_jPNSA_10value_typeE.numbered_sgpr, 18
	.set _ZN7rocprim17ROCPRIM_400000_NS6detail31init_lookback_scan_state_kernelINS1_19lookback_scan_stateIN3c107complexIdEELb1ELb0EEENS1_16block_id_wrapperIjLb0EEEEEvT_jT0_jPNSA_10value_typeE.num_named_barrier, 0
	.set _ZN7rocprim17ROCPRIM_400000_NS6detail31init_lookback_scan_state_kernelINS1_19lookback_scan_stateIN3c107complexIdEELb1ELb0EEENS1_16block_id_wrapperIjLb0EEEEEvT_jT0_jPNSA_10value_typeE.private_seg_size, 0
	.set _ZN7rocprim17ROCPRIM_400000_NS6detail31init_lookback_scan_state_kernelINS1_19lookback_scan_stateIN3c107complexIdEELb1ELb0EEENS1_16block_id_wrapperIjLb0EEEEEvT_jT0_jPNSA_10value_typeE.uses_vcc, 1
	.set _ZN7rocprim17ROCPRIM_400000_NS6detail31init_lookback_scan_state_kernelINS1_19lookback_scan_stateIN3c107complexIdEELb1ELb0EEENS1_16block_id_wrapperIjLb0EEEEEvT_jT0_jPNSA_10value_typeE.uses_flat_scratch, 0
	.set _ZN7rocprim17ROCPRIM_400000_NS6detail31init_lookback_scan_state_kernelINS1_19lookback_scan_stateIN3c107complexIdEELb1ELb0EEENS1_16block_id_wrapperIjLb0EEEEEvT_jT0_jPNSA_10value_typeE.has_dyn_sized_stack, 0
	.set _ZN7rocprim17ROCPRIM_400000_NS6detail31init_lookback_scan_state_kernelINS1_19lookback_scan_stateIN3c107complexIdEELb1ELb0EEENS1_16block_id_wrapperIjLb0EEEEEvT_jT0_jPNSA_10value_typeE.has_recursion, 0
	.set _ZN7rocprim17ROCPRIM_400000_NS6detail31init_lookback_scan_state_kernelINS1_19lookback_scan_stateIN3c107complexIdEELb1ELb0EEENS1_16block_id_wrapperIjLb0EEEEEvT_jT0_jPNSA_10value_typeE.has_indirect_call, 0
	.section	.AMDGPU.csdata,"",@progbits
; Kernel info:
; codeLenInByte = 404
; TotalNumSgprs: 24
; NumVgprs: 6
; NumAgprs: 0
; TotalNumVgprs: 6
; ScratchSize: 0
; MemoryBound: 0
; FloatMode: 240
; IeeeMode: 1
; LDSByteSize: 0 bytes/workgroup (compile time only)
; SGPRBlocks: 2
; VGPRBlocks: 0
; NumSGPRsForWavesPerEU: 24
; NumVGPRsForWavesPerEU: 6
; AccumOffset: 8
; Occupancy: 8
; WaveLimiterHint : 0
; COMPUTE_PGM_RSRC2:SCRATCH_EN: 0
; COMPUTE_PGM_RSRC2:USER_SGPR: 2
; COMPUTE_PGM_RSRC2:TRAP_HANDLER: 0
; COMPUTE_PGM_RSRC2:TGID_X_EN: 1
; COMPUTE_PGM_RSRC2:TGID_Y_EN: 0
; COMPUTE_PGM_RSRC2:TGID_Z_EN: 0
; COMPUTE_PGM_RSRC2:TIDIG_COMP_CNT: 0
; COMPUTE_PGM_RSRC3_GFX90A:ACCUM_OFFSET: 1
; COMPUTE_PGM_RSRC3_GFX90A:TG_SPLIT: 0
	.section	.text._ZN7rocprim17ROCPRIM_400000_NS6detail17trampoline_kernelINS0_14default_configENS1_20scan_config_selectorIN3c107complexIdEEEEZZNS1_9scan_implILNS1_25lookback_scan_determinismE0ELb0ELb0ES3_PKS7_PS7_S7_ZZZN2at6native31launch_logcumsumexp_cuda_kernelERKNSE_10TensorBaseESI_lENKUlvE_clEvENKUlvE1_clEvEUlS7_S7_E_S7_EEDaPvRmT3_T4_T5_mT6_P12ihipStream_tbENKUlT_T0_E_clISt17integral_constantIbLb1EESY_IbLb0EEEEDaSU_SV_EUlSU_E_NS1_11comp_targetILNS1_3genE0ELNS1_11target_archE4294967295ELNS1_3gpuE0ELNS1_3repE0EEENS1_30default_config_static_selectorELNS0_4arch9wavefront6targetE1EEEvT1_,"axG",@progbits,_ZN7rocprim17ROCPRIM_400000_NS6detail17trampoline_kernelINS0_14default_configENS1_20scan_config_selectorIN3c107complexIdEEEEZZNS1_9scan_implILNS1_25lookback_scan_determinismE0ELb0ELb0ES3_PKS7_PS7_S7_ZZZN2at6native31launch_logcumsumexp_cuda_kernelERKNSE_10TensorBaseESI_lENKUlvE_clEvENKUlvE1_clEvEUlS7_S7_E_S7_EEDaPvRmT3_T4_T5_mT6_P12ihipStream_tbENKUlT_T0_E_clISt17integral_constantIbLb1EESY_IbLb0EEEEDaSU_SV_EUlSU_E_NS1_11comp_targetILNS1_3genE0ELNS1_11target_archE4294967295ELNS1_3gpuE0ELNS1_3repE0EEENS1_30default_config_static_selectorELNS0_4arch9wavefront6targetE1EEEvT1_,comdat
	.globl	_ZN7rocprim17ROCPRIM_400000_NS6detail17trampoline_kernelINS0_14default_configENS1_20scan_config_selectorIN3c107complexIdEEEEZZNS1_9scan_implILNS1_25lookback_scan_determinismE0ELb0ELb0ES3_PKS7_PS7_S7_ZZZN2at6native31launch_logcumsumexp_cuda_kernelERKNSE_10TensorBaseESI_lENKUlvE_clEvENKUlvE1_clEvEUlS7_S7_E_S7_EEDaPvRmT3_T4_T5_mT6_P12ihipStream_tbENKUlT_T0_E_clISt17integral_constantIbLb1EESY_IbLb0EEEEDaSU_SV_EUlSU_E_NS1_11comp_targetILNS1_3genE0ELNS1_11target_archE4294967295ELNS1_3gpuE0ELNS1_3repE0EEENS1_30default_config_static_selectorELNS0_4arch9wavefront6targetE1EEEvT1_ ; -- Begin function _ZN7rocprim17ROCPRIM_400000_NS6detail17trampoline_kernelINS0_14default_configENS1_20scan_config_selectorIN3c107complexIdEEEEZZNS1_9scan_implILNS1_25lookback_scan_determinismE0ELb0ELb0ES3_PKS7_PS7_S7_ZZZN2at6native31launch_logcumsumexp_cuda_kernelERKNSE_10TensorBaseESI_lENKUlvE_clEvENKUlvE1_clEvEUlS7_S7_E_S7_EEDaPvRmT3_T4_T5_mT6_P12ihipStream_tbENKUlT_T0_E_clISt17integral_constantIbLb1EESY_IbLb0EEEEDaSU_SV_EUlSU_E_NS1_11comp_targetILNS1_3genE0ELNS1_11target_archE4294967295ELNS1_3gpuE0ELNS1_3repE0EEENS1_30default_config_static_selectorELNS0_4arch9wavefront6targetE1EEEvT1_
	.p2align	8
	.type	_ZN7rocprim17ROCPRIM_400000_NS6detail17trampoline_kernelINS0_14default_configENS1_20scan_config_selectorIN3c107complexIdEEEEZZNS1_9scan_implILNS1_25lookback_scan_determinismE0ELb0ELb0ES3_PKS7_PS7_S7_ZZZN2at6native31launch_logcumsumexp_cuda_kernelERKNSE_10TensorBaseESI_lENKUlvE_clEvENKUlvE1_clEvEUlS7_S7_E_S7_EEDaPvRmT3_T4_T5_mT6_P12ihipStream_tbENKUlT_T0_E_clISt17integral_constantIbLb1EESY_IbLb0EEEEDaSU_SV_EUlSU_E_NS1_11comp_targetILNS1_3genE0ELNS1_11target_archE4294967295ELNS1_3gpuE0ELNS1_3repE0EEENS1_30default_config_static_selectorELNS0_4arch9wavefront6targetE1EEEvT1_,@function
_ZN7rocprim17ROCPRIM_400000_NS6detail17trampoline_kernelINS0_14default_configENS1_20scan_config_selectorIN3c107complexIdEEEEZZNS1_9scan_implILNS1_25lookback_scan_determinismE0ELb0ELb0ES3_PKS7_PS7_S7_ZZZN2at6native31launch_logcumsumexp_cuda_kernelERKNSE_10TensorBaseESI_lENKUlvE_clEvENKUlvE1_clEvEUlS7_S7_E_S7_EEDaPvRmT3_T4_T5_mT6_P12ihipStream_tbENKUlT_T0_E_clISt17integral_constantIbLb1EESY_IbLb0EEEEDaSU_SV_EUlSU_E_NS1_11comp_targetILNS1_3genE0ELNS1_11target_archE4294967295ELNS1_3gpuE0ELNS1_3repE0EEENS1_30default_config_static_selectorELNS0_4arch9wavefront6targetE1EEEvT1_: ; @_ZN7rocprim17ROCPRIM_400000_NS6detail17trampoline_kernelINS0_14default_configENS1_20scan_config_selectorIN3c107complexIdEEEEZZNS1_9scan_implILNS1_25lookback_scan_determinismE0ELb0ELb0ES3_PKS7_PS7_S7_ZZZN2at6native31launch_logcumsumexp_cuda_kernelERKNSE_10TensorBaseESI_lENKUlvE_clEvENKUlvE1_clEvEUlS7_S7_E_S7_EEDaPvRmT3_T4_T5_mT6_P12ihipStream_tbENKUlT_T0_E_clISt17integral_constantIbLb1EESY_IbLb0EEEEDaSU_SV_EUlSU_E_NS1_11comp_targetILNS1_3genE0ELNS1_11target_archE4294967295ELNS1_3gpuE0ELNS1_3repE0EEENS1_30default_config_static_selectorELNS0_4arch9wavefront6targetE1EEEvT1_
; %bb.0:
	s_endpgm
	.section	.rodata,"a",@progbits
	.p2align	6, 0x0
	.amdhsa_kernel _ZN7rocprim17ROCPRIM_400000_NS6detail17trampoline_kernelINS0_14default_configENS1_20scan_config_selectorIN3c107complexIdEEEEZZNS1_9scan_implILNS1_25lookback_scan_determinismE0ELb0ELb0ES3_PKS7_PS7_S7_ZZZN2at6native31launch_logcumsumexp_cuda_kernelERKNSE_10TensorBaseESI_lENKUlvE_clEvENKUlvE1_clEvEUlS7_S7_E_S7_EEDaPvRmT3_T4_T5_mT6_P12ihipStream_tbENKUlT_T0_E_clISt17integral_constantIbLb1EESY_IbLb0EEEEDaSU_SV_EUlSU_E_NS1_11comp_targetILNS1_3genE0ELNS1_11target_archE4294967295ELNS1_3gpuE0ELNS1_3repE0EEENS1_30default_config_static_selectorELNS0_4arch9wavefront6targetE1EEEvT1_
		.amdhsa_group_segment_fixed_size 0
		.amdhsa_private_segment_fixed_size 0
		.amdhsa_kernarg_size 128
		.amdhsa_user_sgpr_count 2
		.amdhsa_user_sgpr_dispatch_ptr 0
		.amdhsa_user_sgpr_queue_ptr 0
		.amdhsa_user_sgpr_kernarg_segment_ptr 1
		.amdhsa_user_sgpr_dispatch_id 0
		.amdhsa_user_sgpr_kernarg_preload_length 0
		.amdhsa_user_sgpr_kernarg_preload_offset 0
		.amdhsa_user_sgpr_private_segment_size 0
		.amdhsa_uses_dynamic_stack 0
		.amdhsa_enable_private_segment 0
		.amdhsa_system_sgpr_workgroup_id_x 1
		.amdhsa_system_sgpr_workgroup_id_y 0
		.amdhsa_system_sgpr_workgroup_id_z 0
		.amdhsa_system_sgpr_workgroup_info 0
		.amdhsa_system_vgpr_workitem_id 0
		.amdhsa_next_free_vgpr 1
		.amdhsa_next_free_sgpr 0
		.amdhsa_accum_offset 4
		.amdhsa_reserve_vcc 0
		.amdhsa_float_round_mode_32 0
		.amdhsa_float_round_mode_16_64 0
		.amdhsa_float_denorm_mode_32 3
		.amdhsa_float_denorm_mode_16_64 3
		.amdhsa_dx10_clamp 1
		.amdhsa_ieee_mode 1
		.amdhsa_fp16_overflow 0
		.amdhsa_tg_split 0
		.amdhsa_exception_fp_ieee_invalid_op 0
		.amdhsa_exception_fp_denorm_src 0
		.amdhsa_exception_fp_ieee_div_zero 0
		.amdhsa_exception_fp_ieee_overflow 0
		.amdhsa_exception_fp_ieee_underflow 0
		.amdhsa_exception_fp_ieee_inexact 0
		.amdhsa_exception_int_div_zero 0
	.end_amdhsa_kernel
	.section	.text._ZN7rocprim17ROCPRIM_400000_NS6detail17trampoline_kernelINS0_14default_configENS1_20scan_config_selectorIN3c107complexIdEEEEZZNS1_9scan_implILNS1_25lookback_scan_determinismE0ELb0ELb0ES3_PKS7_PS7_S7_ZZZN2at6native31launch_logcumsumexp_cuda_kernelERKNSE_10TensorBaseESI_lENKUlvE_clEvENKUlvE1_clEvEUlS7_S7_E_S7_EEDaPvRmT3_T4_T5_mT6_P12ihipStream_tbENKUlT_T0_E_clISt17integral_constantIbLb1EESY_IbLb0EEEEDaSU_SV_EUlSU_E_NS1_11comp_targetILNS1_3genE0ELNS1_11target_archE4294967295ELNS1_3gpuE0ELNS1_3repE0EEENS1_30default_config_static_selectorELNS0_4arch9wavefront6targetE1EEEvT1_,"axG",@progbits,_ZN7rocprim17ROCPRIM_400000_NS6detail17trampoline_kernelINS0_14default_configENS1_20scan_config_selectorIN3c107complexIdEEEEZZNS1_9scan_implILNS1_25lookback_scan_determinismE0ELb0ELb0ES3_PKS7_PS7_S7_ZZZN2at6native31launch_logcumsumexp_cuda_kernelERKNSE_10TensorBaseESI_lENKUlvE_clEvENKUlvE1_clEvEUlS7_S7_E_S7_EEDaPvRmT3_T4_T5_mT6_P12ihipStream_tbENKUlT_T0_E_clISt17integral_constantIbLb1EESY_IbLb0EEEEDaSU_SV_EUlSU_E_NS1_11comp_targetILNS1_3genE0ELNS1_11target_archE4294967295ELNS1_3gpuE0ELNS1_3repE0EEENS1_30default_config_static_selectorELNS0_4arch9wavefront6targetE1EEEvT1_,comdat
.Lfunc_end222:
	.size	_ZN7rocprim17ROCPRIM_400000_NS6detail17trampoline_kernelINS0_14default_configENS1_20scan_config_selectorIN3c107complexIdEEEEZZNS1_9scan_implILNS1_25lookback_scan_determinismE0ELb0ELb0ES3_PKS7_PS7_S7_ZZZN2at6native31launch_logcumsumexp_cuda_kernelERKNSE_10TensorBaseESI_lENKUlvE_clEvENKUlvE1_clEvEUlS7_S7_E_S7_EEDaPvRmT3_T4_T5_mT6_P12ihipStream_tbENKUlT_T0_E_clISt17integral_constantIbLb1EESY_IbLb0EEEEDaSU_SV_EUlSU_E_NS1_11comp_targetILNS1_3genE0ELNS1_11target_archE4294967295ELNS1_3gpuE0ELNS1_3repE0EEENS1_30default_config_static_selectorELNS0_4arch9wavefront6targetE1EEEvT1_, .Lfunc_end222-_ZN7rocprim17ROCPRIM_400000_NS6detail17trampoline_kernelINS0_14default_configENS1_20scan_config_selectorIN3c107complexIdEEEEZZNS1_9scan_implILNS1_25lookback_scan_determinismE0ELb0ELb0ES3_PKS7_PS7_S7_ZZZN2at6native31launch_logcumsumexp_cuda_kernelERKNSE_10TensorBaseESI_lENKUlvE_clEvENKUlvE1_clEvEUlS7_S7_E_S7_EEDaPvRmT3_T4_T5_mT6_P12ihipStream_tbENKUlT_T0_E_clISt17integral_constantIbLb1EESY_IbLb0EEEEDaSU_SV_EUlSU_E_NS1_11comp_targetILNS1_3genE0ELNS1_11target_archE4294967295ELNS1_3gpuE0ELNS1_3repE0EEENS1_30default_config_static_selectorELNS0_4arch9wavefront6targetE1EEEvT1_
                                        ; -- End function
	.set _ZN7rocprim17ROCPRIM_400000_NS6detail17trampoline_kernelINS0_14default_configENS1_20scan_config_selectorIN3c107complexIdEEEEZZNS1_9scan_implILNS1_25lookback_scan_determinismE0ELb0ELb0ES3_PKS7_PS7_S7_ZZZN2at6native31launch_logcumsumexp_cuda_kernelERKNSE_10TensorBaseESI_lENKUlvE_clEvENKUlvE1_clEvEUlS7_S7_E_S7_EEDaPvRmT3_T4_T5_mT6_P12ihipStream_tbENKUlT_T0_E_clISt17integral_constantIbLb1EESY_IbLb0EEEEDaSU_SV_EUlSU_E_NS1_11comp_targetILNS1_3genE0ELNS1_11target_archE4294967295ELNS1_3gpuE0ELNS1_3repE0EEENS1_30default_config_static_selectorELNS0_4arch9wavefront6targetE1EEEvT1_.num_vgpr, 0
	.set _ZN7rocprim17ROCPRIM_400000_NS6detail17trampoline_kernelINS0_14default_configENS1_20scan_config_selectorIN3c107complexIdEEEEZZNS1_9scan_implILNS1_25lookback_scan_determinismE0ELb0ELb0ES3_PKS7_PS7_S7_ZZZN2at6native31launch_logcumsumexp_cuda_kernelERKNSE_10TensorBaseESI_lENKUlvE_clEvENKUlvE1_clEvEUlS7_S7_E_S7_EEDaPvRmT3_T4_T5_mT6_P12ihipStream_tbENKUlT_T0_E_clISt17integral_constantIbLb1EESY_IbLb0EEEEDaSU_SV_EUlSU_E_NS1_11comp_targetILNS1_3genE0ELNS1_11target_archE4294967295ELNS1_3gpuE0ELNS1_3repE0EEENS1_30default_config_static_selectorELNS0_4arch9wavefront6targetE1EEEvT1_.num_agpr, 0
	.set _ZN7rocprim17ROCPRIM_400000_NS6detail17trampoline_kernelINS0_14default_configENS1_20scan_config_selectorIN3c107complexIdEEEEZZNS1_9scan_implILNS1_25lookback_scan_determinismE0ELb0ELb0ES3_PKS7_PS7_S7_ZZZN2at6native31launch_logcumsumexp_cuda_kernelERKNSE_10TensorBaseESI_lENKUlvE_clEvENKUlvE1_clEvEUlS7_S7_E_S7_EEDaPvRmT3_T4_T5_mT6_P12ihipStream_tbENKUlT_T0_E_clISt17integral_constantIbLb1EESY_IbLb0EEEEDaSU_SV_EUlSU_E_NS1_11comp_targetILNS1_3genE0ELNS1_11target_archE4294967295ELNS1_3gpuE0ELNS1_3repE0EEENS1_30default_config_static_selectorELNS0_4arch9wavefront6targetE1EEEvT1_.numbered_sgpr, 0
	.set _ZN7rocprim17ROCPRIM_400000_NS6detail17trampoline_kernelINS0_14default_configENS1_20scan_config_selectorIN3c107complexIdEEEEZZNS1_9scan_implILNS1_25lookback_scan_determinismE0ELb0ELb0ES3_PKS7_PS7_S7_ZZZN2at6native31launch_logcumsumexp_cuda_kernelERKNSE_10TensorBaseESI_lENKUlvE_clEvENKUlvE1_clEvEUlS7_S7_E_S7_EEDaPvRmT3_T4_T5_mT6_P12ihipStream_tbENKUlT_T0_E_clISt17integral_constantIbLb1EESY_IbLb0EEEEDaSU_SV_EUlSU_E_NS1_11comp_targetILNS1_3genE0ELNS1_11target_archE4294967295ELNS1_3gpuE0ELNS1_3repE0EEENS1_30default_config_static_selectorELNS0_4arch9wavefront6targetE1EEEvT1_.num_named_barrier, 0
	.set _ZN7rocprim17ROCPRIM_400000_NS6detail17trampoline_kernelINS0_14default_configENS1_20scan_config_selectorIN3c107complexIdEEEEZZNS1_9scan_implILNS1_25lookback_scan_determinismE0ELb0ELb0ES3_PKS7_PS7_S7_ZZZN2at6native31launch_logcumsumexp_cuda_kernelERKNSE_10TensorBaseESI_lENKUlvE_clEvENKUlvE1_clEvEUlS7_S7_E_S7_EEDaPvRmT3_T4_T5_mT6_P12ihipStream_tbENKUlT_T0_E_clISt17integral_constantIbLb1EESY_IbLb0EEEEDaSU_SV_EUlSU_E_NS1_11comp_targetILNS1_3genE0ELNS1_11target_archE4294967295ELNS1_3gpuE0ELNS1_3repE0EEENS1_30default_config_static_selectorELNS0_4arch9wavefront6targetE1EEEvT1_.private_seg_size, 0
	.set _ZN7rocprim17ROCPRIM_400000_NS6detail17trampoline_kernelINS0_14default_configENS1_20scan_config_selectorIN3c107complexIdEEEEZZNS1_9scan_implILNS1_25lookback_scan_determinismE0ELb0ELb0ES3_PKS7_PS7_S7_ZZZN2at6native31launch_logcumsumexp_cuda_kernelERKNSE_10TensorBaseESI_lENKUlvE_clEvENKUlvE1_clEvEUlS7_S7_E_S7_EEDaPvRmT3_T4_T5_mT6_P12ihipStream_tbENKUlT_T0_E_clISt17integral_constantIbLb1EESY_IbLb0EEEEDaSU_SV_EUlSU_E_NS1_11comp_targetILNS1_3genE0ELNS1_11target_archE4294967295ELNS1_3gpuE0ELNS1_3repE0EEENS1_30default_config_static_selectorELNS0_4arch9wavefront6targetE1EEEvT1_.uses_vcc, 0
	.set _ZN7rocprim17ROCPRIM_400000_NS6detail17trampoline_kernelINS0_14default_configENS1_20scan_config_selectorIN3c107complexIdEEEEZZNS1_9scan_implILNS1_25lookback_scan_determinismE0ELb0ELb0ES3_PKS7_PS7_S7_ZZZN2at6native31launch_logcumsumexp_cuda_kernelERKNSE_10TensorBaseESI_lENKUlvE_clEvENKUlvE1_clEvEUlS7_S7_E_S7_EEDaPvRmT3_T4_T5_mT6_P12ihipStream_tbENKUlT_T0_E_clISt17integral_constantIbLb1EESY_IbLb0EEEEDaSU_SV_EUlSU_E_NS1_11comp_targetILNS1_3genE0ELNS1_11target_archE4294967295ELNS1_3gpuE0ELNS1_3repE0EEENS1_30default_config_static_selectorELNS0_4arch9wavefront6targetE1EEEvT1_.uses_flat_scratch, 0
	.set _ZN7rocprim17ROCPRIM_400000_NS6detail17trampoline_kernelINS0_14default_configENS1_20scan_config_selectorIN3c107complexIdEEEEZZNS1_9scan_implILNS1_25lookback_scan_determinismE0ELb0ELb0ES3_PKS7_PS7_S7_ZZZN2at6native31launch_logcumsumexp_cuda_kernelERKNSE_10TensorBaseESI_lENKUlvE_clEvENKUlvE1_clEvEUlS7_S7_E_S7_EEDaPvRmT3_T4_T5_mT6_P12ihipStream_tbENKUlT_T0_E_clISt17integral_constantIbLb1EESY_IbLb0EEEEDaSU_SV_EUlSU_E_NS1_11comp_targetILNS1_3genE0ELNS1_11target_archE4294967295ELNS1_3gpuE0ELNS1_3repE0EEENS1_30default_config_static_selectorELNS0_4arch9wavefront6targetE1EEEvT1_.has_dyn_sized_stack, 0
	.set _ZN7rocprim17ROCPRIM_400000_NS6detail17trampoline_kernelINS0_14default_configENS1_20scan_config_selectorIN3c107complexIdEEEEZZNS1_9scan_implILNS1_25lookback_scan_determinismE0ELb0ELb0ES3_PKS7_PS7_S7_ZZZN2at6native31launch_logcumsumexp_cuda_kernelERKNSE_10TensorBaseESI_lENKUlvE_clEvENKUlvE1_clEvEUlS7_S7_E_S7_EEDaPvRmT3_T4_T5_mT6_P12ihipStream_tbENKUlT_T0_E_clISt17integral_constantIbLb1EESY_IbLb0EEEEDaSU_SV_EUlSU_E_NS1_11comp_targetILNS1_3genE0ELNS1_11target_archE4294967295ELNS1_3gpuE0ELNS1_3repE0EEENS1_30default_config_static_selectorELNS0_4arch9wavefront6targetE1EEEvT1_.has_recursion, 0
	.set _ZN7rocprim17ROCPRIM_400000_NS6detail17trampoline_kernelINS0_14default_configENS1_20scan_config_selectorIN3c107complexIdEEEEZZNS1_9scan_implILNS1_25lookback_scan_determinismE0ELb0ELb0ES3_PKS7_PS7_S7_ZZZN2at6native31launch_logcumsumexp_cuda_kernelERKNSE_10TensorBaseESI_lENKUlvE_clEvENKUlvE1_clEvEUlS7_S7_E_S7_EEDaPvRmT3_T4_T5_mT6_P12ihipStream_tbENKUlT_T0_E_clISt17integral_constantIbLb1EESY_IbLb0EEEEDaSU_SV_EUlSU_E_NS1_11comp_targetILNS1_3genE0ELNS1_11target_archE4294967295ELNS1_3gpuE0ELNS1_3repE0EEENS1_30default_config_static_selectorELNS0_4arch9wavefront6targetE1EEEvT1_.has_indirect_call, 0
	.section	.AMDGPU.csdata,"",@progbits
; Kernel info:
; codeLenInByte = 4
; TotalNumSgprs: 6
; NumVgprs: 0
; NumAgprs: 0
; TotalNumVgprs: 0
; ScratchSize: 0
; MemoryBound: 0
; FloatMode: 240
; IeeeMode: 1
; LDSByteSize: 0 bytes/workgroup (compile time only)
; SGPRBlocks: 0
; VGPRBlocks: 0
; NumSGPRsForWavesPerEU: 6
; NumVGPRsForWavesPerEU: 1
; AccumOffset: 4
; Occupancy: 8
; WaveLimiterHint : 0
; COMPUTE_PGM_RSRC2:SCRATCH_EN: 0
; COMPUTE_PGM_RSRC2:USER_SGPR: 2
; COMPUTE_PGM_RSRC2:TRAP_HANDLER: 0
; COMPUTE_PGM_RSRC2:TGID_X_EN: 1
; COMPUTE_PGM_RSRC2:TGID_Y_EN: 0
; COMPUTE_PGM_RSRC2:TGID_Z_EN: 0
; COMPUTE_PGM_RSRC2:TIDIG_COMP_CNT: 0
; COMPUTE_PGM_RSRC3_GFX90A:ACCUM_OFFSET: 0
; COMPUTE_PGM_RSRC3_GFX90A:TG_SPLIT: 0
	.section	.text._ZN7rocprim17ROCPRIM_400000_NS6detail17trampoline_kernelINS0_14default_configENS1_20scan_config_selectorIN3c107complexIdEEEEZZNS1_9scan_implILNS1_25lookback_scan_determinismE0ELb0ELb0ES3_PKS7_PS7_S7_ZZZN2at6native31launch_logcumsumexp_cuda_kernelERKNSE_10TensorBaseESI_lENKUlvE_clEvENKUlvE1_clEvEUlS7_S7_E_S7_EEDaPvRmT3_T4_T5_mT6_P12ihipStream_tbENKUlT_T0_E_clISt17integral_constantIbLb1EESY_IbLb0EEEEDaSU_SV_EUlSU_E_NS1_11comp_targetILNS1_3genE5ELNS1_11target_archE942ELNS1_3gpuE9ELNS1_3repE0EEENS1_30default_config_static_selectorELNS0_4arch9wavefront6targetE1EEEvT1_,"axG",@progbits,_ZN7rocprim17ROCPRIM_400000_NS6detail17trampoline_kernelINS0_14default_configENS1_20scan_config_selectorIN3c107complexIdEEEEZZNS1_9scan_implILNS1_25lookback_scan_determinismE0ELb0ELb0ES3_PKS7_PS7_S7_ZZZN2at6native31launch_logcumsumexp_cuda_kernelERKNSE_10TensorBaseESI_lENKUlvE_clEvENKUlvE1_clEvEUlS7_S7_E_S7_EEDaPvRmT3_T4_T5_mT6_P12ihipStream_tbENKUlT_T0_E_clISt17integral_constantIbLb1EESY_IbLb0EEEEDaSU_SV_EUlSU_E_NS1_11comp_targetILNS1_3genE5ELNS1_11target_archE942ELNS1_3gpuE9ELNS1_3repE0EEENS1_30default_config_static_selectorELNS0_4arch9wavefront6targetE1EEEvT1_,comdat
	.globl	_ZN7rocprim17ROCPRIM_400000_NS6detail17trampoline_kernelINS0_14default_configENS1_20scan_config_selectorIN3c107complexIdEEEEZZNS1_9scan_implILNS1_25lookback_scan_determinismE0ELb0ELb0ES3_PKS7_PS7_S7_ZZZN2at6native31launch_logcumsumexp_cuda_kernelERKNSE_10TensorBaseESI_lENKUlvE_clEvENKUlvE1_clEvEUlS7_S7_E_S7_EEDaPvRmT3_T4_T5_mT6_P12ihipStream_tbENKUlT_T0_E_clISt17integral_constantIbLb1EESY_IbLb0EEEEDaSU_SV_EUlSU_E_NS1_11comp_targetILNS1_3genE5ELNS1_11target_archE942ELNS1_3gpuE9ELNS1_3repE0EEENS1_30default_config_static_selectorELNS0_4arch9wavefront6targetE1EEEvT1_ ; -- Begin function _ZN7rocprim17ROCPRIM_400000_NS6detail17trampoline_kernelINS0_14default_configENS1_20scan_config_selectorIN3c107complexIdEEEEZZNS1_9scan_implILNS1_25lookback_scan_determinismE0ELb0ELb0ES3_PKS7_PS7_S7_ZZZN2at6native31launch_logcumsumexp_cuda_kernelERKNSE_10TensorBaseESI_lENKUlvE_clEvENKUlvE1_clEvEUlS7_S7_E_S7_EEDaPvRmT3_T4_T5_mT6_P12ihipStream_tbENKUlT_T0_E_clISt17integral_constantIbLb1EESY_IbLb0EEEEDaSU_SV_EUlSU_E_NS1_11comp_targetILNS1_3genE5ELNS1_11target_archE942ELNS1_3gpuE9ELNS1_3repE0EEENS1_30default_config_static_selectorELNS0_4arch9wavefront6targetE1EEEvT1_
	.p2align	8
	.type	_ZN7rocprim17ROCPRIM_400000_NS6detail17trampoline_kernelINS0_14default_configENS1_20scan_config_selectorIN3c107complexIdEEEEZZNS1_9scan_implILNS1_25lookback_scan_determinismE0ELb0ELb0ES3_PKS7_PS7_S7_ZZZN2at6native31launch_logcumsumexp_cuda_kernelERKNSE_10TensorBaseESI_lENKUlvE_clEvENKUlvE1_clEvEUlS7_S7_E_S7_EEDaPvRmT3_T4_T5_mT6_P12ihipStream_tbENKUlT_T0_E_clISt17integral_constantIbLb1EESY_IbLb0EEEEDaSU_SV_EUlSU_E_NS1_11comp_targetILNS1_3genE5ELNS1_11target_archE942ELNS1_3gpuE9ELNS1_3repE0EEENS1_30default_config_static_selectorELNS0_4arch9wavefront6targetE1EEEvT1_,@function
_ZN7rocprim17ROCPRIM_400000_NS6detail17trampoline_kernelINS0_14default_configENS1_20scan_config_selectorIN3c107complexIdEEEEZZNS1_9scan_implILNS1_25lookback_scan_determinismE0ELb0ELb0ES3_PKS7_PS7_S7_ZZZN2at6native31launch_logcumsumexp_cuda_kernelERKNSE_10TensorBaseESI_lENKUlvE_clEvENKUlvE1_clEvEUlS7_S7_E_S7_EEDaPvRmT3_T4_T5_mT6_P12ihipStream_tbENKUlT_T0_E_clISt17integral_constantIbLb1EESY_IbLb0EEEEDaSU_SV_EUlSU_E_NS1_11comp_targetILNS1_3genE5ELNS1_11target_archE942ELNS1_3gpuE9ELNS1_3repE0EEENS1_30default_config_static_selectorELNS0_4arch9wavefront6targetE1EEEvT1_: ; @_ZN7rocprim17ROCPRIM_400000_NS6detail17trampoline_kernelINS0_14default_configENS1_20scan_config_selectorIN3c107complexIdEEEEZZNS1_9scan_implILNS1_25lookback_scan_determinismE0ELb0ELb0ES3_PKS7_PS7_S7_ZZZN2at6native31launch_logcumsumexp_cuda_kernelERKNSE_10TensorBaseESI_lENKUlvE_clEvENKUlvE1_clEvEUlS7_S7_E_S7_EEDaPvRmT3_T4_T5_mT6_P12ihipStream_tbENKUlT_T0_E_clISt17integral_constantIbLb1EESY_IbLb0EEEEDaSU_SV_EUlSU_E_NS1_11comp_targetILNS1_3genE5ELNS1_11target_archE942ELNS1_3gpuE9ELNS1_3repE0EEENS1_30default_config_static_selectorELNS0_4arch9wavefront6targetE1EEEvT1_
; %bb.0:
	.section	.rodata,"a",@progbits
	.p2align	6, 0x0
	.amdhsa_kernel _ZN7rocprim17ROCPRIM_400000_NS6detail17trampoline_kernelINS0_14default_configENS1_20scan_config_selectorIN3c107complexIdEEEEZZNS1_9scan_implILNS1_25lookback_scan_determinismE0ELb0ELb0ES3_PKS7_PS7_S7_ZZZN2at6native31launch_logcumsumexp_cuda_kernelERKNSE_10TensorBaseESI_lENKUlvE_clEvENKUlvE1_clEvEUlS7_S7_E_S7_EEDaPvRmT3_T4_T5_mT6_P12ihipStream_tbENKUlT_T0_E_clISt17integral_constantIbLb1EESY_IbLb0EEEEDaSU_SV_EUlSU_E_NS1_11comp_targetILNS1_3genE5ELNS1_11target_archE942ELNS1_3gpuE9ELNS1_3repE0EEENS1_30default_config_static_selectorELNS0_4arch9wavefront6targetE1EEEvT1_
		.amdhsa_group_segment_fixed_size 0
		.amdhsa_private_segment_fixed_size 0
		.amdhsa_kernarg_size 128
		.amdhsa_user_sgpr_count 2
		.amdhsa_user_sgpr_dispatch_ptr 0
		.amdhsa_user_sgpr_queue_ptr 0
		.amdhsa_user_sgpr_kernarg_segment_ptr 1
		.amdhsa_user_sgpr_dispatch_id 0
		.amdhsa_user_sgpr_kernarg_preload_length 0
		.amdhsa_user_sgpr_kernarg_preload_offset 0
		.amdhsa_user_sgpr_private_segment_size 0
		.amdhsa_uses_dynamic_stack 0
		.amdhsa_enable_private_segment 0
		.amdhsa_system_sgpr_workgroup_id_x 1
		.amdhsa_system_sgpr_workgroup_id_y 0
		.amdhsa_system_sgpr_workgroup_id_z 0
		.amdhsa_system_sgpr_workgroup_info 0
		.amdhsa_system_vgpr_workitem_id 0
		.amdhsa_next_free_vgpr 1
		.amdhsa_next_free_sgpr 0
		.amdhsa_accum_offset 4
		.amdhsa_reserve_vcc 0
		.amdhsa_float_round_mode_32 0
		.amdhsa_float_round_mode_16_64 0
		.amdhsa_float_denorm_mode_32 3
		.amdhsa_float_denorm_mode_16_64 3
		.amdhsa_dx10_clamp 1
		.amdhsa_ieee_mode 1
		.amdhsa_fp16_overflow 0
		.amdhsa_tg_split 0
		.amdhsa_exception_fp_ieee_invalid_op 0
		.amdhsa_exception_fp_denorm_src 0
		.amdhsa_exception_fp_ieee_div_zero 0
		.amdhsa_exception_fp_ieee_overflow 0
		.amdhsa_exception_fp_ieee_underflow 0
		.amdhsa_exception_fp_ieee_inexact 0
		.amdhsa_exception_int_div_zero 0
	.end_amdhsa_kernel
	.section	.text._ZN7rocprim17ROCPRIM_400000_NS6detail17trampoline_kernelINS0_14default_configENS1_20scan_config_selectorIN3c107complexIdEEEEZZNS1_9scan_implILNS1_25lookback_scan_determinismE0ELb0ELb0ES3_PKS7_PS7_S7_ZZZN2at6native31launch_logcumsumexp_cuda_kernelERKNSE_10TensorBaseESI_lENKUlvE_clEvENKUlvE1_clEvEUlS7_S7_E_S7_EEDaPvRmT3_T4_T5_mT6_P12ihipStream_tbENKUlT_T0_E_clISt17integral_constantIbLb1EESY_IbLb0EEEEDaSU_SV_EUlSU_E_NS1_11comp_targetILNS1_3genE5ELNS1_11target_archE942ELNS1_3gpuE9ELNS1_3repE0EEENS1_30default_config_static_selectorELNS0_4arch9wavefront6targetE1EEEvT1_,"axG",@progbits,_ZN7rocprim17ROCPRIM_400000_NS6detail17trampoline_kernelINS0_14default_configENS1_20scan_config_selectorIN3c107complexIdEEEEZZNS1_9scan_implILNS1_25lookback_scan_determinismE0ELb0ELb0ES3_PKS7_PS7_S7_ZZZN2at6native31launch_logcumsumexp_cuda_kernelERKNSE_10TensorBaseESI_lENKUlvE_clEvENKUlvE1_clEvEUlS7_S7_E_S7_EEDaPvRmT3_T4_T5_mT6_P12ihipStream_tbENKUlT_T0_E_clISt17integral_constantIbLb1EESY_IbLb0EEEEDaSU_SV_EUlSU_E_NS1_11comp_targetILNS1_3genE5ELNS1_11target_archE942ELNS1_3gpuE9ELNS1_3repE0EEENS1_30default_config_static_selectorELNS0_4arch9wavefront6targetE1EEEvT1_,comdat
.Lfunc_end223:
	.size	_ZN7rocprim17ROCPRIM_400000_NS6detail17trampoline_kernelINS0_14default_configENS1_20scan_config_selectorIN3c107complexIdEEEEZZNS1_9scan_implILNS1_25lookback_scan_determinismE0ELb0ELb0ES3_PKS7_PS7_S7_ZZZN2at6native31launch_logcumsumexp_cuda_kernelERKNSE_10TensorBaseESI_lENKUlvE_clEvENKUlvE1_clEvEUlS7_S7_E_S7_EEDaPvRmT3_T4_T5_mT6_P12ihipStream_tbENKUlT_T0_E_clISt17integral_constantIbLb1EESY_IbLb0EEEEDaSU_SV_EUlSU_E_NS1_11comp_targetILNS1_3genE5ELNS1_11target_archE942ELNS1_3gpuE9ELNS1_3repE0EEENS1_30default_config_static_selectorELNS0_4arch9wavefront6targetE1EEEvT1_, .Lfunc_end223-_ZN7rocprim17ROCPRIM_400000_NS6detail17trampoline_kernelINS0_14default_configENS1_20scan_config_selectorIN3c107complexIdEEEEZZNS1_9scan_implILNS1_25lookback_scan_determinismE0ELb0ELb0ES3_PKS7_PS7_S7_ZZZN2at6native31launch_logcumsumexp_cuda_kernelERKNSE_10TensorBaseESI_lENKUlvE_clEvENKUlvE1_clEvEUlS7_S7_E_S7_EEDaPvRmT3_T4_T5_mT6_P12ihipStream_tbENKUlT_T0_E_clISt17integral_constantIbLb1EESY_IbLb0EEEEDaSU_SV_EUlSU_E_NS1_11comp_targetILNS1_3genE5ELNS1_11target_archE942ELNS1_3gpuE9ELNS1_3repE0EEENS1_30default_config_static_selectorELNS0_4arch9wavefront6targetE1EEEvT1_
                                        ; -- End function
	.set _ZN7rocprim17ROCPRIM_400000_NS6detail17trampoline_kernelINS0_14default_configENS1_20scan_config_selectorIN3c107complexIdEEEEZZNS1_9scan_implILNS1_25lookback_scan_determinismE0ELb0ELb0ES3_PKS7_PS7_S7_ZZZN2at6native31launch_logcumsumexp_cuda_kernelERKNSE_10TensorBaseESI_lENKUlvE_clEvENKUlvE1_clEvEUlS7_S7_E_S7_EEDaPvRmT3_T4_T5_mT6_P12ihipStream_tbENKUlT_T0_E_clISt17integral_constantIbLb1EESY_IbLb0EEEEDaSU_SV_EUlSU_E_NS1_11comp_targetILNS1_3genE5ELNS1_11target_archE942ELNS1_3gpuE9ELNS1_3repE0EEENS1_30default_config_static_selectorELNS0_4arch9wavefront6targetE1EEEvT1_.num_vgpr, 0
	.set _ZN7rocprim17ROCPRIM_400000_NS6detail17trampoline_kernelINS0_14default_configENS1_20scan_config_selectorIN3c107complexIdEEEEZZNS1_9scan_implILNS1_25lookback_scan_determinismE0ELb0ELb0ES3_PKS7_PS7_S7_ZZZN2at6native31launch_logcumsumexp_cuda_kernelERKNSE_10TensorBaseESI_lENKUlvE_clEvENKUlvE1_clEvEUlS7_S7_E_S7_EEDaPvRmT3_T4_T5_mT6_P12ihipStream_tbENKUlT_T0_E_clISt17integral_constantIbLb1EESY_IbLb0EEEEDaSU_SV_EUlSU_E_NS1_11comp_targetILNS1_3genE5ELNS1_11target_archE942ELNS1_3gpuE9ELNS1_3repE0EEENS1_30default_config_static_selectorELNS0_4arch9wavefront6targetE1EEEvT1_.num_agpr, 0
	.set _ZN7rocprim17ROCPRIM_400000_NS6detail17trampoline_kernelINS0_14default_configENS1_20scan_config_selectorIN3c107complexIdEEEEZZNS1_9scan_implILNS1_25lookback_scan_determinismE0ELb0ELb0ES3_PKS7_PS7_S7_ZZZN2at6native31launch_logcumsumexp_cuda_kernelERKNSE_10TensorBaseESI_lENKUlvE_clEvENKUlvE1_clEvEUlS7_S7_E_S7_EEDaPvRmT3_T4_T5_mT6_P12ihipStream_tbENKUlT_T0_E_clISt17integral_constantIbLb1EESY_IbLb0EEEEDaSU_SV_EUlSU_E_NS1_11comp_targetILNS1_3genE5ELNS1_11target_archE942ELNS1_3gpuE9ELNS1_3repE0EEENS1_30default_config_static_selectorELNS0_4arch9wavefront6targetE1EEEvT1_.numbered_sgpr, 0
	.set _ZN7rocprim17ROCPRIM_400000_NS6detail17trampoline_kernelINS0_14default_configENS1_20scan_config_selectorIN3c107complexIdEEEEZZNS1_9scan_implILNS1_25lookback_scan_determinismE0ELb0ELb0ES3_PKS7_PS7_S7_ZZZN2at6native31launch_logcumsumexp_cuda_kernelERKNSE_10TensorBaseESI_lENKUlvE_clEvENKUlvE1_clEvEUlS7_S7_E_S7_EEDaPvRmT3_T4_T5_mT6_P12ihipStream_tbENKUlT_T0_E_clISt17integral_constantIbLb1EESY_IbLb0EEEEDaSU_SV_EUlSU_E_NS1_11comp_targetILNS1_3genE5ELNS1_11target_archE942ELNS1_3gpuE9ELNS1_3repE0EEENS1_30default_config_static_selectorELNS0_4arch9wavefront6targetE1EEEvT1_.num_named_barrier, 0
	.set _ZN7rocprim17ROCPRIM_400000_NS6detail17trampoline_kernelINS0_14default_configENS1_20scan_config_selectorIN3c107complexIdEEEEZZNS1_9scan_implILNS1_25lookback_scan_determinismE0ELb0ELb0ES3_PKS7_PS7_S7_ZZZN2at6native31launch_logcumsumexp_cuda_kernelERKNSE_10TensorBaseESI_lENKUlvE_clEvENKUlvE1_clEvEUlS7_S7_E_S7_EEDaPvRmT3_T4_T5_mT6_P12ihipStream_tbENKUlT_T0_E_clISt17integral_constantIbLb1EESY_IbLb0EEEEDaSU_SV_EUlSU_E_NS1_11comp_targetILNS1_3genE5ELNS1_11target_archE942ELNS1_3gpuE9ELNS1_3repE0EEENS1_30default_config_static_selectorELNS0_4arch9wavefront6targetE1EEEvT1_.private_seg_size, 0
	.set _ZN7rocprim17ROCPRIM_400000_NS6detail17trampoline_kernelINS0_14default_configENS1_20scan_config_selectorIN3c107complexIdEEEEZZNS1_9scan_implILNS1_25lookback_scan_determinismE0ELb0ELb0ES3_PKS7_PS7_S7_ZZZN2at6native31launch_logcumsumexp_cuda_kernelERKNSE_10TensorBaseESI_lENKUlvE_clEvENKUlvE1_clEvEUlS7_S7_E_S7_EEDaPvRmT3_T4_T5_mT6_P12ihipStream_tbENKUlT_T0_E_clISt17integral_constantIbLb1EESY_IbLb0EEEEDaSU_SV_EUlSU_E_NS1_11comp_targetILNS1_3genE5ELNS1_11target_archE942ELNS1_3gpuE9ELNS1_3repE0EEENS1_30default_config_static_selectorELNS0_4arch9wavefront6targetE1EEEvT1_.uses_vcc, 0
	.set _ZN7rocprim17ROCPRIM_400000_NS6detail17trampoline_kernelINS0_14default_configENS1_20scan_config_selectorIN3c107complexIdEEEEZZNS1_9scan_implILNS1_25lookback_scan_determinismE0ELb0ELb0ES3_PKS7_PS7_S7_ZZZN2at6native31launch_logcumsumexp_cuda_kernelERKNSE_10TensorBaseESI_lENKUlvE_clEvENKUlvE1_clEvEUlS7_S7_E_S7_EEDaPvRmT3_T4_T5_mT6_P12ihipStream_tbENKUlT_T0_E_clISt17integral_constantIbLb1EESY_IbLb0EEEEDaSU_SV_EUlSU_E_NS1_11comp_targetILNS1_3genE5ELNS1_11target_archE942ELNS1_3gpuE9ELNS1_3repE0EEENS1_30default_config_static_selectorELNS0_4arch9wavefront6targetE1EEEvT1_.uses_flat_scratch, 0
	.set _ZN7rocprim17ROCPRIM_400000_NS6detail17trampoline_kernelINS0_14default_configENS1_20scan_config_selectorIN3c107complexIdEEEEZZNS1_9scan_implILNS1_25lookback_scan_determinismE0ELb0ELb0ES3_PKS7_PS7_S7_ZZZN2at6native31launch_logcumsumexp_cuda_kernelERKNSE_10TensorBaseESI_lENKUlvE_clEvENKUlvE1_clEvEUlS7_S7_E_S7_EEDaPvRmT3_T4_T5_mT6_P12ihipStream_tbENKUlT_T0_E_clISt17integral_constantIbLb1EESY_IbLb0EEEEDaSU_SV_EUlSU_E_NS1_11comp_targetILNS1_3genE5ELNS1_11target_archE942ELNS1_3gpuE9ELNS1_3repE0EEENS1_30default_config_static_selectorELNS0_4arch9wavefront6targetE1EEEvT1_.has_dyn_sized_stack, 0
	.set _ZN7rocprim17ROCPRIM_400000_NS6detail17trampoline_kernelINS0_14default_configENS1_20scan_config_selectorIN3c107complexIdEEEEZZNS1_9scan_implILNS1_25lookback_scan_determinismE0ELb0ELb0ES3_PKS7_PS7_S7_ZZZN2at6native31launch_logcumsumexp_cuda_kernelERKNSE_10TensorBaseESI_lENKUlvE_clEvENKUlvE1_clEvEUlS7_S7_E_S7_EEDaPvRmT3_T4_T5_mT6_P12ihipStream_tbENKUlT_T0_E_clISt17integral_constantIbLb1EESY_IbLb0EEEEDaSU_SV_EUlSU_E_NS1_11comp_targetILNS1_3genE5ELNS1_11target_archE942ELNS1_3gpuE9ELNS1_3repE0EEENS1_30default_config_static_selectorELNS0_4arch9wavefront6targetE1EEEvT1_.has_recursion, 0
	.set _ZN7rocprim17ROCPRIM_400000_NS6detail17trampoline_kernelINS0_14default_configENS1_20scan_config_selectorIN3c107complexIdEEEEZZNS1_9scan_implILNS1_25lookback_scan_determinismE0ELb0ELb0ES3_PKS7_PS7_S7_ZZZN2at6native31launch_logcumsumexp_cuda_kernelERKNSE_10TensorBaseESI_lENKUlvE_clEvENKUlvE1_clEvEUlS7_S7_E_S7_EEDaPvRmT3_T4_T5_mT6_P12ihipStream_tbENKUlT_T0_E_clISt17integral_constantIbLb1EESY_IbLb0EEEEDaSU_SV_EUlSU_E_NS1_11comp_targetILNS1_3genE5ELNS1_11target_archE942ELNS1_3gpuE9ELNS1_3repE0EEENS1_30default_config_static_selectorELNS0_4arch9wavefront6targetE1EEEvT1_.has_indirect_call, 0
	.section	.AMDGPU.csdata,"",@progbits
; Kernel info:
; codeLenInByte = 0
; TotalNumSgprs: 6
; NumVgprs: 0
; NumAgprs: 0
; TotalNumVgprs: 0
; ScratchSize: 0
; MemoryBound: 0
; FloatMode: 240
; IeeeMode: 1
; LDSByteSize: 0 bytes/workgroup (compile time only)
; SGPRBlocks: 0
; VGPRBlocks: 0
; NumSGPRsForWavesPerEU: 6
; NumVGPRsForWavesPerEU: 1
; AccumOffset: 4
; Occupancy: 8
; WaveLimiterHint : 0
; COMPUTE_PGM_RSRC2:SCRATCH_EN: 0
; COMPUTE_PGM_RSRC2:USER_SGPR: 2
; COMPUTE_PGM_RSRC2:TRAP_HANDLER: 0
; COMPUTE_PGM_RSRC2:TGID_X_EN: 1
; COMPUTE_PGM_RSRC2:TGID_Y_EN: 0
; COMPUTE_PGM_RSRC2:TGID_Z_EN: 0
; COMPUTE_PGM_RSRC2:TIDIG_COMP_CNT: 0
; COMPUTE_PGM_RSRC3_GFX90A:ACCUM_OFFSET: 0
; COMPUTE_PGM_RSRC3_GFX90A:TG_SPLIT: 0
	.section	.text._ZN7rocprim17ROCPRIM_400000_NS6detail17trampoline_kernelINS0_14default_configENS1_20scan_config_selectorIN3c107complexIdEEEEZZNS1_9scan_implILNS1_25lookback_scan_determinismE0ELb0ELb0ES3_PKS7_PS7_S7_ZZZN2at6native31launch_logcumsumexp_cuda_kernelERKNSE_10TensorBaseESI_lENKUlvE_clEvENKUlvE1_clEvEUlS7_S7_E_S7_EEDaPvRmT3_T4_T5_mT6_P12ihipStream_tbENKUlT_T0_E_clISt17integral_constantIbLb1EESY_IbLb0EEEEDaSU_SV_EUlSU_E_NS1_11comp_targetILNS1_3genE4ELNS1_11target_archE910ELNS1_3gpuE8ELNS1_3repE0EEENS1_30default_config_static_selectorELNS0_4arch9wavefront6targetE1EEEvT1_,"axG",@progbits,_ZN7rocprim17ROCPRIM_400000_NS6detail17trampoline_kernelINS0_14default_configENS1_20scan_config_selectorIN3c107complexIdEEEEZZNS1_9scan_implILNS1_25lookback_scan_determinismE0ELb0ELb0ES3_PKS7_PS7_S7_ZZZN2at6native31launch_logcumsumexp_cuda_kernelERKNSE_10TensorBaseESI_lENKUlvE_clEvENKUlvE1_clEvEUlS7_S7_E_S7_EEDaPvRmT3_T4_T5_mT6_P12ihipStream_tbENKUlT_T0_E_clISt17integral_constantIbLb1EESY_IbLb0EEEEDaSU_SV_EUlSU_E_NS1_11comp_targetILNS1_3genE4ELNS1_11target_archE910ELNS1_3gpuE8ELNS1_3repE0EEENS1_30default_config_static_selectorELNS0_4arch9wavefront6targetE1EEEvT1_,comdat
	.globl	_ZN7rocprim17ROCPRIM_400000_NS6detail17trampoline_kernelINS0_14default_configENS1_20scan_config_selectorIN3c107complexIdEEEEZZNS1_9scan_implILNS1_25lookback_scan_determinismE0ELb0ELb0ES3_PKS7_PS7_S7_ZZZN2at6native31launch_logcumsumexp_cuda_kernelERKNSE_10TensorBaseESI_lENKUlvE_clEvENKUlvE1_clEvEUlS7_S7_E_S7_EEDaPvRmT3_T4_T5_mT6_P12ihipStream_tbENKUlT_T0_E_clISt17integral_constantIbLb1EESY_IbLb0EEEEDaSU_SV_EUlSU_E_NS1_11comp_targetILNS1_3genE4ELNS1_11target_archE910ELNS1_3gpuE8ELNS1_3repE0EEENS1_30default_config_static_selectorELNS0_4arch9wavefront6targetE1EEEvT1_ ; -- Begin function _ZN7rocprim17ROCPRIM_400000_NS6detail17trampoline_kernelINS0_14default_configENS1_20scan_config_selectorIN3c107complexIdEEEEZZNS1_9scan_implILNS1_25lookback_scan_determinismE0ELb0ELb0ES3_PKS7_PS7_S7_ZZZN2at6native31launch_logcumsumexp_cuda_kernelERKNSE_10TensorBaseESI_lENKUlvE_clEvENKUlvE1_clEvEUlS7_S7_E_S7_EEDaPvRmT3_T4_T5_mT6_P12ihipStream_tbENKUlT_T0_E_clISt17integral_constantIbLb1EESY_IbLb0EEEEDaSU_SV_EUlSU_E_NS1_11comp_targetILNS1_3genE4ELNS1_11target_archE910ELNS1_3gpuE8ELNS1_3repE0EEENS1_30default_config_static_selectorELNS0_4arch9wavefront6targetE1EEEvT1_
	.p2align	8
	.type	_ZN7rocprim17ROCPRIM_400000_NS6detail17trampoline_kernelINS0_14default_configENS1_20scan_config_selectorIN3c107complexIdEEEEZZNS1_9scan_implILNS1_25lookback_scan_determinismE0ELb0ELb0ES3_PKS7_PS7_S7_ZZZN2at6native31launch_logcumsumexp_cuda_kernelERKNSE_10TensorBaseESI_lENKUlvE_clEvENKUlvE1_clEvEUlS7_S7_E_S7_EEDaPvRmT3_T4_T5_mT6_P12ihipStream_tbENKUlT_T0_E_clISt17integral_constantIbLb1EESY_IbLb0EEEEDaSU_SV_EUlSU_E_NS1_11comp_targetILNS1_3genE4ELNS1_11target_archE910ELNS1_3gpuE8ELNS1_3repE0EEENS1_30default_config_static_selectorELNS0_4arch9wavefront6targetE1EEEvT1_,@function
_ZN7rocprim17ROCPRIM_400000_NS6detail17trampoline_kernelINS0_14default_configENS1_20scan_config_selectorIN3c107complexIdEEEEZZNS1_9scan_implILNS1_25lookback_scan_determinismE0ELb0ELb0ES3_PKS7_PS7_S7_ZZZN2at6native31launch_logcumsumexp_cuda_kernelERKNSE_10TensorBaseESI_lENKUlvE_clEvENKUlvE1_clEvEUlS7_S7_E_S7_EEDaPvRmT3_T4_T5_mT6_P12ihipStream_tbENKUlT_T0_E_clISt17integral_constantIbLb1EESY_IbLb0EEEEDaSU_SV_EUlSU_E_NS1_11comp_targetILNS1_3genE4ELNS1_11target_archE910ELNS1_3gpuE8ELNS1_3repE0EEENS1_30default_config_static_selectorELNS0_4arch9wavefront6targetE1EEEvT1_: ; @_ZN7rocprim17ROCPRIM_400000_NS6detail17trampoline_kernelINS0_14default_configENS1_20scan_config_selectorIN3c107complexIdEEEEZZNS1_9scan_implILNS1_25lookback_scan_determinismE0ELb0ELb0ES3_PKS7_PS7_S7_ZZZN2at6native31launch_logcumsumexp_cuda_kernelERKNSE_10TensorBaseESI_lENKUlvE_clEvENKUlvE1_clEvEUlS7_S7_E_S7_EEDaPvRmT3_T4_T5_mT6_P12ihipStream_tbENKUlT_T0_E_clISt17integral_constantIbLb1EESY_IbLb0EEEEDaSU_SV_EUlSU_E_NS1_11comp_targetILNS1_3genE4ELNS1_11target_archE910ELNS1_3gpuE8ELNS1_3repE0EEENS1_30default_config_static_selectorELNS0_4arch9wavefront6targetE1EEEvT1_
; %bb.0:
	.section	.rodata,"a",@progbits
	.p2align	6, 0x0
	.amdhsa_kernel _ZN7rocprim17ROCPRIM_400000_NS6detail17trampoline_kernelINS0_14default_configENS1_20scan_config_selectorIN3c107complexIdEEEEZZNS1_9scan_implILNS1_25lookback_scan_determinismE0ELb0ELb0ES3_PKS7_PS7_S7_ZZZN2at6native31launch_logcumsumexp_cuda_kernelERKNSE_10TensorBaseESI_lENKUlvE_clEvENKUlvE1_clEvEUlS7_S7_E_S7_EEDaPvRmT3_T4_T5_mT6_P12ihipStream_tbENKUlT_T0_E_clISt17integral_constantIbLb1EESY_IbLb0EEEEDaSU_SV_EUlSU_E_NS1_11comp_targetILNS1_3genE4ELNS1_11target_archE910ELNS1_3gpuE8ELNS1_3repE0EEENS1_30default_config_static_selectorELNS0_4arch9wavefront6targetE1EEEvT1_
		.amdhsa_group_segment_fixed_size 0
		.amdhsa_private_segment_fixed_size 0
		.amdhsa_kernarg_size 128
		.amdhsa_user_sgpr_count 2
		.amdhsa_user_sgpr_dispatch_ptr 0
		.amdhsa_user_sgpr_queue_ptr 0
		.amdhsa_user_sgpr_kernarg_segment_ptr 1
		.amdhsa_user_sgpr_dispatch_id 0
		.amdhsa_user_sgpr_kernarg_preload_length 0
		.amdhsa_user_sgpr_kernarg_preload_offset 0
		.amdhsa_user_sgpr_private_segment_size 0
		.amdhsa_uses_dynamic_stack 0
		.amdhsa_enable_private_segment 0
		.amdhsa_system_sgpr_workgroup_id_x 1
		.amdhsa_system_sgpr_workgroup_id_y 0
		.amdhsa_system_sgpr_workgroup_id_z 0
		.amdhsa_system_sgpr_workgroup_info 0
		.amdhsa_system_vgpr_workitem_id 0
		.amdhsa_next_free_vgpr 1
		.amdhsa_next_free_sgpr 0
		.amdhsa_accum_offset 4
		.amdhsa_reserve_vcc 0
		.amdhsa_float_round_mode_32 0
		.amdhsa_float_round_mode_16_64 0
		.amdhsa_float_denorm_mode_32 3
		.amdhsa_float_denorm_mode_16_64 3
		.amdhsa_dx10_clamp 1
		.amdhsa_ieee_mode 1
		.amdhsa_fp16_overflow 0
		.amdhsa_tg_split 0
		.amdhsa_exception_fp_ieee_invalid_op 0
		.amdhsa_exception_fp_denorm_src 0
		.amdhsa_exception_fp_ieee_div_zero 0
		.amdhsa_exception_fp_ieee_overflow 0
		.amdhsa_exception_fp_ieee_underflow 0
		.amdhsa_exception_fp_ieee_inexact 0
		.amdhsa_exception_int_div_zero 0
	.end_amdhsa_kernel
	.section	.text._ZN7rocprim17ROCPRIM_400000_NS6detail17trampoline_kernelINS0_14default_configENS1_20scan_config_selectorIN3c107complexIdEEEEZZNS1_9scan_implILNS1_25lookback_scan_determinismE0ELb0ELb0ES3_PKS7_PS7_S7_ZZZN2at6native31launch_logcumsumexp_cuda_kernelERKNSE_10TensorBaseESI_lENKUlvE_clEvENKUlvE1_clEvEUlS7_S7_E_S7_EEDaPvRmT3_T4_T5_mT6_P12ihipStream_tbENKUlT_T0_E_clISt17integral_constantIbLb1EESY_IbLb0EEEEDaSU_SV_EUlSU_E_NS1_11comp_targetILNS1_3genE4ELNS1_11target_archE910ELNS1_3gpuE8ELNS1_3repE0EEENS1_30default_config_static_selectorELNS0_4arch9wavefront6targetE1EEEvT1_,"axG",@progbits,_ZN7rocprim17ROCPRIM_400000_NS6detail17trampoline_kernelINS0_14default_configENS1_20scan_config_selectorIN3c107complexIdEEEEZZNS1_9scan_implILNS1_25lookback_scan_determinismE0ELb0ELb0ES3_PKS7_PS7_S7_ZZZN2at6native31launch_logcumsumexp_cuda_kernelERKNSE_10TensorBaseESI_lENKUlvE_clEvENKUlvE1_clEvEUlS7_S7_E_S7_EEDaPvRmT3_T4_T5_mT6_P12ihipStream_tbENKUlT_T0_E_clISt17integral_constantIbLb1EESY_IbLb0EEEEDaSU_SV_EUlSU_E_NS1_11comp_targetILNS1_3genE4ELNS1_11target_archE910ELNS1_3gpuE8ELNS1_3repE0EEENS1_30default_config_static_selectorELNS0_4arch9wavefront6targetE1EEEvT1_,comdat
.Lfunc_end224:
	.size	_ZN7rocprim17ROCPRIM_400000_NS6detail17trampoline_kernelINS0_14default_configENS1_20scan_config_selectorIN3c107complexIdEEEEZZNS1_9scan_implILNS1_25lookback_scan_determinismE0ELb0ELb0ES3_PKS7_PS7_S7_ZZZN2at6native31launch_logcumsumexp_cuda_kernelERKNSE_10TensorBaseESI_lENKUlvE_clEvENKUlvE1_clEvEUlS7_S7_E_S7_EEDaPvRmT3_T4_T5_mT6_P12ihipStream_tbENKUlT_T0_E_clISt17integral_constantIbLb1EESY_IbLb0EEEEDaSU_SV_EUlSU_E_NS1_11comp_targetILNS1_3genE4ELNS1_11target_archE910ELNS1_3gpuE8ELNS1_3repE0EEENS1_30default_config_static_selectorELNS0_4arch9wavefront6targetE1EEEvT1_, .Lfunc_end224-_ZN7rocprim17ROCPRIM_400000_NS6detail17trampoline_kernelINS0_14default_configENS1_20scan_config_selectorIN3c107complexIdEEEEZZNS1_9scan_implILNS1_25lookback_scan_determinismE0ELb0ELb0ES3_PKS7_PS7_S7_ZZZN2at6native31launch_logcumsumexp_cuda_kernelERKNSE_10TensorBaseESI_lENKUlvE_clEvENKUlvE1_clEvEUlS7_S7_E_S7_EEDaPvRmT3_T4_T5_mT6_P12ihipStream_tbENKUlT_T0_E_clISt17integral_constantIbLb1EESY_IbLb0EEEEDaSU_SV_EUlSU_E_NS1_11comp_targetILNS1_3genE4ELNS1_11target_archE910ELNS1_3gpuE8ELNS1_3repE0EEENS1_30default_config_static_selectorELNS0_4arch9wavefront6targetE1EEEvT1_
                                        ; -- End function
	.set _ZN7rocprim17ROCPRIM_400000_NS6detail17trampoline_kernelINS0_14default_configENS1_20scan_config_selectorIN3c107complexIdEEEEZZNS1_9scan_implILNS1_25lookback_scan_determinismE0ELb0ELb0ES3_PKS7_PS7_S7_ZZZN2at6native31launch_logcumsumexp_cuda_kernelERKNSE_10TensorBaseESI_lENKUlvE_clEvENKUlvE1_clEvEUlS7_S7_E_S7_EEDaPvRmT3_T4_T5_mT6_P12ihipStream_tbENKUlT_T0_E_clISt17integral_constantIbLb1EESY_IbLb0EEEEDaSU_SV_EUlSU_E_NS1_11comp_targetILNS1_3genE4ELNS1_11target_archE910ELNS1_3gpuE8ELNS1_3repE0EEENS1_30default_config_static_selectorELNS0_4arch9wavefront6targetE1EEEvT1_.num_vgpr, 0
	.set _ZN7rocprim17ROCPRIM_400000_NS6detail17trampoline_kernelINS0_14default_configENS1_20scan_config_selectorIN3c107complexIdEEEEZZNS1_9scan_implILNS1_25lookback_scan_determinismE0ELb0ELb0ES3_PKS7_PS7_S7_ZZZN2at6native31launch_logcumsumexp_cuda_kernelERKNSE_10TensorBaseESI_lENKUlvE_clEvENKUlvE1_clEvEUlS7_S7_E_S7_EEDaPvRmT3_T4_T5_mT6_P12ihipStream_tbENKUlT_T0_E_clISt17integral_constantIbLb1EESY_IbLb0EEEEDaSU_SV_EUlSU_E_NS1_11comp_targetILNS1_3genE4ELNS1_11target_archE910ELNS1_3gpuE8ELNS1_3repE0EEENS1_30default_config_static_selectorELNS0_4arch9wavefront6targetE1EEEvT1_.num_agpr, 0
	.set _ZN7rocprim17ROCPRIM_400000_NS6detail17trampoline_kernelINS0_14default_configENS1_20scan_config_selectorIN3c107complexIdEEEEZZNS1_9scan_implILNS1_25lookback_scan_determinismE0ELb0ELb0ES3_PKS7_PS7_S7_ZZZN2at6native31launch_logcumsumexp_cuda_kernelERKNSE_10TensorBaseESI_lENKUlvE_clEvENKUlvE1_clEvEUlS7_S7_E_S7_EEDaPvRmT3_T4_T5_mT6_P12ihipStream_tbENKUlT_T0_E_clISt17integral_constantIbLb1EESY_IbLb0EEEEDaSU_SV_EUlSU_E_NS1_11comp_targetILNS1_3genE4ELNS1_11target_archE910ELNS1_3gpuE8ELNS1_3repE0EEENS1_30default_config_static_selectorELNS0_4arch9wavefront6targetE1EEEvT1_.numbered_sgpr, 0
	.set _ZN7rocprim17ROCPRIM_400000_NS6detail17trampoline_kernelINS0_14default_configENS1_20scan_config_selectorIN3c107complexIdEEEEZZNS1_9scan_implILNS1_25lookback_scan_determinismE0ELb0ELb0ES3_PKS7_PS7_S7_ZZZN2at6native31launch_logcumsumexp_cuda_kernelERKNSE_10TensorBaseESI_lENKUlvE_clEvENKUlvE1_clEvEUlS7_S7_E_S7_EEDaPvRmT3_T4_T5_mT6_P12ihipStream_tbENKUlT_T0_E_clISt17integral_constantIbLb1EESY_IbLb0EEEEDaSU_SV_EUlSU_E_NS1_11comp_targetILNS1_3genE4ELNS1_11target_archE910ELNS1_3gpuE8ELNS1_3repE0EEENS1_30default_config_static_selectorELNS0_4arch9wavefront6targetE1EEEvT1_.num_named_barrier, 0
	.set _ZN7rocprim17ROCPRIM_400000_NS6detail17trampoline_kernelINS0_14default_configENS1_20scan_config_selectorIN3c107complexIdEEEEZZNS1_9scan_implILNS1_25lookback_scan_determinismE0ELb0ELb0ES3_PKS7_PS7_S7_ZZZN2at6native31launch_logcumsumexp_cuda_kernelERKNSE_10TensorBaseESI_lENKUlvE_clEvENKUlvE1_clEvEUlS7_S7_E_S7_EEDaPvRmT3_T4_T5_mT6_P12ihipStream_tbENKUlT_T0_E_clISt17integral_constantIbLb1EESY_IbLb0EEEEDaSU_SV_EUlSU_E_NS1_11comp_targetILNS1_3genE4ELNS1_11target_archE910ELNS1_3gpuE8ELNS1_3repE0EEENS1_30default_config_static_selectorELNS0_4arch9wavefront6targetE1EEEvT1_.private_seg_size, 0
	.set _ZN7rocprim17ROCPRIM_400000_NS6detail17trampoline_kernelINS0_14default_configENS1_20scan_config_selectorIN3c107complexIdEEEEZZNS1_9scan_implILNS1_25lookback_scan_determinismE0ELb0ELb0ES3_PKS7_PS7_S7_ZZZN2at6native31launch_logcumsumexp_cuda_kernelERKNSE_10TensorBaseESI_lENKUlvE_clEvENKUlvE1_clEvEUlS7_S7_E_S7_EEDaPvRmT3_T4_T5_mT6_P12ihipStream_tbENKUlT_T0_E_clISt17integral_constantIbLb1EESY_IbLb0EEEEDaSU_SV_EUlSU_E_NS1_11comp_targetILNS1_3genE4ELNS1_11target_archE910ELNS1_3gpuE8ELNS1_3repE0EEENS1_30default_config_static_selectorELNS0_4arch9wavefront6targetE1EEEvT1_.uses_vcc, 0
	.set _ZN7rocprim17ROCPRIM_400000_NS6detail17trampoline_kernelINS0_14default_configENS1_20scan_config_selectorIN3c107complexIdEEEEZZNS1_9scan_implILNS1_25lookback_scan_determinismE0ELb0ELb0ES3_PKS7_PS7_S7_ZZZN2at6native31launch_logcumsumexp_cuda_kernelERKNSE_10TensorBaseESI_lENKUlvE_clEvENKUlvE1_clEvEUlS7_S7_E_S7_EEDaPvRmT3_T4_T5_mT6_P12ihipStream_tbENKUlT_T0_E_clISt17integral_constantIbLb1EESY_IbLb0EEEEDaSU_SV_EUlSU_E_NS1_11comp_targetILNS1_3genE4ELNS1_11target_archE910ELNS1_3gpuE8ELNS1_3repE0EEENS1_30default_config_static_selectorELNS0_4arch9wavefront6targetE1EEEvT1_.uses_flat_scratch, 0
	.set _ZN7rocprim17ROCPRIM_400000_NS6detail17trampoline_kernelINS0_14default_configENS1_20scan_config_selectorIN3c107complexIdEEEEZZNS1_9scan_implILNS1_25lookback_scan_determinismE0ELb0ELb0ES3_PKS7_PS7_S7_ZZZN2at6native31launch_logcumsumexp_cuda_kernelERKNSE_10TensorBaseESI_lENKUlvE_clEvENKUlvE1_clEvEUlS7_S7_E_S7_EEDaPvRmT3_T4_T5_mT6_P12ihipStream_tbENKUlT_T0_E_clISt17integral_constantIbLb1EESY_IbLb0EEEEDaSU_SV_EUlSU_E_NS1_11comp_targetILNS1_3genE4ELNS1_11target_archE910ELNS1_3gpuE8ELNS1_3repE0EEENS1_30default_config_static_selectorELNS0_4arch9wavefront6targetE1EEEvT1_.has_dyn_sized_stack, 0
	.set _ZN7rocprim17ROCPRIM_400000_NS6detail17trampoline_kernelINS0_14default_configENS1_20scan_config_selectorIN3c107complexIdEEEEZZNS1_9scan_implILNS1_25lookback_scan_determinismE0ELb0ELb0ES3_PKS7_PS7_S7_ZZZN2at6native31launch_logcumsumexp_cuda_kernelERKNSE_10TensorBaseESI_lENKUlvE_clEvENKUlvE1_clEvEUlS7_S7_E_S7_EEDaPvRmT3_T4_T5_mT6_P12ihipStream_tbENKUlT_T0_E_clISt17integral_constantIbLb1EESY_IbLb0EEEEDaSU_SV_EUlSU_E_NS1_11comp_targetILNS1_3genE4ELNS1_11target_archE910ELNS1_3gpuE8ELNS1_3repE0EEENS1_30default_config_static_selectorELNS0_4arch9wavefront6targetE1EEEvT1_.has_recursion, 0
	.set _ZN7rocprim17ROCPRIM_400000_NS6detail17trampoline_kernelINS0_14default_configENS1_20scan_config_selectorIN3c107complexIdEEEEZZNS1_9scan_implILNS1_25lookback_scan_determinismE0ELb0ELb0ES3_PKS7_PS7_S7_ZZZN2at6native31launch_logcumsumexp_cuda_kernelERKNSE_10TensorBaseESI_lENKUlvE_clEvENKUlvE1_clEvEUlS7_S7_E_S7_EEDaPvRmT3_T4_T5_mT6_P12ihipStream_tbENKUlT_T0_E_clISt17integral_constantIbLb1EESY_IbLb0EEEEDaSU_SV_EUlSU_E_NS1_11comp_targetILNS1_3genE4ELNS1_11target_archE910ELNS1_3gpuE8ELNS1_3repE0EEENS1_30default_config_static_selectorELNS0_4arch9wavefront6targetE1EEEvT1_.has_indirect_call, 0
	.section	.AMDGPU.csdata,"",@progbits
; Kernel info:
; codeLenInByte = 0
; TotalNumSgprs: 6
; NumVgprs: 0
; NumAgprs: 0
; TotalNumVgprs: 0
; ScratchSize: 0
; MemoryBound: 0
; FloatMode: 240
; IeeeMode: 1
; LDSByteSize: 0 bytes/workgroup (compile time only)
; SGPRBlocks: 0
; VGPRBlocks: 0
; NumSGPRsForWavesPerEU: 6
; NumVGPRsForWavesPerEU: 1
; AccumOffset: 4
; Occupancy: 8
; WaveLimiterHint : 0
; COMPUTE_PGM_RSRC2:SCRATCH_EN: 0
; COMPUTE_PGM_RSRC2:USER_SGPR: 2
; COMPUTE_PGM_RSRC2:TRAP_HANDLER: 0
; COMPUTE_PGM_RSRC2:TGID_X_EN: 1
; COMPUTE_PGM_RSRC2:TGID_Y_EN: 0
; COMPUTE_PGM_RSRC2:TGID_Z_EN: 0
; COMPUTE_PGM_RSRC2:TIDIG_COMP_CNT: 0
; COMPUTE_PGM_RSRC3_GFX90A:ACCUM_OFFSET: 0
; COMPUTE_PGM_RSRC3_GFX90A:TG_SPLIT: 0
	.section	.text._ZN7rocprim17ROCPRIM_400000_NS6detail17trampoline_kernelINS0_14default_configENS1_20scan_config_selectorIN3c107complexIdEEEEZZNS1_9scan_implILNS1_25lookback_scan_determinismE0ELb0ELb0ES3_PKS7_PS7_S7_ZZZN2at6native31launch_logcumsumexp_cuda_kernelERKNSE_10TensorBaseESI_lENKUlvE_clEvENKUlvE1_clEvEUlS7_S7_E_S7_EEDaPvRmT3_T4_T5_mT6_P12ihipStream_tbENKUlT_T0_E_clISt17integral_constantIbLb1EESY_IbLb0EEEEDaSU_SV_EUlSU_E_NS1_11comp_targetILNS1_3genE3ELNS1_11target_archE908ELNS1_3gpuE7ELNS1_3repE0EEENS1_30default_config_static_selectorELNS0_4arch9wavefront6targetE1EEEvT1_,"axG",@progbits,_ZN7rocprim17ROCPRIM_400000_NS6detail17trampoline_kernelINS0_14default_configENS1_20scan_config_selectorIN3c107complexIdEEEEZZNS1_9scan_implILNS1_25lookback_scan_determinismE0ELb0ELb0ES3_PKS7_PS7_S7_ZZZN2at6native31launch_logcumsumexp_cuda_kernelERKNSE_10TensorBaseESI_lENKUlvE_clEvENKUlvE1_clEvEUlS7_S7_E_S7_EEDaPvRmT3_T4_T5_mT6_P12ihipStream_tbENKUlT_T0_E_clISt17integral_constantIbLb1EESY_IbLb0EEEEDaSU_SV_EUlSU_E_NS1_11comp_targetILNS1_3genE3ELNS1_11target_archE908ELNS1_3gpuE7ELNS1_3repE0EEENS1_30default_config_static_selectorELNS0_4arch9wavefront6targetE1EEEvT1_,comdat
	.globl	_ZN7rocprim17ROCPRIM_400000_NS6detail17trampoline_kernelINS0_14default_configENS1_20scan_config_selectorIN3c107complexIdEEEEZZNS1_9scan_implILNS1_25lookback_scan_determinismE0ELb0ELb0ES3_PKS7_PS7_S7_ZZZN2at6native31launch_logcumsumexp_cuda_kernelERKNSE_10TensorBaseESI_lENKUlvE_clEvENKUlvE1_clEvEUlS7_S7_E_S7_EEDaPvRmT3_T4_T5_mT6_P12ihipStream_tbENKUlT_T0_E_clISt17integral_constantIbLb1EESY_IbLb0EEEEDaSU_SV_EUlSU_E_NS1_11comp_targetILNS1_3genE3ELNS1_11target_archE908ELNS1_3gpuE7ELNS1_3repE0EEENS1_30default_config_static_selectorELNS0_4arch9wavefront6targetE1EEEvT1_ ; -- Begin function _ZN7rocprim17ROCPRIM_400000_NS6detail17trampoline_kernelINS0_14default_configENS1_20scan_config_selectorIN3c107complexIdEEEEZZNS1_9scan_implILNS1_25lookback_scan_determinismE0ELb0ELb0ES3_PKS7_PS7_S7_ZZZN2at6native31launch_logcumsumexp_cuda_kernelERKNSE_10TensorBaseESI_lENKUlvE_clEvENKUlvE1_clEvEUlS7_S7_E_S7_EEDaPvRmT3_T4_T5_mT6_P12ihipStream_tbENKUlT_T0_E_clISt17integral_constantIbLb1EESY_IbLb0EEEEDaSU_SV_EUlSU_E_NS1_11comp_targetILNS1_3genE3ELNS1_11target_archE908ELNS1_3gpuE7ELNS1_3repE0EEENS1_30default_config_static_selectorELNS0_4arch9wavefront6targetE1EEEvT1_
	.p2align	8
	.type	_ZN7rocprim17ROCPRIM_400000_NS6detail17trampoline_kernelINS0_14default_configENS1_20scan_config_selectorIN3c107complexIdEEEEZZNS1_9scan_implILNS1_25lookback_scan_determinismE0ELb0ELb0ES3_PKS7_PS7_S7_ZZZN2at6native31launch_logcumsumexp_cuda_kernelERKNSE_10TensorBaseESI_lENKUlvE_clEvENKUlvE1_clEvEUlS7_S7_E_S7_EEDaPvRmT3_T4_T5_mT6_P12ihipStream_tbENKUlT_T0_E_clISt17integral_constantIbLb1EESY_IbLb0EEEEDaSU_SV_EUlSU_E_NS1_11comp_targetILNS1_3genE3ELNS1_11target_archE908ELNS1_3gpuE7ELNS1_3repE0EEENS1_30default_config_static_selectorELNS0_4arch9wavefront6targetE1EEEvT1_,@function
_ZN7rocprim17ROCPRIM_400000_NS6detail17trampoline_kernelINS0_14default_configENS1_20scan_config_selectorIN3c107complexIdEEEEZZNS1_9scan_implILNS1_25lookback_scan_determinismE0ELb0ELb0ES3_PKS7_PS7_S7_ZZZN2at6native31launch_logcumsumexp_cuda_kernelERKNSE_10TensorBaseESI_lENKUlvE_clEvENKUlvE1_clEvEUlS7_S7_E_S7_EEDaPvRmT3_T4_T5_mT6_P12ihipStream_tbENKUlT_T0_E_clISt17integral_constantIbLb1EESY_IbLb0EEEEDaSU_SV_EUlSU_E_NS1_11comp_targetILNS1_3genE3ELNS1_11target_archE908ELNS1_3gpuE7ELNS1_3repE0EEENS1_30default_config_static_selectorELNS0_4arch9wavefront6targetE1EEEvT1_: ; @_ZN7rocprim17ROCPRIM_400000_NS6detail17trampoline_kernelINS0_14default_configENS1_20scan_config_selectorIN3c107complexIdEEEEZZNS1_9scan_implILNS1_25lookback_scan_determinismE0ELb0ELb0ES3_PKS7_PS7_S7_ZZZN2at6native31launch_logcumsumexp_cuda_kernelERKNSE_10TensorBaseESI_lENKUlvE_clEvENKUlvE1_clEvEUlS7_S7_E_S7_EEDaPvRmT3_T4_T5_mT6_P12ihipStream_tbENKUlT_T0_E_clISt17integral_constantIbLb1EESY_IbLb0EEEEDaSU_SV_EUlSU_E_NS1_11comp_targetILNS1_3genE3ELNS1_11target_archE908ELNS1_3gpuE7ELNS1_3repE0EEENS1_30default_config_static_selectorELNS0_4arch9wavefront6targetE1EEEvT1_
; %bb.0:
	.section	.rodata,"a",@progbits
	.p2align	6, 0x0
	.amdhsa_kernel _ZN7rocprim17ROCPRIM_400000_NS6detail17trampoline_kernelINS0_14default_configENS1_20scan_config_selectorIN3c107complexIdEEEEZZNS1_9scan_implILNS1_25lookback_scan_determinismE0ELb0ELb0ES3_PKS7_PS7_S7_ZZZN2at6native31launch_logcumsumexp_cuda_kernelERKNSE_10TensorBaseESI_lENKUlvE_clEvENKUlvE1_clEvEUlS7_S7_E_S7_EEDaPvRmT3_T4_T5_mT6_P12ihipStream_tbENKUlT_T0_E_clISt17integral_constantIbLb1EESY_IbLb0EEEEDaSU_SV_EUlSU_E_NS1_11comp_targetILNS1_3genE3ELNS1_11target_archE908ELNS1_3gpuE7ELNS1_3repE0EEENS1_30default_config_static_selectorELNS0_4arch9wavefront6targetE1EEEvT1_
		.amdhsa_group_segment_fixed_size 0
		.amdhsa_private_segment_fixed_size 0
		.amdhsa_kernarg_size 128
		.amdhsa_user_sgpr_count 2
		.amdhsa_user_sgpr_dispatch_ptr 0
		.amdhsa_user_sgpr_queue_ptr 0
		.amdhsa_user_sgpr_kernarg_segment_ptr 1
		.amdhsa_user_sgpr_dispatch_id 0
		.amdhsa_user_sgpr_kernarg_preload_length 0
		.amdhsa_user_sgpr_kernarg_preload_offset 0
		.amdhsa_user_sgpr_private_segment_size 0
		.amdhsa_uses_dynamic_stack 0
		.amdhsa_enable_private_segment 0
		.amdhsa_system_sgpr_workgroup_id_x 1
		.amdhsa_system_sgpr_workgroup_id_y 0
		.amdhsa_system_sgpr_workgroup_id_z 0
		.amdhsa_system_sgpr_workgroup_info 0
		.amdhsa_system_vgpr_workitem_id 0
		.amdhsa_next_free_vgpr 1
		.amdhsa_next_free_sgpr 0
		.amdhsa_accum_offset 4
		.amdhsa_reserve_vcc 0
		.amdhsa_float_round_mode_32 0
		.amdhsa_float_round_mode_16_64 0
		.amdhsa_float_denorm_mode_32 3
		.amdhsa_float_denorm_mode_16_64 3
		.amdhsa_dx10_clamp 1
		.amdhsa_ieee_mode 1
		.amdhsa_fp16_overflow 0
		.amdhsa_tg_split 0
		.amdhsa_exception_fp_ieee_invalid_op 0
		.amdhsa_exception_fp_denorm_src 0
		.amdhsa_exception_fp_ieee_div_zero 0
		.amdhsa_exception_fp_ieee_overflow 0
		.amdhsa_exception_fp_ieee_underflow 0
		.amdhsa_exception_fp_ieee_inexact 0
		.amdhsa_exception_int_div_zero 0
	.end_amdhsa_kernel
	.section	.text._ZN7rocprim17ROCPRIM_400000_NS6detail17trampoline_kernelINS0_14default_configENS1_20scan_config_selectorIN3c107complexIdEEEEZZNS1_9scan_implILNS1_25lookback_scan_determinismE0ELb0ELb0ES3_PKS7_PS7_S7_ZZZN2at6native31launch_logcumsumexp_cuda_kernelERKNSE_10TensorBaseESI_lENKUlvE_clEvENKUlvE1_clEvEUlS7_S7_E_S7_EEDaPvRmT3_T4_T5_mT6_P12ihipStream_tbENKUlT_T0_E_clISt17integral_constantIbLb1EESY_IbLb0EEEEDaSU_SV_EUlSU_E_NS1_11comp_targetILNS1_3genE3ELNS1_11target_archE908ELNS1_3gpuE7ELNS1_3repE0EEENS1_30default_config_static_selectorELNS0_4arch9wavefront6targetE1EEEvT1_,"axG",@progbits,_ZN7rocprim17ROCPRIM_400000_NS6detail17trampoline_kernelINS0_14default_configENS1_20scan_config_selectorIN3c107complexIdEEEEZZNS1_9scan_implILNS1_25lookback_scan_determinismE0ELb0ELb0ES3_PKS7_PS7_S7_ZZZN2at6native31launch_logcumsumexp_cuda_kernelERKNSE_10TensorBaseESI_lENKUlvE_clEvENKUlvE1_clEvEUlS7_S7_E_S7_EEDaPvRmT3_T4_T5_mT6_P12ihipStream_tbENKUlT_T0_E_clISt17integral_constantIbLb1EESY_IbLb0EEEEDaSU_SV_EUlSU_E_NS1_11comp_targetILNS1_3genE3ELNS1_11target_archE908ELNS1_3gpuE7ELNS1_3repE0EEENS1_30default_config_static_selectorELNS0_4arch9wavefront6targetE1EEEvT1_,comdat
.Lfunc_end225:
	.size	_ZN7rocprim17ROCPRIM_400000_NS6detail17trampoline_kernelINS0_14default_configENS1_20scan_config_selectorIN3c107complexIdEEEEZZNS1_9scan_implILNS1_25lookback_scan_determinismE0ELb0ELb0ES3_PKS7_PS7_S7_ZZZN2at6native31launch_logcumsumexp_cuda_kernelERKNSE_10TensorBaseESI_lENKUlvE_clEvENKUlvE1_clEvEUlS7_S7_E_S7_EEDaPvRmT3_T4_T5_mT6_P12ihipStream_tbENKUlT_T0_E_clISt17integral_constantIbLb1EESY_IbLb0EEEEDaSU_SV_EUlSU_E_NS1_11comp_targetILNS1_3genE3ELNS1_11target_archE908ELNS1_3gpuE7ELNS1_3repE0EEENS1_30default_config_static_selectorELNS0_4arch9wavefront6targetE1EEEvT1_, .Lfunc_end225-_ZN7rocprim17ROCPRIM_400000_NS6detail17trampoline_kernelINS0_14default_configENS1_20scan_config_selectorIN3c107complexIdEEEEZZNS1_9scan_implILNS1_25lookback_scan_determinismE0ELb0ELb0ES3_PKS7_PS7_S7_ZZZN2at6native31launch_logcumsumexp_cuda_kernelERKNSE_10TensorBaseESI_lENKUlvE_clEvENKUlvE1_clEvEUlS7_S7_E_S7_EEDaPvRmT3_T4_T5_mT6_P12ihipStream_tbENKUlT_T0_E_clISt17integral_constantIbLb1EESY_IbLb0EEEEDaSU_SV_EUlSU_E_NS1_11comp_targetILNS1_3genE3ELNS1_11target_archE908ELNS1_3gpuE7ELNS1_3repE0EEENS1_30default_config_static_selectorELNS0_4arch9wavefront6targetE1EEEvT1_
                                        ; -- End function
	.set _ZN7rocprim17ROCPRIM_400000_NS6detail17trampoline_kernelINS0_14default_configENS1_20scan_config_selectorIN3c107complexIdEEEEZZNS1_9scan_implILNS1_25lookback_scan_determinismE0ELb0ELb0ES3_PKS7_PS7_S7_ZZZN2at6native31launch_logcumsumexp_cuda_kernelERKNSE_10TensorBaseESI_lENKUlvE_clEvENKUlvE1_clEvEUlS7_S7_E_S7_EEDaPvRmT3_T4_T5_mT6_P12ihipStream_tbENKUlT_T0_E_clISt17integral_constantIbLb1EESY_IbLb0EEEEDaSU_SV_EUlSU_E_NS1_11comp_targetILNS1_3genE3ELNS1_11target_archE908ELNS1_3gpuE7ELNS1_3repE0EEENS1_30default_config_static_selectorELNS0_4arch9wavefront6targetE1EEEvT1_.num_vgpr, 0
	.set _ZN7rocprim17ROCPRIM_400000_NS6detail17trampoline_kernelINS0_14default_configENS1_20scan_config_selectorIN3c107complexIdEEEEZZNS1_9scan_implILNS1_25lookback_scan_determinismE0ELb0ELb0ES3_PKS7_PS7_S7_ZZZN2at6native31launch_logcumsumexp_cuda_kernelERKNSE_10TensorBaseESI_lENKUlvE_clEvENKUlvE1_clEvEUlS7_S7_E_S7_EEDaPvRmT3_T4_T5_mT6_P12ihipStream_tbENKUlT_T0_E_clISt17integral_constantIbLb1EESY_IbLb0EEEEDaSU_SV_EUlSU_E_NS1_11comp_targetILNS1_3genE3ELNS1_11target_archE908ELNS1_3gpuE7ELNS1_3repE0EEENS1_30default_config_static_selectorELNS0_4arch9wavefront6targetE1EEEvT1_.num_agpr, 0
	.set _ZN7rocprim17ROCPRIM_400000_NS6detail17trampoline_kernelINS0_14default_configENS1_20scan_config_selectorIN3c107complexIdEEEEZZNS1_9scan_implILNS1_25lookback_scan_determinismE0ELb0ELb0ES3_PKS7_PS7_S7_ZZZN2at6native31launch_logcumsumexp_cuda_kernelERKNSE_10TensorBaseESI_lENKUlvE_clEvENKUlvE1_clEvEUlS7_S7_E_S7_EEDaPvRmT3_T4_T5_mT6_P12ihipStream_tbENKUlT_T0_E_clISt17integral_constantIbLb1EESY_IbLb0EEEEDaSU_SV_EUlSU_E_NS1_11comp_targetILNS1_3genE3ELNS1_11target_archE908ELNS1_3gpuE7ELNS1_3repE0EEENS1_30default_config_static_selectorELNS0_4arch9wavefront6targetE1EEEvT1_.numbered_sgpr, 0
	.set _ZN7rocprim17ROCPRIM_400000_NS6detail17trampoline_kernelINS0_14default_configENS1_20scan_config_selectorIN3c107complexIdEEEEZZNS1_9scan_implILNS1_25lookback_scan_determinismE0ELb0ELb0ES3_PKS7_PS7_S7_ZZZN2at6native31launch_logcumsumexp_cuda_kernelERKNSE_10TensorBaseESI_lENKUlvE_clEvENKUlvE1_clEvEUlS7_S7_E_S7_EEDaPvRmT3_T4_T5_mT6_P12ihipStream_tbENKUlT_T0_E_clISt17integral_constantIbLb1EESY_IbLb0EEEEDaSU_SV_EUlSU_E_NS1_11comp_targetILNS1_3genE3ELNS1_11target_archE908ELNS1_3gpuE7ELNS1_3repE0EEENS1_30default_config_static_selectorELNS0_4arch9wavefront6targetE1EEEvT1_.num_named_barrier, 0
	.set _ZN7rocprim17ROCPRIM_400000_NS6detail17trampoline_kernelINS0_14default_configENS1_20scan_config_selectorIN3c107complexIdEEEEZZNS1_9scan_implILNS1_25lookback_scan_determinismE0ELb0ELb0ES3_PKS7_PS7_S7_ZZZN2at6native31launch_logcumsumexp_cuda_kernelERKNSE_10TensorBaseESI_lENKUlvE_clEvENKUlvE1_clEvEUlS7_S7_E_S7_EEDaPvRmT3_T4_T5_mT6_P12ihipStream_tbENKUlT_T0_E_clISt17integral_constantIbLb1EESY_IbLb0EEEEDaSU_SV_EUlSU_E_NS1_11comp_targetILNS1_3genE3ELNS1_11target_archE908ELNS1_3gpuE7ELNS1_3repE0EEENS1_30default_config_static_selectorELNS0_4arch9wavefront6targetE1EEEvT1_.private_seg_size, 0
	.set _ZN7rocprim17ROCPRIM_400000_NS6detail17trampoline_kernelINS0_14default_configENS1_20scan_config_selectorIN3c107complexIdEEEEZZNS1_9scan_implILNS1_25lookback_scan_determinismE0ELb0ELb0ES3_PKS7_PS7_S7_ZZZN2at6native31launch_logcumsumexp_cuda_kernelERKNSE_10TensorBaseESI_lENKUlvE_clEvENKUlvE1_clEvEUlS7_S7_E_S7_EEDaPvRmT3_T4_T5_mT6_P12ihipStream_tbENKUlT_T0_E_clISt17integral_constantIbLb1EESY_IbLb0EEEEDaSU_SV_EUlSU_E_NS1_11comp_targetILNS1_3genE3ELNS1_11target_archE908ELNS1_3gpuE7ELNS1_3repE0EEENS1_30default_config_static_selectorELNS0_4arch9wavefront6targetE1EEEvT1_.uses_vcc, 0
	.set _ZN7rocprim17ROCPRIM_400000_NS6detail17trampoline_kernelINS0_14default_configENS1_20scan_config_selectorIN3c107complexIdEEEEZZNS1_9scan_implILNS1_25lookback_scan_determinismE0ELb0ELb0ES3_PKS7_PS7_S7_ZZZN2at6native31launch_logcumsumexp_cuda_kernelERKNSE_10TensorBaseESI_lENKUlvE_clEvENKUlvE1_clEvEUlS7_S7_E_S7_EEDaPvRmT3_T4_T5_mT6_P12ihipStream_tbENKUlT_T0_E_clISt17integral_constantIbLb1EESY_IbLb0EEEEDaSU_SV_EUlSU_E_NS1_11comp_targetILNS1_3genE3ELNS1_11target_archE908ELNS1_3gpuE7ELNS1_3repE0EEENS1_30default_config_static_selectorELNS0_4arch9wavefront6targetE1EEEvT1_.uses_flat_scratch, 0
	.set _ZN7rocprim17ROCPRIM_400000_NS6detail17trampoline_kernelINS0_14default_configENS1_20scan_config_selectorIN3c107complexIdEEEEZZNS1_9scan_implILNS1_25lookback_scan_determinismE0ELb0ELb0ES3_PKS7_PS7_S7_ZZZN2at6native31launch_logcumsumexp_cuda_kernelERKNSE_10TensorBaseESI_lENKUlvE_clEvENKUlvE1_clEvEUlS7_S7_E_S7_EEDaPvRmT3_T4_T5_mT6_P12ihipStream_tbENKUlT_T0_E_clISt17integral_constantIbLb1EESY_IbLb0EEEEDaSU_SV_EUlSU_E_NS1_11comp_targetILNS1_3genE3ELNS1_11target_archE908ELNS1_3gpuE7ELNS1_3repE0EEENS1_30default_config_static_selectorELNS0_4arch9wavefront6targetE1EEEvT1_.has_dyn_sized_stack, 0
	.set _ZN7rocprim17ROCPRIM_400000_NS6detail17trampoline_kernelINS0_14default_configENS1_20scan_config_selectorIN3c107complexIdEEEEZZNS1_9scan_implILNS1_25lookback_scan_determinismE0ELb0ELb0ES3_PKS7_PS7_S7_ZZZN2at6native31launch_logcumsumexp_cuda_kernelERKNSE_10TensorBaseESI_lENKUlvE_clEvENKUlvE1_clEvEUlS7_S7_E_S7_EEDaPvRmT3_T4_T5_mT6_P12ihipStream_tbENKUlT_T0_E_clISt17integral_constantIbLb1EESY_IbLb0EEEEDaSU_SV_EUlSU_E_NS1_11comp_targetILNS1_3genE3ELNS1_11target_archE908ELNS1_3gpuE7ELNS1_3repE0EEENS1_30default_config_static_selectorELNS0_4arch9wavefront6targetE1EEEvT1_.has_recursion, 0
	.set _ZN7rocprim17ROCPRIM_400000_NS6detail17trampoline_kernelINS0_14default_configENS1_20scan_config_selectorIN3c107complexIdEEEEZZNS1_9scan_implILNS1_25lookback_scan_determinismE0ELb0ELb0ES3_PKS7_PS7_S7_ZZZN2at6native31launch_logcumsumexp_cuda_kernelERKNSE_10TensorBaseESI_lENKUlvE_clEvENKUlvE1_clEvEUlS7_S7_E_S7_EEDaPvRmT3_T4_T5_mT6_P12ihipStream_tbENKUlT_T0_E_clISt17integral_constantIbLb1EESY_IbLb0EEEEDaSU_SV_EUlSU_E_NS1_11comp_targetILNS1_3genE3ELNS1_11target_archE908ELNS1_3gpuE7ELNS1_3repE0EEENS1_30default_config_static_selectorELNS0_4arch9wavefront6targetE1EEEvT1_.has_indirect_call, 0
	.section	.AMDGPU.csdata,"",@progbits
; Kernel info:
; codeLenInByte = 0
; TotalNumSgprs: 6
; NumVgprs: 0
; NumAgprs: 0
; TotalNumVgprs: 0
; ScratchSize: 0
; MemoryBound: 0
; FloatMode: 240
; IeeeMode: 1
; LDSByteSize: 0 bytes/workgroup (compile time only)
; SGPRBlocks: 0
; VGPRBlocks: 0
; NumSGPRsForWavesPerEU: 6
; NumVGPRsForWavesPerEU: 1
; AccumOffset: 4
; Occupancy: 8
; WaveLimiterHint : 0
; COMPUTE_PGM_RSRC2:SCRATCH_EN: 0
; COMPUTE_PGM_RSRC2:USER_SGPR: 2
; COMPUTE_PGM_RSRC2:TRAP_HANDLER: 0
; COMPUTE_PGM_RSRC2:TGID_X_EN: 1
; COMPUTE_PGM_RSRC2:TGID_Y_EN: 0
; COMPUTE_PGM_RSRC2:TGID_Z_EN: 0
; COMPUTE_PGM_RSRC2:TIDIG_COMP_CNT: 0
; COMPUTE_PGM_RSRC3_GFX90A:ACCUM_OFFSET: 0
; COMPUTE_PGM_RSRC3_GFX90A:TG_SPLIT: 0
	.section	.text._ZN7rocprim17ROCPRIM_400000_NS6detail17trampoline_kernelINS0_14default_configENS1_20scan_config_selectorIN3c107complexIdEEEEZZNS1_9scan_implILNS1_25lookback_scan_determinismE0ELb0ELb0ES3_PKS7_PS7_S7_ZZZN2at6native31launch_logcumsumexp_cuda_kernelERKNSE_10TensorBaseESI_lENKUlvE_clEvENKUlvE1_clEvEUlS7_S7_E_S7_EEDaPvRmT3_T4_T5_mT6_P12ihipStream_tbENKUlT_T0_E_clISt17integral_constantIbLb1EESY_IbLb0EEEEDaSU_SV_EUlSU_E_NS1_11comp_targetILNS1_3genE2ELNS1_11target_archE906ELNS1_3gpuE6ELNS1_3repE0EEENS1_30default_config_static_selectorELNS0_4arch9wavefront6targetE1EEEvT1_,"axG",@progbits,_ZN7rocprim17ROCPRIM_400000_NS6detail17trampoline_kernelINS0_14default_configENS1_20scan_config_selectorIN3c107complexIdEEEEZZNS1_9scan_implILNS1_25lookback_scan_determinismE0ELb0ELb0ES3_PKS7_PS7_S7_ZZZN2at6native31launch_logcumsumexp_cuda_kernelERKNSE_10TensorBaseESI_lENKUlvE_clEvENKUlvE1_clEvEUlS7_S7_E_S7_EEDaPvRmT3_T4_T5_mT6_P12ihipStream_tbENKUlT_T0_E_clISt17integral_constantIbLb1EESY_IbLb0EEEEDaSU_SV_EUlSU_E_NS1_11comp_targetILNS1_3genE2ELNS1_11target_archE906ELNS1_3gpuE6ELNS1_3repE0EEENS1_30default_config_static_selectorELNS0_4arch9wavefront6targetE1EEEvT1_,comdat
	.globl	_ZN7rocprim17ROCPRIM_400000_NS6detail17trampoline_kernelINS0_14default_configENS1_20scan_config_selectorIN3c107complexIdEEEEZZNS1_9scan_implILNS1_25lookback_scan_determinismE0ELb0ELb0ES3_PKS7_PS7_S7_ZZZN2at6native31launch_logcumsumexp_cuda_kernelERKNSE_10TensorBaseESI_lENKUlvE_clEvENKUlvE1_clEvEUlS7_S7_E_S7_EEDaPvRmT3_T4_T5_mT6_P12ihipStream_tbENKUlT_T0_E_clISt17integral_constantIbLb1EESY_IbLb0EEEEDaSU_SV_EUlSU_E_NS1_11comp_targetILNS1_3genE2ELNS1_11target_archE906ELNS1_3gpuE6ELNS1_3repE0EEENS1_30default_config_static_selectorELNS0_4arch9wavefront6targetE1EEEvT1_ ; -- Begin function _ZN7rocprim17ROCPRIM_400000_NS6detail17trampoline_kernelINS0_14default_configENS1_20scan_config_selectorIN3c107complexIdEEEEZZNS1_9scan_implILNS1_25lookback_scan_determinismE0ELb0ELb0ES3_PKS7_PS7_S7_ZZZN2at6native31launch_logcumsumexp_cuda_kernelERKNSE_10TensorBaseESI_lENKUlvE_clEvENKUlvE1_clEvEUlS7_S7_E_S7_EEDaPvRmT3_T4_T5_mT6_P12ihipStream_tbENKUlT_T0_E_clISt17integral_constantIbLb1EESY_IbLb0EEEEDaSU_SV_EUlSU_E_NS1_11comp_targetILNS1_3genE2ELNS1_11target_archE906ELNS1_3gpuE6ELNS1_3repE0EEENS1_30default_config_static_selectorELNS0_4arch9wavefront6targetE1EEEvT1_
	.p2align	8
	.type	_ZN7rocprim17ROCPRIM_400000_NS6detail17trampoline_kernelINS0_14default_configENS1_20scan_config_selectorIN3c107complexIdEEEEZZNS1_9scan_implILNS1_25lookback_scan_determinismE0ELb0ELb0ES3_PKS7_PS7_S7_ZZZN2at6native31launch_logcumsumexp_cuda_kernelERKNSE_10TensorBaseESI_lENKUlvE_clEvENKUlvE1_clEvEUlS7_S7_E_S7_EEDaPvRmT3_T4_T5_mT6_P12ihipStream_tbENKUlT_T0_E_clISt17integral_constantIbLb1EESY_IbLb0EEEEDaSU_SV_EUlSU_E_NS1_11comp_targetILNS1_3genE2ELNS1_11target_archE906ELNS1_3gpuE6ELNS1_3repE0EEENS1_30default_config_static_selectorELNS0_4arch9wavefront6targetE1EEEvT1_,@function
_ZN7rocprim17ROCPRIM_400000_NS6detail17trampoline_kernelINS0_14default_configENS1_20scan_config_selectorIN3c107complexIdEEEEZZNS1_9scan_implILNS1_25lookback_scan_determinismE0ELb0ELb0ES3_PKS7_PS7_S7_ZZZN2at6native31launch_logcumsumexp_cuda_kernelERKNSE_10TensorBaseESI_lENKUlvE_clEvENKUlvE1_clEvEUlS7_S7_E_S7_EEDaPvRmT3_T4_T5_mT6_P12ihipStream_tbENKUlT_T0_E_clISt17integral_constantIbLb1EESY_IbLb0EEEEDaSU_SV_EUlSU_E_NS1_11comp_targetILNS1_3genE2ELNS1_11target_archE906ELNS1_3gpuE6ELNS1_3repE0EEENS1_30default_config_static_selectorELNS0_4arch9wavefront6targetE1EEEvT1_: ; @_ZN7rocprim17ROCPRIM_400000_NS6detail17trampoline_kernelINS0_14default_configENS1_20scan_config_selectorIN3c107complexIdEEEEZZNS1_9scan_implILNS1_25lookback_scan_determinismE0ELb0ELb0ES3_PKS7_PS7_S7_ZZZN2at6native31launch_logcumsumexp_cuda_kernelERKNSE_10TensorBaseESI_lENKUlvE_clEvENKUlvE1_clEvEUlS7_S7_E_S7_EEDaPvRmT3_T4_T5_mT6_P12ihipStream_tbENKUlT_T0_E_clISt17integral_constantIbLb1EESY_IbLb0EEEEDaSU_SV_EUlSU_E_NS1_11comp_targetILNS1_3genE2ELNS1_11target_archE906ELNS1_3gpuE6ELNS1_3repE0EEENS1_30default_config_static_selectorELNS0_4arch9wavefront6targetE1EEEvT1_
; %bb.0:
	.section	.rodata,"a",@progbits
	.p2align	6, 0x0
	.amdhsa_kernel _ZN7rocprim17ROCPRIM_400000_NS6detail17trampoline_kernelINS0_14default_configENS1_20scan_config_selectorIN3c107complexIdEEEEZZNS1_9scan_implILNS1_25lookback_scan_determinismE0ELb0ELb0ES3_PKS7_PS7_S7_ZZZN2at6native31launch_logcumsumexp_cuda_kernelERKNSE_10TensorBaseESI_lENKUlvE_clEvENKUlvE1_clEvEUlS7_S7_E_S7_EEDaPvRmT3_T4_T5_mT6_P12ihipStream_tbENKUlT_T0_E_clISt17integral_constantIbLb1EESY_IbLb0EEEEDaSU_SV_EUlSU_E_NS1_11comp_targetILNS1_3genE2ELNS1_11target_archE906ELNS1_3gpuE6ELNS1_3repE0EEENS1_30default_config_static_selectorELNS0_4arch9wavefront6targetE1EEEvT1_
		.amdhsa_group_segment_fixed_size 0
		.amdhsa_private_segment_fixed_size 0
		.amdhsa_kernarg_size 128
		.amdhsa_user_sgpr_count 2
		.amdhsa_user_sgpr_dispatch_ptr 0
		.amdhsa_user_sgpr_queue_ptr 0
		.amdhsa_user_sgpr_kernarg_segment_ptr 1
		.amdhsa_user_sgpr_dispatch_id 0
		.amdhsa_user_sgpr_kernarg_preload_length 0
		.amdhsa_user_sgpr_kernarg_preload_offset 0
		.amdhsa_user_sgpr_private_segment_size 0
		.amdhsa_uses_dynamic_stack 0
		.amdhsa_enable_private_segment 0
		.amdhsa_system_sgpr_workgroup_id_x 1
		.amdhsa_system_sgpr_workgroup_id_y 0
		.amdhsa_system_sgpr_workgroup_id_z 0
		.amdhsa_system_sgpr_workgroup_info 0
		.amdhsa_system_vgpr_workitem_id 0
		.amdhsa_next_free_vgpr 1
		.amdhsa_next_free_sgpr 0
		.amdhsa_accum_offset 4
		.amdhsa_reserve_vcc 0
		.amdhsa_float_round_mode_32 0
		.amdhsa_float_round_mode_16_64 0
		.amdhsa_float_denorm_mode_32 3
		.amdhsa_float_denorm_mode_16_64 3
		.amdhsa_dx10_clamp 1
		.amdhsa_ieee_mode 1
		.amdhsa_fp16_overflow 0
		.amdhsa_tg_split 0
		.amdhsa_exception_fp_ieee_invalid_op 0
		.amdhsa_exception_fp_denorm_src 0
		.amdhsa_exception_fp_ieee_div_zero 0
		.amdhsa_exception_fp_ieee_overflow 0
		.amdhsa_exception_fp_ieee_underflow 0
		.amdhsa_exception_fp_ieee_inexact 0
		.amdhsa_exception_int_div_zero 0
	.end_amdhsa_kernel
	.section	.text._ZN7rocprim17ROCPRIM_400000_NS6detail17trampoline_kernelINS0_14default_configENS1_20scan_config_selectorIN3c107complexIdEEEEZZNS1_9scan_implILNS1_25lookback_scan_determinismE0ELb0ELb0ES3_PKS7_PS7_S7_ZZZN2at6native31launch_logcumsumexp_cuda_kernelERKNSE_10TensorBaseESI_lENKUlvE_clEvENKUlvE1_clEvEUlS7_S7_E_S7_EEDaPvRmT3_T4_T5_mT6_P12ihipStream_tbENKUlT_T0_E_clISt17integral_constantIbLb1EESY_IbLb0EEEEDaSU_SV_EUlSU_E_NS1_11comp_targetILNS1_3genE2ELNS1_11target_archE906ELNS1_3gpuE6ELNS1_3repE0EEENS1_30default_config_static_selectorELNS0_4arch9wavefront6targetE1EEEvT1_,"axG",@progbits,_ZN7rocprim17ROCPRIM_400000_NS6detail17trampoline_kernelINS0_14default_configENS1_20scan_config_selectorIN3c107complexIdEEEEZZNS1_9scan_implILNS1_25lookback_scan_determinismE0ELb0ELb0ES3_PKS7_PS7_S7_ZZZN2at6native31launch_logcumsumexp_cuda_kernelERKNSE_10TensorBaseESI_lENKUlvE_clEvENKUlvE1_clEvEUlS7_S7_E_S7_EEDaPvRmT3_T4_T5_mT6_P12ihipStream_tbENKUlT_T0_E_clISt17integral_constantIbLb1EESY_IbLb0EEEEDaSU_SV_EUlSU_E_NS1_11comp_targetILNS1_3genE2ELNS1_11target_archE906ELNS1_3gpuE6ELNS1_3repE0EEENS1_30default_config_static_selectorELNS0_4arch9wavefront6targetE1EEEvT1_,comdat
.Lfunc_end226:
	.size	_ZN7rocprim17ROCPRIM_400000_NS6detail17trampoline_kernelINS0_14default_configENS1_20scan_config_selectorIN3c107complexIdEEEEZZNS1_9scan_implILNS1_25lookback_scan_determinismE0ELb0ELb0ES3_PKS7_PS7_S7_ZZZN2at6native31launch_logcumsumexp_cuda_kernelERKNSE_10TensorBaseESI_lENKUlvE_clEvENKUlvE1_clEvEUlS7_S7_E_S7_EEDaPvRmT3_T4_T5_mT6_P12ihipStream_tbENKUlT_T0_E_clISt17integral_constantIbLb1EESY_IbLb0EEEEDaSU_SV_EUlSU_E_NS1_11comp_targetILNS1_3genE2ELNS1_11target_archE906ELNS1_3gpuE6ELNS1_3repE0EEENS1_30default_config_static_selectorELNS0_4arch9wavefront6targetE1EEEvT1_, .Lfunc_end226-_ZN7rocprim17ROCPRIM_400000_NS6detail17trampoline_kernelINS0_14default_configENS1_20scan_config_selectorIN3c107complexIdEEEEZZNS1_9scan_implILNS1_25lookback_scan_determinismE0ELb0ELb0ES3_PKS7_PS7_S7_ZZZN2at6native31launch_logcumsumexp_cuda_kernelERKNSE_10TensorBaseESI_lENKUlvE_clEvENKUlvE1_clEvEUlS7_S7_E_S7_EEDaPvRmT3_T4_T5_mT6_P12ihipStream_tbENKUlT_T0_E_clISt17integral_constantIbLb1EESY_IbLb0EEEEDaSU_SV_EUlSU_E_NS1_11comp_targetILNS1_3genE2ELNS1_11target_archE906ELNS1_3gpuE6ELNS1_3repE0EEENS1_30default_config_static_selectorELNS0_4arch9wavefront6targetE1EEEvT1_
                                        ; -- End function
	.set _ZN7rocprim17ROCPRIM_400000_NS6detail17trampoline_kernelINS0_14default_configENS1_20scan_config_selectorIN3c107complexIdEEEEZZNS1_9scan_implILNS1_25lookback_scan_determinismE0ELb0ELb0ES3_PKS7_PS7_S7_ZZZN2at6native31launch_logcumsumexp_cuda_kernelERKNSE_10TensorBaseESI_lENKUlvE_clEvENKUlvE1_clEvEUlS7_S7_E_S7_EEDaPvRmT3_T4_T5_mT6_P12ihipStream_tbENKUlT_T0_E_clISt17integral_constantIbLb1EESY_IbLb0EEEEDaSU_SV_EUlSU_E_NS1_11comp_targetILNS1_3genE2ELNS1_11target_archE906ELNS1_3gpuE6ELNS1_3repE0EEENS1_30default_config_static_selectorELNS0_4arch9wavefront6targetE1EEEvT1_.num_vgpr, 0
	.set _ZN7rocprim17ROCPRIM_400000_NS6detail17trampoline_kernelINS0_14default_configENS1_20scan_config_selectorIN3c107complexIdEEEEZZNS1_9scan_implILNS1_25lookback_scan_determinismE0ELb0ELb0ES3_PKS7_PS7_S7_ZZZN2at6native31launch_logcumsumexp_cuda_kernelERKNSE_10TensorBaseESI_lENKUlvE_clEvENKUlvE1_clEvEUlS7_S7_E_S7_EEDaPvRmT3_T4_T5_mT6_P12ihipStream_tbENKUlT_T0_E_clISt17integral_constantIbLb1EESY_IbLb0EEEEDaSU_SV_EUlSU_E_NS1_11comp_targetILNS1_3genE2ELNS1_11target_archE906ELNS1_3gpuE6ELNS1_3repE0EEENS1_30default_config_static_selectorELNS0_4arch9wavefront6targetE1EEEvT1_.num_agpr, 0
	.set _ZN7rocprim17ROCPRIM_400000_NS6detail17trampoline_kernelINS0_14default_configENS1_20scan_config_selectorIN3c107complexIdEEEEZZNS1_9scan_implILNS1_25lookback_scan_determinismE0ELb0ELb0ES3_PKS7_PS7_S7_ZZZN2at6native31launch_logcumsumexp_cuda_kernelERKNSE_10TensorBaseESI_lENKUlvE_clEvENKUlvE1_clEvEUlS7_S7_E_S7_EEDaPvRmT3_T4_T5_mT6_P12ihipStream_tbENKUlT_T0_E_clISt17integral_constantIbLb1EESY_IbLb0EEEEDaSU_SV_EUlSU_E_NS1_11comp_targetILNS1_3genE2ELNS1_11target_archE906ELNS1_3gpuE6ELNS1_3repE0EEENS1_30default_config_static_selectorELNS0_4arch9wavefront6targetE1EEEvT1_.numbered_sgpr, 0
	.set _ZN7rocprim17ROCPRIM_400000_NS6detail17trampoline_kernelINS0_14default_configENS1_20scan_config_selectorIN3c107complexIdEEEEZZNS1_9scan_implILNS1_25lookback_scan_determinismE0ELb0ELb0ES3_PKS7_PS7_S7_ZZZN2at6native31launch_logcumsumexp_cuda_kernelERKNSE_10TensorBaseESI_lENKUlvE_clEvENKUlvE1_clEvEUlS7_S7_E_S7_EEDaPvRmT3_T4_T5_mT6_P12ihipStream_tbENKUlT_T0_E_clISt17integral_constantIbLb1EESY_IbLb0EEEEDaSU_SV_EUlSU_E_NS1_11comp_targetILNS1_3genE2ELNS1_11target_archE906ELNS1_3gpuE6ELNS1_3repE0EEENS1_30default_config_static_selectorELNS0_4arch9wavefront6targetE1EEEvT1_.num_named_barrier, 0
	.set _ZN7rocprim17ROCPRIM_400000_NS6detail17trampoline_kernelINS0_14default_configENS1_20scan_config_selectorIN3c107complexIdEEEEZZNS1_9scan_implILNS1_25lookback_scan_determinismE0ELb0ELb0ES3_PKS7_PS7_S7_ZZZN2at6native31launch_logcumsumexp_cuda_kernelERKNSE_10TensorBaseESI_lENKUlvE_clEvENKUlvE1_clEvEUlS7_S7_E_S7_EEDaPvRmT3_T4_T5_mT6_P12ihipStream_tbENKUlT_T0_E_clISt17integral_constantIbLb1EESY_IbLb0EEEEDaSU_SV_EUlSU_E_NS1_11comp_targetILNS1_3genE2ELNS1_11target_archE906ELNS1_3gpuE6ELNS1_3repE0EEENS1_30default_config_static_selectorELNS0_4arch9wavefront6targetE1EEEvT1_.private_seg_size, 0
	.set _ZN7rocprim17ROCPRIM_400000_NS6detail17trampoline_kernelINS0_14default_configENS1_20scan_config_selectorIN3c107complexIdEEEEZZNS1_9scan_implILNS1_25lookback_scan_determinismE0ELb0ELb0ES3_PKS7_PS7_S7_ZZZN2at6native31launch_logcumsumexp_cuda_kernelERKNSE_10TensorBaseESI_lENKUlvE_clEvENKUlvE1_clEvEUlS7_S7_E_S7_EEDaPvRmT3_T4_T5_mT6_P12ihipStream_tbENKUlT_T0_E_clISt17integral_constantIbLb1EESY_IbLb0EEEEDaSU_SV_EUlSU_E_NS1_11comp_targetILNS1_3genE2ELNS1_11target_archE906ELNS1_3gpuE6ELNS1_3repE0EEENS1_30default_config_static_selectorELNS0_4arch9wavefront6targetE1EEEvT1_.uses_vcc, 0
	.set _ZN7rocprim17ROCPRIM_400000_NS6detail17trampoline_kernelINS0_14default_configENS1_20scan_config_selectorIN3c107complexIdEEEEZZNS1_9scan_implILNS1_25lookback_scan_determinismE0ELb0ELb0ES3_PKS7_PS7_S7_ZZZN2at6native31launch_logcumsumexp_cuda_kernelERKNSE_10TensorBaseESI_lENKUlvE_clEvENKUlvE1_clEvEUlS7_S7_E_S7_EEDaPvRmT3_T4_T5_mT6_P12ihipStream_tbENKUlT_T0_E_clISt17integral_constantIbLb1EESY_IbLb0EEEEDaSU_SV_EUlSU_E_NS1_11comp_targetILNS1_3genE2ELNS1_11target_archE906ELNS1_3gpuE6ELNS1_3repE0EEENS1_30default_config_static_selectorELNS0_4arch9wavefront6targetE1EEEvT1_.uses_flat_scratch, 0
	.set _ZN7rocprim17ROCPRIM_400000_NS6detail17trampoline_kernelINS0_14default_configENS1_20scan_config_selectorIN3c107complexIdEEEEZZNS1_9scan_implILNS1_25lookback_scan_determinismE0ELb0ELb0ES3_PKS7_PS7_S7_ZZZN2at6native31launch_logcumsumexp_cuda_kernelERKNSE_10TensorBaseESI_lENKUlvE_clEvENKUlvE1_clEvEUlS7_S7_E_S7_EEDaPvRmT3_T4_T5_mT6_P12ihipStream_tbENKUlT_T0_E_clISt17integral_constantIbLb1EESY_IbLb0EEEEDaSU_SV_EUlSU_E_NS1_11comp_targetILNS1_3genE2ELNS1_11target_archE906ELNS1_3gpuE6ELNS1_3repE0EEENS1_30default_config_static_selectorELNS0_4arch9wavefront6targetE1EEEvT1_.has_dyn_sized_stack, 0
	.set _ZN7rocprim17ROCPRIM_400000_NS6detail17trampoline_kernelINS0_14default_configENS1_20scan_config_selectorIN3c107complexIdEEEEZZNS1_9scan_implILNS1_25lookback_scan_determinismE0ELb0ELb0ES3_PKS7_PS7_S7_ZZZN2at6native31launch_logcumsumexp_cuda_kernelERKNSE_10TensorBaseESI_lENKUlvE_clEvENKUlvE1_clEvEUlS7_S7_E_S7_EEDaPvRmT3_T4_T5_mT6_P12ihipStream_tbENKUlT_T0_E_clISt17integral_constantIbLb1EESY_IbLb0EEEEDaSU_SV_EUlSU_E_NS1_11comp_targetILNS1_3genE2ELNS1_11target_archE906ELNS1_3gpuE6ELNS1_3repE0EEENS1_30default_config_static_selectorELNS0_4arch9wavefront6targetE1EEEvT1_.has_recursion, 0
	.set _ZN7rocprim17ROCPRIM_400000_NS6detail17trampoline_kernelINS0_14default_configENS1_20scan_config_selectorIN3c107complexIdEEEEZZNS1_9scan_implILNS1_25lookback_scan_determinismE0ELb0ELb0ES3_PKS7_PS7_S7_ZZZN2at6native31launch_logcumsumexp_cuda_kernelERKNSE_10TensorBaseESI_lENKUlvE_clEvENKUlvE1_clEvEUlS7_S7_E_S7_EEDaPvRmT3_T4_T5_mT6_P12ihipStream_tbENKUlT_T0_E_clISt17integral_constantIbLb1EESY_IbLb0EEEEDaSU_SV_EUlSU_E_NS1_11comp_targetILNS1_3genE2ELNS1_11target_archE906ELNS1_3gpuE6ELNS1_3repE0EEENS1_30default_config_static_selectorELNS0_4arch9wavefront6targetE1EEEvT1_.has_indirect_call, 0
	.section	.AMDGPU.csdata,"",@progbits
; Kernel info:
; codeLenInByte = 0
; TotalNumSgprs: 6
; NumVgprs: 0
; NumAgprs: 0
; TotalNumVgprs: 0
; ScratchSize: 0
; MemoryBound: 0
; FloatMode: 240
; IeeeMode: 1
; LDSByteSize: 0 bytes/workgroup (compile time only)
; SGPRBlocks: 0
; VGPRBlocks: 0
; NumSGPRsForWavesPerEU: 6
; NumVGPRsForWavesPerEU: 1
; AccumOffset: 4
; Occupancy: 8
; WaveLimiterHint : 0
; COMPUTE_PGM_RSRC2:SCRATCH_EN: 0
; COMPUTE_PGM_RSRC2:USER_SGPR: 2
; COMPUTE_PGM_RSRC2:TRAP_HANDLER: 0
; COMPUTE_PGM_RSRC2:TGID_X_EN: 1
; COMPUTE_PGM_RSRC2:TGID_Y_EN: 0
; COMPUTE_PGM_RSRC2:TGID_Z_EN: 0
; COMPUTE_PGM_RSRC2:TIDIG_COMP_CNT: 0
; COMPUTE_PGM_RSRC3_GFX90A:ACCUM_OFFSET: 0
; COMPUTE_PGM_RSRC3_GFX90A:TG_SPLIT: 0
	.section	.text._ZN7rocprim17ROCPRIM_400000_NS6detail17trampoline_kernelINS0_14default_configENS1_20scan_config_selectorIN3c107complexIdEEEEZZNS1_9scan_implILNS1_25lookback_scan_determinismE0ELb0ELb0ES3_PKS7_PS7_S7_ZZZN2at6native31launch_logcumsumexp_cuda_kernelERKNSE_10TensorBaseESI_lENKUlvE_clEvENKUlvE1_clEvEUlS7_S7_E_S7_EEDaPvRmT3_T4_T5_mT6_P12ihipStream_tbENKUlT_T0_E_clISt17integral_constantIbLb1EESY_IbLb0EEEEDaSU_SV_EUlSU_E_NS1_11comp_targetILNS1_3genE10ELNS1_11target_archE1201ELNS1_3gpuE5ELNS1_3repE0EEENS1_30default_config_static_selectorELNS0_4arch9wavefront6targetE1EEEvT1_,"axG",@progbits,_ZN7rocprim17ROCPRIM_400000_NS6detail17trampoline_kernelINS0_14default_configENS1_20scan_config_selectorIN3c107complexIdEEEEZZNS1_9scan_implILNS1_25lookback_scan_determinismE0ELb0ELb0ES3_PKS7_PS7_S7_ZZZN2at6native31launch_logcumsumexp_cuda_kernelERKNSE_10TensorBaseESI_lENKUlvE_clEvENKUlvE1_clEvEUlS7_S7_E_S7_EEDaPvRmT3_T4_T5_mT6_P12ihipStream_tbENKUlT_T0_E_clISt17integral_constantIbLb1EESY_IbLb0EEEEDaSU_SV_EUlSU_E_NS1_11comp_targetILNS1_3genE10ELNS1_11target_archE1201ELNS1_3gpuE5ELNS1_3repE0EEENS1_30default_config_static_selectorELNS0_4arch9wavefront6targetE1EEEvT1_,comdat
	.globl	_ZN7rocprim17ROCPRIM_400000_NS6detail17trampoline_kernelINS0_14default_configENS1_20scan_config_selectorIN3c107complexIdEEEEZZNS1_9scan_implILNS1_25lookback_scan_determinismE0ELb0ELb0ES3_PKS7_PS7_S7_ZZZN2at6native31launch_logcumsumexp_cuda_kernelERKNSE_10TensorBaseESI_lENKUlvE_clEvENKUlvE1_clEvEUlS7_S7_E_S7_EEDaPvRmT3_T4_T5_mT6_P12ihipStream_tbENKUlT_T0_E_clISt17integral_constantIbLb1EESY_IbLb0EEEEDaSU_SV_EUlSU_E_NS1_11comp_targetILNS1_3genE10ELNS1_11target_archE1201ELNS1_3gpuE5ELNS1_3repE0EEENS1_30default_config_static_selectorELNS0_4arch9wavefront6targetE1EEEvT1_ ; -- Begin function _ZN7rocprim17ROCPRIM_400000_NS6detail17trampoline_kernelINS0_14default_configENS1_20scan_config_selectorIN3c107complexIdEEEEZZNS1_9scan_implILNS1_25lookback_scan_determinismE0ELb0ELb0ES3_PKS7_PS7_S7_ZZZN2at6native31launch_logcumsumexp_cuda_kernelERKNSE_10TensorBaseESI_lENKUlvE_clEvENKUlvE1_clEvEUlS7_S7_E_S7_EEDaPvRmT3_T4_T5_mT6_P12ihipStream_tbENKUlT_T0_E_clISt17integral_constantIbLb1EESY_IbLb0EEEEDaSU_SV_EUlSU_E_NS1_11comp_targetILNS1_3genE10ELNS1_11target_archE1201ELNS1_3gpuE5ELNS1_3repE0EEENS1_30default_config_static_selectorELNS0_4arch9wavefront6targetE1EEEvT1_
	.p2align	8
	.type	_ZN7rocprim17ROCPRIM_400000_NS6detail17trampoline_kernelINS0_14default_configENS1_20scan_config_selectorIN3c107complexIdEEEEZZNS1_9scan_implILNS1_25lookback_scan_determinismE0ELb0ELb0ES3_PKS7_PS7_S7_ZZZN2at6native31launch_logcumsumexp_cuda_kernelERKNSE_10TensorBaseESI_lENKUlvE_clEvENKUlvE1_clEvEUlS7_S7_E_S7_EEDaPvRmT3_T4_T5_mT6_P12ihipStream_tbENKUlT_T0_E_clISt17integral_constantIbLb1EESY_IbLb0EEEEDaSU_SV_EUlSU_E_NS1_11comp_targetILNS1_3genE10ELNS1_11target_archE1201ELNS1_3gpuE5ELNS1_3repE0EEENS1_30default_config_static_selectorELNS0_4arch9wavefront6targetE1EEEvT1_,@function
_ZN7rocprim17ROCPRIM_400000_NS6detail17trampoline_kernelINS0_14default_configENS1_20scan_config_selectorIN3c107complexIdEEEEZZNS1_9scan_implILNS1_25lookback_scan_determinismE0ELb0ELb0ES3_PKS7_PS7_S7_ZZZN2at6native31launch_logcumsumexp_cuda_kernelERKNSE_10TensorBaseESI_lENKUlvE_clEvENKUlvE1_clEvEUlS7_S7_E_S7_EEDaPvRmT3_T4_T5_mT6_P12ihipStream_tbENKUlT_T0_E_clISt17integral_constantIbLb1EESY_IbLb0EEEEDaSU_SV_EUlSU_E_NS1_11comp_targetILNS1_3genE10ELNS1_11target_archE1201ELNS1_3gpuE5ELNS1_3repE0EEENS1_30default_config_static_selectorELNS0_4arch9wavefront6targetE1EEEvT1_: ; @_ZN7rocprim17ROCPRIM_400000_NS6detail17trampoline_kernelINS0_14default_configENS1_20scan_config_selectorIN3c107complexIdEEEEZZNS1_9scan_implILNS1_25lookback_scan_determinismE0ELb0ELb0ES3_PKS7_PS7_S7_ZZZN2at6native31launch_logcumsumexp_cuda_kernelERKNSE_10TensorBaseESI_lENKUlvE_clEvENKUlvE1_clEvEUlS7_S7_E_S7_EEDaPvRmT3_T4_T5_mT6_P12ihipStream_tbENKUlT_T0_E_clISt17integral_constantIbLb1EESY_IbLb0EEEEDaSU_SV_EUlSU_E_NS1_11comp_targetILNS1_3genE10ELNS1_11target_archE1201ELNS1_3gpuE5ELNS1_3repE0EEENS1_30default_config_static_selectorELNS0_4arch9wavefront6targetE1EEEvT1_
; %bb.0:
	.section	.rodata,"a",@progbits
	.p2align	6, 0x0
	.amdhsa_kernel _ZN7rocprim17ROCPRIM_400000_NS6detail17trampoline_kernelINS0_14default_configENS1_20scan_config_selectorIN3c107complexIdEEEEZZNS1_9scan_implILNS1_25lookback_scan_determinismE0ELb0ELb0ES3_PKS7_PS7_S7_ZZZN2at6native31launch_logcumsumexp_cuda_kernelERKNSE_10TensorBaseESI_lENKUlvE_clEvENKUlvE1_clEvEUlS7_S7_E_S7_EEDaPvRmT3_T4_T5_mT6_P12ihipStream_tbENKUlT_T0_E_clISt17integral_constantIbLb1EESY_IbLb0EEEEDaSU_SV_EUlSU_E_NS1_11comp_targetILNS1_3genE10ELNS1_11target_archE1201ELNS1_3gpuE5ELNS1_3repE0EEENS1_30default_config_static_selectorELNS0_4arch9wavefront6targetE1EEEvT1_
		.amdhsa_group_segment_fixed_size 0
		.amdhsa_private_segment_fixed_size 0
		.amdhsa_kernarg_size 128
		.amdhsa_user_sgpr_count 2
		.amdhsa_user_sgpr_dispatch_ptr 0
		.amdhsa_user_sgpr_queue_ptr 0
		.amdhsa_user_sgpr_kernarg_segment_ptr 1
		.amdhsa_user_sgpr_dispatch_id 0
		.amdhsa_user_sgpr_kernarg_preload_length 0
		.amdhsa_user_sgpr_kernarg_preload_offset 0
		.amdhsa_user_sgpr_private_segment_size 0
		.amdhsa_uses_dynamic_stack 0
		.amdhsa_enable_private_segment 0
		.amdhsa_system_sgpr_workgroup_id_x 1
		.amdhsa_system_sgpr_workgroup_id_y 0
		.amdhsa_system_sgpr_workgroup_id_z 0
		.amdhsa_system_sgpr_workgroup_info 0
		.amdhsa_system_vgpr_workitem_id 0
		.amdhsa_next_free_vgpr 1
		.amdhsa_next_free_sgpr 0
		.amdhsa_accum_offset 4
		.amdhsa_reserve_vcc 0
		.amdhsa_float_round_mode_32 0
		.amdhsa_float_round_mode_16_64 0
		.amdhsa_float_denorm_mode_32 3
		.amdhsa_float_denorm_mode_16_64 3
		.amdhsa_dx10_clamp 1
		.amdhsa_ieee_mode 1
		.amdhsa_fp16_overflow 0
		.amdhsa_tg_split 0
		.amdhsa_exception_fp_ieee_invalid_op 0
		.amdhsa_exception_fp_denorm_src 0
		.amdhsa_exception_fp_ieee_div_zero 0
		.amdhsa_exception_fp_ieee_overflow 0
		.amdhsa_exception_fp_ieee_underflow 0
		.amdhsa_exception_fp_ieee_inexact 0
		.amdhsa_exception_int_div_zero 0
	.end_amdhsa_kernel
	.section	.text._ZN7rocprim17ROCPRIM_400000_NS6detail17trampoline_kernelINS0_14default_configENS1_20scan_config_selectorIN3c107complexIdEEEEZZNS1_9scan_implILNS1_25lookback_scan_determinismE0ELb0ELb0ES3_PKS7_PS7_S7_ZZZN2at6native31launch_logcumsumexp_cuda_kernelERKNSE_10TensorBaseESI_lENKUlvE_clEvENKUlvE1_clEvEUlS7_S7_E_S7_EEDaPvRmT3_T4_T5_mT6_P12ihipStream_tbENKUlT_T0_E_clISt17integral_constantIbLb1EESY_IbLb0EEEEDaSU_SV_EUlSU_E_NS1_11comp_targetILNS1_3genE10ELNS1_11target_archE1201ELNS1_3gpuE5ELNS1_3repE0EEENS1_30default_config_static_selectorELNS0_4arch9wavefront6targetE1EEEvT1_,"axG",@progbits,_ZN7rocprim17ROCPRIM_400000_NS6detail17trampoline_kernelINS0_14default_configENS1_20scan_config_selectorIN3c107complexIdEEEEZZNS1_9scan_implILNS1_25lookback_scan_determinismE0ELb0ELb0ES3_PKS7_PS7_S7_ZZZN2at6native31launch_logcumsumexp_cuda_kernelERKNSE_10TensorBaseESI_lENKUlvE_clEvENKUlvE1_clEvEUlS7_S7_E_S7_EEDaPvRmT3_T4_T5_mT6_P12ihipStream_tbENKUlT_T0_E_clISt17integral_constantIbLb1EESY_IbLb0EEEEDaSU_SV_EUlSU_E_NS1_11comp_targetILNS1_3genE10ELNS1_11target_archE1201ELNS1_3gpuE5ELNS1_3repE0EEENS1_30default_config_static_selectorELNS0_4arch9wavefront6targetE1EEEvT1_,comdat
.Lfunc_end227:
	.size	_ZN7rocprim17ROCPRIM_400000_NS6detail17trampoline_kernelINS0_14default_configENS1_20scan_config_selectorIN3c107complexIdEEEEZZNS1_9scan_implILNS1_25lookback_scan_determinismE0ELb0ELb0ES3_PKS7_PS7_S7_ZZZN2at6native31launch_logcumsumexp_cuda_kernelERKNSE_10TensorBaseESI_lENKUlvE_clEvENKUlvE1_clEvEUlS7_S7_E_S7_EEDaPvRmT3_T4_T5_mT6_P12ihipStream_tbENKUlT_T0_E_clISt17integral_constantIbLb1EESY_IbLb0EEEEDaSU_SV_EUlSU_E_NS1_11comp_targetILNS1_3genE10ELNS1_11target_archE1201ELNS1_3gpuE5ELNS1_3repE0EEENS1_30default_config_static_selectorELNS0_4arch9wavefront6targetE1EEEvT1_, .Lfunc_end227-_ZN7rocprim17ROCPRIM_400000_NS6detail17trampoline_kernelINS0_14default_configENS1_20scan_config_selectorIN3c107complexIdEEEEZZNS1_9scan_implILNS1_25lookback_scan_determinismE0ELb0ELb0ES3_PKS7_PS7_S7_ZZZN2at6native31launch_logcumsumexp_cuda_kernelERKNSE_10TensorBaseESI_lENKUlvE_clEvENKUlvE1_clEvEUlS7_S7_E_S7_EEDaPvRmT3_T4_T5_mT6_P12ihipStream_tbENKUlT_T0_E_clISt17integral_constantIbLb1EESY_IbLb0EEEEDaSU_SV_EUlSU_E_NS1_11comp_targetILNS1_3genE10ELNS1_11target_archE1201ELNS1_3gpuE5ELNS1_3repE0EEENS1_30default_config_static_selectorELNS0_4arch9wavefront6targetE1EEEvT1_
                                        ; -- End function
	.set _ZN7rocprim17ROCPRIM_400000_NS6detail17trampoline_kernelINS0_14default_configENS1_20scan_config_selectorIN3c107complexIdEEEEZZNS1_9scan_implILNS1_25lookback_scan_determinismE0ELb0ELb0ES3_PKS7_PS7_S7_ZZZN2at6native31launch_logcumsumexp_cuda_kernelERKNSE_10TensorBaseESI_lENKUlvE_clEvENKUlvE1_clEvEUlS7_S7_E_S7_EEDaPvRmT3_T4_T5_mT6_P12ihipStream_tbENKUlT_T0_E_clISt17integral_constantIbLb1EESY_IbLb0EEEEDaSU_SV_EUlSU_E_NS1_11comp_targetILNS1_3genE10ELNS1_11target_archE1201ELNS1_3gpuE5ELNS1_3repE0EEENS1_30default_config_static_selectorELNS0_4arch9wavefront6targetE1EEEvT1_.num_vgpr, 0
	.set _ZN7rocprim17ROCPRIM_400000_NS6detail17trampoline_kernelINS0_14default_configENS1_20scan_config_selectorIN3c107complexIdEEEEZZNS1_9scan_implILNS1_25lookback_scan_determinismE0ELb0ELb0ES3_PKS7_PS7_S7_ZZZN2at6native31launch_logcumsumexp_cuda_kernelERKNSE_10TensorBaseESI_lENKUlvE_clEvENKUlvE1_clEvEUlS7_S7_E_S7_EEDaPvRmT3_T4_T5_mT6_P12ihipStream_tbENKUlT_T0_E_clISt17integral_constantIbLb1EESY_IbLb0EEEEDaSU_SV_EUlSU_E_NS1_11comp_targetILNS1_3genE10ELNS1_11target_archE1201ELNS1_3gpuE5ELNS1_3repE0EEENS1_30default_config_static_selectorELNS0_4arch9wavefront6targetE1EEEvT1_.num_agpr, 0
	.set _ZN7rocprim17ROCPRIM_400000_NS6detail17trampoline_kernelINS0_14default_configENS1_20scan_config_selectorIN3c107complexIdEEEEZZNS1_9scan_implILNS1_25lookback_scan_determinismE0ELb0ELb0ES3_PKS7_PS7_S7_ZZZN2at6native31launch_logcumsumexp_cuda_kernelERKNSE_10TensorBaseESI_lENKUlvE_clEvENKUlvE1_clEvEUlS7_S7_E_S7_EEDaPvRmT3_T4_T5_mT6_P12ihipStream_tbENKUlT_T0_E_clISt17integral_constantIbLb1EESY_IbLb0EEEEDaSU_SV_EUlSU_E_NS1_11comp_targetILNS1_3genE10ELNS1_11target_archE1201ELNS1_3gpuE5ELNS1_3repE0EEENS1_30default_config_static_selectorELNS0_4arch9wavefront6targetE1EEEvT1_.numbered_sgpr, 0
	.set _ZN7rocprim17ROCPRIM_400000_NS6detail17trampoline_kernelINS0_14default_configENS1_20scan_config_selectorIN3c107complexIdEEEEZZNS1_9scan_implILNS1_25lookback_scan_determinismE0ELb0ELb0ES3_PKS7_PS7_S7_ZZZN2at6native31launch_logcumsumexp_cuda_kernelERKNSE_10TensorBaseESI_lENKUlvE_clEvENKUlvE1_clEvEUlS7_S7_E_S7_EEDaPvRmT3_T4_T5_mT6_P12ihipStream_tbENKUlT_T0_E_clISt17integral_constantIbLb1EESY_IbLb0EEEEDaSU_SV_EUlSU_E_NS1_11comp_targetILNS1_3genE10ELNS1_11target_archE1201ELNS1_3gpuE5ELNS1_3repE0EEENS1_30default_config_static_selectorELNS0_4arch9wavefront6targetE1EEEvT1_.num_named_barrier, 0
	.set _ZN7rocprim17ROCPRIM_400000_NS6detail17trampoline_kernelINS0_14default_configENS1_20scan_config_selectorIN3c107complexIdEEEEZZNS1_9scan_implILNS1_25lookback_scan_determinismE0ELb0ELb0ES3_PKS7_PS7_S7_ZZZN2at6native31launch_logcumsumexp_cuda_kernelERKNSE_10TensorBaseESI_lENKUlvE_clEvENKUlvE1_clEvEUlS7_S7_E_S7_EEDaPvRmT3_T4_T5_mT6_P12ihipStream_tbENKUlT_T0_E_clISt17integral_constantIbLb1EESY_IbLb0EEEEDaSU_SV_EUlSU_E_NS1_11comp_targetILNS1_3genE10ELNS1_11target_archE1201ELNS1_3gpuE5ELNS1_3repE0EEENS1_30default_config_static_selectorELNS0_4arch9wavefront6targetE1EEEvT1_.private_seg_size, 0
	.set _ZN7rocprim17ROCPRIM_400000_NS6detail17trampoline_kernelINS0_14default_configENS1_20scan_config_selectorIN3c107complexIdEEEEZZNS1_9scan_implILNS1_25lookback_scan_determinismE0ELb0ELb0ES3_PKS7_PS7_S7_ZZZN2at6native31launch_logcumsumexp_cuda_kernelERKNSE_10TensorBaseESI_lENKUlvE_clEvENKUlvE1_clEvEUlS7_S7_E_S7_EEDaPvRmT3_T4_T5_mT6_P12ihipStream_tbENKUlT_T0_E_clISt17integral_constantIbLb1EESY_IbLb0EEEEDaSU_SV_EUlSU_E_NS1_11comp_targetILNS1_3genE10ELNS1_11target_archE1201ELNS1_3gpuE5ELNS1_3repE0EEENS1_30default_config_static_selectorELNS0_4arch9wavefront6targetE1EEEvT1_.uses_vcc, 0
	.set _ZN7rocprim17ROCPRIM_400000_NS6detail17trampoline_kernelINS0_14default_configENS1_20scan_config_selectorIN3c107complexIdEEEEZZNS1_9scan_implILNS1_25lookback_scan_determinismE0ELb0ELb0ES3_PKS7_PS7_S7_ZZZN2at6native31launch_logcumsumexp_cuda_kernelERKNSE_10TensorBaseESI_lENKUlvE_clEvENKUlvE1_clEvEUlS7_S7_E_S7_EEDaPvRmT3_T4_T5_mT6_P12ihipStream_tbENKUlT_T0_E_clISt17integral_constantIbLb1EESY_IbLb0EEEEDaSU_SV_EUlSU_E_NS1_11comp_targetILNS1_3genE10ELNS1_11target_archE1201ELNS1_3gpuE5ELNS1_3repE0EEENS1_30default_config_static_selectorELNS0_4arch9wavefront6targetE1EEEvT1_.uses_flat_scratch, 0
	.set _ZN7rocprim17ROCPRIM_400000_NS6detail17trampoline_kernelINS0_14default_configENS1_20scan_config_selectorIN3c107complexIdEEEEZZNS1_9scan_implILNS1_25lookback_scan_determinismE0ELb0ELb0ES3_PKS7_PS7_S7_ZZZN2at6native31launch_logcumsumexp_cuda_kernelERKNSE_10TensorBaseESI_lENKUlvE_clEvENKUlvE1_clEvEUlS7_S7_E_S7_EEDaPvRmT3_T4_T5_mT6_P12ihipStream_tbENKUlT_T0_E_clISt17integral_constantIbLb1EESY_IbLb0EEEEDaSU_SV_EUlSU_E_NS1_11comp_targetILNS1_3genE10ELNS1_11target_archE1201ELNS1_3gpuE5ELNS1_3repE0EEENS1_30default_config_static_selectorELNS0_4arch9wavefront6targetE1EEEvT1_.has_dyn_sized_stack, 0
	.set _ZN7rocprim17ROCPRIM_400000_NS6detail17trampoline_kernelINS0_14default_configENS1_20scan_config_selectorIN3c107complexIdEEEEZZNS1_9scan_implILNS1_25lookback_scan_determinismE0ELb0ELb0ES3_PKS7_PS7_S7_ZZZN2at6native31launch_logcumsumexp_cuda_kernelERKNSE_10TensorBaseESI_lENKUlvE_clEvENKUlvE1_clEvEUlS7_S7_E_S7_EEDaPvRmT3_T4_T5_mT6_P12ihipStream_tbENKUlT_T0_E_clISt17integral_constantIbLb1EESY_IbLb0EEEEDaSU_SV_EUlSU_E_NS1_11comp_targetILNS1_3genE10ELNS1_11target_archE1201ELNS1_3gpuE5ELNS1_3repE0EEENS1_30default_config_static_selectorELNS0_4arch9wavefront6targetE1EEEvT1_.has_recursion, 0
	.set _ZN7rocprim17ROCPRIM_400000_NS6detail17trampoline_kernelINS0_14default_configENS1_20scan_config_selectorIN3c107complexIdEEEEZZNS1_9scan_implILNS1_25lookback_scan_determinismE0ELb0ELb0ES3_PKS7_PS7_S7_ZZZN2at6native31launch_logcumsumexp_cuda_kernelERKNSE_10TensorBaseESI_lENKUlvE_clEvENKUlvE1_clEvEUlS7_S7_E_S7_EEDaPvRmT3_T4_T5_mT6_P12ihipStream_tbENKUlT_T0_E_clISt17integral_constantIbLb1EESY_IbLb0EEEEDaSU_SV_EUlSU_E_NS1_11comp_targetILNS1_3genE10ELNS1_11target_archE1201ELNS1_3gpuE5ELNS1_3repE0EEENS1_30default_config_static_selectorELNS0_4arch9wavefront6targetE1EEEvT1_.has_indirect_call, 0
	.section	.AMDGPU.csdata,"",@progbits
; Kernel info:
; codeLenInByte = 0
; TotalNumSgprs: 6
; NumVgprs: 0
; NumAgprs: 0
; TotalNumVgprs: 0
; ScratchSize: 0
; MemoryBound: 0
; FloatMode: 240
; IeeeMode: 1
; LDSByteSize: 0 bytes/workgroup (compile time only)
; SGPRBlocks: 0
; VGPRBlocks: 0
; NumSGPRsForWavesPerEU: 6
; NumVGPRsForWavesPerEU: 1
; AccumOffset: 4
; Occupancy: 8
; WaveLimiterHint : 0
; COMPUTE_PGM_RSRC2:SCRATCH_EN: 0
; COMPUTE_PGM_RSRC2:USER_SGPR: 2
; COMPUTE_PGM_RSRC2:TRAP_HANDLER: 0
; COMPUTE_PGM_RSRC2:TGID_X_EN: 1
; COMPUTE_PGM_RSRC2:TGID_Y_EN: 0
; COMPUTE_PGM_RSRC2:TGID_Z_EN: 0
; COMPUTE_PGM_RSRC2:TIDIG_COMP_CNT: 0
; COMPUTE_PGM_RSRC3_GFX90A:ACCUM_OFFSET: 0
; COMPUTE_PGM_RSRC3_GFX90A:TG_SPLIT: 0
	.section	.text._ZN7rocprim17ROCPRIM_400000_NS6detail17trampoline_kernelINS0_14default_configENS1_20scan_config_selectorIN3c107complexIdEEEEZZNS1_9scan_implILNS1_25lookback_scan_determinismE0ELb0ELb0ES3_PKS7_PS7_S7_ZZZN2at6native31launch_logcumsumexp_cuda_kernelERKNSE_10TensorBaseESI_lENKUlvE_clEvENKUlvE1_clEvEUlS7_S7_E_S7_EEDaPvRmT3_T4_T5_mT6_P12ihipStream_tbENKUlT_T0_E_clISt17integral_constantIbLb1EESY_IbLb0EEEEDaSU_SV_EUlSU_E_NS1_11comp_targetILNS1_3genE10ELNS1_11target_archE1200ELNS1_3gpuE4ELNS1_3repE0EEENS1_30default_config_static_selectorELNS0_4arch9wavefront6targetE1EEEvT1_,"axG",@progbits,_ZN7rocprim17ROCPRIM_400000_NS6detail17trampoline_kernelINS0_14default_configENS1_20scan_config_selectorIN3c107complexIdEEEEZZNS1_9scan_implILNS1_25lookback_scan_determinismE0ELb0ELb0ES3_PKS7_PS7_S7_ZZZN2at6native31launch_logcumsumexp_cuda_kernelERKNSE_10TensorBaseESI_lENKUlvE_clEvENKUlvE1_clEvEUlS7_S7_E_S7_EEDaPvRmT3_T4_T5_mT6_P12ihipStream_tbENKUlT_T0_E_clISt17integral_constantIbLb1EESY_IbLb0EEEEDaSU_SV_EUlSU_E_NS1_11comp_targetILNS1_3genE10ELNS1_11target_archE1200ELNS1_3gpuE4ELNS1_3repE0EEENS1_30default_config_static_selectorELNS0_4arch9wavefront6targetE1EEEvT1_,comdat
	.globl	_ZN7rocprim17ROCPRIM_400000_NS6detail17trampoline_kernelINS0_14default_configENS1_20scan_config_selectorIN3c107complexIdEEEEZZNS1_9scan_implILNS1_25lookback_scan_determinismE0ELb0ELb0ES3_PKS7_PS7_S7_ZZZN2at6native31launch_logcumsumexp_cuda_kernelERKNSE_10TensorBaseESI_lENKUlvE_clEvENKUlvE1_clEvEUlS7_S7_E_S7_EEDaPvRmT3_T4_T5_mT6_P12ihipStream_tbENKUlT_T0_E_clISt17integral_constantIbLb1EESY_IbLb0EEEEDaSU_SV_EUlSU_E_NS1_11comp_targetILNS1_3genE10ELNS1_11target_archE1200ELNS1_3gpuE4ELNS1_3repE0EEENS1_30default_config_static_selectorELNS0_4arch9wavefront6targetE1EEEvT1_ ; -- Begin function _ZN7rocprim17ROCPRIM_400000_NS6detail17trampoline_kernelINS0_14default_configENS1_20scan_config_selectorIN3c107complexIdEEEEZZNS1_9scan_implILNS1_25lookback_scan_determinismE0ELb0ELb0ES3_PKS7_PS7_S7_ZZZN2at6native31launch_logcumsumexp_cuda_kernelERKNSE_10TensorBaseESI_lENKUlvE_clEvENKUlvE1_clEvEUlS7_S7_E_S7_EEDaPvRmT3_T4_T5_mT6_P12ihipStream_tbENKUlT_T0_E_clISt17integral_constantIbLb1EESY_IbLb0EEEEDaSU_SV_EUlSU_E_NS1_11comp_targetILNS1_3genE10ELNS1_11target_archE1200ELNS1_3gpuE4ELNS1_3repE0EEENS1_30default_config_static_selectorELNS0_4arch9wavefront6targetE1EEEvT1_
	.p2align	8
	.type	_ZN7rocprim17ROCPRIM_400000_NS6detail17trampoline_kernelINS0_14default_configENS1_20scan_config_selectorIN3c107complexIdEEEEZZNS1_9scan_implILNS1_25lookback_scan_determinismE0ELb0ELb0ES3_PKS7_PS7_S7_ZZZN2at6native31launch_logcumsumexp_cuda_kernelERKNSE_10TensorBaseESI_lENKUlvE_clEvENKUlvE1_clEvEUlS7_S7_E_S7_EEDaPvRmT3_T4_T5_mT6_P12ihipStream_tbENKUlT_T0_E_clISt17integral_constantIbLb1EESY_IbLb0EEEEDaSU_SV_EUlSU_E_NS1_11comp_targetILNS1_3genE10ELNS1_11target_archE1200ELNS1_3gpuE4ELNS1_3repE0EEENS1_30default_config_static_selectorELNS0_4arch9wavefront6targetE1EEEvT1_,@function
_ZN7rocprim17ROCPRIM_400000_NS6detail17trampoline_kernelINS0_14default_configENS1_20scan_config_selectorIN3c107complexIdEEEEZZNS1_9scan_implILNS1_25lookback_scan_determinismE0ELb0ELb0ES3_PKS7_PS7_S7_ZZZN2at6native31launch_logcumsumexp_cuda_kernelERKNSE_10TensorBaseESI_lENKUlvE_clEvENKUlvE1_clEvEUlS7_S7_E_S7_EEDaPvRmT3_T4_T5_mT6_P12ihipStream_tbENKUlT_T0_E_clISt17integral_constantIbLb1EESY_IbLb0EEEEDaSU_SV_EUlSU_E_NS1_11comp_targetILNS1_3genE10ELNS1_11target_archE1200ELNS1_3gpuE4ELNS1_3repE0EEENS1_30default_config_static_selectorELNS0_4arch9wavefront6targetE1EEEvT1_: ; @_ZN7rocprim17ROCPRIM_400000_NS6detail17trampoline_kernelINS0_14default_configENS1_20scan_config_selectorIN3c107complexIdEEEEZZNS1_9scan_implILNS1_25lookback_scan_determinismE0ELb0ELb0ES3_PKS7_PS7_S7_ZZZN2at6native31launch_logcumsumexp_cuda_kernelERKNSE_10TensorBaseESI_lENKUlvE_clEvENKUlvE1_clEvEUlS7_S7_E_S7_EEDaPvRmT3_T4_T5_mT6_P12ihipStream_tbENKUlT_T0_E_clISt17integral_constantIbLb1EESY_IbLb0EEEEDaSU_SV_EUlSU_E_NS1_11comp_targetILNS1_3genE10ELNS1_11target_archE1200ELNS1_3gpuE4ELNS1_3repE0EEENS1_30default_config_static_selectorELNS0_4arch9wavefront6targetE1EEEvT1_
; %bb.0:
	.section	.rodata,"a",@progbits
	.p2align	6, 0x0
	.amdhsa_kernel _ZN7rocprim17ROCPRIM_400000_NS6detail17trampoline_kernelINS0_14default_configENS1_20scan_config_selectorIN3c107complexIdEEEEZZNS1_9scan_implILNS1_25lookback_scan_determinismE0ELb0ELb0ES3_PKS7_PS7_S7_ZZZN2at6native31launch_logcumsumexp_cuda_kernelERKNSE_10TensorBaseESI_lENKUlvE_clEvENKUlvE1_clEvEUlS7_S7_E_S7_EEDaPvRmT3_T4_T5_mT6_P12ihipStream_tbENKUlT_T0_E_clISt17integral_constantIbLb1EESY_IbLb0EEEEDaSU_SV_EUlSU_E_NS1_11comp_targetILNS1_3genE10ELNS1_11target_archE1200ELNS1_3gpuE4ELNS1_3repE0EEENS1_30default_config_static_selectorELNS0_4arch9wavefront6targetE1EEEvT1_
		.amdhsa_group_segment_fixed_size 0
		.amdhsa_private_segment_fixed_size 0
		.amdhsa_kernarg_size 128
		.amdhsa_user_sgpr_count 2
		.amdhsa_user_sgpr_dispatch_ptr 0
		.amdhsa_user_sgpr_queue_ptr 0
		.amdhsa_user_sgpr_kernarg_segment_ptr 1
		.amdhsa_user_sgpr_dispatch_id 0
		.amdhsa_user_sgpr_kernarg_preload_length 0
		.amdhsa_user_sgpr_kernarg_preload_offset 0
		.amdhsa_user_sgpr_private_segment_size 0
		.amdhsa_uses_dynamic_stack 0
		.amdhsa_enable_private_segment 0
		.amdhsa_system_sgpr_workgroup_id_x 1
		.amdhsa_system_sgpr_workgroup_id_y 0
		.amdhsa_system_sgpr_workgroup_id_z 0
		.amdhsa_system_sgpr_workgroup_info 0
		.amdhsa_system_vgpr_workitem_id 0
		.amdhsa_next_free_vgpr 1
		.amdhsa_next_free_sgpr 0
		.amdhsa_accum_offset 4
		.amdhsa_reserve_vcc 0
		.amdhsa_float_round_mode_32 0
		.amdhsa_float_round_mode_16_64 0
		.amdhsa_float_denorm_mode_32 3
		.amdhsa_float_denorm_mode_16_64 3
		.amdhsa_dx10_clamp 1
		.amdhsa_ieee_mode 1
		.amdhsa_fp16_overflow 0
		.amdhsa_tg_split 0
		.amdhsa_exception_fp_ieee_invalid_op 0
		.amdhsa_exception_fp_denorm_src 0
		.amdhsa_exception_fp_ieee_div_zero 0
		.amdhsa_exception_fp_ieee_overflow 0
		.amdhsa_exception_fp_ieee_underflow 0
		.amdhsa_exception_fp_ieee_inexact 0
		.amdhsa_exception_int_div_zero 0
	.end_amdhsa_kernel
	.section	.text._ZN7rocprim17ROCPRIM_400000_NS6detail17trampoline_kernelINS0_14default_configENS1_20scan_config_selectorIN3c107complexIdEEEEZZNS1_9scan_implILNS1_25lookback_scan_determinismE0ELb0ELb0ES3_PKS7_PS7_S7_ZZZN2at6native31launch_logcumsumexp_cuda_kernelERKNSE_10TensorBaseESI_lENKUlvE_clEvENKUlvE1_clEvEUlS7_S7_E_S7_EEDaPvRmT3_T4_T5_mT6_P12ihipStream_tbENKUlT_T0_E_clISt17integral_constantIbLb1EESY_IbLb0EEEEDaSU_SV_EUlSU_E_NS1_11comp_targetILNS1_3genE10ELNS1_11target_archE1200ELNS1_3gpuE4ELNS1_3repE0EEENS1_30default_config_static_selectorELNS0_4arch9wavefront6targetE1EEEvT1_,"axG",@progbits,_ZN7rocprim17ROCPRIM_400000_NS6detail17trampoline_kernelINS0_14default_configENS1_20scan_config_selectorIN3c107complexIdEEEEZZNS1_9scan_implILNS1_25lookback_scan_determinismE0ELb0ELb0ES3_PKS7_PS7_S7_ZZZN2at6native31launch_logcumsumexp_cuda_kernelERKNSE_10TensorBaseESI_lENKUlvE_clEvENKUlvE1_clEvEUlS7_S7_E_S7_EEDaPvRmT3_T4_T5_mT6_P12ihipStream_tbENKUlT_T0_E_clISt17integral_constantIbLb1EESY_IbLb0EEEEDaSU_SV_EUlSU_E_NS1_11comp_targetILNS1_3genE10ELNS1_11target_archE1200ELNS1_3gpuE4ELNS1_3repE0EEENS1_30default_config_static_selectorELNS0_4arch9wavefront6targetE1EEEvT1_,comdat
.Lfunc_end228:
	.size	_ZN7rocprim17ROCPRIM_400000_NS6detail17trampoline_kernelINS0_14default_configENS1_20scan_config_selectorIN3c107complexIdEEEEZZNS1_9scan_implILNS1_25lookback_scan_determinismE0ELb0ELb0ES3_PKS7_PS7_S7_ZZZN2at6native31launch_logcumsumexp_cuda_kernelERKNSE_10TensorBaseESI_lENKUlvE_clEvENKUlvE1_clEvEUlS7_S7_E_S7_EEDaPvRmT3_T4_T5_mT6_P12ihipStream_tbENKUlT_T0_E_clISt17integral_constantIbLb1EESY_IbLb0EEEEDaSU_SV_EUlSU_E_NS1_11comp_targetILNS1_3genE10ELNS1_11target_archE1200ELNS1_3gpuE4ELNS1_3repE0EEENS1_30default_config_static_selectorELNS0_4arch9wavefront6targetE1EEEvT1_, .Lfunc_end228-_ZN7rocprim17ROCPRIM_400000_NS6detail17trampoline_kernelINS0_14default_configENS1_20scan_config_selectorIN3c107complexIdEEEEZZNS1_9scan_implILNS1_25lookback_scan_determinismE0ELb0ELb0ES3_PKS7_PS7_S7_ZZZN2at6native31launch_logcumsumexp_cuda_kernelERKNSE_10TensorBaseESI_lENKUlvE_clEvENKUlvE1_clEvEUlS7_S7_E_S7_EEDaPvRmT3_T4_T5_mT6_P12ihipStream_tbENKUlT_T0_E_clISt17integral_constantIbLb1EESY_IbLb0EEEEDaSU_SV_EUlSU_E_NS1_11comp_targetILNS1_3genE10ELNS1_11target_archE1200ELNS1_3gpuE4ELNS1_3repE0EEENS1_30default_config_static_selectorELNS0_4arch9wavefront6targetE1EEEvT1_
                                        ; -- End function
	.set _ZN7rocprim17ROCPRIM_400000_NS6detail17trampoline_kernelINS0_14default_configENS1_20scan_config_selectorIN3c107complexIdEEEEZZNS1_9scan_implILNS1_25lookback_scan_determinismE0ELb0ELb0ES3_PKS7_PS7_S7_ZZZN2at6native31launch_logcumsumexp_cuda_kernelERKNSE_10TensorBaseESI_lENKUlvE_clEvENKUlvE1_clEvEUlS7_S7_E_S7_EEDaPvRmT3_T4_T5_mT6_P12ihipStream_tbENKUlT_T0_E_clISt17integral_constantIbLb1EESY_IbLb0EEEEDaSU_SV_EUlSU_E_NS1_11comp_targetILNS1_3genE10ELNS1_11target_archE1200ELNS1_3gpuE4ELNS1_3repE0EEENS1_30default_config_static_selectorELNS0_4arch9wavefront6targetE1EEEvT1_.num_vgpr, 0
	.set _ZN7rocprim17ROCPRIM_400000_NS6detail17trampoline_kernelINS0_14default_configENS1_20scan_config_selectorIN3c107complexIdEEEEZZNS1_9scan_implILNS1_25lookback_scan_determinismE0ELb0ELb0ES3_PKS7_PS7_S7_ZZZN2at6native31launch_logcumsumexp_cuda_kernelERKNSE_10TensorBaseESI_lENKUlvE_clEvENKUlvE1_clEvEUlS7_S7_E_S7_EEDaPvRmT3_T4_T5_mT6_P12ihipStream_tbENKUlT_T0_E_clISt17integral_constantIbLb1EESY_IbLb0EEEEDaSU_SV_EUlSU_E_NS1_11comp_targetILNS1_3genE10ELNS1_11target_archE1200ELNS1_3gpuE4ELNS1_3repE0EEENS1_30default_config_static_selectorELNS0_4arch9wavefront6targetE1EEEvT1_.num_agpr, 0
	.set _ZN7rocprim17ROCPRIM_400000_NS6detail17trampoline_kernelINS0_14default_configENS1_20scan_config_selectorIN3c107complexIdEEEEZZNS1_9scan_implILNS1_25lookback_scan_determinismE0ELb0ELb0ES3_PKS7_PS7_S7_ZZZN2at6native31launch_logcumsumexp_cuda_kernelERKNSE_10TensorBaseESI_lENKUlvE_clEvENKUlvE1_clEvEUlS7_S7_E_S7_EEDaPvRmT3_T4_T5_mT6_P12ihipStream_tbENKUlT_T0_E_clISt17integral_constantIbLb1EESY_IbLb0EEEEDaSU_SV_EUlSU_E_NS1_11comp_targetILNS1_3genE10ELNS1_11target_archE1200ELNS1_3gpuE4ELNS1_3repE0EEENS1_30default_config_static_selectorELNS0_4arch9wavefront6targetE1EEEvT1_.numbered_sgpr, 0
	.set _ZN7rocprim17ROCPRIM_400000_NS6detail17trampoline_kernelINS0_14default_configENS1_20scan_config_selectorIN3c107complexIdEEEEZZNS1_9scan_implILNS1_25lookback_scan_determinismE0ELb0ELb0ES3_PKS7_PS7_S7_ZZZN2at6native31launch_logcumsumexp_cuda_kernelERKNSE_10TensorBaseESI_lENKUlvE_clEvENKUlvE1_clEvEUlS7_S7_E_S7_EEDaPvRmT3_T4_T5_mT6_P12ihipStream_tbENKUlT_T0_E_clISt17integral_constantIbLb1EESY_IbLb0EEEEDaSU_SV_EUlSU_E_NS1_11comp_targetILNS1_3genE10ELNS1_11target_archE1200ELNS1_3gpuE4ELNS1_3repE0EEENS1_30default_config_static_selectorELNS0_4arch9wavefront6targetE1EEEvT1_.num_named_barrier, 0
	.set _ZN7rocprim17ROCPRIM_400000_NS6detail17trampoline_kernelINS0_14default_configENS1_20scan_config_selectorIN3c107complexIdEEEEZZNS1_9scan_implILNS1_25lookback_scan_determinismE0ELb0ELb0ES3_PKS7_PS7_S7_ZZZN2at6native31launch_logcumsumexp_cuda_kernelERKNSE_10TensorBaseESI_lENKUlvE_clEvENKUlvE1_clEvEUlS7_S7_E_S7_EEDaPvRmT3_T4_T5_mT6_P12ihipStream_tbENKUlT_T0_E_clISt17integral_constantIbLb1EESY_IbLb0EEEEDaSU_SV_EUlSU_E_NS1_11comp_targetILNS1_3genE10ELNS1_11target_archE1200ELNS1_3gpuE4ELNS1_3repE0EEENS1_30default_config_static_selectorELNS0_4arch9wavefront6targetE1EEEvT1_.private_seg_size, 0
	.set _ZN7rocprim17ROCPRIM_400000_NS6detail17trampoline_kernelINS0_14default_configENS1_20scan_config_selectorIN3c107complexIdEEEEZZNS1_9scan_implILNS1_25lookback_scan_determinismE0ELb0ELb0ES3_PKS7_PS7_S7_ZZZN2at6native31launch_logcumsumexp_cuda_kernelERKNSE_10TensorBaseESI_lENKUlvE_clEvENKUlvE1_clEvEUlS7_S7_E_S7_EEDaPvRmT3_T4_T5_mT6_P12ihipStream_tbENKUlT_T0_E_clISt17integral_constantIbLb1EESY_IbLb0EEEEDaSU_SV_EUlSU_E_NS1_11comp_targetILNS1_3genE10ELNS1_11target_archE1200ELNS1_3gpuE4ELNS1_3repE0EEENS1_30default_config_static_selectorELNS0_4arch9wavefront6targetE1EEEvT1_.uses_vcc, 0
	.set _ZN7rocprim17ROCPRIM_400000_NS6detail17trampoline_kernelINS0_14default_configENS1_20scan_config_selectorIN3c107complexIdEEEEZZNS1_9scan_implILNS1_25lookback_scan_determinismE0ELb0ELb0ES3_PKS7_PS7_S7_ZZZN2at6native31launch_logcumsumexp_cuda_kernelERKNSE_10TensorBaseESI_lENKUlvE_clEvENKUlvE1_clEvEUlS7_S7_E_S7_EEDaPvRmT3_T4_T5_mT6_P12ihipStream_tbENKUlT_T0_E_clISt17integral_constantIbLb1EESY_IbLb0EEEEDaSU_SV_EUlSU_E_NS1_11comp_targetILNS1_3genE10ELNS1_11target_archE1200ELNS1_3gpuE4ELNS1_3repE0EEENS1_30default_config_static_selectorELNS0_4arch9wavefront6targetE1EEEvT1_.uses_flat_scratch, 0
	.set _ZN7rocprim17ROCPRIM_400000_NS6detail17trampoline_kernelINS0_14default_configENS1_20scan_config_selectorIN3c107complexIdEEEEZZNS1_9scan_implILNS1_25lookback_scan_determinismE0ELb0ELb0ES3_PKS7_PS7_S7_ZZZN2at6native31launch_logcumsumexp_cuda_kernelERKNSE_10TensorBaseESI_lENKUlvE_clEvENKUlvE1_clEvEUlS7_S7_E_S7_EEDaPvRmT3_T4_T5_mT6_P12ihipStream_tbENKUlT_T0_E_clISt17integral_constantIbLb1EESY_IbLb0EEEEDaSU_SV_EUlSU_E_NS1_11comp_targetILNS1_3genE10ELNS1_11target_archE1200ELNS1_3gpuE4ELNS1_3repE0EEENS1_30default_config_static_selectorELNS0_4arch9wavefront6targetE1EEEvT1_.has_dyn_sized_stack, 0
	.set _ZN7rocprim17ROCPRIM_400000_NS6detail17trampoline_kernelINS0_14default_configENS1_20scan_config_selectorIN3c107complexIdEEEEZZNS1_9scan_implILNS1_25lookback_scan_determinismE0ELb0ELb0ES3_PKS7_PS7_S7_ZZZN2at6native31launch_logcumsumexp_cuda_kernelERKNSE_10TensorBaseESI_lENKUlvE_clEvENKUlvE1_clEvEUlS7_S7_E_S7_EEDaPvRmT3_T4_T5_mT6_P12ihipStream_tbENKUlT_T0_E_clISt17integral_constantIbLb1EESY_IbLb0EEEEDaSU_SV_EUlSU_E_NS1_11comp_targetILNS1_3genE10ELNS1_11target_archE1200ELNS1_3gpuE4ELNS1_3repE0EEENS1_30default_config_static_selectorELNS0_4arch9wavefront6targetE1EEEvT1_.has_recursion, 0
	.set _ZN7rocprim17ROCPRIM_400000_NS6detail17trampoline_kernelINS0_14default_configENS1_20scan_config_selectorIN3c107complexIdEEEEZZNS1_9scan_implILNS1_25lookback_scan_determinismE0ELb0ELb0ES3_PKS7_PS7_S7_ZZZN2at6native31launch_logcumsumexp_cuda_kernelERKNSE_10TensorBaseESI_lENKUlvE_clEvENKUlvE1_clEvEUlS7_S7_E_S7_EEDaPvRmT3_T4_T5_mT6_P12ihipStream_tbENKUlT_T0_E_clISt17integral_constantIbLb1EESY_IbLb0EEEEDaSU_SV_EUlSU_E_NS1_11comp_targetILNS1_3genE10ELNS1_11target_archE1200ELNS1_3gpuE4ELNS1_3repE0EEENS1_30default_config_static_selectorELNS0_4arch9wavefront6targetE1EEEvT1_.has_indirect_call, 0
	.section	.AMDGPU.csdata,"",@progbits
; Kernel info:
; codeLenInByte = 0
; TotalNumSgprs: 6
; NumVgprs: 0
; NumAgprs: 0
; TotalNumVgprs: 0
; ScratchSize: 0
; MemoryBound: 0
; FloatMode: 240
; IeeeMode: 1
; LDSByteSize: 0 bytes/workgroup (compile time only)
; SGPRBlocks: 0
; VGPRBlocks: 0
; NumSGPRsForWavesPerEU: 6
; NumVGPRsForWavesPerEU: 1
; AccumOffset: 4
; Occupancy: 8
; WaveLimiterHint : 0
; COMPUTE_PGM_RSRC2:SCRATCH_EN: 0
; COMPUTE_PGM_RSRC2:USER_SGPR: 2
; COMPUTE_PGM_RSRC2:TRAP_HANDLER: 0
; COMPUTE_PGM_RSRC2:TGID_X_EN: 1
; COMPUTE_PGM_RSRC2:TGID_Y_EN: 0
; COMPUTE_PGM_RSRC2:TGID_Z_EN: 0
; COMPUTE_PGM_RSRC2:TIDIG_COMP_CNT: 0
; COMPUTE_PGM_RSRC3_GFX90A:ACCUM_OFFSET: 0
; COMPUTE_PGM_RSRC3_GFX90A:TG_SPLIT: 0
	.section	.text._ZN7rocprim17ROCPRIM_400000_NS6detail17trampoline_kernelINS0_14default_configENS1_20scan_config_selectorIN3c107complexIdEEEEZZNS1_9scan_implILNS1_25lookback_scan_determinismE0ELb0ELb0ES3_PKS7_PS7_S7_ZZZN2at6native31launch_logcumsumexp_cuda_kernelERKNSE_10TensorBaseESI_lENKUlvE_clEvENKUlvE1_clEvEUlS7_S7_E_S7_EEDaPvRmT3_T4_T5_mT6_P12ihipStream_tbENKUlT_T0_E_clISt17integral_constantIbLb1EESY_IbLb0EEEEDaSU_SV_EUlSU_E_NS1_11comp_targetILNS1_3genE9ELNS1_11target_archE1100ELNS1_3gpuE3ELNS1_3repE0EEENS1_30default_config_static_selectorELNS0_4arch9wavefront6targetE1EEEvT1_,"axG",@progbits,_ZN7rocprim17ROCPRIM_400000_NS6detail17trampoline_kernelINS0_14default_configENS1_20scan_config_selectorIN3c107complexIdEEEEZZNS1_9scan_implILNS1_25lookback_scan_determinismE0ELb0ELb0ES3_PKS7_PS7_S7_ZZZN2at6native31launch_logcumsumexp_cuda_kernelERKNSE_10TensorBaseESI_lENKUlvE_clEvENKUlvE1_clEvEUlS7_S7_E_S7_EEDaPvRmT3_T4_T5_mT6_P12ihipStream_tbENKUlT_T0_E_clISt17integral_constantIbLb1EESY_IbLb0EEEEDaSU_SV_EUlSU_E_NS1_11comp_targetILNS1_3genE9ELNS1_11target_archE1100ELNS1_3gpuE3ELNS1_3repE0EEENS1_30default_config_static_selectorELNS0_4arch9wavefront6targetE1EEEvT1_,comdat
	.globl	_ZN7rocprim17ROCPRIM_400000_NS6detail17trampoline_kernelINS0_14default_configENS1_20scan_config_selectorIN3c107complexIdEEEEZZNS1_9scan_implILNS1_25lookback_scan_determinismE0ELb0ELb0ES3_PKS7_PS7_S7_ZZZN2at6native31launch_logcumsumexp_cuda_kernelERKNSE_10TensorBaseESI_lENKUlvE_clEvENKUlvE1_clEvEUlS7_S7_E_S7_EEDaPvRmT3_T4_T5_mT6_P12ihipStream_tbENKUlT_T0_E_clISt17integral_constantIbLb1EESY_IbLb0EEEEDaSU_SV_EUlSU_E_NS1_11comp_targetILNS1_3genE9ELNS1_11target_archE1100ELNS1_3gpuE3ELNS1_3repE0EEENS1_30default_config_static_selectorELNS0_4arch9wavefront6targetE1EEEvT1_ ; -- Begin function _ZN7rocprim17ROCPRIM_400000_NS6detail17trampoline_kernelINS0_14default_configENS1_20scan_config_selectorIN3c107complexIdEEEEZZNS1_9scan_implILNS1_25lookback_scan_determinismE0ELb0ELb0ES3_PKS7_PS7_S7_ZZZN2at6native31launch_logcumsumexp_cuda_kernelERKNSE_10TensorBaseESI_lENKUlvE_clEvENKUlvE1_clEvEUlS7_S7_E_S7_EEDaPvRmT3_T4_T5_mT6_P12ihipStream_tbENKUlT_T0_E_clISt17integral_constantIbLb1EESY_IbLb0EEEEDaSU_SV_EUlSU_E_NS1_11comp_targetILNS1_3genE9ELNS1_11target_archE1100ELNS1_3gpuE3ELNS1_3repE0EEENS1_30default_config_static_selectorELNS0_4arch9wavefront6targetE1EEEvT1_
	.p2align	8
	.type	_ZN7rocprim17ROCPRIM_400000_NS6detail17trampoline_kernelINS0_14default_configENS1_20scan_config_selectorIN3c107complexIdEEEEZZNS1_9scan_implILNS1_25lookback_scan_determinismE0ELb0ELb0ES3_PKS7_PS7_S7_ZZZN2at6native31launch_logcumsumexp_cuda_kernelERKNSE_10TensorBaseESI_lENKUlvE_clEvENKUlvE1_clEvEUlS7_S7_E_S7_EEDaPvRmT3_T4_T5_mT6_P12ihipStream_tbENKUlT_T0_E_clISt17integral_constantIbLb1EESY_IbLb0EEEEDaSU_SV_EUlSU_E_NS1_11comp_targetILNS1_3genE9ELNS1_11target_archE1100ELNS1_3gpuE3ELNS1_3repE0EEENS1_30default_config_static_selectorELNS0_4arch9wavefront6targetE1EEEvT1_,@function
_ZN7rocprim17ROCPRIM_400000_NS6detail17trampoline_kernelINS0_14default_configENS1_20scan_config_selectorIN3c107complexIdEEEEZZNS1_9scan_implILNS1_25lookback_scan_determinismE0ELb0ELb0ES3_PKS7_PS7_S7_ZZZN2at6native31launch_logcumsumexp_cuda_kernelERKNSE_10TensorBaseESI_lENKUlvE_clEvENKUlvE1_clEvEUlS7_S7_E_S7_EEDaPvRmT3_T4_T5_mT6_P12ihipStream_tbENKUlT_T0_E_clISt17integral_constantIbLb1EESY_IbLb0EEEEDaSU_SV_EUlSU_E_NS1_11comp_targetILNS1_3genE9ELNS1_11target_archE1100ELNS1_3gpuE3ELNS1_3repE0EEENS1_30default_config_static_selectorELNS0_4arch9wavefront6targetE1EEEvT1_: ; @_ZN7rocprim17ROCPRIM_400000_NS6detail17trampoline_kernelINS0_14default_configENS1_20scan_config_selectorIN3c107complexIdEEEEZZNS1_9scan_implILNS1_25lookback_scan_determinismE0ELb0ELb0ES3_PKS7_PS7_S7_ZZZN2at6native31launch_logcumsumexp_cuda_kernelERKNSE_10TensorBaseESI_lENKUlvE_clEvENKUlvE1_clEvEUlS7_S7_E_S7_EEDaPvRmT3_T4_T5_mT6_P12ihipStream_tbENKUlT_T0_E_clISt17integral_constantIbLb1EESY_IbLb0EEEEDaSU_SV_EUlSU_E_NS1_11comp_targetILNS1_3genE9ELNS1_11target_archE1100ELNS1_3gpuE3ELNS1_3repE0EEENS1_30default_config_static_selectorELNS0_4arch9wavefront6targetE1EEEvT1_
; %bb.0:
	.section	.rodata,"a",@progbits
	.p2align	6, 0x0
	.amdhsa_kernel _ZN7rocprim17ROCPRIM_400000_NS6detail17trampoline_kernelINS0_14default_configENS1_20scan_config_selectorIN3c107complexIdEEEEZZNS1_9scan_implILNS1_25lookback_scan_determinismE0ELb0ELb0ES3_PKS7_PS7_S7_ZZZN2at6native31launch_logcumsumexp_cuda_kernelERKNSE_10TensorBaseESI_lENKUlvE_clEvENKUlvE1_clEvEUlS7_S7_E_S7_EEDaPvRmT3_T4_T5_mT6_P12ihipStream_tbENKUlT_T0_E_clISt17integral_constantIbLb1EESY_IbLb0EEEEDaSU_SV_EUlSU_E_NS1_11comp_targetILNS1_3genE9ELNS1_11target_archE1100ELNS1_3gpuE3ELNS1_3repE0EEENS1_30default_config_static_selectorELNS0_4arch9wavefront6targetE1EEEvT1_
		.amdhsa_group_segment_fixed_size 0
		.amdhsa_private_segment_fixed_size 0
		.amdhsa_kernarg_size 128
		.amdhsa_user_sgpr_count 2
		.amdhsa_user_sgpr_dispatch_ptr 0
		.amdhsa_user_sgpr_queue_ptr 0
		.amdhsa_user_sgpr_kernarg_segment_ptr 1
		.amdhsa_user_sgpr_dispatch_id 0
		.amdhsa_user_sgpr_kernarg_preload_length 0
		.amdhsa_user_sgpr_kernarg_preload_offset 0
		.amdhsa_user_sgpr_private_segment_size 0
		.amdhsa_uses_dynamic_stack 0
		.amdhsa_enable_private_segment 0
		.amdhsa_system_sgpr_workgroup_id_x 1
		.amdhsa_system_sgpr_workgroup_id_y 0
		.amdhsa_system_sgpr_workgroup_id_z 0
		.amdhsa_system_sgpr_workgroup_info 0
		.amdhsa_system_vgpr_workitem_id 0
		.amdhsa_next_free_vgpr 1
		.amdhsa_next_free_sgpr 0
		.amdhsa_accum_offset 4
		.amdhsa_reserve_vcc 0
		.amdhsa_float_round_mode_32 0
		.amdhsa_float_round_mode_16_64 0
		.amdhsa_float_denorm_mode_32 3
		.amdhsa_float_denorm_mode_16_64 3
		.amdhsa_dx10_clamp 1
		.amdhsa_ieee_mode 1
		.amdhsa_fp16_overflow 0
		.amdhsa_tg_split 0
		.amdhsa_exception_fp_ieee_invalid_op 0
		.amdhsa_exception_fp_denorm_src 0
		.amdhsa_exception_fp_ieee_div_zero 0
		.amdhsa_exception_fp_ieee_overflow 0
		.amdhsa_exception_fp_ieee_underflow 0
		.amdhsa_exception_fp_ieee_inexact 0
		.amdhsa_exception_int_div_zero 0
	.end_amdhsa_kernel
	.section	.text._ZN7rocprim17ROCPRIM_400000_NS6detail17trampoline_kernelINS0_14default_configENS1_20scan_config_selectorIN3c107complexIdEEEEZZNS1_9scan_implILNS1_25lookback_scan_determinismE0ELb0ELb0ES3_PKS7_PS7_S7_ZZZN2at6native31launch_logcumsumexp_cuda_kernelERKNSE_10TensorBaseESI_lENKUlvE_clEvENKUlvE1_clEvEUlS7_S7_E_S7_EEDaPvRmT3_T4_T5_mT6_P12ihipStream_tbENKUlT_T0_E_clISt17integral_constantIbLb1EESY_IbLb0EEEEDaSU_SV_EUlSU_E_NS1_11comp_targetILNS1_3genE9ELNS1_11target_archE1100ELNS1_3gpuE3ELNS1_3repE0EEENS1_30default_config_static_selectorELNS0_4arch9wavefront6targetE1EEEvT1_,"axG",@progbits,_ZN7rocprim17ROCPRIM_400000_NS6detail17trampoline_kernelINS0_14default_configENS1_20scan_config_selectorIN3c107complexIdEEEEZZNS1_9scan_implILNS1_25lookback_scan_determinismE0ELb0ELb0ES3_PKS7_PS7_S7_ZZZN2at6native31launch_logcumsumexp_cuda_kernelERKNSE_10TensorBaseESI_lENKUlvE_clEvENKUlvE1_clEvEUlS7_S7_E_S7_EEDaPvRmT3_T4_T5_mT6_P12ihipStream_tbENKUlT_T0_E_clISt17integral_constantIbLb1EESY_IbLb0EEEEDaSU_SV_EUlSU_E_NS1_11comp_targetILNS1_3genE9ELNS1_11target_archE1100ELNS1_3gpuE3ELNS1_3repE0EEENS1_30default_config_static_selectorELNS0_4arch9wavefront6targetE1EEEvT1_,comdat
.Lfunc_end229:
	.size	_ZN7rocprim17ROCPRIM_400000_NS6detail17trampoline_kernelINS0_14default_configENS1_20scan_config_selectorIN3c107complexIdEEEEZZNS1_9scan_implILNS1_25lookback_scan_determinismE0ELb0ELb0ES3_PKS7_PS7_S7_ZZZN2at6native31launch_logcumsumexp_cuda_kernelERKNSE_10TensorBaseESI_lENKUlvE_clEvENKUlvE1_clEvEUlS7_S7_E_S7_EEDaPvRmT3_T4_T5_mT6_P12ihipStream_tbENKUlT_T0_E_clISt17integral_constantIbLb1EESY_IbLb0EEEEDaSU_SV_EUlSU_E_NS1_11comp_targetILNS1_3genE9ELNS1_11target_archE1100ELNS1_3gpuE3ELNS1_3repE0EEENS1_30default_config_static_selectorELNS0_4arch9wavefront6targetE1EEEvT1_, .Lfunc_end229-_ZN7rocprim17ROCPRIM_400000_NS6detail17trampoline_kernelINS0_14default_configENS1_20scan_config_selectorIN3c107complexIdEEEEZZNS1_9scan_implILNS1_25lookback_scan_determinismE0ELb0ELb0ES3_PKS7_PS7_S7_ZZZN2at6native31launch_logcumsumexp_cuda_kernelERKNSE_10TensorBaseESI_lENKUlvE_clEvENKUlvE1_clEvEUlS7_S7_E_S7_EEDaPvRmT3_T4_T5_mT6_P12ihipStream_tbENKUlT_T0_E_clISt17integral_constantIbLb1EESY_IbLb0EEEEDaSU_SV_EUlSU_E_NS1_11comp_targetILNS1_3genE9ELNS1_11target_archE1100ELNS1_3gpuE3ELNS1_3repE0EEENS1_30default_config_static_selectorELNS0_4arch9wavefront6targetE1EEEvT1_
                                        ; -- End function
	.set _ZN7rocprim17ROCPRIM_400000_NS6detail17trampoline_kernelINS0_14default_configENS1_20scan_config_selectorIN3c107complexIdEEEEZZNS1_9scan_implILNS1_25lookback_scan_determinismE0ELb0ELb0ES3_PKS7_PS7_S7_ZZZN2at6native31launch_logcumsumexp_cuda_kernelERKNSE_10TensorBaseESI_lENKUlvE_clEvENKUlvE1_clEvEUlS7_S7_E_S7_EEDaPvRmT3_T4_T5_mT6_P12ihipStream_tbENKUlT_T0_E_clISt17integral_constantIbLb1EESY_IbLb0EEEEDaSU_SV_EUlSU_E_NS1_11comp_targetILNS1_3genE9ELNS1_11target_archE1100ELNS1_3gpuE3ELNS1_3repE0EEENS1_30default_config_static_selectorELNS0_4arch9wavefront6targetE1EEEvT1_.num_vgpr, 0
	.set _ZN7rocprim17ROCPRIM_400000_NS6detail17trampoline_kernelINS0_14default_configENS1_20scan_config_selectorIN3c107complexIdEEEEZZNS1_9scan_implILNS1_25lookback_scan_determinismE0ELb0ELb0ES3_PKS7_PS7_S7_ZZZN2at6native31launch_logcumsumexp_cuda_kernelERKNSE_10TensorBaseESI_lENKUlvE_clEvENKUlvE1_clEvEUlS7_S7_E_S7_EEDaPvRmT3_T4_T5_mT6_P12ihipStream_tbENKUlT_T0_E_clISt17integral_constantIbLb1EESY_IbLb0EEEEDaSU_SV_EUlSU_E_NS1_11comp_targetILNS1_3genE9ELNS1_11target_archE1100ELNS1_3gpuE3ELNS1_3repE0EEENS1_30default_config_static_selectorELNS0_4arch9wavefront6targetE1EEEvT1_.num_agpr, 0
	.set _ZN7rocprim17ROCPRIM_400000_NS6detail17trampoline_kernelINS0_14default_configENS1_20scan_config_selectorIN3c107complexIdEEEEZZNS1_9scan_implILNS1_25lookback_scan_determinismE0ELb0ELb0ES3_PKS7_PS7_S7_ZZZN2at6native31launch_logcumsumexp_cuda_kernelERKNSE_10TensorBaseESI_lENKUlvE_clEvENKUlvE1_clEvEUlS7_S7_E_S7_EEDaPvRmT3_T4_T5_mT6_P12ihipStream_tbENKUlT_T0_E_clISt17integral_constantIbLb1EESY_IbLb0EEEEDaSU_SV_EUlSU_E_NS1_11comp_targetILNS1_3genE9ELNS1_11target_archE1100ELNS1_3gpuE3ELNS1_3repE0EEENS1_30default_config_static_selectorELNS0_4arch9wavefront6targetE1EEEvT1_.numbered_sgpr, 0
	.set _ZN7rocprim17ROCPRIM_400000_NS6detail17trampoline_kernelINS0_14default_configENS1_20scan_config_selectorIN3c107complexIdEEEEZZNS1_9scan_implILNS1_25lookback_scan_determinismE0ELb0ELb0ES3_PKS7_PS7_S7_ZZZN2at6native31launch_logcumsumexp_cuda_kernelERKNSE_10TensorBaseESI_lENKUlvE_clEvENKUlvE1_clEvEUlS7_S7_E_S7_EEDaPvRmT3_T4_T5_mT6_P12ihipStream_tbENKUlT_T0_E_clISt17integral_constantIbLb1EESY_IbLb0EEEEDaSU_SV_EUlSU_E_NS1_11comp_targetILNS1_3genE9ELNS1_11target_archE1100ELNS1_3gpuE3ELNS1_3repE0EEENS1_30default_config_static_selectorELNS0_4arch9wavefront6targetE1EEEvT1_.num_named_barrier, 0
	.set _ZN7rocprim17ROCPRIM_400000_NS6detail17trampoline_kernelINS0_14default_configENS1_20scan_config_selectorIN3c107complexIdEEEEZZNS1_9scan_implILNS1_25lookback_scan_determinismE0ELb0ELb0ES3_PKS7_PS7_S7_ZZZN2at6native31launch_logcumsumexp_cuda_kernelERKNSE_10TensorBaseESI_lENKUlvE_clEvENKUlvE1_clEvEUlS7_S7_E_S7_EEDaPvRmT3_T4_T5_mT6_P12ihipStream_tbENKUlT_T0_E_clISt17integral_constantIbLb1EESY_IbLb0EEEEDaSU_SV_EUlSU_E_NS1_11comp_targetILNS1_3genE9ELNS1_11target_archE1100ELNS1_3gpuE3ELNS1_3repE0EEENS1_30default_config_static_selectorELNS0_4arch9wavefront6targetE1EEEvT1_.private_seg_size, 0
	.set _ZN7rocprim17ROCPRIM_400000_NS6detail17trampoline_kernelINS0_14default_configENS1_20scan_config_selectorIN3c107complexIdEEEEZZNS1_9scan_implILNS1_25lookback_scan_determinismE0ELb0ELb0ES3_PKS7_PS7_S7_ZZZN2at6native31launch_logcumsumexp_cuda_kernelERKNSE_10TensorBaseESI_lENKUlvE_clEvENKUlvE1_clEvEUlS7_S7_E_S7_EEDaPvRmT3_T4_T5_mT6_P12ihipStream_tbENKUlT_T0_E_clISt17integral_constantIbLb1EESY_IbLb0EEEEDaSU_SV_EUlSU_E_NS1_11comp_targetILNS1_3genE9ELNS1_11target_archE1100ELNS1_3gpuE3ELNS1_3repE0EEENS1_30default_config_static_selectorELNS0_4arch9wavefront6targetE1EEEvT1_.uses_vcc, 0
	.set _ZN7rocprim17ROCPRIM_400000_NS6detail17trampoline_kernelINS0_14default_configENS1_20scan_config_selectorIN3c107complexIdEEEEZZNS1_9scan_implILNS1_25lookback_scan_determinismE0ELb0ELb0ES3_PKS7_PS7_S7_ZZZN2at6native31launch_logcumsumexp_cuda_kernelERKNSE_10TensorBaseESI_lENKUlvE_clEvENKUlvE1_clEvEUlS7_S7_E_S7_EEDaPvRmT3_T4_T5_mT6_P12ihipStream_tbENKUlT_T0_E_clISt17integral_constantIbLb1EESY_IbLb0EEEEDaSU_SV_EUlSU_E_NS1_11comp_targetILNS1_3genE9ELNS1_11target_archE1100ELNS1_3gpuE3ELNS1_3repE0EEENS1_30default_config_static_selectorELNS0_4arch9wavefront6targetE1EEEvT1_.uses_flat_scratch, 0
	.set _ZN7rocprim17ROCPRIM_400000_NS6detail17trampoline_kernelINS0_14default_configENS1_20scan_config_selectorIN3c107complexIdEEEEZZNS1_9scan_implILNS1_25lookback_scan_determinismE0ELb0ELb0ES3_PKS7_PS7_S7_ZZZN2at6native31launch_logcumsumexp_cuda_kernelERKNSE_10TensorBaseESI_lENKUlvE_clEvENKUlvE1_clEvEUlS7_S7_E_S7_EEDaPvRmT3_T4_T5_mT6_P12ihipStream_tbENKUlT_T0_E_clISt17integral_constantIbLb1EESY_IbLb0EEEEDaSU_SV_EUlSU_E_NS1_11comp_targetILNS1_3genE9ELNS1_11target_archE1100ELNS1_3gpuE3ELNS1_3repE0EEENS1_30default_config_static_selectorELNS0_4arch9wavefront6targetE1EEEvT1_.has_dyn_sized_stack, 0
	.set _ZN7rocprim17ROCPRIM_400000_NS6detail17trampoline_kernelINS0_14default_configENS1_20scan_config_selectorIN3c107complexIdEEEEZZNS1_9scan_implILNS1_25lookback_scan_determinismE0ELb0ELb0ES3_PKS7_PS7_S7_ZZZN2at6native31launch_logcumsumexp_cuda_kernelERKNSE_10TensorBaseESI_lENKUlvE_clEvENKUlvE1_clEvEUlS7_S7_E_S7_EEDaPvRmT3_T4_T5_mT6_P12ihipStream_tbENKUlT_T0_E_clISt17integral_constantIbLb1EESY_IbLb0EEEEDaSU_SV_EUlSU_E_NS1_11comp_targetILNS1_3genE9ELNS1_11target_archE1100ELNS1_3gpuE3ELNS1_3repE0EEENS1_30default_config_static_selectorELNS0_4arch9wavefront6targetE1EEEvT1_.has_recursion, 0
	.set _ZN7rocprim17ROCPRIM_400000_NS6detail17trampoline_kernelINS0_14default_configENS1_20scan_config_selectorIN3c107complexIdEEEEZZNS1_9scan_implILNS1_25lookback_scan_determinismE0ELb0ELb0ES3_PKS7_PS7_S7_ZZZN2at6native31launch_logcumsumexp_cuda_kernelERKNSE_10TensorBaseESI_lENKUlvE_clEvENKUlvE1_clEvEUlS7_S7_E_S7_EEDaPvRmT3_T4_T5_mT6_P12ihipStream_tbENKUlT_T0_E_clISt17integral_constantIbLb1EESY_IbLb0EEEEDaSU_SV_EUlSU_E_NS1_11comp_targetILNS1_3genE9ELNS1_11target_archE1100ELNS1_3gpuE3ELNS1_3repE0EEENS1_30default_config_static_selectorELNS0_4arch9wavefront6targetE1EEEvT1_.has_indirect_call, 0
	.section	.AMDGPU.csdata,"",@progbits
; Kernel info:
; codeLenInByte = 0
; TotalNumSgprs: 6
; NumVgprs: 0
; NumAgprs: 0
; TotalNumVgprs: 0
; ScratchSize: 0
; MemoryBound: 0
; FloatMode: 240
; IeeeMode: 1
; LDSByteSize: 0 bytes/workgroup (compile time only)
; SGPRBlocks: 0
; VGPRBlocks: 0
; NumSGPRsForWavesPerEU: 6
; NumVGPRsForWavesPerEU: 1
; AccumOffset: 4
; Occupancy: 8
; WaveLimiterHint : 0
; COMPUTE_PGM_RSRC2:SCRATCH_EN: 0
; COMPUTE_PGM_RSRC2:USER_SGPR: 2
; COMPUTE_PGM_RSRC2:TRAP_HANDLER: 0
; COMPUTE_PGM_RSRC2:TGID_X_EN: 1
; COMPUTE_PGM_RSRC2:TGID_Y_EN: 0
; COMPUTE_PGM_RSRC2:TGID_Z_EN: 0
; COMPUTE_PGM_RSRC2:TIDIG_COMP_CNT: 0
; COMPUTE_PGM_RSRC3_GFX90A:ACCUM_OFFSET: 0
; COMPUTE_PGM_RSRC3_GFX90A:TG_SPLIT: 0
	.section	.text._ZN7rocprim17ROCPRIM_400000_NS6detail17trampoline_kernelINS0_14default_configENS1_20scan_config_selectorIN3c107complexIdEEEEZZNS1_9scan_implILNS1_25lookback_scan_determinismE0ELb0ELb0ES3_PKS7_PS7_S7_ZZZN2at6native31launch_logcumsumexp_cuda_kernelERKNSE_10TensorBaseESI_lENKUlvE_clEvENKUlvE1_clEvEUlS7_S7_E_S7_EEDaPvRmT3_T4_T5_mT6_P12ihipStream_tbENKUlT_T0_E_clISt17integral_constantIbLb1EESY_IbLb0EEEEDaSU_SV_EUlSU_E_NS1_11comp_targetILNS1_3genE8ELNS1_11target_archE1030ELNS1_3gpuE2ELNS1_3repE0EEENS1_30default_config_static_selectorELNS0_4arch9wavefront6targetE1EEEvT1_,"axG",@progbits,_ZN7rocprim17ROCPRIM_400000_NS6detail17trampoline_kernelINS0_14default_configENS1_20scan_config_selectorIN3c107complexIdEEEEZZNS1_9scan_implILNS1_25lookback_scan_determinismE0ELb0ELb0ES3_PKS7_PS7_S7_ZZZN2at6native31launch_logcumsumexp_cuda_kernelERKNSE_10TensorBaseESI_lENKUlvE_clEvENKUlvE1_clEvEUlS7_S7_E_S7_EEDaPvRmT3_T4_T5_mT6_P12ihipStream_tbENKUlT_T0_E_clISt17integral_constantIbLb1EESY_IbLb0EEEEDaSU_SV_EUlSU_E_NS1_11comp_targetILNS1_3genE8ELNS1_11target_archE1030ELNS1_3gpuE2ELNS1_3repE0EEENS1_30default_config_static_selectorELNS0_4arch9wavefront6targetE1EEEvT1_,comdat
	.globl	_ZN7rocprim17ROCPRIM_400000_NS6detail17trampoline_kernelINS0_14default_configENS1_20scan_config_selectorIN3c107complexIdEEEEZZNS1_9scan_implILNS1_25lookback_scan_determinismE0ELb0ELb0ES3_PKS7_PS7_S7_ZZZN2at6native31launch_logcumsumexp_cuda_kernelERKNSE_10TensorBaseESI_lENKUlvE_clEvENKUlvE1_clEvEUlS7_S7_E_S7_EEDaPvRmT3_T4_T5_mT6_P12ihipStream_tbENKUlT_T0_E_clISt17integral_constantIbLb1EESY_IbLb0EEEEDaSU_SV_EUlSU_E_NS1_11comp_targetILNS1_3genE8ELNS1_11target_archE1030ELNS1_3gpuE2ELNS1_3repE0EEENS1_30default_config_static_selectorELNS0_4arch9wavefront6targetE1EEEvT1_ ; -- Begin function _ZN7rocprim17ROCPRIM_400000_NS6detail17trampoline_kernelINS0_14default_configENS1_20scan_config_selectorIN3c107complexIdEEEEZZNS1_9scan_implILNS1_25lookback_scan_determinismE0ELb0ELb0ES3_PKS7_PS7_S7_ZZZN2at6native31launch_logcumsumexp_cuda_kernelERKNSE_10TensorBaseESI_lENKUlvE_clEvENKUlvE1_clEvEUlS7_S7_E_S7_EEDaPvRmT3_T4_T5_mT6_P12ihipStream_tbENKUlT_T0_E_clISt17integral_constantIbLb1EESY_IbLb0EEEEDaSU_SV_EUlSU_E_NS1_11comp_targetILNS1_3genE8ELNS1_11target_archE1030ELNS1_3gpuE2ELNS1_3repE0EEENS1_30default_config_static_selectorELNS0_4arch9wavefront6targetE1EEEvT1_
	.p2align	8
	.type	_ZN7rocprim17ROCPRIM_400000_NS6detail17trampoline_kernelINS0_14default_configENS1_20scan_config_selectorIN3c107complexIdEEEEZZNS1_9scan_implILNS1_25lookback_scan_determinismE0ELb0ELb0ES3_PKS7_PS7_S7_ZZZN2at6native31launch_logcumsumexp_cuda_kernelERKNSE_10TensorBaseESI_lENKUlvE_clEvENKUlvE1_clEvEUlS7_S7_E_S7_EEDaPvRmT3_T4_T5_mT6_P12ihipStream_tbENKUlT_T0_E_clISt17integral_constantIbLb1EESY_IbLb0EEEEDaSU_SV_EUlSU_E_NS1_11comp_targetILNS1_3genE8ELNS1_11target_archE1030ELNS1_3gpuE2ELNS1_3repE0EEENS1_30default_config_static_selectorELNS0_4arch9wavefront6targetE1EEEvT1_,@function
_ZN7rocprim17ROCPRIM_400000_NS6detail17trampoline_kernelINS0_14default_configENS1_20scan_config_selectorIN3c107complexIdEEEEZZNS1_9scan_implILNS1_25lookback_scan_determinismE0ELb0ELb0ES3_PKS7_PS7_S7_ZZZN2at6native31launch_logcumsumexp_cuda_kernelERKNSE_10TensorBaseESI_lENKUlvE_clEvENKUlvE1_clEvEUlS7_S7_E_S7_EEDaPvRmT3_T4_T5_mT6_P12ihipStream_tbENKUlT_T0_E_clISt17integral_constantIbLb1EESY_IbLb0EEEEDaSU_SV_EUlSU_E_NS1_11comp_targetILNS1_3genE8ELNS1_11target_archE1030ELNS1_3gpuE2ELNS1_3repE0EEENS1_30default_config_static_selectorELNS0_4arch9wavefront6targetE1EEEvT1_: ; @_ZN7rocprim17ROCPRIM_400000_NS6detail17trampoline_kernelINS0_14default_configENS1_20scan_config_selectorIN3c107complexIdEEEEZZNS1_9scan_implILNS1_25lookback_scan_determinismE0ELb0ELb0ES3_PKS7_PS7_S7_ZZZN2at6native31launch_logcumsumexp_cuda_kernelERKNSE_10TensorBaseESI_lENKUlvE_clEvENKUlvE1_clEvEUlS7_S7_E_S7_EEDaPvRmT3_T4_T5_mT6_P12ihipStream_tbENKUlT_T0_E_clISt17integral_constantIbLb1EESY_IbLb0EEEEDaSU_SV_EUlSU_E_NS1_11comp_targetILNS1_3genE8ELNS1_11target_archE1030ELNS1_3gpuE2ELNS1_3repE0EEENS1_30default_config_static_selectorELNS0_4arch9wavefront6targetE1EEEvT1_
; %bb.0:
	.section	.rodata,"a",@progbits
	.p2align	6, 0x0
	.amdhsa_kernel _ZN7rocprim17ROCPRIM_400000_NS6detail17trampoline_kernelINS0_14default_configENS1_20scan_config_selectorIN3c107complexIdEEEEZZNS1_9scan_implILNS1_25lookback_scan_determinismE0ELb0ELb0ES3_PKS7_PS7_S7_ZZZN2at6native31launch_logcumsumexp_cuda_kernelERKNSE_10TensorBaseESI_lENKUlvE_clEvENKUlvE1_clEvEUlS7_S7_E_S7_EEDaPvRmT3_T4_T5_mT6_P12ihipStream_tbENKUlT_T0_E_clISt17integral_constantIbLb1EESY_IbLb0EEEEDaSU_SV_EUlSU_E_NS1_11comp_targetILNS1_3genE8ELNS1_11target_archE1030ELNS1_3gpuE2ELNS1_3repE0EEENS1_30default_config_static_selectorELNS0_4arch9wavefront6targetE1EEEvT1_
		.amdhsa_group_segment_fixed_size 0
		.amdhsa_private_segment_fixed_size 0
		.amdhsa_kernarg_size 128
		.amdhsa_user_sgpr_count 2
		.amdhsa_user_sgpr_dispatch_ptr 0
		.amdhsa_user_sgpr_queue_ptr 0
		.amdhsa_user_sgpr_kernarg_segment_ptr 1
		.amdhsa_user_sgpr_dispatch_id 0
		.amdhsa_user_sgpr_kernarg_preload_length 0
		.amdhsa_user_sgpr_kernarg_preload_offset 0
		.amdhsa_user_sgpr_private_segment_size 0
		.amdhsa_uses_dynamic_stack 0
		.amdhsa_enable_private_segment 0
		.amdhsa_system_sgpr_workgroup_id_x 1
		.amdhsa_system_sgpr_workgroup_id_y 0
		.amdhsa_system_sgpr_workgroup_id_z 0
		.amdhsa_system_sgpr_workgroup_info 0
		.amdhsa_system_vgpr_workitem_id 0
		.amdhsa_next_free_vgpr 1
		.amdhsa_next_free_sgpr 0
		.amdhsa_accum_offset 4
		.amdhsa_reserve_vcc 0
		.amdhsa_float_round_mode_32 0
		.amdhsa_float_round_mode_16_64 0
		.amdhsa_float_denorm_mode_32 3
		.amdhsa_float_denorm_mode_16_64 3
		.amdhsa_dx10_clamp 1
		.amdhsa_ieee_mode 1
		.amdhsa_fp16_overflow 0
		.amdhsa_tg_split 0
		.amdhsa_exception_fp_ieee_invalid_op 0
		.amdhsa_exception_fp_denorm_src 0
		.amdhsa_exception_fp_ieee_div_zero 0
		.amdhsa_exception_fp_ieee_overflow 0
		.amdhsa_exception_fp_ieee_underflow 0
		.amdhsa_exception_fp_ieee_inexact 0
		.amdhsa_exception_int_div_zero 0
	.end_amdhsa_kernel
	.section	.text._ZN7rocprim17ROCPRIM_400000_NS6detail17trampoline_kernelINS0_14default_configENS1_20scan_config_selectorIN3c107complexIdEEEEZZNS1_9scan_implILNS1_25lookback_scan_determinismE0ELb0ELb0ES3_PKS7_PS7_S7_ZZZN2at6native31launch_logcumsumexp_cuda_kernelERKNSE_10TensorBaseESI_lENKUlvE_clEvENKUlvE1_clEvEUlS7_S7_E_S7_EEDaPvRmT3_T4_T5_mT6_P12ihipStream_tbENKUlT_T0_E_clISt17integral_constantIbLb1EESY_IbLb0EEEEDaSU_SV_EUlSU_E_NS1_11comp_targetILNS1_3genE8ELNS1_11target_archE1030ELNS1_3gpuE2ELNS1_3repE0EEENS1_30default_config_static_selectorELNS0_4arch9wavefront6targetE1EEEvT1_,"axG",@progbits,_ZN7rocprim17ROCPRIM_400000_NS6detail17trampoline_kernelINS0_14default_configENS1_20scan_config_selectorIN3c107complexIdEEEEZZNS1_9scan_implILNS1_25lookback_scan_determinismE0ELb0ELb0ES3_PKS7_PS7_S7_ZZZN2at6native31launch_logcumsumexp_cuda_kernelERKNSE_10TensorBaseESI_lENKUlvE_clEvENKUlvE1_clEvEUlS7_S7_E_S7_EEDaPvRmT3_T4_T5_mT6_P12ihipStream_tbENKUlT_T0_E_clISt17integral_constantIbLb1EESY_IbLb0EEEEDaSU_SV_EUlSU_E_NS1_11comp_targetILNS1_3genE8ELNS1_11target_archE1030ELNS1_3gpuE2ELNS1_3repE0EEENS1_30default_config_static_selectorELNS0_4arch9wavefront6targetE1EEEvT1_,comdat
.Lfunc_end230:
	.size	_ZN7rocprim17ROCPRIM_400000_NS6detail17trampoline_kernelINS0_14default_configENS1_20scan_config_selectorIN3c107complexIdEEEEZZNS1_9scan_implILNS1_25lookback_scan_determinismE0ELb0ELb0ES3_PKS7_PS7_S7_ZZZN2at6native31launch_logcumsumexp_cuda_kernelERKNSE_10TensorBaseESI_lENKUlvE_clEvENKUlvE1_clEvEUlS7_S7_E_S7_EEDaPvRmT3_T4_T5_mT6_P12ihipStream_tbENKUlT_T0_E_clISt17integral_constantIbLb1EESY_IbLb0EEEEDaSU_SV_EUlSU_E_NS1_11comp_targetILNS1_3genE8ELNS1_11target_archE1030ELNS1_3gpuE2ELNS1_3repE0EEENS1_30default_config_static_selectorELNS0_4arch9wavefront6targetE1EEEvT1_, .Lfunc_end230-_ZN7rocprim17ROCPRIM_400000_NS6detail17trampoline_kernelINS0_14default_configENS1_20scan_config_selectorIN3c107complexIdEEEEZZNS1_9scan_implILNS1_25lookback_scan_determinismE0ELb0ELb0ES3_PKS7_PS7_S7_ZZZN2at6native31launch_logcumsumexp_cuda_kernelERKNSE_10TensorBaseESI_lENKUlvE_clEvENKUlvE1_clEvEUlS7_S7_E_S7_EEDaPvRmT3_T4_T5_mT6_P12ihipStream_tbENKUlT_T0_E_clISt17integral_constantIbLb1EESY_IbLb0EEEEDaSU_SV_EUlSU_E_NS1_11comp_targetILNS1_3genE8ELNS1_11target_archE1030ELNS1_3gpuE2ELNS1_3repE0EEENS1_30default_config_static_selectorELNS0_4arch9wavefront6targetE1EEEvT1_
                                        ; -- End function
	.set _ZN7rocprim17ROCPRIM_400000_NS6detail17trampoline_kernelINS0_14default_configENS1_20scan_config_selectorIN3c107complexIdEEEEZZNS1_9scan_implILNS1_25lookback_scan_determinismE0ELb0ELb0ES3_PKS7_PS7_S7_ZZZN2at6native31launch_logcumsumexp_cuda_kernelERKNSE_10TensorBaseESI_lENKUlvE_clEvENKUlvE1_clEvEUlS7_S7_E_S7_EEDaPvRmT3_T4_T5_mT6_P12ihipStream_tbENKUlT_T0_E_clISt17integral_constantIbLb1EESY_IbLb0EEEEDaSU_SV_EUlSU_E_NS1_11comp_targetILNS1_3genE8ELNS1_11target_archE1030ELNS1_3gpuE2ELNS1_3repE0EEENS1_30default_config_static_selectorELNS0_4arch9wavefront6targetE1EEEvT1_.num_vgpr, 0
	.set _ZN7rocprim17ROCPRIM_400000_NS6detail17trampoline_kernelINS0_14default_configENS1_20scan_config_selectorIN3c107complexIdEEEEZZNS1_9scan_implILNS1_25lookback_scan_determinismE0ELb0ELb0ES3_PKS7_PS7_S7_ZZZN2at6native31launch_logcumsumexp_cuda_kernelERKNSE_10TensorBaseESI_lENKUlvE_clEvENKUlvE1_clEvEUlS7_S7_E_S7_EEDaPvRmT3_T4_T5_mT6_P12ihipStream_tbENKUlT_T0_E_clISt17integral_constantIbLb1EESY_IbLb0EEEEDaSU_SV_EUlSU_E_NS1_11comp_targetILNS1_3genE8ELNS1_11target_archE1030ELNS1_3gpuE2ELNS1_3repE0EEENS1_30default_config_static_selectorELNS0_4arch9wavefront6targetE1EEEvT1_.num_agpr, 0
	.set _ZN7rocprim17ROCPRIM_400000_NS6detail17trampoline_kernelINS0_14default_configENS1_20scan_config_selectorIN3c107complexIdEEEEZZNS1_9scan_implILNS1_25lookback_scan_determinismE0ELb0ELb0ES3_PKS7_PS7_S7_ZZZN2at6native31launch_logcumsumexp_cuda_kernelERKNSE_10TensorBaseESI_lENKUlvE_clEvENKUlvE1_clEvEUlS7_S7_E_S7_EEDaPvRmT3_T4_T5_mT6_P12ihipStream_tbENKUlT_T0_E_clISt17integral_constantIbLb1EESY_IbLb0EEEEDaSU_SV_EUlSU_E_NS1_11comp_targetILNS1_3genE8ELNS1_11target_archE1030ELNS1_3gpuE2ELNS1_3repE0EEENS1_30default_config_static_selectorELNS0_4arch9wavefront6targetE1EEEvT1_.numbered_sgpr, 0
	.set _ZN7rocprim17ROCPRIM_400000_NS6detail17trampoline_kernelINS0_14default_configENS1_20scan_config_selectorIN3c107complexIdEEEEZZNS1_9scan_implILNS1_25lookback_scan_determinismE0ELb0ELb0ES3_PKS7_PS7_S7_ZZZN2at6native31launch_logcumsumexp_cuda_kernelERKNSE_10TensorBaseESI_lENKUlvE_clEvENKUlvE1_clEvEUlS7_S7_E_S7_EEDaPvRmT3_T4_T5_mT6_P12ihipStream_tbENKUlT_T0_E_clISt17integral_constantIbLb1EESY_IbLb0EEEEDaSU_SV_EUlSU_E_NS1_11comp_targetILNS1_3genE8ELNS1_11target_archE1030ELNS1_3gpuE2ELNS1_3repE0EEENS1_30default_config_static_selectorELNS0_4arch9wavefront6targetE1EEEvT1_.num_named_barrier, 0
	.set _ZN7rocprim17ROCPRIM_400000_NS6detail17trampoline_kernelINS0_14default_configENS1_20scan_config_selectorIN3c107complexIdEEEEZZNS1_9scan_implILNS1_25lookback_scan_determinismE0ELb0ELb0ES3_PKS7_PS7_S7_ZZZN2at6native31launch_logcumsumexp_cuda_kernelERKNSE_10TensorBaseESI_lENKUlvE_clEvENKUlvE1_clEvEUlS7_S7_E_S7_EEDaPvRmT3_T4_T5_mT6_P12ihipStream_tbENKUlT_T0_E_clISt17integral_constantIbLb1EESY_IbLb0EEEEDaSU_SV_EUlSU_E_NS1_11comp_targetILNS1_3genE8ELNS1_11target_archE1030ELNS1_3gpuE2ELNS1_3repE0EEENS1_30default_config_static_selectorELNS0_4arch9wavefront6targetE1EEEvT1_.private_seg_size, 0
	.set _ZN7rocprim17ROCPRIM_400000_NS6detail17trampoline_kernelINS0_14default_configENS1_20scan_config_selectorIN3c107complexIdEEEEZZNS1_9scan_implILNS1_25lookback_scan_determinismE0ELb0ELb0ES3_PKS7_PS7_S7_ZZZN2at6native31launch_logcumsumexp_cuda_kernelERKNSE_10TensorBaseESI_lENKUlvE_clEvENKUlvE1_clEvEUlS7_S7_E_S7_EEDaPvRmT3_T4_T5_mT6_P12ihipStream_tbENKUlT_T0_E_clISt17integral_constantIbLb1EESY_IbLb0EEEEDaSU_SV_EUlSU_E_NS1_11comp_targetILNS1_3genE8ELNS1_11target_archE1030ELNS1_3gpuE2ELNS1_3repE0EEENS1_30default_config_static_selectorELNS0_4arch9wavefront6targetE1EEEvT1_.uses_vcc, 0
	.set _ZN7rocprim17ROCPRIM_400000_NS6detail17trampoline_kernelINS0_14default_configENS1_20scan_config_selectorIN3c107complexIdEEEEZZNS1_9scan_implILNS1_25lookback_scan_determinismE0ELb0ELb0ES3_PKS7_PS7_S7_ZZZN2at6native31launch_logcumsumexp_cuda_kernelERKNSE_10TensorBaseESI_lENKUlvE_clEvENKUlvE1_clEvEUlS7_S7_E_S7_EEDaPvRmT3_T4_T5_mT6_P12ihipStream_tbENKUlT_T0_E_clISt17integral_constantIbLb1EESY_IbLb0EEEEDaSU_SV_EUlSU_E_NS1_11comp_targetILNS1_3genE8ELNS1_11target_archE1030ELNS1_3gpuE2ELNS1_3repE0EEENS1_30default_config_static_selectorELNS0_4arch9wavefront6targetE1EEEvT1_.uses_flat_scratch, 0
	.set _ZN7rocprim17ROCPRIM_400000_NS6detail17trampoline_kernelINS0_14default_configENS1_20scan_config_selectorIN3c107complexIdEEEEZZNS1_9scan_implILNS1_25lookback_scan_determinismE0ELb0ELb0ES3_PKS7_PS7_S7_ZZZN2at6native31launch_logcumsumexp_cuda_kernelERKNSE_10TensorBaseESI_lENKUlvE_clEvENKUlvE1_clEvEUlS7_S7_E_S7_EEDaPvRmT3_T4_T5_mT6_P12ihipStream_tbENKUlT_T0_E_clISt17integral_constantIbLb1EESY_IbLb0EEEEDaSU_SV_EUlSU_E_NS1_11comp_targetILNS1_3genE8ELNS1_11target_archE1030ELNS1_3gpuE2ELNS1_3repE0EEENS1_30default_config_static_selectorELNS0_4arch9wavefront6targetE1EEEvT1_.has_dyn_sized_stack, 0
	.set _ZN7rocprim17ROCPRIM_400000_NS6detail17trampoline_kernelINS0_14default_configENS1_20scan_config_selectorIN3c107complexIdEEEEZZNS1_9scan_implILNS1_25lookback_scan_determinismE0ELb0ELb0ES3_PKS7_PS7_S7_ZZZN2at6native31launch_logcumsumexp_cuda_kernelERKNSE_10TensorBaseESI_lENKUlvE_clEvENKUlvE1_clEvEUlS7_S7_E_S7_EEDaPvRmT3_T4_T5_mT6_P12ihipStream_tbENKUlT_T0_E_clISt17integral_constantIbLb1EESY_IbLb0EEEEDaSU_SV_EUlSU_E_NS1_11comp_targetILNS1_3genE8ELNS1_11target_archE1030ELNS1_3gpuE2ELNS1_3repE0EEENS1_30default_config_static_selectorELNS0_4arch9wavefront6targetE1EEEvT1_.has_recursion, 0
	.set _ZN7rocprim17ROCPRIM_400000_NS6detail17trampoline_kernelINS0_14default_configENS1_20scan_config_selectorIN3c107complexIdEEEEZZNS1_9scan_implILNS1_25lookback_scan_determinismE0ELb0ELb0ES3_PKS7_PS7_S7_ZZZN2at6native31launch_logcumsumexp_cuda_kernelERKNSE_10TensorBaseESI_lENKUlvE_clEvENKUlvE1_clEvEUlS7_S7_E_S7_EEDaPvRmT3_T4_T5_mT6_P12ihipStream_tbENKUlT_T0_E_clISt17integral_constantIbLb1EESY_IbLb0EEEEDaSU_SV_EUlSU_E_NS1_11comp_targetILNS1_3genE8ELNS1_11target_archE1030ELNS1_3gpuE2ELNS1_3repE0EEENS1_30default_config_static_selectorELNS0_4arch9wavefront6targetE1EEEvT1_.has_indirect_call, 0
	.section	.AMDGPU.csdata,"",@progbits
; Kernel info:
; codeLenInByte = 0
; TotalNumSgprs: 6
; NumVgprs: 0
; NumAgprs: 0
; TotalNumVgprs: 0
; ScratchSize: 0
; MemoryBound: 0
; FloatMode: 240
; IeeeMode: 1
; LDSByteSize: 0 bytes/workgroup (compile time only)
; SGPRBlocks: 0
; VGPRBlocks: 0
; NumSGPRsForWavesPerEU: 6
; NumVGPRsForWavesPerEU: 1
; AccumOffset: 4
; Occupancy: 8
; WaveLimiterHint : 0
; COMPUTE_PGM_RSRC2:SCRATCH_EN: 0
; COMPUTE_PGM_RSRC2:USER_SGPR: 2
; COMPUTE_PGM_RSRC2:TRAP_HANDLER: 0
; COMPUTE_PGM_RSRC2:TGID_X_EN: 1
; COMPUTE_PGM_RSRC2:TGID_Y_EN: 0
; COMPUTE_PGM_RSRC2:TGID_Z_EN: 0
; COMPUTE_PGM_RSRC2:TIDIG_COMP_CNT: 0
; COMPUTE_PGM_RSRC3_GFX90A:ACCUM_OFFSET: 0
; COMPUTE_PGM_RSRC3_GFX90A:TG_SPLIT: 0
	.section	.text._ZN7rocprim17ROCPRIM_400000_NS6detail17trampoline_kernelINS0_14default_configENS1_20scan_config_selectorIN3c107complexIdEEEEZZNS1_9scan_implILNS1_25lookback_scan_determinismE0ELb0ELb0ES3_PKS7_PS7_S7_ZZZN2at6native31launch_logcumsumexp_cuda_kernelERKNSE_10TensorBaseESI_lENKUlvE_clEvENKUlvE1_clEvEUlS7_S7_E_S7_EEDaPvRmT3_T4_T5_mT6_P12ihipStream_tbENKUlT_T0_E_clISt17integral_constantIbLb1EESY_IbLb0EEEEDaSU_SV_EUlSU_E0_NS1_11comp_targetILNS1_3genE0ELNS1_11target_archE4294967295ELNS1_3gpuE0ELNS1_3repE0EEENS1_30default_config_static_selectorELNS0_4arch9wavefront6targetE1EEEvT1_,"axG",@progbits,_ZN7rocprim17ROCPRIM_400000_NS6detail17trampoline_kernelINS0_14default_configENS1_20scan_config_selectorIN3c107complexIdEEEEZZNS1_9scan_implILNS1_25lookback_scan_determinismE0ELb0ELb0ES3_PKS7_PS7_S7_ZZZN2at6native31launch_logcumsumexp_cuda_kernelERKNSE_10TensorBaseESI_lENKUlvE_clEvENKUlvE1_clEvEUlS7_S7_E_S7_EEDaPvRmT3_T4_T5_mT6_P12ihipStream_tbENKUlT_T0_E_clISt17integral_constantIbLb1EESY_IbLb0EEEEDaSU_SV_EUlSU_E0_NS1_11comp_targetILNS1_3genE0ELNS1_11target_archE4294967295ELNS1_3gpuE0ELNS1_3repE0EEENS1_30default_config_static_selectorELNS0_4arch9wavefront6targetE1EEEvT1_,comdat
	.globl	_ZN7rocprim17ROCPRIM_400000_NS6detail17trampoline_kernelINS0_14default_configENS1_20scan_config_selectorIN3c107complexIdEEEEZZNS1_9scan_implILNS1_25lookback_scan_determinismE0ELb0ELb0ES3_PKS7_PS7_S7_ZZZN2at6native31launch_logcumsumexp_cuda_kernelERKNSE_10TensorBaseESI_lENKUlvE_clEvENKUlvE1_clEvEUlS7_S7_E_S7_EEDaPvRmT3_T4_T5_mT6_P12ihipStream_tbENKUlT_T0_E_clISt17integral_constantIbLb1EESY_IbLb0EEEEDaSU_SV_EUlSU_E0_NS1_11comp_targetILNS1_3genE0ELNS1_11target_archE4294967295ELNS1_3gpuE0ELNS1_3repE0EEENS1_30default_config_static_selectorELNS0_4arch9wavefront6targetE1EEEvT1_ ; -- Begin function _ZN7rocprim17ROCPRIM_400000_NS6detail17trampoline_kernelINS0_14default_configENS1_20scan_config_selectorIN3c107complexIdEEEEZZNS1_9scan_implILNS1_25lookback_scan_determinismE0ELb0ELb0ES3_PKS7_PS7_S7_ZZZN2at6native31launch_logcumsumexp_cuda_kernelERKNSE_10TensorBaseESI_lENKUlvE_clEvENKUlvE1_clEvEUlS7_S7_E_S7_EEDaPvRmT3_T4_T5_mT6_P12ihipStream_tbENKUlT_T0_E_clISt17integral_constantIbLb1EESY_IbLb0EEEEDaSU_SV_EUlSU_E0_NS1_11comp_targetILNS1_3genE0ELNS1_11target_archE4294967295ELNS1_3gpuE0ELNS1_3repE0EEENS1_30default_config_static_selectorELNS0_4arch9wavefront6targetE1EEEvT1_
	.p2align	8
	.type	_ZN7rocprim17ROCPRIM_400000_NS6detail17trampoline_kernelINS0_14default_configENS1_20scan_config_selectorIN3c107complexIdEEEEZZNS1_9scan_implILNS1_25lookback_scan_determinismE0ELb0ELb0ES3_PKS7_PS7_S7_ZZZN2at6native31launch_logcumsumexp_cuda_kernelERKNSE_10TensorBaseESI_lENKUlvE_clEvENKUlvE1_clEvEUlS7_S7_E_S7_EEDaPvRmT3_T4_T5_mT6_P12ihipStream_tbENKUlT_T0_E_clISt17integral_constantIbLb1EESY_IbLb0EEEEDaSU_SV_EUlSU_E0_NS1_11comp_targetILNS1_3genE0ELNS1_11target_archE4294967295ELNS1_3gpuE0ELNS1_3repE0EEENS1_30default_config_static_selectorELNS0_4arch9wavefront6targetE1EEEvT1_,@function
_ZN7rocprim17ROCPRIM_400000_NS6detail17trampoline_kernelINS0_14default_configENS1_20scan_config_selectorIN3c107complexIdEEEEZZNS1_9scan_implILNS1_25lookback_scan_determinismE0ELb0ELb0ES3_PKS7_PS7_S7_ZZZN2at6native31launch_logcumsumexp_cuda_kernelERKNSE_10TensorBaseESI_lENKUlvE_clEvENKUlvE1_clEvEUlS7_S7_E_S7_EEDaPvRmT3_T4_T5_mT6_P12ihipStream_tbENKUlT_T0_E_clISt17integral_constantIbLb1EESY_IbLb0EEEEDaSU_SV_EUlSU_E0_NS1_11comp_targetILNS1_3genE0ELNS1_11target_archE4294967295ELNS1_3gpuE0ELNS1_3repE0EEENS1_30default_config_static_selectorELNS0_4arch9wavefront6targetE1EEEvT1_: ; @_ZN7rocprim17ROCPRIM_400000_NS6detail17trampoline_kernelINS0_14default_configENS1_20scan_config_selectorIN3c107complexIdEEEEZZNS1_9scan_implILNS1_25lookback_scan_determinismE0ELb0ELb0ES3_PKS7_PS7_S7_ZZZN2at6native31launch_logcumsumexp_cuda_kernelERKNSE_10TensorBaseESI_lENKUlvE_clEvENKUlvE1_clEvEUlS7_S7_E_S7_EEDaPvRmT3_T4_T5_mT6_P12ihipStream_tbENKUlT_T0_E_clISt17integral_constantIbLb1EESY_IbLb0EEEEDaSU_SV_EUlSU_E0_NS1_11comp_targetILNS1_3genE0ELNS1_11target_archE4294967295ELNS1_3gpuE0ELNS1_3repE0EEENS1_30default_config_static_selectorELNS0_4arch9wavefront6targetE1EEEvT1_
; %bb.0:
	s_mov_b64 s[56:57], s[0:1]
	s_load_dwordx4 s[0:3], s[0:1], 0x0
	v_mov_b32_e32 v56, v0
	v_lshlrev_b32_e32 v130, 4, v56
	s_mov_b32 s32, 0
	s_waitcnt lgkmcnt(0)
	s_load_dwordx4 s[4:7], s[0:1], 0x0
	v_cmp_gt_u32_e64 s[34:35], s2, v56
	s_waitcnt lgkmcnt(0)
	v_mov_b64_e32 v[4:5], s[6:7]
	v_mov_b64_e32 v[2:3], s[4:5]
	s_and_saveexec_b64 s[8:9], s[34:35]
	s_cbranch_execz .LBB231_2
; %bb.1:
	global_load_dwordx4 v[2:5], v130, s[0:1]
.LBB231_2:
	s_or_b64 exec, exec, s[8:9]
	v_or_b32_e32 v0, 0x80, v56
	v_cmp_gt_u32_e64 s[36:37], s2, v0
	v_mov_b64_e32 v[8:9], s[6:7]
	v_mov_b64_e32 v[6:7], s[4:5]
	s_and_saveexec_b64 s[8:9], s[36:37]
	s_cbranch_execz .LBB231_4
; %bb.3:
	global_load_dwordx4 v[6:9], v130, s[0:1] offset:2048
.LBB231_4:
	s_or_b64 exec, exec, s[8:9]
	v_or_b32_e32 v0, 0x100, v56
	v_cmp_gt_u32_e64 s[38:39], s2, v0
	v_mov_b64_e32 v[12:13], s[6:7]
	v_mov_b64_e32 v[10:11], s[4:5]
	s_and_saveexec_b64 s[8:9], s[38:39]
	s_cbranch_execz .LBB231_6
; %bb.5:
	v_lshlrev_b32_e32 v0, 4, v0
	global_load_dwordx4 v[10:13], v0, s[0:1]
.LBB231_6:
	s_or_b64 exec, exec, s[8:9]
	v_or_b32_e32 v0, 0x180, v56
	v_cmp_gt_u32_e64 s[42:43], s2, v0
	v_mov_b64_e32 v[16:17], s[6:7]
	v_mov_b64_e32 v[14:15], s[4:5]
	s_and_saveexec_b64 s[8:9], s[42:43]
	s_cbranch_execz .LBB231_8
; %bb.7:
	v_lshlrev_b32_e32 v0, 4, v0
	global_load_dwordx4 v[14:17], v0, s[0:1]
.LBB231_8:
	;; [unrolled: 11-line block ×8, first 2 shown]
	s_or_b64 exec, exec, s[2:3]
	s_movk_i32 s0, 0x90
	v_mad_u32_u24 v0, v56, s0, v130
	s_waitcnt vmcnt(0)
	ds_write_b128 v130, v[2:5]
	ds_write_b128 v130, v[6:9] offset:2048
	ds_write_b128 v130, v[10:13] offset:4096
	;; [unrolled: 1-line block ×9, first 2 shown]
	s_waitcnt lgkmcnt(0)
	s_barrier
	ds_read_b128 v[58:61], v0
	ds_read_b128 v[110:113], v0 offset:16
	ds_read_b128 v[106:109], v0 offset:32
	;; [unrolled: 1-line block ×9, first 2 shown]
	s_getpc_b64 s[58:59]
	s_add_u32 s58, s58, _ZZZZN2at6native31launch_logcumsumexp_cuda_kernelERKNS_10TensorBaseES3_lENKUlvE_clEvENKUlvE1_clEvENKUlN3c107complexIdEES8_E_clES8_S8_@rel32@lo+4
	s_addc_u32 s59, s59, _ZZZZN2at6native31launch_logcumsumexp_cuda_kernelERKNS_10TensorBaseES3_lENKUlvE_clEvENKUlvE1_clEvENKUlN3c107complexIdEES8_E_clES8_S8_@rel32@hi+12
	s_waitcnt lgkmcnt(9)
	v_mov_b32_e32 v0, v58
	v_mov_b32_e32 v1, v59
	;; [unrolled: 1-line block ×4, first 2 shown]
	s_waitcnt lgkmcnt(8)
	v_mov_b32_e32 v4, v110
	v_mov_b32_e32 v5, v111
	;; [unrolled: 1-line block ×4, first 2 shown]
	s_waitcnt lgkmcnt(0)
	s_barrier
	s_swappc_b64 s[30:31], s[58:59]
	v_mov_b32_e32 v4, v106
	v_mov_b32_e32 v5, v107
	v_mov_b32_e32 v6, v108
	v_mov_b32_e32 v7, v109
	v_mov_b32_e32 v66, v0
	v_mov_b32_e32 v67, v1
	v_mov_b32_e32 v68, v2
	v_mov_b32_e32 v69, v3
	s_swappc_b64 s[30:31], s[58:59]
	v_mov_b32_e32 v4, v98
	v_mov_b32_e32 v5, v99
	v_mov_b32_e32 v6, v100
	v_mov_b32_e32 v7, v101
	v_mov_b32_e32 v78, v0
	v_mov_b32_e32 v79, v1
	v_mov_b32_e32 v80, v2
	v_mov_b32_e32 v81, v3
	;; [unrolled: 9-line block ×8, first 2 shown]
	s_swappc_b64 s[30:31], s[58:59]
	v_mov_b32_e32 v40, v0
	v_mbcnt_lo_u32_b32 v0, -1, 0
	v_mbcnt_hi_u32_b32 v57, -1, v0
	v_mov_b32_e32 v41, v1
	v_mov_b32_e32 v42, v2
	v_mov_b32_e32 v43, v3
	v_and_b32_e32 v52, 15, v57
	v_mov_b32_dpp v4, v40 row_shr:1 row_mask:0xf bank_mask:0xf
	v_mov_b32_dpp v5, v41 row_shr:1 row_mask:0xf bank_mask:0xf
	v_mov_b32_dpp v6, v42 row_shr:1 row_mask:0xf bank_mask:0xf
	v_mov_b32_dpp v7, v43 row_shr:1 row_mask:0xf bank_mask:0xf
	v_cmp_ne_u32_e32 vcc, 0, v52
	v_mov_b64_e32 v[46:47], v[42:43]
	v_mov_b64_e32 v[44:45], v[40:41]
	v_mov_b32_e32 v0, v40
	s_and_saveexec_b64 s[60:61], vcc
	s_cbranch_execz .LBB231_22
; %bb.21:
	v_mov_b32_e32 v0, v4
	v_mov_b32_e32 v1, v5
	;; [unrolled: 1-line block ×8, first 2 shown]
	s_swappc_b64 s[30:31], s[58:59]
	v_mov_b32_e32 v44, v0
	v_mov_b32_e32 v45, v1
	;; [unrolled: 1-line block ×4, first 2 shown]
.LBB231_22:
	s_or_b64 exec, exec, s[60:61]
	v_mov_b32_dpp v4, v0 row_shr:2 row_mask:0xf bank_mask:0xf
	v_mov_b32_dpp v5, v1 row_shr:2 row_mask:0xf bank_mask:0xf
	v_mov_b32_dpp v6, v2 row_shr:2 row_mask:0xf bank_mask:0xf
	v_mov_b32_dpp v7, v3 row_shr:2 row_mask:0xf bank_mask:0xf
	v_cmp_lt_u32_e32 vcc, 1, v52
	s_and_saveexec_b64 s[58:59], vcc
	s_cbranch_execz .LBB231_24
; %bb.23:
	s_getpc_b64 s[0:1]
	s_add_u32 s0, s0, _ZZZZN2at6native31launch_logcumsumexp_cuda_kernelERKNS_10TensorBaseES3_lENKUlvE_clEvENKUlvE1_clEvENKUlN3c107complexIdEES8_E_clES8_S8_@rel32@lo+4
	s_addc_u32 s1, s1, _ZZZZN2at6native31launch_logcumsumexp_cuda_kernelERKNS_10TensorBaseES3_lENKUlvE_clEvENKUlvE1_clEvENKUlN3c107complexIdEES8_E_clES8_S8_@rel32@hi+12
	v_mov_b32_e32 v0, v4
	v_mov_b32_e32 v1, v5
	v_mov_b32_e32 v2, v6
	v_mov_b32_e32 v3, v7
	v_mov_b32_e32 v4, v44
	v_mov_b32_e32 v5, v45
	v_mov_b32_e32 v6, v46
	v_mov_b32_e32 v7, v47
	s_swappc_b64 s[30:31], s[0:1]
	v_mov_b64_e32 v[46:47], v[2:3]
	v_mov_b64_e32 v[44:45], v[0:1]
.LBB231_24:
	s_or_b64 exec, exec, s[58:59]
	v_mov_b32_dpp v4, v0 row_shr:4 row_mask:0xf bank_mask:0xf
	v_mov_b32_dpp v5, v1 row_shr:4 row_mask:0xf bank_mask:0xf
	v_mov_b32_dpp v6, v2 row_shr:4 row_mask:0xf bank_mask:0xf
	v_mov_b32_dpp v7, v3 row_shr:4 row_mask:0xf bank_mask:0xf
	v_cmp_lt_u32_e32 vcc, 3, v52
	s_and_saveexec_b64 s[58:59], vcc
	s_cbranch_execz .LBB231_26
; %bb.25:
	s_getpc_b64 s[0:1]
	s_add_u32 s0, s0, _ZZZZN2at6native31launch_logcumsumexp_cuda_kernelERKNS_10TensorBaseES3_lENKUlvE_clEvENKUlvE1_clEvENKUlN3c107complexIdEES8_E_clES8_S8_@rel32@lo+4
	s_addc_u32 s1, s1, _ZZZZN2at6native31launch_logcumsumexp_cuda_kernelERKNS_10TensorBaseES3_lENKUlvE_clEvENKUlvE1_clEvENKUlN3c107complexIdEES8_E_clES8_S8_@rel32@hi+12
	v_mov_b32_e32 v0, v4
	v_mov_b32_e32 v1, v5
	v_mov_b32_e32 v2, v6
	v_mov_b32_e32 v3, v7
	v_mov_b32_e32 v4, v44
	v_mov_b32_e32 v5, v45
	v_mov_b32_e32 v6, v46
	v_mov_b32_e32 v7, v47
	s_swappc_b64 s[30:31], s[0:1]
	v_mov_b64_e32 v[46:47], v[2:3]
	v_mov_b64_e32 v[44:45], v[0:1]
.LBB231_26:
	;; [unrolled: 24-line block ×3, first 2 shown]
	s_or_b64 exec, exec, s[58:59]
	v_and_b32_e32 v8, 16, v57
	v_mov_b32_dpp v4, v0 row_bcast:15 row_mask:0xf bank_mask:0xf
	v_mov_b32_dpp v5, v1 row_bcast:15 row_mask:0xf bank_mask:0xf
	;; [unrolled: 1-line block ×4, first 2 shown]
	v_cmp_ne_u32_e32 vcc, 0, v8
	s_and_saveexec_b64 s[58:59], vcc
	s_cbranch_execz .LBB231_30
; %bb.29:
	s_getpc_b64 s[0:1]
	s_add_u32 s0, s0, _ZZZZN2at6native31launch_logcumsumexp_cuda_kernelERKNS_10TensorBaseES3_lENKUlvE_clEvENKUlvE1_clEvENKUlN3c107complexIdEES8_E_clES8_S8_@rel32@lo+4
	s_addc_u32 s1, s1, _ZZZZN2at6native31launch_logcumsumexp_cuda_kernelERKNS_10TensorBaseES3_lENKUlvE_clEvENKUlvE1_clEvENKUlN3c107complexIdEES8_E_clES8_S8_@rel32@hi+12
	v_mov_b32_e32 v0, v4
	v_mov_b32_e32 v1, v5
	;; [unrolled: 1-line block ×8, first 2 shown]
	s_swappc_b64 s[30:31], s[0:1]
	v_mov_b32_e32 v44, v0
	v_mov_b32_e32 v45, v1
	;; [unrolled: 1-line block ×4, first 2 shown]
.LBB231_30:
	s_or_b64 exec, exec, s[58:59]
	v_mov_b32_dpp v0, v0 row_bcast:31 row_mask:0xf bank_mask:0xf
	v_mov_b32_dpp v1, v1 row_bcast:31 row_mask:0xf bank_mask:0xf
	;; [unrolled: 1-line block ×4, first 2 shown]
	v_cmp_lt_u32_e32 vcc, 31, v57
	s_and_saveexec_b64 s[58:59], vcc
	s_cbranch_execz .LBB231_32
; %bb.31:
	s_getpc_b64 s[0:1]
	s_add_u32 s0, s0, _ZZZZN2at6native31launch_logcumsumexp_cuda_kernelERKNS_10TensorBaseES3_lENKUlvE_clEvENKUlvE1_clEvENKUlN3c107complexIdEES8_E_clES8_S8_@rel32@lo+4
	s_addc_u32 s1, s1, _ZZZZN2at6native31launch_logcumsumexp_cuda_kernelERKNS_10TensorBaseES3_lENKUlvE_clEvENKUlvE1_clEvENKUlN3c107complexIdEES8_E_clES8_S8_@rel32@hi+12
	v_mov_b32_e32 v4, v44
	v_mov_b32_e32 v5, v45
	;; [unrolled: 1-line block ×4, first 2 shown]
	s_swappc_b64 s[30:31], s[0:1]
	v_mov_b32_e32 v44, v0
	v_mov_b32_e32 v45, v1
	;; [unrolled: 1-line block ×4, first 2 shown]
.LBB231_32:
	s_or_b64 exec, exec, s[58:59]
	v_or_b32_e32 v0, 63, v56
	v_lshrrev_b32_e32 v132, 6, v56
	v_cmp_eq_u32_e32 vcc, v56, v0
	s_and_saveexec_b64 s[0:1], vcc
; %bb.33:
	v_lshlrev_b32_e32 v0, 4, v132
	ds_write_b128 v0, v[44:47]
; %bb.34:
	s_or_b64 exec, exec, s[0:1]
	v_cmp_gt_u32_e32 vcc, 2, v56
	s_waitcnt lgkmcnt(0)
	s_barrier
	s_and_saveexec_b64 s[58:59], vcc
	s_cbranch_execz .LBB231_38
; %bb.35:
	ds_read_b128 v[4:7], v130
	v_and_b32_e32 v8, 1, v57
	v_cmp_eq_u32_e32 vcc, 1, v8
	s_waitcnt lgkmcnt(0)
	v_mov_b32_dpp v0, v4 row_shr:1 row_mask:0xf bank_mask:0xf
	v_mov_b32_dpp v1, v5 row_shr:1 row_mask:0xf bank_mask:0xf
	;; [unrolled: 1-line block ×4, first 2 shown]
	s_and_saveexec_b64 s[60:61], vcc
	s_cbranch_execz .LBB231_37
; %bb.36:
	s_getpc_b64 s[0:1]
	s_add_u32 s0, s0, _ZZZZN2at6native31launch_logcumsumexp_cuda_kernelERKNS_10TensorBaseES3_lENKUlvE_clEvENKUlvE1_clEvENKUlN3c107complexIdEES8_E_clES8_S8_@rel32@lo+4
	s_addc_u32 s1, s1, _ZZZZN2at6native31launch_logcumsumexp_cuda_kernelERKNS_10TensorBaseES3_lENKUlvE_clEvENKUlvE1_clEvENKUlN3c107complexIdEES8_E_clES8_S8_@rel32@hi+12
	s_swappc_b64 s[30:31], s[0:1]
	v_mov_b32_e32 v4, v0
	v_mov_b32_e32 v5, v1
	;; [unrolled: 1-line block ×4, first 2 shown]
.LBB231_37:
	s_or_b64 exec, exec, s[60:61]
	ds_write_b128 v130, v[4:7]
.LBB231_38:
	s_or_b64 exec, exec, s[58:59]
	s_load_dwordx2 s[56:57], s[56:57], 0x28
	v_mul_u32_u24_e32 v131, 0x90, v56
	v_cmp_lt_u32_e32 vcc, 63, v56
	v_mov_b64_e32 v[54:55], 0
	v_mov_b64_e32 v[52:53], 0
	s_waitcnt lgkmcnt(0)
	s_barrier
	s_and_saveexec_b64 s[58:59], vcc
	s_cbranch_execz .LBB231_40
; %bb.39:
	v_lshl_add_u32 v0, v132, 4, -16
	ds_read_b128 v[52:55], v0
	s_getpc_b64 s[0:1]
	s_add_u32 s0, s0, _ZZZZN2at6native31launch_logcumsumexp_cuda_kernelERKNS_10TensorBaseES3_lENKUlvE_clEvENKUlvE1_clEvENKUlN3c107complexIdEES8_E_clES8_S8_@rel32@lo+4
	s_addc_u32 s1, s1, _ZZZZN2at6native31launch_logcumsumexp_cuda_kernelERKNS_10TensorBaseES3_lENKUlvE_clEvENKUlvE1_clEvENKUlN3c107complexIdEES8_E_clES8_S8_@rel32@hi+12
	v_mov_b32_e32 v4, v44
	v_mov_b32_e32 v5, v45
	;; [unrolled: 1-line block ×3, first 2 shown]
	s_waitcnt lgkmcnt(0)
	v_mov_b32_e32 v0, v52
	v_mov_b32_e32 v1, v53
	;; [unrolled: 1-line block ×5, first 2 shown]
	s_swappc_b64 s[30:31], s[0:1]
	v_mov_b32_e32 v44, v0
	v_mov_b32_e32 v45, v1
	v_mov_b32_e32 v46, v2
	v_mov_b32_e32 v47, v3
.LBB231_40:
	s_or_b64 exec, exec, s[58:59]
	v_add_u32_e32 v0, -1, v57
	v_and_b32_e32 v1, 64, v57
	v_cmp_lt_i32_e32 vcc, v0, v1
	s_nop 1
	v_cndmask_b32_e32 v0, v0, v57, vcc
	v_lshlrev_b32_e32 v3, 2, v0
	ds_bpermute_b32 v0, v3, v44
	ds_bpermute_b32 v1, v3, v45
	;; [unrolled: 1-line block ×4, first 2 shown]
	v_cmp_ne_u32_e32 vcc, 0, v56
	s_and_saveexec_b64 s[58:59], vcc
	s_cbranch_execz .LBB231_42
; %bb.41:
	v_cmp_eq_u32_e32 vcc, 0, v57
	s_getpc_b64 s[60:61]
	s_add_u32 s60, s60, _ZZZZN2at6native31launch_logcumsumexp_cuda_kernelERKNS_10TensorBaseES3_lENKUlvE_clEvENKUlvE1_clEvENKUlN3c107complexIdEES8_E_clES8_S8_@rel32@lo+4
	s_addc_u32 s61, s61, _ZZZZN2at6native31launch_logcumsumexp_cuda_kernelERKNS_10TensorBaseES3_lENKUlvE_clEvENKUlvE1_clEvENKUlN3c107complexIdEES8_E_clES8_S8_@rel32@hi+12
	s_waitcnt lgkmcnt(3)
	v_cndmask_b32_e32 v0, v0, v52, vcc
	s_waitcnt lgkmcnt(2)
	v_cndmask_b32_e32 v1, v1, v53, vcc
	;; [unrolled: 2-line block ×4, first 2 shown]
	v_mov_b32_e32 v4, v58
	v_mov_b32_e32 v5, v59
	;; [unrolled: 1-line block ×4, first 2 shown]
	s_swappc_b64 s[30:31], s[60:61]
	v_mov_b32_e32 v4, v110
	v_mov_b32_e32 v5, v111
	;; [unrolled: 1-line block ×8, first 2 shown]
	;;#ASMSTART
	;;#ASMEND
	s_swappc_b64 s[30:31], s[60:61]
	v_mov_b32_e32 v4, v106
	v_mov_b32_e32 v5, v107
	v_mov_b32_e32 v6, v108
	v_mov_b32_e32 v7, v109
	v_mov_b32_e32 v66, v0
	v_mov_b32_e32 v67, v1
	v_mov_b32_e32 v68, v2
	v_mov_b32_e32 v69, v3
	s_swappc_b64 s[30:31], s[60:61]
	v_mov_b32_e32 v4, v98
	v_mov_b32_e32 v5, v99
	v_mov_b32_e32 v6, v100
	v_mov_b32_e32 v7, v101
	v_mov_b32_e32 v78, v0
	v_mov_b32_e32 v79, v1
	v_mov_b32_e32 v80, v2
	v_mov_b32_e32 v81, v3
	;; [unrolled: 9-line block ×8, first 2 shown]
	s_swappc_b64 s[30:31], s[60:61]
	v_mov_b32_e32 v40, v0
	v_mov_b32_e32 v41, v1
	;; [unrolled: 1-line block ×4, first 2 shown]
.LBB231_42:
	s_or_b64 exec, exec, s[58:59]
	s_waitcnt lgkmcnt(3)
	v_add_u32_e32 v0, v130, v131
	s_waitcnt lgkmcnt(0)
	s_barrier
	ds_write_b128 v0, v[58:61]
	ds_write_b128 v0, v[66:69] offset:16
	ds_write_b128 v0, v[78:81] offset:32
	;; [unrolled: 1-line block ×9, first 2 shown]
	s_waitcnt lgkmcnt(0)
	s_barrier
	ds_read_b128 v[32:35], v130 offset:2048
	ds_read_b128 v[28:31], v130 offset:4096
	;; [unrolled: 1-line block ×9, first 2 shown]
	v_mov_b32_e32 v131, 0
	v_lshl_add_u64 v[36:37], s[56:57], 0, v[130:131]
	s_and_saveexec_b64 s[0:1], s[34:35]
	s_cbranch_execnz .LBB231_53
; %bb.43:
	s_or_b64 exec, exec, s[0:1]
	s_and_saveexec_b64 s[0:1], s[36:37]
	s_cbranch_execnz .LBB231_54
.LBB231_44:
	s_or_b64 exec, exec, s[0:1]
	s_and_saveexec_b64 s[0:1], s[38:39]
	s_cbranch_execnz .LBB231_55
.LBB231_45:
	s_or_b64 exec, exec, s[0:1]
	s_and_saveexec_b64 s[0:1], s[42:43]
	s_cbranch_execnz .LBB231_56
.LBB231_46:
	s_or_b64 exec, exec, s[0:1]
	s_and_saveexec_b64 s[0:1], s[44:45]
	s_cbranch_execnz .LBB231_57
.LBB231_47:
	s_or_b64 exec, exec, s[0:1]
	s_and_saveexec_b64 s[0:1], s[46:47]
	s_cbranch_execnz .LBB231_58
.LBB231_48:
	s_or_b64 exec, exec, s[0:1]
	s_and_saveexec_b64 s[0:1], s[48:49]
	s_cbranch_execnz .LBB231_59
.LBB231_49:
	s_or_b64 exec, exec, s[0:1]
	s_and_saveexec_b64 s[0:1], s[50:51]
	s_cbranch_execnz .LBB231_60
.LBB231_50:
	s_or_b64 exec, exec, s[0:1]
	s_and_saveexec_b64 s[0:1], s[52:53]
	s_cbranch_execnz .LBB231_61
.LBB231_51:
	s_or_b64 exec, exec, s[0:1]
	s_and_saveexec_b64 s[0:1], s[54:55]
	s_cbranch_execnz .LBB231_62
.LBB231_52:
	s_endpgm
.LBB231_53:
	ds_read_b128 v[38:41], v130
	s_waitcnt lgkmcnt(0)
	global_store_dwordx4 v[36:37], v[38:41], off
	s_or_b64 exec, exec, s[0:1]
	s_and_saveexec_b64 s[0:1], s[36:37]
	s_cbranch_execz .LBB231_44
.LBB231_54:
	s_waitcnt lgkmcnt(8)
	global_store_dwordx4 v[36:37], v[32:35], off offset:2048
	s_or_b64 exec, exec, s[0:1]
	s_and_saveexec_b64 s[0:1], s[38:39]
	s_cbranch_execz .LBB231_45
.LBB231_55:
	s_waitcnt lgkmcnt(8)
	v_add_co_u32_e32 v32, vcc, 0x1000, v36
	s_nop 1
	v_addc_co_u32_e32 v33, vcc, 0, v37, vcc
	s_waitcnt lgkmcnt(7)
	global_store_dwordx4 v[32:33], v[28:31], off
	s_or_b64 exec, exec, s[0:1]
	s_and_saveexec_b64 s[0:1], s[42:43]
	s_cbranch_execz .LBB231_46
.LBB231_56:
	s_waitcnt lgkmcnt(7)
	v_add_co_u32_e32 v28, vcc, 0x1000, v36
	s_nop 1
	v_addc_co_u32_e32 v29, vcc, 0, v37, vcc
	s_waitcnt lgkmcnt(6)
	global_store_dwordx4 v[28:29], v[24:27], off offset:2048
	s_or_b64 exec, exec, s[0:1]
	s_and_saveexec_b64 s[0:1], s[44:45]
	s_cbranch_execz .LBB231_47
.LBB231_57:
	s_waitcnt lgkmcnt(6)
	v_add_co_u32_e32 v24, vcc, 0x2000, v36
	s_nop 1
	v_addc_co_u32_e32 v25, vcc, 0, v37, vcc
	s_waitcnt lgkmcnt(5)
	global_store_dwordx4 v[24:25], v[20:23], off
	s_or_b64 exec, exec, s[0:1]
	s_and_saveexec_b64 s[0:1], s[46:47]
	s_cbranch_execz .LBB231_48
.LBB231_58:
	s_waitcnt lgkmcnt(5)
	v_add_co_u32_e32 v20, vcc, 0x2000, v36
	s_nop 1
	v_addc_co_u32_e32 v21, vcc, 0, v37, vcc
	s_waitcnt lgkmcnt(4)
	global_store_dwordx4 v[20:21], v[16:19], off offset:2048
	s_or_b64 exec, exec, s[0:1]
	s_and_saveexec_b64 s[0:1], s[48:49]
	s_cbranch_execz .LBB231_49
.LBB231_59:
	s_waitcnt lgkmcnt(4)
	v_add_co_u32_e32 v16, vcc, 0x3000, v36
	s_nop 1
	v_addc_co_u32_e32 v17, vcc, 0, v37, vcc
	s_waitcnt lgkmcnt(3)
	global_store_dwordx4 v[16:17], v[12:15], off
	s_or_b64 exec, exec, s[0:1]
	s_and_saveexec_b64 s[0:1], s[50:51]
	s_cbranch_execz .LBB231_50
.LBB231_60:
	s_waitcnt lgkmcnt(3)
	v_add_co_u32_e32 v12, vcc, 0x3000, v36
	s_nop 1
	v_addc_co_u32_e32 v13, vcc, 0, v37, vcc
	s_waitcnt lgkmcnt(2)
	global_store_dwordx4 v[12:13], v[8:11], off offset:2048
	s_or_b64 exec, exec, s[0:1]
	s_and_saveexec_b64 s[0:1], s[52:53]
	s_cbranch_execz .LBB231_51
.LBB231_61:
	s_waitcnt lgkmcnt(2)
	v_add_co_u32_e32 v8, vcc, 0x4000, v36
	s_nop 1
	v_addc_co_u32_e32 v9, vcc, 0, v37, vcc
	s_waitcnt lgkmcnt(1)
	global_store_dwordx4 v[8:9], v[4:7], off
	s_or_b64 exec, exec, s[0:1]
	s_and_saveexec_b64 s[0:1], s[54:55]
	s_cbranch_execz .LBB231_52
.LBB231_62:
	s_waitcnt lgkmcnt(1)
	v_add_co_u32_e32 v4, vcc, 0x4000, v36
	s_nop 1
	v_addc_co_u32_e32 v5, vcc, 0, v37, vcc
	s_waitcnt lgkmcnt(0)
	global_store_dwordx4 v[4:5], v[0:3], off offset:2048
	s_endpgm
	.section	.rodata,"a",@progbits
	.p2align	6, 0x0
	.amdhsa_kernel _ZN7rocprim17ROCPRIM_400000_NS6detail17trampoline_kernelINS0_14default_configENS1_20scan_config_selectorIN3c107complexIdEEEEZZNS1_9scan_implILNS1_25lookback_scan_determinismE0ELb0ELb0ES3_PKS7_PS7_S7_ZZZN2at6native31launch_logcumsumexp_cuda_kernelERKNSE_10TensorBaseESI_lENKUlvE_clEvENKUlvE1_clEvEUlS7_S7_E_S7_EEDaPvRmT3_T4_T5_mT6_P12ihipStream_tbENKUlT_T0_E_clISt17integral_constantIbLb1EESY_IbLb0EEEEDaSU_SV_EUlSU_E0_NS1_11comp_targetILNS1_3genE0ELNS1_11target_archE4294967295ELNS1_3gpuE0ELNS1_3repE0EEENS1_30default_config_static_selectorELNS0_4arch9wavefront6targetE1EEEvT1_
		.amdhsa_group_segment_fixed_size 20480
		.amdhsa_private_segment_fixed_size 0
		.amdhsa_kernarg_size 48
		.amdhsa_user_sgpr_count 2
		.amdhsa_user_sgpr_dispatch_ptr 0
		.amdhsa_user_sgpr_queue_ptr 0
		.amdhsa_user_sgpr_kernarg_segment_ptr 1
		.amdhsa_user_sgpr_dispatch_id 0
		.amdhsa_user_sgpr_kernarg_preload_length 0
		.amdhsa_user_sgpr_kernarg_preload_offset 0
		.amdhsa_user_sgpr_private_segment_size 0
		.amdhsa_uses_dynamic_stack 0
		.amdhsa_enable_private_segment 0
		.amdhsa_system_sgpr_workgroup_id_x 1
		.amdhsa_system_sgpr_workgroup_id_y 0
		.amdhsa_system_sgpr_workgroup_id_z 0
		.amdhsa_system_sgpr_workgroup_info 0
		.amdhsa_system_vgpr_workitem_id 0
		.amdhsa_next_free_vgpr 133
		.amdhsa_next_free_sgpr 96
		.amdhsa_accum_offset 136
		.amdhsa_reserve_vcc 1
		.amdhsa_float_round_mode_32 0
		.amdhsa_float_round_mode_16_64 0
		.amdhsa_float_denorm_mode_32 3
		.amdhsa_float_denorm_mode_16_64 3
		.amdhsa_dx10_clamp 1
		.amdhsa_ieee_mode 1
		.amdhsa_fp16_overflow 0
		.amdhsa_tg_split 0
		.amdhsa_exception_fp_ieee_invalid_op 0
		.amdhsa_exception_fp_denorm_src 0
		.amdhsa_exception_fp_ieee_div_zero 0
		.amdhsa_exception_fp_ieee_overflow 0
		.amdhsa_exception_fp_ieee_underflow 0
		.amdhsa_exception_fp_ieee_inexact 0
		.amdhsa_exception_int_div_zero 0
	.end_amdhsa_kernel
	.section	.text._ZN7rocprim17ROCPRIM_400000_NS6detail17trampoline_kernelINS0_14default_configENS1_20scan_config_selectorIN3c107complexIdEEEEZZNS1_9scan_implILNS1_25lookback_scan_determinismE0ELb0ELb0ES3_PKS7_PS7_S7_ZZZN2at6native31launch_logcumsumexp_cuda_kernelERKNSE_10TensorBaseESI_lENKUlvE_clEvENKUlvE1_clEvEUlS7_S7_E_S7_EEDaPvRmT3_T4_T5_mT6_P12ihipStream_tbENKUlT_T0_E_clISt17integral_constantIbLb1EESY_IbLb0EEEEDaSU_SV_EUlSU_E0_NS1_11comp_targetILNS1_3genE0ELNS1_11target_archE4294967295ELNS1_3gpuE0ELNS1_3repE0EEENS1_30default_config_static_selectorELNS0_4arch9wavefront6targetE1EEEvT1_,"axG",@progbits,_ZN7rocprim17ROCPRIM_400000_NS6detail17trampoline_kernelINS0_14default_configENS1_20scan_config_selectorIN3c107complexIdEEEEZZNS1_9scan_implILNS1_25lookback_scan_determinismE0ELb0ELb0ES3_PKS7_PS7_S7_ZZZN2at6native31launch_logcumsumexp_cuda_kernelERKNSE_10TensorBaseESI_lENKUlvE_clEvENKUlvE1_clEvEUlS7_S7_E_S7_EEDaPvRmT3_T4_T5_mT6_P12ihipStream_tbENKUlT_T0_E_clISt17integral_constantIbLb1EESY_IbLb0EEEEDaSU_SV_EUlSU_E0_NS1_11comp_targetILNS1_3genE0ELNS1_11target_archE4294967295ELNS1_3gpuE0ELNS1_3repE0EEENS1_30default_config_static_selectorELNS0_4arch9wavefront6targetE1EEEvT1_,comdat
.Lfunc_end231:
	.size	_ZN7rocprim17ROCPRIM_400000_NS6detail17trampoline_kernelINS0_14default_configENS1_20scan_config_selectorIN3c107complexIdEEEEZZNS1_9scan_implILNS1_25lookback_scan_determinismE0ELb0ELb0ES3_PKS7_PS7_S7_ZZZN2at6native31launch_logcumsumexp_cuda_kernelERKNSE_10TensorBaseESI_lENKUlvE_clEvENKUlvE1_clEvEUlS7_S7_E_S7_EEDaPvRmT3_T4_T5_mT6_P12ihipStream_tbENKUlT_T0_E_clISt17integral_constantIbLb1EESY_IbLb0EEEEDaSU_SV_EUlSU_E0_NS1_11comp_targetILNS1_3genE0ELNS1_11target_archE4294967295ELNS1_3gpuE0ELNS1_3repE0EEENS1_30default_config_static_selectorELNS0_4arch9wavefront6targetE1EEEvT1_, .Lfunc_end231-_ZN7rocprim17ROCPRIM_400000_NS6detail17trampoline_kernelINS0_14default_configENS1_20scan_config_selectorIN3c107complexIdEEEEZZNS1_9scan_implILNS1_25lookback_scan_determinismE0ELb0ELb0ES3_PKS7_PS7_S7_ZZZN2at6native31launch_logcumsumexp_cuda_kernelERKNSE_10TensorBaseESI_lENKUlvE_clEvENKUlvE1_clEvEUlS7_S7_E_S7_EEDaPvRmT3_T4_T5_mT6_P12ihipStream_tbENKUlT_T0_E_clISt17integral_constantIbLb1EESY_IbLb0EEEEDaSU_SV_EUlSU_E0_NS1_11comp_targetILNS1_3genE0ELNS1_11target_archE4294967295ELNS1_3gpuE0ELNS1_3repE0EEENS1_30default_config_static_selectorELNS0_4arch9wavefront6targetE1EEEvT1_
                                        ; -- End function
	.set _ZN7rocprim17ROCPRIM_400000_NS6detail17trampoline_kernelINS0_14default_configENS1_20scan_config_selectorIN3c107complexIdEEEEZZNS1_9scan_implILNS1_25lookback_scan_determinismE0ELb0ELb0ES3_PKS7_PS7_S7_ZZZN2at6native31launch_logcumsumexp_cuda_kernelERKNSE_10TensorBaseESI_lENKUlvE_clEvENKUlvE1_clEvEUlS7_S7_E_S7_EEDaPvRmT3_T4_T5_mT6_P12ihipStream_tbENKUlT_T0_E_clISt17integral_constantIbLb1EESY_IbLb0EEEEDaSU_SV_EUlSU_E0_NS1_11comp_targetILNS1_3genE0ELNS1_11target_archE4294967295ELNS1_3gpuE0ELNS1_3repE0EEENS1_30default_config_static_selectorELNS0_4arch9wavefront6targetE1EEEvT1_.num_vgpr, max(133, .L_ZZZZN2at6native31launch_logcumsumexp_cuda_kernelERKNS_10TensorBaseES3_lENKUlvE_clEvENKUlvE1_clEvENKUlN3c107complexIdEES8_E_clES8_S8_.num_vgpr)
	.set _ZN7rocprim17ROCPRIM_400000_NS6detail17trampoline_kernelINS0_14default_configENS1_20scan_config_selectorIN3c107complexIdEEEEZZNS1_9scan_implILNS1_25lookback_scan_determinismE0ELb0ELb0ES3_PKS7_PS7_S7_ZZZN2at6native31launch_logcumsumexp_cuda_kernelERKNSE_10TensorBaseESI_lENKUlvE_clEvENKUlvE1_clEvEUlS7_S7_E_S7_EEDaPvRmT3_T4_T5_mT6_P12ihipStream_tbENKUlT_T0_E_clISt17integral_constantIbLb1EESY_IbLb0EEEEDaSU_SV_EUlSU_E0_NS1_11comp_targetILNS1_3genE0ELNS1_11target_archE4294967295ELNS1_3gpuE0ELNS1_3repE0EEENS1_30default_config_static_selectorELNS0_4arch9wavefront6targetE1EEEvT1_.num_agpr, max(0, .L_ZZZZN2at6native31launch_logcumsumexp_cuda_kernelERKNS_10TensorBaseES3_lENKUlvE_clEvENKUlvE1_clEvENKUlN3c107complexIdEES8_E_clES8_S8_.num_agpr)
	.set _ZN7rocprim17ROCPRIM_400000_NS6detail17trampoline_kernelINS0_14default_configENS1_20scan_config_selectorIN3c107complexIdEEEEZZNS1_9scan_implILNS1_25lookback_scan_determinismE0ELb0ELb0ES3_PKS7_PS7_S7_ZZZN2at6native31launch_logcumsumexp_cuda_kernelERKNSE_10TensorBaseESI_lENKUlvE_clEvENKUlvE1_clEvEUlS7_S7_E_S7_EEDaPvRmT3_T4_T5_mT6_P12ihipStream_tbENKUlT_T0_E_clISt17integral_constantIbLb1EESY_IbLb0EEEEDaSU_SV_EUlSU_E0_NS1_11comp_targetILNS1_3genE0ELNS1_11target_archE4294967295ELNS1_3gpuE0ELNS1_3repE0EEENS1_30default_config_static_selectorELNS0_4arch9wavefront6targetE1EEEvT1_.numbered_sgpr, max(62, .L_ZZZZN2at6native31launch_logcumsumexp_cuda_kernelERKNS_10TensorBaseES3_lENKUlvE_clEvENKUlvE1_clEvENKUlN3c107complexIdEES8_E_clES8_S8_.numbered_sgpr)
	.set _ZN7rocprim17ROCPRIM_400000_NS6detail17trampoline_kernelINS0_14default_configENS1_20scan_config_selectorIN3c107complexIdEEEEZZNS1_9scan_implILNS1_25lookback_scan_determinismE0ELb0ELb0ES3_PKS7_PS7_S7_ZZZN2at6native31launch_logcumsumexp_cuda_kernelERKNSE_10TensorBaseESI_lENKUlvE_clEvENKUlvE1_clEvEUlS7_S7_E_S7_EEDaPvRmT3_T4_T5_mT6_P12ihipStream_tbENKUlT_T0_E_clISt17integral_constantIbLb1EESY_IbLb0EEEEDaSU_SV_EUlSU_E0_NS1_11comp_targetILNS1_3genE0ELNS1_11target_archE4294967295ELNS1_3gpuE0ELNS1_3repE0EEENS1_30default_config_static_selectorELNS0_4arch9wavefront6targetE1EEEvT1_.num_named_barrier, max(0, .L_ZZZZN2at6native31launch_logcumsumexp_cuda_kernelERKNS_10TensorBaseES3_lENKUlvE_clEvENKUlvE1_clEvENKUlN3c107complexIdEES8_E_clES8_S8_.num_named_barrier)
	.set _ZN7rocprim17ROCPRIM_400000_NS6detail17trampoline_kernelINS0_14default_configENS1_20scan_config_selectorIN3c107complexIdEEEEZZNS1_9scan_implILNS1_25lookback_scan_determinismE0ELb0ELb0ES3_PKS7_PS7_S7_ZZZN2at6native31launch_logcumsumexp_cuda_kernelERKNSE_10TensorBaseESI_lENKUlvE_clEvENKUlvE1_clEvEUlS7_S7_E_S7_EEDaPvRmT3_T4_T5_mT6_P12ihipStream_tbENKUlT_T0_E_clISt17integral_constantIbLb1EESY_IbLb0EEEEDaSU_SV_EUlSU_E0_NS1_11comp_targetILNS1_3genE0ELNS1_11target_archE4294967295ELNS1_3gpuE0ELNS1_3repE0EEENS1_30default_config_static_selectorELNS0_4arch9wavefront6targetE1EEEvT1_.private_seg_size, 0+max(.L_ZZZZN2at6native31launch_logcumsumexp_cuda_kernelERKNS_10TensorBaseES3_lENKUlvE_clEvENKUlvE1_clEvENKUlN3c107complexIdEES8_E_clES8_S8_.private_seg_size)
	.set _ZN7rocprim17ROCPRIM_400000_NS6detail17trampoline_kernelINS0_14default_configENS1_20scan_config_selectorIN3c107complexIdEEEEZZNS1_9scan_implILNS1_25lookback_scan_determinismE0ELb0ELb0ES3_PKS7_PS7_S7_ZZZN2at6native31launch_logcumsumexp_cuda_kernelERKNSE_10TensorBaseESI_lENKUlvE_clEvENKUlvE1_clEvEUlS7_S7_E_S7_EEDaPvRmT3_T4_T5_mT6_P12ihipStream_tbENKUlT_T0_E_clISt17integral_constantIbLb1EESY_IbLb0EEEEDaSU_SV_EUlSU_E0_NS1_11comp_targetILNS1_3genE0ELNS1_11target_archE4294967295ELNS1_3gpuE0ELNS1_3repE0EEENS1_30default_config_static_selectorELNS0_4arch9wavefront6targetE1EEEvT1_.uses_vcc, or(1, .L_ZZZZN2at6native31launch_logcumsumexp_cuda_kernelERKNS_10TensorBaseES3_lENKUlvE_clEvENKUlvE1_clEvENKUlN3c107complexIdEES8_E_clES8_S8_.uses_vcc)
	.set _ZN7rocprim17ROCPRIM_400000_NS6detail17trampoline_kernelINS0_14default_configENS1_20scan_config_selectorIN3c107complexIdEEEEZZNS1_9scan_implILNS1_25lookback_scan_determinismE0ELb0ELb0ES3_PKS7_PS7_S7_ZZZN2at6native31launch_logcumsumexp_cuda_kernelERKNSE_10TensorBaseESI_lENKUlvE_clEvENKUlvE1_clEvEUlS7_S7_E_S7_EEDaPvRmT3_T4_T5_mT6_P12ihipStream_tbENKUlT_T0_E_clISt17integral_constantIbLb1EESY_IbLb0EEEEDaSU_SV_EUlSU_E0_NS1_11comp_targetILNS1_3genE0ELNS1_11target_archE4294967295ELNS1_3gpuE0ELNS1_3repE0EEENS1_30default_config_static_selectorELNS0_4arch9wavefront6targetE1EEEvT1_.uses_flat_scratch, or(0, .L_ZZZZN2at6native31launch_logcumsumexp_cuda_kernelERKNS_10TensorBaseES3_lENKUlvE_clEvENKUlvE1_clEvENKUlN3c107complexIdEES8_E_clES8_S8_.uses_flat_scratch)
	.set _ZN7rocprim17ROCPRIM_400000_NS6detail17trampoline_kernelINS0_14default_configENS1_20scan_config_selectorIN3c107complexIdEEEEZZNS1_9scan_implILNS1_25lookback_scan_determinismE0ELb0ELb0ES3_PKS7_PS7_S7_ZZZN2at6native31launch_logcumsumexp_cuda_kernelERKNSE_10TensorBaseESI_lENKUlvE_clEvENKUlvE1_clEvEUlS7_S7_E_S7_EEDaPvRmT3_T4_T5_mT6_P12ihipStream_tbENKUlT_T0_E_clISt17integral_constantIbLb1EESY_IbLb0EEEEDaSU_SV_EUlSU_E0_NS1_11comp_targetILNS1_3genE0ELNS1_11target_archE4294967295ELNS1_3gpuE0ELNS1_3repE0EEENS1_30default_config_static_selectorELNS0_4arch9wavefront6targetE1EEEvT1_.has_dyn_sized_stack, or(0, .L_ZZZZN2at6native31launch_logcumsumexp_cuda_kernelERKNS_10TensorBaseES3_lENKUlvE_clEvENKUlvE1_clEvENKUlN3c107complexIdEES8_E_clES8_S8_.has_dyn_sized_stack)
	.set _ZN7rocprim17ROCPRIM_400000_NS6detail17trampoline_kernelINS0_14default_configENS1_20scan_config_selectorIN3c107complexIdEEEEZZNS1_9scan_implILNS1_25lookback_scan_determinismE0ELb0ELb0ES3_PKS7_PS7_S7_ZZZN2at6native31launch_logcumsumexp_cuda_kernelERKNSE_10TensorBaseESI_lENKUlvE_clEvENKUlvE1_clEvEUlS7_S7_E_S7_EEDaPvRmT3_T4_T5_mT6_P12ihipStream_tbENKUlT_T0_E_clISt17integral_constantIbLb1EESY_IbLb0EEEEDaSU_SV_EUlSU_E0_NS1_11comp_targetILNS1_3genE0ELNS1_11target_archE4294967295ELNS1_3gpuE0ELNS1_3repE0EEENS1_30default_config_static_selectorELNS0_4arch9wavefront6targetE1EEEvT1_.has_recursion, or(0, .L_ZZZZN2at6native31launch_logcumsumexp_cuda_kernelERKNS_10TensorBaseES3_lENKUlvE_clEvENKUlvE1_clEvENKUlN3c107complexIdEES8_E_clES8_S8_.has_recursion)
	.set _ZN7rocprim17ROCPRIM_400000_NS6detail17trampoline_kernelINS0_14default_configENS1_20scan_config_selectorIN3c107complexIdEEEEZZNS1_9scan_implILNS1_25lookback_scan_determinismE0ELb0ELb0ES3_PKS7_PS7_S7_ZZZN2at6native31launch_logcumsumexp_cuda_kernelERKNSE_10TensorBaseESI_lENKUlvE_clEvENKUlvE1_clEvEUlS7_S7_E_S7_EEDaPvRmT3_T4_T5_mT6_P12ihipStream_tbENKUlT_T0_E_clISt17integral_constantIbLb1EESY_IbLb0EEEEDaSU_SV_EUlSU_E0_NS1_11comp_targetILNS1_3genE0ELNS1_11target_archE4294967295ELNS1_3gpuE0ELNS1_3repE0EEENS1_30default_config_static_selectorELNS0_4arch9wavefront6targetE1EEEvT1_.has_indirect_call, or(0, .L_ZZZZN2at6native31launch_logcumsumexp_cuda_kernelERKNS_10TensorBaseES3_lENKUlvE_clEvENKUlvE1_clEvENKUlN3c107complexIdEES8_E_clES8_S8_.has_indirect_call)
	.section	.AMDGPU.csdata,"",@progbits
; Kernel info:
; codeLenInByte = 3264
; TotalNumSgprs: 68
; NumVgprs: 133
; NumAgprs: 0
; TotalNumVgprs: 133
; ScratchSize: 0
; MemoryBound: 1
; FloatMode: 240
; IeeeMode: 1
; LDSByteSize: 20480 bytes/workgroup (compile time only)
; SGPRBlocks: 12
; VGPRBlocks: 16
; NumSGPRsForWavesPerEU: 102
; NumVGPRsForWavesPerEU: 133
; AccumOffset: 136
; Occupancy: 3
; WaveLimiterHint : 0
; COMPUTE_PGM_RSRC2:SCRATCH_EN: 0
; COMPUTE_PGM_RSRC2:USER_SGPR: 2
; COMPUTE_PGM_RSRC2:TRAP_HANDLER: 0
; COMPUTE_PGM_RSRC2:TGID_X_EN: 1
; COMPUTE_PGM_RSRC2:TGID_Y_EN: 0
; COMPUTE_PGM_RSRC2:TGID_Z_EN: 0
; COMPUTE_PGM_RSRC2:TIDIG_COMP_CNT: 0
; COMPUTE_PGM_RSRC3_GFX90A:ACCUM_OFFSET: 33
; COMPUTE_PGM_RSRC3_GFX90A:TG_SPLIT: 0
	.section	.text._ZN7rocprim17ROCPRIM_400000_NS6detail17trampoline_kernelINS0_14default_configENS1_20scan_config_selectorIN3c107complexIdEEEEZZNS1_9scan_implILNS1_25lookback_scan_determinismE0ELb0ELb0ES3_PKS7_PS7_S7_ZZZN2at6native31launch_logcumsumexp_cuda_kernelERKNSE_10TensorBaseESI_lENKUlvE_clEvENKUlvE1_clEvEUlS7_S7_E_S7_EEDaPvRmT3_T4_T5_mT6_P12ihipStream_tbENKUlT_T0_E_clISt17integral_constantIbLb1EESY_IbLb0EEEEDaSU_SV_EUlSU_E0_NS1_11comp_targetILNS1_3genE5ELNS1_11target_archE942ELNS1_3gpuE9ELNS1_3repE0EEENS1_30default_config_static_selectorELNS0_4arch9wavefront6targetE1EEEvT1_,"axG",@progbits,_ZN7rocprim17ROCPRIM_400000_NS6detail17trampoline_kernelINS0_14default_configENS1_20scan_config_selectorIN3c107complexIdEEEEZZNS1_9scan_implILNS1_25lookback_scan_determinismE0ELb0ELb0ES3_PKS7_PS7_S7_ZZZN2at6native31launch_logcumsumexp_cuda_kernelERKNSE_10TensorBaseESI_lENKUlvE_clEvENKUlvE1_clEvEUlS7_S7_E_S7_EEDaPvRmT3_T4_T5_mT6_P12ihipStream_tbENKUlT_T0_E_clISt17integral_constantIbLb1EESY_IbLb0EEEEDaSU_SV_EUlSU_E0_NS1_11comp_targetILNS1_3genE5ELNS1_11target_archE942ELNS1_3gpuE9ELNS1_3repE0EEENS1_30default_config_static_selectorELNS0_4arch9wavefront6targetE1EEEvT1_,comdat
	.globl	_ZN7rocprim17ROCPRIM_400000_NS6detail17trampoline_kernelINS0_14default_configENS1_20scan_config_selectorIN3c107complexIdEEEEZZNS1_9scan_implILNS1_25lookback_scan_determinismE0ELb0ELb0ES3_PKS7_PS7_S7_ZZZN2at6native31launch_logcumsumexp_cuda_kernelERKNSE_10TensorBaseESI_lENKUlvE_clEvENKUlvE1_clEvEUlS7_S7_E_S7_EEDaPvRmT3_T4_T5_mT6_P12ihipStream_tbENKUlT_T0_E_clISt17integral_constantIbLb1EESY_IbLb0EEEEDaSU_SV_EUlSU_E0_NS1_11comp_targetILNS1_3genE5ELNS1_11target_archE942ELNS1_3gpuE9ELNS1_3repE0EEENS1_30default_config_static_selectorELNS0_4arch9wavefront6targetE1EEEvT1_ ; -- Begin function _ZN7rocprim17ROCPRIM_400000_NS6detail17trampoline_kernelINS0_14default_configENS1_20scan_config_selectorIN3c107complexIdEEEEZZNS1_9scan_implILNS1_25lookback_scan_determinismE0ELb0ELb0ES3_PKS7_PS7_S7_ZZZN2at6native31launch_logcumsumexp_cuda_kernelERKNSE_10TensorBaseESI_lENKUlvE_clEvENKUlvE1_clEvEUlS7_S7_E_S7_EEDaPvRmT3_T4_T5_mT6_P12ihipStream_tbENKUlT_T0_E_clISt17integral_constantIbLb1EESY_IbLb0EEEEDaSU_SV_EUlSU_E0_NS1_11comp_targetILNS1_3genE5ELNS1_11target_archE942ELNS1_3gpuE9ELNS1_3repE0EEENS1_30default_config_static_selectorELNS0_4arch9wavefront6targetE1EEEvT1_
	.p2align	8
	.type	_ZN7rocprim17ROCPRIM_400000_NS6detail17trampoline_kernelINS0_14default_configENS1_20scan_config_selectorIN3c107complexIdEEEEZZNS1_9scan_implILNS1_25lookback_scan_determinismE0ELb0ELb0ES3_PKS7_PS7_S7_ZZZN2at6native31launch_logcumsumexp_cuda_kernelERKNSE_10TensorBaseESI_lENKUlvE_clEvENKUlvE1_clEvEUlS7_S7_E_S7_EEDaPvRmT3_T4_T5_mT6_P12ihipStream_tbENKUlT_T0_E_clISt17integral_constantIbLb1EESY_IbLb0EEEEDaSU_SV_EUlSU_E0_NS1_11comp_targetILNS1_3genE5ELNS1_11target_archE942ELNS1_3gpuE9ELNS1_3repE0EEENS1_30default_config_static_selectorELNS0_4arch9wavefront6targetE1EEEvT1_,@function
_ZN7rocprim17ROCPRIM_400000_NS6detail17trampoline_kernelINS0_14default_configENS1_20scan_config_selectorIN3c107complexIdEEEEZZNS1_9scan_implILNS1_25lookback_scan_determinismE0ELb0ELb0ES3_PKS7_PS7_S7_ZZZN2at6native31launch_logcumsumexp_cuda_kernelERKNSE_10TensorBaseESI_lENKUlvE_clEvENKUlvE1_clEvEUlS7_S7_E_S7_EEDaPvRmT3_T4_T5_mT6_P12ihipStream_tbENKUlT_T0_E_clISt17integral_constantIbLb1EESY_IbLb0EEEEDaSU_SV_EUlSU_E0_NS1_11comp_targetILNS1_3genE5ELNS1_11target_archE942ELNS1_3gpuE9ELNS1_3repE0EEENS1_30default_config_static_selectorELNS0_4arch9wavefront6targetE1EEEvT1_: ; @_ZN7rocprim17ROCPRIM_400000_NS6detail17trampoline_kernelINS0_14default_configENS1_20scan_config_selectorIN3c107complexIdEEEEZZNS1_9scan_implILNS1_25lookback_scan_determinismE0ELb0ELb0ES3_PKS7_PS7_S7_ZZZN2at6native31launch_logcumsumexp_cuda_kernelERKNSE_10TensorBaseESI_lENKUlvE_clEvENKUlvE1_clEvEUlS7_S7_E_S7_EEDaPvRmT3_T4_T5_mT6_P12ihipStream_tbENKUlT_T0_E_clISt17integral_constantIbLb1EESY_IbLb0EEEEDaSU_SV_EUlSU_E0_NS1_11comp_targetILNS1_3genE5ELNS1_11target_archE942ELNS1_3gpuE9ELNS1_3repE0EEENS1_30default_config_static_selectorELNS0_4arch9wavefront6targetE1EEEvT1_
; %bb.0:
	.section	.rodata,"a",@progbits
	.p2align	6, 0x0
	.amdhsa_kernel _ZN7rocprim17ROCPRIM_400000_NS6detail17trampoline_kernelINS0_14default_configENS1_20scan_config_selectorIN3c107complexIdEEEEZZNS1_9scan_implILNS1_25lookback_scan_determinismE0ELb0ELb0ES3_PKS7_PS7_S7_ZZZN2at6native31launch_logcumsumexp_cuda_kernelERKNSE_10TensorBaseESI_lENKUlvE_clEvENKUlvE1_clEvEUlS7_S7_E_S7_EEDaPvRmT3_T4_T5_mT6_P12ihipStream_tbENKUlT_T0_E_clISt17integral_constantIbLb1EESY_IbLb0EEEEDaSU_SV_EUlSU_E0_NS1_11comp_targetILNS1_3genE5ELNS1_11target_archE942ELNS1_3gpuE9ELNS1_3repE0EEENS1_30default_config_static_selectorELNS0_4arch9wavefront6targetE1EEEvT1_
		.amdhsa_group_segment_fixed_size 0
		.amdhsa_private_segment_fixed_size 0
		.amdhsa_kernarg_size 48
		.amdhsa_user_sgpr_count 2
		.amdhsa_user_sgpr_dispatch_ptr 0
		.amdhsa_user_sgpr_queue_ptr 0
		.amdhsa_user_sgpr_kernarg_segment_ptr 1
		.amdhsa_user_sgpr_dispatch_id 0
		.amdhsa_user_sgpr_kernarg_preload_length 0
		.amdhsa_user_sgpr_kernarg_preload_offset 0
		.amdhsa_user_sgpr_private_segment_size 0
		.amdhsa_uses_dynamic_stack 0
		.amdhsa_enable_private_segment 0
		.amdhsa_system_sgpr_workgroup_id_x 1
		.amdhsa_system_sgpr_workgroup_id_y 0
		.amdhsa_system_sgpr_workgroup_id_z 0
		.amdhsa_system_sgpr_workgroup_info 0
		.amdhsa_system_vgpr_workitem_id 0
		.amdhsa_next_free_vgpr 1
		.amdhsa_next_free_sgpr 0
		.amdhsa_accum_offset 4
		.amdhsa_reserve_vcc 0
		.amdhsa_float_round_mode_32 0
		.amdhsa_float_round_mode_16_64 0
		.amdhsa_float_denorm_mode_32 3
		.amdhsa_float_denorm_mode_16_64 3
		.amdhsa_dx10_clamp 1
		.amdhsa_ieee_mode 1
		.amdhsa_fp16_overflow 0
		.amdhsa_tg_split 0
		.amdhsa_exception_fp_ieee_invalid_op 0
		.amdhsa_exception_fp_denorm_src 0
		.amdhsa_exception_fp_ieee_div_zero 0
		.amdhsa_exception_fp_ieee_overflow 0
		.amdhsa_exception_fp_ieee_underflow 0
		.amdhsa_exception_fp_ieee_inexact 0
		.amdhsa_exception_int_div_zero 0
	.end_amdhsa_kernel
	.section	.text._ZN7rocprim17ROCPRIM_400000_NS6detail17trampoline_kernelINS0_14default_configENS1_20scan_config_selectorIN3c107complexIdEEEEZZNS1_9scan_implILNS1_25lookback_scan_determinismE0ELb0ELb0ES3_PKS7_PS7_S7_ZZZN2at6native31launch_logcumsumexp_cuda_kernelERKNSE_10TensorBaseESI_lENKUlvE_clEvENKUlvE1_clEvEUlS7_S7_E_S7_EEDaPvRmT3_T4_T5_mT6_P12ihipStream_tbENKUlT_T0_E_clISt17integral_constantIbLb1EESY_IbLb0EEEEDaSU_SV_EUlSU_E0_NS1_11comp_targetILNS1_3genE5ELNS1_11target_archE942ELNS1_3gpuE9ELNS1_3repE0EEENS1_30default_config_static_selectorELNS0_4arch9wavefront6targetE1EEEvT1_,"axG",@progbits,_ZN7rocprim17ROCPRIM_400000_NS6detail17trampoline_kernelINS0_14default_configENS1_20scan_config_selectorIN3c107complexIdEEEEZZNS1_9scan_implILNS1_25lookback_scan_determinismE0ELb0ELb0ES3_PKS7_PS7_S7_ZZZN2at6native31launch_logcumsumexp_cuda_kernelERKNSE_10TensorBaseESI_lENKUlvE_clEvENKUlvE1_clEvEUlS7_S7_E_S7_EEDaPvRmT3_T4_T5_mT6_P12ihipStream_tbENKUlT_T0_E_clISt17integral_constantIbLb1EESY_IbLb0EEEEDaSU_SV_EUlSU_E0_NS1_11comp_targetILNS1_3genE5ELNS1_11target_archE942ELNS1_3gpuE9ELNS1_3repE0EEENS1_30default_config_static_selectorELNS0_4arch9wavefront6targetE1EEEvT1_,comdat
.Lfunc_end232:
	.size	_ZN7rocprim17ROCPRIM_400000_NS6detail17trampoline_kernelINS0_14default_configENS1_20scan_config_selectorIN3c107complexIdEEEEZZNS1_9scan_implILNS1_25lookback_scan_determinismE0ELb0ELb0ES3_PKS7_PS7_S7_ZZZN2at6native31launch_logcumsumexp_cuda_kernelERKNSE_10TensorBaseESI_lENKUlvE_clEvENKUlvE1_clEvEUlS7_S7_E_S7_EEDaPvRmT3_T4_T5_mT6_P12ihipStream_tbENKUlT_T0_E_clISt17integral_constantIbLb1EESY_IbLb0EEEEDaSU_SV_EUlSU_E0_NS1_11comp_targetILNS1_3genE5ELNS1_11target_archE942ELNS1_3gpuE9ELNS1_3repE0EEENS1_30default_config_static_selectorELNS0_4arch9wavefront6targetE1EEEvT1_, .Lfunc_end232-_ZN7rocprim17ROCPRIM_400000_NS6detail17trampoline_kernelINS0_14default_configENS1_20scan_config_selectorIN3c107complexIdEEEEZZNS1_9scan_implILNS1_25lookback_scan_determinismE0ELb0ELb0ES3_PKS7_PS7_S7_ZZZN2at6native31launch_logcumsumexp_cuda_kernelERKNSE_10TensorBaseESI_lENKUlvE_clEvENKUlvE1_clEvEUlS7_S7_E_S7_EEDaPvRmT3_T4_T5_mT6_P12ihipStream_tbENKUlT_T0_E_clISt17integral_constantIbLb1EESY_IbLb0EEEEDaSU_SV_EUlSU_E0_NS1_11comp_targetILNS1_3genE5ELNS1_11target_archE942ELNS1_3gpuE9ELNS1_3repE0EEENS1_30default_config_static_selectorELNS0_4arch9wavefront6targetE1EEEvT1_
                                        ; -- End function
	.set _ZN7rocprim17ROCPRIM_400000_NS6detail17trampoline_kernelINS0_14default_configENS1_20scan_config_selectorIN3c107complexIdEEEEZZNS1_9scan_implILNS1_25lookback_scan_determinismE0ELb0ELb0ES3_PKS7_PS7_S7_ZZZN2at6native31launch_logcumsumexp_cuda_kernelERKNSE_10TensorBaseESI_lENKUlvE_clEvENKUlvE1_clEvEUlS7_S7_E_S7_EEDaPvRmT3_T4_T5_mT6_P12ihipStream_tbENKUlT_T0_E_clISt17integral_constantIbLb1EESY_IbLb0EEEEDaSU_SV_EUlSU_E0_NS1_11comp_targetILNS1_3genE5ELNS1_11target_archE942ELNS1_3gpuE9ELNS1_3repE0EEENS1_30default_config_static_selectorELNS0_4arch9wavefront6targetE1EEEvT1_.num_vgpr, 0
	.set _ZN7rocprim17ROCPRIM_400000_NS6detail17trampoline_kernelINS0_14default_configENS1_20scan_config_selectorIN3c107complexIdEEEEZZNS1_9scan_implILNS1_25lookback_scan_determinismE0ELb0ELb0ES3_PKS7_PS7_S7_ZZZN2at6native31launch_logcumsumexp_cuda_kernelERKNSE_10TensorBaseESI_lENKUlvE_clEvENKUlvE1_clEvEUlS7_S7_E_S7_EEDaPvRmT3_T4_T5_mT6_P12ihipStream_tbENKUlT_T0_E_clISt17integral_constantIbLb1EESY_IbLb0EEEEDaSU_SV_EUlSU_E0_NS1_11comp_targetILNS1_3genE5ELNS1_11target_archE942ELNS1_3gpuE9ELNS1_3repE0EEENS1_30default_config_static_selectorELNS0_4arch9wavefront6targetE1EEEvT1_.num_agpr, 0
	.set _ZN7rocprim17ROCPRIM_400000_NS6detail17trampoline_kernelINS0_14default_configENS1_20scan_config_selectorIN3c107complexIdEEEEZZNS1_9scan_implILNS1_25lookback_scan_determinismE0ELb0ELb0ES3_PKS7_PS7_S7_ZZZN2at6native31launch_logcumsumexp_cuda_kernelERKNSE_10TensorBaseESI_lENKUlvE_clEvENKUlvE1_clEvEUlS7_S7_E_S7_EEDaPvRmT3_T4_T5_mT6_P12ihipStream_tbENKUlT_T0_E_clISt17integral_constantIbLb1EESY_IbLb0EEEEDaSU_SV_EUlSU_E0_NS1_11comp_targetILNS1_3genE5ELNS1_11target_archE942ELNS1_3gpuE9ELNS1_3repE0EEENS1_30default_config_static_selectorELNS0_4arch9wavefront6targetE1EEEvT1_.numbered_sgpr, 0
	.set _ZN7rocprim17ROCPRIM_400000_NS6detail17trampoline_kernelINS0_14default_configENS1_20scan_config_selectorIN3c107complexIdEEEEZZNS1_9scan_implILNS1_25lookback_scan_determinismE0ELb0ELb0ES3_PKS7_PS7_S7_ZZZN2at6native31launch_logcumsumexp_cuda_kernelERKNSE_10TensorBaseESI_lENKUlvE_clEvENKUlvE1_clEvEUlS7_S7_E_S7_EEDaPvRmT3_T4_T5_mT6_P12ihipStream_tbENKUlT_T0_E_clISt17integral_constantIbLb1EESY_IbLb0EEEEDaSU_SV_EUlSU_E0_NS1_11comp_targetILNS1_3genE5ELNS1_11target_archE942ELNS1_3gpuE9ELNS1_3repE0EEENS1_30default_config_static_selectorELNS0_4arch9wavefront6targetE1EEEvT1_.num_named_barrier, 0
	.set _ZN7rocprim17ROCPRIM_400000_NS6detail17trampoline_kernelINS0_14default_configENS1_20scan_config_selectorIN3c107complexIdEEEEZZNS1_9scan_implILNS1_25lookback_scan_determinismE0ELb0ELb0ES3_PKS7_PS7_S7_ZZZN2at6native31launch_logcumsumexp_cuda_kernelERKNSE_10TensorBaseESI_lENKUlvE_clEvENKUlvE1_clEvEUlS7_S7_E_S7_EEDaPvRmT3_T4_T5_mT6_P12ihipStream_tbENKUlT_T0_E_clISt17integral_constantIbLb1EESY_IbLb0EEEEDaSU_SV_EUlSU_E0_NS1_11comp_targetILNS1_3genE5ELNS1_11target_archE942ELNS1_3gpuE9ELNS1_3repE0EEENS1_30default_config_static_selectorELNS0_4arch9wavefront6targetE1EEEvT1_.private_seg_size, 0
	.set _ZN7rocprim17ROCPRIM_400000_NS6detail17trampoline_kernelINS0_14default_configENS1_20scan_config_selectorIN3c107complexIdEEEEZZNS1_9scan_implILNS1_25lookback_scan_determinismE0ELb0ELb0ES3_PKS7_PS7_S7_ZZZN2at6native31launch_logcumsumexp_cuda_kernelERKNSE_10TensorBaseESI_lENKUlvE_clEvENKUlvE1_clEvEUlS7_S7_E_S7_EEDaPvRmT3_T4_T5_mT6_P12ihipStream_tbENKUlT_T0_E_clISt17integral_constantIbLb1EESY_IbLb0EEEEDaSU_SV_EUlSU_E0_NS1_11comp_targetILNS1_3genE5ELNS1_11target_archE942ELNS1_3gpuE9ELNS1_3repE0EEENS1_30default_config_static_selectorELNS0_4arch9wavefront6targetE1EEEvT1_.uses_vcc, 0
	.set _ZN7rocprim17ROCPRIM_400000_NS6detail17trampoline_kernelINS0_14default_configENS1_20scan_config_selectorIN3c107complexIdEEEEZZNS1_9scan_implILNS1_25lookback_scan_determinismE0ELb0ELb0ES3_PKS7_PS7_S7_ZZZN2at6native31launch_logcumsumexp_cuda_kernelERKNSE_10TensorBaseESI_lENKUlvE_clEvENKUlvE1_clEvEUlS7_S7_E_S7_EEDaPvRmT3_T4_T5_mT6_P12ihipStream_tbENKUlT_T0_E_clISt17integral_constantIbLb1EESY_IbLb0EEEEDaSU_SV_EUlSU_E0_NS1_11comp_targetILNS1_3genE5ELNS1_11target_archE942ELNS1_3gpuE9ELNS1_3repE0EEENS1_30default_config_static_selectorELNS0_4arch9wavefront6targetE1EEEvT1_.uses_flat_scratch, 0
	.set _ZN7rocprim17ROCPRIM_400000_NS6detail17trampoline_kernelINS0_14default_configENS1_20scan_config_selectorIN3c107complexIdEEEEZZNS1_9scan_implILNS1_25lookback_scan_determinismE0ELb0ELb0ES3_PKS7_PS7_S7_ZZZN2at6native31launch_logcumsumexp_cuda_kernelERKNSE_10TensorBaseESI_lENKUlvE_clEvENKUlvE1_clEvEUlS7_S7_E_S7_EEDaPvRmT3_T4_T5_mT6_P12ihipStream_tbENKUlT_T0_E_clISt17integral_constantIbLb1EESY_IbLb0EEEEDaSU_SV_EUlSU_E0_NS1_11comp_targetILNS1_3genE5ELNS1_11target_archE942ELNS1_3gpuE9ELNS1_3repE0EEENS1_30default_config_static_selectorELNS0_4arch9wavefront6targetE1EEEvT1_.has_dyn_sized_stack, 0
	.set _ZN7rocprim17ROCPRIM_400000_NS6detail17trampoline_kernelINS0_14default_configENS1_20scan_config_selectorIN3c107complexIdEEEEZZNS1_9scan_implILNS1_25lookback_scan_determinismE0ELb0ELb0ES3_PKS7_PS7_S7_ZZZN2at6native31launch_logcumsumexp_cuda_kernelERKNSE_10TensorBaseESI_lENKUlvE_clEvENKUlvE1_clEvEUlS7_S7_E_S7_EEDaPvRmT3_T4_T5_mT6_P12ihipStream_tbENKUlT_T0_E_clISt17integral_constantIbLb1EESY_IbLb0EEEEDaSU_SV_EUlSU_E0_NS1_11comp_targetILNS1_3genE5ELNS1_11target_archE942ELNS1_3gpuE9ELNS1_3repE0EEENS1_30default_config_static_selectorELNS0_4arch9wavefront6targetE1EEEvT1_.has_recursion, 0
	.set _ZN7rocprim17ROCPRIM_400000_NS6detail17trampoline_kernelINS0_14default_configENS1_20scan_config_selectorIN3c107complexIdEEEEZZNS1_9scan_implILNS1_25lookback_scan_determinismE0ELb0ELb0ES3_PKS7_PS7_S7_ZZZN2at6native31launch_logcumsumexp_cuda_kernelERKNSE_10TensorBaseESI_lENKUlvE_clEvENKUlvE1_clEvEUlS7_S7_E_S7_EEDaPvRmT3_T4_T5_mT6_P12ihipStream_tbENKUlT_T0_E_clISt17integral_constantIbLb1EESY_IbLb0EEEEDaSU_SV_EUlSU_E0_NS1_11comp_targetILNS1_3genE5ELNS1_11target_archE942ELNS1_3gpuE9ELNS1_3repE0EEENS1_30default_config_static_selectorELNS0_4arch9wavefront6targetE1EEEvT1_.has_indirect_call, 0
	.section	.AMDGPU.csdata,"",@progbits
; Kernel info:
; codeLenInByte = 0
; TotalNumSgprs: 6
; NumVgprs: 0
; NumAgprs: 0
; TotalNumVgprs: 0
; ScratchSize: 0
; MemoryBound: 0
; FloatMode: 240
; IeeeMode: 1
; LDSByteSize: 0 bytes/workgroup (compile time only)
; SGPRBlocks: 0
; VGPRBlocks: 0
; NumSGPRsForWavesPerEU: 6
; NumVGPRsForWavesPerEU: 1
; AccumOffset: 4
; Occupancy: 8
; WaveLimiterHint : 0
; COMPUTE_PGM_RSRC2:SCRATCH_EN: 0
; COMPUTE_PGM_RSRC2:USER_SGPR: 2
; COMPUTE_PGM_RSRC2:TRAP_HANDLER: 0
; COMPUTE_PGM_RSRC2:TGID_X_EN: 1
; COMPUTE_PGM_RSRC2:TGID_Y_EN: 0
; COMPUTE_PGM_RSRC2:TGID_Z_EN: 0
; COMPUTE_PGM_RSRC2:TIDIG_COMP_CNT: 0
; COMPUTE_PGM_RSRC3_GFX90A:ACCUM_OFFSET: 0
; COMPUTE_PGM_RSRC3_GFX90A:TG_SPLIT: 0
	.section	.text._ZN7rocprim17ROCPRIM_400000_NS6detail17trampoline_kernelINS0_14default_configENS1_20scan_config_selectorIN3c107complexIdEEEEZZNS1_9scan_implILNS1_25lookback_scan_determinismE0ELb0ELb0ES3_PKS7_PS7_S7_ZZZN2at6native31launch_logcumsumexp_cuda_kernelERKNSE_10TensorBaseESI_lENKUlvE_clEvENKUlvE1_clEvEUlS7_S7_E_S7_EEDaPvRmT3_T4_T5_mT6_P12ihipStream_tbENKUlT_T0_E_clISt17integral_constantIbLb1EESY_IbLb0EEEEDaSU_SV_EUlSU_E0_NS1_11comp_targetILNS1_3genE4ELNS1_11target_archE910ELNS1_3gpuE8ELNS1_3repE0EEENS1_30default_config_static_selectorELNS0_4arch9wavefront6targetE1EEEvT1_,"axG",@progbits,_ZN7rocprim17ROCPRIM_400000_NS6detail17trampoline_kernelINS0_14default_configENS1_20scan_config_selectorIN3c107complexIdEEEEZZNS1_9scan_implILNS1_25lookback_scan_determinismE0ELb0ELb0ES3_PKS7_PS7_S7_ZZZN2at6native31launch_logcumsumexp_cuda_kernelERKNSE_10TensorBaseESI_lENKUlvE_clEvENKUlvE1_clEvEUlS7_S7_E_S7_EEDaPvRmT3_T4_T5_mT6_P12ihipStream_tbENKUlT_T0_E_clISt17integral_constantIbLb1EESY_IbLb0EEEEDaSU_SV_EUlSU_E0_NS1_11comp_targetILNS1_3genE4ELNS1_11target_archE910ELNS1_3gpuE8ELNS1_3repE0EEENS1_30default_config_static_selectorELNS0_4arch9wavefront6targetE1EEEvT1_,comdat
	.globl	_ZN7rocprim17ROCPRIM_400000_NS6detail17trampoline_kernelINS0_14default_configENS1_20scan_config_selectorIN3c107complexIdEEEEZZNS1_9scan_implILNS1_25lookback_scan_determinismE0ELb0ELb0ES3_PKS7_PS7_S7_ZZZN2at6native31launch_logcumsumexp_cuda_kernelERKNSE_10TensorBaseESI_lENKUlvE_clEvENKUlvE1_clEvEUlS7_S7_E_S7_EEDaPvRmT3_T4_T5_mT6_P12ihipStream_tbENKUlT_T0_E_clISt17integral_constantIbLb1EESY_IbLb0EEEEDaSU_SV_EUlSU_E0_NS1_11comp_targetILNS1_3genE4ELNS1_11target_archE910ELNS1_3gpuE8ELNS1_3repE0EEENS1_30default_config_static_selectorELNS0_4arch9wavefront6targetE1EEEvT1_ ; -- Begin function _ZN7rocprim17ROCPRIM_400000_NS6detail17trampoline_kernelINS0_14default_configENS1_20scan_config_selectorIN3c107complexIdEEEEZZNS1_9scan_implILNS1_25lookback_scan_determinismE0ELb0ELb0ES3_PKS7_PS7_S7_ZZZN2at6native31launch_logcumsumexp_cuda_kernelERKNSE_10TensorBaseESI_lENKUlvE_clEvENKUlvE1_clEvEUlS7_S7_E_S7_EEDaPvRmT3_T4_T5_mT6_P12ihipStream_tbENKUlT_T0_E_clISt17integral_constantIbLb1EESY_IbLb0EEEEDaSU_SV_EUlSU_E0_NS1_11comp_targetILNS1_3genE4ELNS1_11target_archE910ELNS1_3gpuE8ELNS1_3repE0EEENS1_30default_config_static_selectorELNS0_4arch9wavefront6targetE1EEEvT1_
	.p2align	8
	.type	_ZN7rocprim17ROCPRIM_400000_NS6detail17trampoline_kernelINS0_14default_configENS1_20scan_config_selectorIN3c107complexIdEEEEZZNS1_9scan_implILNS1_25lookback_scan_determinismE0ELb0ELb0ES3_PKS7_PS7_S7_ZZZN2at6native31launch_logcumsumexp_cuda_kernelERKNSE_10TensorBaseESI_lENKUlvE_clEvENKUlvE1_clEvEUlS7_S7_E_S7_EEDaPvRmT3_T4_T5_mT6_P12ihipStream_tbENKUlT_T0_E_clISt17integral_constantIbLb1EESY_IbLb0EEEEDaSU_SV_EUlSU_E0_NS1_11comp_targetILNS1_3genE4ELNS1_11target_archE910ELNS1_3gpuE8ELNS1_3repE0EEENS1_30default_config_static_selectorELNS0_4arch9wavefront6targetE1EEEvT1_,@function
_ZN7rocprim17ROCPRIM_400000_NS6detail17trampoline_kernelINS0_14default_configENS1_20scan_config_selectorIN3c107complexIdEEEEZZNS1_9scan_implILNS1_25lookback_scan_determinismE0ELb0ELb0ES3_PKS7_PS7_S7_ZZZN2at6native31launch_logcumsumexp_cuda_kernelERKNSE_10TensorBaseESI_lENKUlvE_clEvENKUlvE1_clEvEUlS7_S7_E_S7_EEDaPvRmT3_T4_T5_mT6_P12ihipStream_tbENKUlT_T0_E_clISt17integral_constantIbLb1EESY_IbLb0EEEEDaSU_SV_EUlSU_E0_NS1_11comp_targetILNS1_3genE4ELNS1_11target_archE910ELNS1_3gpuE8ELNS1_3repE0EEENS1_30default_config_static_selectorELNS0_4arch9wavefront6targetE1EEEvT1_: ; @_ZN7rocprim17ROCPRIM_400000_NS6detail17trampoline_kernelINS0_14default_configENS1_20scan_config_selectorIN3c107complexIdEEEEZZNS1_9scan_implILNS1_25lookback_scan_determinismE0ELb0ELb0ES3_PKS7_PS7_S7_ZZZN2at6native31launch_logcumsumexp_cuda_kernelERKNSE_10TensorBaseESI_lENKUlvE_clEvENKUlvE1_clEvEUlS7_S7_E_S7_EEDaPvRmT3_T4_T5_mT6_P12ihipStream_tbENKUlT_T0_E_clISt17integral_constantIbLb1EESY_IbLb0EEEEDaSU_SV_EUlSU_E0_NS1_11comp_targetILNS1_3genE4ELNS1_11target_archE910ELNS1_3gpuE8ELNS1_3repE0EEENS1_30default_config_static_selectorELNS0_4arch9wavefront6targetE1EEEvT1_
; %bb.0:
	.section	.rodata,"a",@progbits
	.p2align	6, 0x0
	.amdhsa_kernel _ZN7rocprim17ROCPRIM_400000_NS6detail17trampoline_kernelINS0_14default_configENS1_20scan_config_selectorIN3c107complexIdEEEEZZNS1_9scan_implILNS1_25lookback_scan_determinismE0ELb0ELb0ES3_PKS7_PS7_S7_ZZZN2at6native31launch_logcumsumexp_cuda_kernelERKNSE_10TensorBaseESI_lENKUlvE_clEvENKUlvE1_clEvEUlS7_S7_E_S7_EEDaPvRmT3_T4_T5_mT6_P12ihipStream_tbENKUlT_T0_E_clISt17integral_constantIbLb1EESY_IbLb0EEEEDaSU_SV_EUlSU_E0_NS1_11comp_targetILNS1_3genE4ELNS1_11target_archE910ELNS1_3gpuE8ELNS1_3repE0EEENS1_30default_config_static_selectorELNS0_4arch9wavefront6targetE1EEEvT1_
		.amdhsa_group_segment_fixed_size 0
		.amdhsa_private_segment_fixed_size 0
		.amdhsa_kernarg_size 48
		.amdhsa_user_sgpr_count 2
		.amdhsa_user_sgpr_dispatch_ptr 0
		.amdhsa_user_sgpr_queue_ptr 0
		.amdhsa_user_sgpr_kernarg_segment_ptr 1
		.amdhsa_user_sgpr_dispatch_id 0
		.amdhsa_user_sgpr_kernarg_preload_length 0
		.amdhsa_user_sgpr_kernarg_preload_offset 0
		.amdhsa_user_sgpr_private_segment_size 0
		.amdhsa_uses_dynamic_stack 0
		.amdhsa_enable_private_segment 0
		.amdhsa_system_sgpr_workgroup_id_x 1
		.amdhsa_system_sgpr_workgroup_id_y 0
		.amdhsa_system_sgpr_workgroup_id_z 0
		.amdhsa_system_sgpr_workgroup_info 0
		.amdhsa_system_vgpr_workitem_id 0
		.amdhsa_next_free_vgpr 1
		.amdhsa_next_free_sgpr 0
		.amdhsa_accum_offset 4
		.amdhsa_reserve_vcc 0
		.amdhsa_float_round_mode_32 0
		.amdhsa_float_round_mode_16_64 0
		.amdhsa_float_denorm_mode_32 3
		.amdhsa_float_denorm_mode_16_64 3
		.amdhsa_dx10_clamp 1
		.amdhsa_ieee_mode 1
		.amdhsa_fp16_overflow 0
		.amdhsa_tg_split 0
		.amdhsa_exception_fp_ieee_invalid_op 0
		.amdhsa_exception_fp_denorm_src 0
		.amdhsa_exception_fp_ieee_div_zero 0
		.amdhsa_exception_fp_ieee_overflow 0
		.amdhsa_exception_fp_ieee_underflow 0
		.amdhsa_exception_fp_ieee_inexact 0
		.amdhsa_exception_int_div_zero 0
	.end_amdhsa_kernel
	.section	.text._ZN7rocprim17ROCPRIM_400000_NS6detail17trampoline_kernelINS0_14default_configENS1_20scan_config_selectorIN3c107complexIdEEEEZZNS1_9scan_implILNS1_25lookback_scan_determinismE0ELb0ELb0ES3_PKS7_PS7_S7_ZZZN2at6native31launch_logcumsumexp_cuda_kernelERKNSE_10TensorBaseESI_lENKUlvE_clEvENKUlvE1_clEvEUlS7_S7_E_S7_EEDaPvRmT3_T4_T5_mT6_P12ihipStream_tbENKUlT_T0_E_clISt17integral_constantIbLb1EESY_IbLb0EEEEDaSU_SV_EUlSU_E0_NS1_11comp_targetILNS1_3genE4ELNS1_11target_archE910ELNS1_3gpuE8ELNS1_3repE0EEENS1_30default_config_static_selectorELNS0_4arch9wavefront6targetE1EEEvT1_,"axG",@progbits,_ZN7rocprim17ROCPRIM_400000_NS6detail17trampoline_kernelINS0_14default_configENS1_20scan_config_selectorIN3c107complexIdEEEEZZNS1_9scan_implILNS1_25lookback_scan_determinismE0ELb0ELb0ES3_PKS7_PS7_S7_ZZZN2at6native31launch_logcumsumexp_cuda_kernelERKNSE_10TensorBaseESI_lENKUlvE_clEvENKUlvE1_clEvEUlS7_S7_E_S7_EEDaPvRmT3_T4_T5_mT6_P12ihipStream_tbENKUlT_T0_E_clISt17integral_constantIbLb1EESY_IbLb0EEEEDaSU_SV_EUlSU_E0_NS1_11comp_targetILNS1_3genE4ELNS1_11target_archE910ELNS1_3gpuE8ELNS1_3repE0EEENS1_30default_config_static_selectorELNS0_4arch9wavefront6targetE1EEEvT1_,comdat
.Lfunc_end233:
	.size	_ZN7rocprim17ROCPRIM_400000_NS6detail17trampoline_kernelINS0_14default_configENS1_20scan_config_selectorIN3c107complexIdEEEEZZNS1_9scan_implILNS1_25lookback_scan_determinismE0ELb0ELb0ES3_PKS7_PS7_S7_ZZZN2at6native31launch_logcumsumexp_cuda_kernelERKNSE_10TensorBaseESI_lENKUlvE_clEvENKUlvE1_clEvEUlS7_S7_E_S7_EEDaPvRmT3_T4_T5_mT6_P12ihipStream_tbENKUlT_T0_E_clISt17integral_constantIbLb1EESY_IbLb0EEEEDaSU_SV_EUlSU_E0_NS1_11comp_targetILNS1_3genE4ELNS1_11target_archE910ELNS1_3gpuE8ELNS1_3repE0EEENS1_30default_config_static_selectorELNS0_4arch9wavefront6targetE1EEEvT1_, .Lfunc_end233-_ZN7rocprim17ROCPRIM_400000_NS6detail17trampoline_kernelINS0_14default_configENS1_20scan_config_selectorIN3c107complexIdEEEEZZNS1_9scan_implILNS1_25lookback_scan_determinismE0ELb0ELb0ES3_PKS7_PS7_S7_ZZZN2at6native31launch_logcumsumexp_cuda_kernelERKNSE_10TensorBaseESI_lENKUlvE_clEvENKUlvE1_clEvEUlS7_S7_E_S7_EEDaPvRmT3_T4_T5_mT6_P12ihipStream_tbENKUlT_T0_E_clISt17integral_constantIbLb1EESY_IbLb0EEEEDaSU_SV_EUlSU_E0_NS1_11comp_targetILNS1_3genE4ELNS1_11target_archE910ELNS1_3gpuE8ELNS1_3repE0EEENS1_30default_config_static_selectorELNS0_4arch9wavefront6targetE1EEEvT1_
                                        ; -- End function
	.set _ZN7rocprim17ROCPRIM_400000_NS6detail17trampoline_kernelINS0_14default_configENS1_20scan_config_selectorIN3c107complexIdEEEEZZNS1_9scan_implILNS1_25lookback_scan_determinismE0ELb0ELb0ES3_PKS7_PS7_S7_ZZZN2at6native31launch_logcumsumexp_cuda_kernelERKNSE_10TensorBaseESI_lENKUlvE_clEvENKUlvE1_clEvEUlS7_S7_E_S7_EEDaPvRmT3_T4_T5_mT6_P12ihipStream_tbENKUlT_T0_E_clISt17integral_constantIbLb1EESY_IbLb0EEEEDaSU_SV_EUlSU_E0_NS1_11comp_targetILNS1_3genE4ELNS1_11target_archE910ELNS1_3gpuE8ELNS1_3repE0EEENS1_30default_config_static_selectorELNS0_4arch9wavefront6targetE1EEEvT1_.num_vgpr, 0
	.set _ZN7rocprim17ROCPRIM_400000_NS6detail17trampoline_kernelINS0_14default_configENS1_20scan_config_selectorIN3c107complexIdEEEEZZNS1_9scan_implILNS1_25lookback_scan_determinismE0ELb0ELb0ES3_PKS7_PS7_S7_ZZZN2at6native31launch_logcumsumexp_cuda_kernelERKNSE_10TensorBaseESI_lENKUlvE_clEvENKUlvE1_clEvEUlS7_S7_E_S7_EEDaPvRmT3_T4_T5_mT6_P12ihipStream_tbENKUlT_T0_E_clISt17integral_constantIbLb1EESY_IbLb0EEEEDaSU_SV_EUlSU_E0_NS1_11comp_targetILNS1_3genE4ELNS1_11target_archE910ELNS1_3gpuE8ELNS1_3repE0EEENS1_30default_config_static_selectorELNS0_4arch9wavefront6targetE1EEEvT1_.num_agpr, 0
	.set _ZN7rocprim17ROCPRIM_400000_NS6detail17trampoline_kernelINS0_14default_configENS1_20scan_config_selectorIN3c107complexIdEEEEZZNS1_9scan_implILNS1_25lookback_scan_determinismE0ELb0ELb0ES3_PKS7_PS7_S7_ZZZN2at6native31launch_logcumsumexp_cuda_kernelERKNSE_10TensorBaseESI_lENKUlvE_clEvENKUlvE1_clEvEUlS7_S7_E_S7_EEDaPvRmT3_T4_T5_mT6_P12ihipStream_tbENKUlT_T0_E_clISt17integral_constantIbLb1EESY_IbLb0EEEEDaSU_SV_EUlSU_E0_NS1_11comp_targetILNS1_3genE4ELNS1_11target_archE910ELNS1_3gpuE8ELNS1_3repE0EEENS1_30default_config_static_selectorELNS0_4arch9wavefront6targetE1EEEvT1_.numbered_sgpr, 0
	.set _ZN7rocprim17ROCPRIM_400000_NS6detail17trampoline_kernelINS0_14default_configENS1_20scan_config_selectorIN3c107complexIdEEEEZZNS1_9scan_implILNS1_25lookback_scan_determinismE0ELb0ELb0ES3_PKS7_PS7_S7_ZZZN2at6native31launch_logcumsumexp_cuda_kernelERKNSE_10TensorBaseESI_lENKUlvE_clEvENKUlvE1_clEvEUlS7_S7_E_S7_EEDaPvRmT3_T4_T5_mT6_P12ihipStream_tbENKUlT_T0_E_clISt17integral_constantIbLb1EESY_IbLb0EEEEDaSU_SV_EUlSU_E0_NS1_11comp_targetILNS1_3genE4ELNS1_11target_archE910ELNS1_3gpuE8ELNS1_3repE0EEENS1_30default_config_static_selectorELNS0_4arch9wavefront6targetE1EEEvT1_.num_named_barrier, 0
	.set _ZN7rocprim17ROCPRIM_400000_NS6detail17trampoline_kernelINS0_14default_configENS1_20scan_config_selectorIN3c107complexIdEEEEZZNS1_9scan_implILNS1_25lookback_scan_determinismE0ELb0ELb0ES3_PKS7_PS7_S7_ZZZN2at6native31launch_logcumsumexp_cuda_kernelERKNSE_10TensorBaseESI_lENKUlvE_clEvENKUlvE1_clEvEUlS7_S7_E_S7_EEDaPvRmT3_T4_T5_mT6_P12ihipStream_tbENKUlT_T0_E_clISt17integral_constantIbLb1EESY_IbLb0EEEEDaSU_SV_EUlSU_E0_NS1_11comp_targetILNS1_3genE4ELNS1_11target_archE910ELNS1_3gpuE8ELNS1_3repE0EEENS1_30default_config_static_selectorELNS0_4arch9wavefront6targetE1EEEvT1_.private_seg_size, 0
	.set _ZN7rocprim17ROCPRIM_400000_NS6detail17trampoline_kernelINS0_14default_configENS1_20scan_config_selectorIN3c107complexIdEEEEZZNS1_9scan_implILNS1_25lookback_scan_determinismE0ELb0ELb0ES3_PKS7_PS7_S7_ZZZN2at6native31launch_logcumsumexp_cuda_kernelERKNSE_10TensorBaseESI_lENKUlvE_clEvENKUlvE1_clEvEUlS7_S7_E_S7_EEDaPvRmT3_T4_T5_mT6_P12ihipStream_tbENKUlT_T0_E_clISt17integral_constantIbLb1EESY_IbLb0EEEEDaSU_SV_EUlSU_E0_NS1_11comp_targetILNS1_3genE4ELNS1_11target_archE910ELNS1_3gpuE8ELNS1_3repE0EEENS1_30default_config_static_selectorELNS0_4arch9wavefront6targetE1EEEvT1_.uses_vcc, 0
	.set _ZN7rocprim17ROCPRIM_400000_NS6detail17trampoline_kernelINS0_14default_configENS1_20scan_config_selectorIN3c107complexIdEEEEZZNS1_9scan_implILNS1_25lookback_scan_determinismE0ELb0ELb0ES3_PKS7_PS7_S7_ZZZN2at6native31launch_logcumsumexp_cuda_kernelERKNSE_10TensorBaseESI_lENKUlvE_clEvENKUlvE1_clEvEUlS7_S7_E_S7_EEDaPvRmT3_T4_T5_mT6_P12ihipStream_tbENKUlT_T0_E_clISt17integral_constantIbLb1EESY_IbLb0EEEEDaSU_SV_EUlSU_E0_NS1_11comp_targetILNS1_3genE4ELNS1_11target_archE910ELNS1_3gpuE8ELNS1_3repE0EEENS1_30default_config_static_selectorELNS0_4arch9wavefront6targetE1EEEvT1_.uses_flat_scratch, 0
	.set _ZN7rocprim17ROCPRIM_400000_NS6detail17trampoline_kernelINS0_14default_configENS1_20scan_config_selectorIN3c107complexIdEEEEZZNS1_9scan_implILNS1_25lookback_scan_determinismE0ELb0ELb0ES3_PKS7_PS7_S7_ZZZN2at6native31launch_logcumsumexp_cuda_kernelERKNSE_10TensorBaseESI_lENKUlvE_clEvENKUlvE1_clEvEUlS7_S7_E_S7_EEDaPvRmT3_T4_T5_mT6_P12ihipStream_tbENKUlT_T0_E_clISt17integral_constantIbLb1EESY_IbLb0EEEEDaSU_SV_EUlSU_E0_NS1_11comp_targetILNS1_3genE4ELNS1_11target_archE910ELNS1_3gpuE8ELNS1_3repE0EEENS1_30default_config_static_selectorELNS0_4arch9wavefront6targetE1EEEvT1_.has_dyn_sized_stack, 0
	.set _ZN7rocprim17ROCPRIM_400000_NS6detail17trampoline_kernelINS0_14default_configENS1_20scan_config_selectorIN3c107complexIdEEEEZZNS1_9scan_implILNS1_25lookback_scan_determinismE0ELb0ELb0ES3_PKS7_PS7_S7_ZZZN2at6native31launch_logcumsumexp_cuda_kernelERKNSE_10TensorBaseESI_lENKUlvE_clEvENKUlvE1_clEvEUlS7_S7_E_S7_EEDaPvRmT3_T4_T5_mT6_P12ihipStream_tbENKUlT_T0_E_clISt17integral_constantIbLb1EESY_IbLb0EEEEDaSU_SV_EUlSU_E0_NS1_11comp_targetILNS1_3genE4ELNS1_11target_archE910ELNS1_3gpuE8ELNS1_3repE0EEENS1_30default_config_static_selectorELNS0_4arch9wavefront6targetE1EEEvT1_.has_recursion, 0
	.set _ZN7rocprim17ROCPRIM_400000_NS6detail17trampoline_kernelINS0_14default_configENS1_20scan_config_selectorIN3c107complexIdEEEEZZNS1_9scan_implILNS1_25lookback_scan_determinismE0ELb0ELb0ES3_PKS7_PS7_S7_ZZZN2at6native31launch_logcumsumexp_cuda_kernelERKNSE_10TensorBaseESI_lENKUlvE_clEvENKUlvE1_clEvEUlS7_S7_E_S7_EEDaPvRmT3_T4_T5_mT6_P12ihipStream_tbENKUlT_T0_E_clISt17integral_constantIbLb1EESY_IbLb0EEEEDaSU_SV_EUlSU_E0_NS1_11comp_targetILNS1_3genE4ELNS1_11target_archE910ELNS1_3gpuE8ELNS1_3repE0EEENS1_30default_config_static_selectorELNS0_4arch9wavefront6targetE1EEEvT1_.has_indirect_call, 0
	.section	.AMDGPU.csdata,"",@progbits
; Kernel info:
; codeLenInByte = 0
; TotalNumSgprs: 6
; NumVgprs: 0
; NumAgprs: 0
; TotalNumVgprs: 0
; ScratchSize: 0
; MemoryBound: 0
; FloatMode: 240
; IeeeMode: 1
; LDSByteSize: 0 bytes/workgroup (compile time only)
; SGPRBlocks: 0
; VGPRBlocks: 0
; NumSGPRsForWavesPerEU: 6
; NumVGPRsForWavesPerEU: 1
; AccumOffset: 4
; Occupancy: 8
; WaveLimiterHint : 0
; COMPUTE_PGM_RSRC2:SCRATCH_EN: 0
; COMPUTE_PGM_RSRC2:USER_SGPR: 2
; COMPUTE_PGM_RSRC2:TRAP_HANDLER: 0
; COMPUTE_PGM_RSRC2:TGID_X_EN: 1
; COMPUTE_PGM_RSRC2:TGID_Y_EN: 0
; COMPUTE_PGM_RSRC2:TGID_Z_EN: 0
; COMPUTE_PGM_RSRC2:TIDIG_COMP_CNT: 0
; COMPUTE_PGM_RSRC3_GFX90A:ACCUM_OFFSET: 0
; COMPUTE_PGM_RSRC3_GFX90A:TG_SPLIT: 0
	.section	.text._ZN7rocprim17ROCPRIM_400000_NS6detail17trampoline_kernelINS0_14default_configENS1_20scan_config_selectorIN3c107complexIdEEEEZZNS1_9scan_implILNS1_25lookback_scan_determinismE0ELb0ELb0ES3_PKS7_PS7_S7_ZZZN2at6native31launch_logcumsumexp_cuda_kernelERKNSE_10TensorBaseESI_lENKUlvE_clEvENKUlvE1_clEvEUlS7_S7_E_S7_EEDaPvRmT3_T4_T5_mT6_P12ihipStream_tbENKUlT_T0_E_clISt17integral_constantIbLb1EESY_IbLb0EEEEDaSU_SV_EUlSU_E0_NS1_11comp_targetILNS1_3genE3ELNS1_11target_archE908ELNS1_3gpuE7ELNS1_3repE0EEENS1_30default_config_static_selectorELNS0_4arch9wavefront6targetE1EEEvT1_,"axG",@progbits,_ZN7rocprim17ROCPRIM_400000_NS6detail17trampoline_kernelINS0_14default_configENS1_20scan_config_selectorIN3c107complexIdEEEEZZNS1_9scan_implILNS1_25lookback_scan_determinismE0ELb0ELb0ES3_PKS7_PS7_S7_ZZZN2at6native31launch_logcumsumexp_cuda_kernelERKNSE_10TensorBaseESI_lENKUlvE_clEvENKUlvE1_clEvEUlS7_S7_E_S7_EEDaPvRmT3_T4_T5_mT6_P12ihipStream_tbENKUlT_T0_E_clISt17integral_constantIbLb1EESY_IbLb0EEEEDaSU_SV_EUlSU_E0_NS1_11comp_targetILNS1_3genE3ELNS1_11target_archE908ELNS1_3gpuE7ELNS1_3repE0EEENS1_30default_config_static_selectorELNS0_4arch9wavefront6targetE1EEEvT1_,comdat
	.globl	_ZN7rocprim17ROCPRIM_400000_NS6detail17trampoline_kernelINS0_14default_configENS1_20scan_config_selectorIN3c107complexIdEEEEZZNS1_9scan_implILNS1_25lookback_scan_determinismE0ELb0ELb0ES3_PKS7_PS7_S7_ZZZN2at6native31launch_logcumsumexp_cuda_kernelERKNSE_10TensorBaseESI_lENKUlvE_clEvENKUlvE1_clEvEUlS7_S7_E_S7_EEDaPvRmT3_T4_T5_mT6_P12ihipStream_tbENKUlT_T0_E_clISt17integral_constantIbLb1EESY_IbLb0EEEEDaSU_SV_EUlSU_E0_NS1_11comp_targetILNS1_3genE3ELNS1_11target_archE908ELNS1_3gpuE7ELNS1_3repE0EEENS1_30default_config_static_selectorELNS0_4arch9wavefront6targetE1EEEvT1_ ; -- Begin function _ZN7rocprim17ROCPRIM_400000_NS6detail17trampoline_kernelINS0_14default_configENS1_20scan_config_selectorIN3c107complexIdEEEEZZNS1_9scan_implILNS1_25lookback_scan_determinismE0ELb0ELb0ES3_PKS7_PS7_S7_ZZZN2at6native31launch_logcumsumexp_cuda_kernelERKNSE_10TensorBaseESI_lENKUlvE_clEvENKUlvE1_clEvEUlS7_S7_E_S7_EEDaPvRmT3_T4_T5_mT6_P12ihipStream_tbENKUlT_T0_E_clISt17integral_constantIbLb1EESY_IbLb0EEEEDaSU_SV_EUlSU_E0_NS1_11comp_targetILNS1_3genE3ELNS1_11target_archE908ELNS1_3gpuE7ELNS1_3repE0EEENS1_30default_config_static_selectorELNS0_4arch9wavefront6targetE1EEEvT1_
	.p2align	8
	.type	_ZN7rocprim17ROCPRIM_400000_NS6detail17trampoline_kernelINS0_14default_configENS1_20scan_config_selectorIN3c107complexIdEEEEZZNS1_9scan_implILNS1_25lookback_scan_determinismE0ELb0ELb0ES3_PKS7_PS7_S7_ZZZN2at6native31launch_logcumsumexp_cuda_kernelERKNSE_10TensorBaseESI_lENKUlvE_clEvENKUlvE1_clEvEUlS7_S7_E_S7_EEDaPvRmT3_T4_T5_mT6_P12ihipStream_tbENKUlT_T0_E_clISt17integral_constantIbLb1EESY_IbLb0EEEEDaSU_SV_EUlSU_E0_NS1_11comp_targetILNS1_3genE3ELNS1_11target_archE908ELNS1_3gpuE7ELNS1_3repE0EEENS1_30default_config_static_selectorELNS0_4arch9wavefront6targetE1EEEvT1_,@function
_ZN7rocprim17ROCPRIM_400000_NS6detail17trampoline_kernelINS0_14default_configENS1_20scan_config_selectorIN3c107complexIdEEEEZZNS1_9scan_implILNS1_25lookback_scan_determinismE0ELb0ELb0ES3_PKS7_PS7_S7_ZZZN2at6native31launch_logcumsumexp_cuda_kernelERKNSE_10TensorBaseESI_lENKUlvE_clEvENKUlvE1_clEvEUlS7_S7_E_S7_EEDaPvRmT3_T4_T5_mT6_P12ihipStream_tbENKUlT_T0_E_clISt17integral_constantIbLb1EESY_IbLb0EEEEDaSU_SV_EUlSU_E0_NS1_11comp_targetILNS1_3genE3ELNS1_11target_archE908ELNS1_3gpuE7ELNS1_3repE0EEENS1_30default_config_static_selectorELNS0_4arch9wavefront6targetE1EEEvT1_: ; @_ZN7rocprim17ROCPRIM_400000_NS6detail17trampoline_kernelINS0_14default_configENS1_20scan_config_selectorIN3c107complexIdEEEEZZNS1_9scan_implILNS1_25lookback_scan_determinismE0ELb0ELb0ES3_PKS7_PS7_S7_ZZZN2at6native31launch_logcumsumexp_cuda_kernelERKNSE_10TensorBaseESI_lENKUlvE_clEvENKUlvE1_clEvEUlS7_S7_E_S7_EEDaPvRmT3_T4_T5_mT6_P12ihipStream_tbENKUlT_T0_E_clISt17integral_constantIbLb1EESY_IbLb0EEEEDaSU_SV_EUlSU_E0_NS1_11comp_targetILNS1_3genE3ELNS1_11target_archE908ELNS1_3gpuE7ELNS1_3repE0EEENS1_30default_config_static_selectorELNS0_4arch9wavefront6targetE1EEEvT1_
; %bb.0:
	.section	.rodata,"a",@progbits
	.p2align	6, 0x0
	.amdhsa_kernel _ZN7rocprim17ROCPRIM_400000_NS6detail17trampoline_kernelINS0_14default_configENS1_20scan_config_selectorIN3c107complexIdEEEEZZNS1_9scan_implILNS1_25lookback_scan_determinismE0ELb0ELb0ES3_PKS7_PS7_S7_ZZZN2at6native31launch_logcumsumexp_cuda_kernelERKNSE_10TensorBaseESI_lENKUlvE_clEvENKUlvE1_clEvEUlS7_S7_E_S7_EEDaPvRmT3_T4_T5_mT6_P12ihipStream_tbENKUlT_T0_E_clISt17integral_constantIbLb1EESY_IbLb0EEEEDaSU_SV_EUlSU_E0_NS1_11comp_targetILNS1_3genE3ELNS1_11target_archE908ELNS1_3gpuE7ELNS1_3repE0EEENS1_30default_config_static_selectorELNS0_4arch9wavefront6targetE1EEEvT1_
		.amdhsa_group_segment_fixed_size 0
		.amdhsa_private_segment_fixed_size 0
		.amdhsa_kernarg_size 48
		.amdhsa_user_sgpr_count 2
		.amdhsa_user_sgpr_dispatch_ptr 0
		.amdhsa_user_sgpr_queue_ptr 0
		.amdhsa_user_sgpr_kernarg_segment_ptr 1
		.amdhsa_user_sgpr_dispatch_id 0
		.amdhsa_user_sgpr_kernarg_preload_length 0
		.amdhsa_user_sgpr_kernarg_preload_offset 0
		.amdhsa_user_sgpr_private_segment_size 0
		.amdhsa_uses_dynamic_stack 0
		.amdhsa_enable_private_segment 0
		.amdhsa_system_sgpr_workgroup_id_x 1
		.amdhsa_system_sgpr_workgroup_id_y 0
		.amdhsa_system_sgpr_workgroup_id_z 0
		.amdhsa_system_sgpr_workgroup_info 0
		.amdhsa_system_vgpr_workitem_id 0
		.amdhsa_next_free_vgpr 1
		.amdhsa_next_free_sgpr 0
		.amdhsa_accum_offset 4
		.amdhsa_reserve_vcc 0
		.amdhsa_float_round_mode_32 0
		.amdhsa_float_round_mode_16_64 0
		.amdhsa_float_denorm_mode_32 3
		.amdhsa_float_denorm_mode_16_64 3
		.amdhsa_dx10_clamp 1
		.amdhsa_ieee_mode 1
		.amdhsa_fp16_overflow 0
		.amdhsa_tg_split 0
		.amdhsa_exception_fp_ieee_invalid_op 0
		.amdhsa_exception_fp_denorm_src 0
		.amdhsa_exception_fp_ieee_div_zero 0
		.amdhsa_exception_fp_ieee_overflow 0
		.amdhsa_exception_fp_ieee_underflow 0
		.amdhsa_exception_fp_ieee_inexact 0
		.amdhsa_exception_int_div_zero 0
	.end_amdhsa_kernel
	.section	.text._ZN7rocprim17ROCPRIM_400000_NS6detail17trampoline_kernelINS0_14default_configENS1_20scan_config_selectorIN3c107complexIdEEEEZZNS1_9scan_implILNS1_25lookback_scan_determinismE0ELb0ELb0ES3_PKS7_PS7_S7_ZZZN2at6native31launch_logcumsumexp_cuda_kernelERKNSE_10TensorBaseESI_lENKUlvE_clEvENKUlvE1_clEvEUlS7_S7_E_S7_EEDaPvRmT3_T4_T5_mT6_P12ihipStream_tbENKUlT_T0_E_clISt17integral_constantIbLb1EESY_IbLb0EEEEDaSU_SV_EUlSU_E0_NS1_11comp_targetILNS1_3genE3ELNS1_11target_archE908ELNS1_3gpuE7ELNS1_3repE0EEENS1_30default_config_static_selectorELNS0_4arch9wavefront6targetE1EEEvT1_,"axG",@progbits,_ZN7rocprim17ROCPRIM_400000_NS6detail17trampoline_kernelINS0_14default_configENS1_20scan_config_selectorIN3c107complexIdEEEEZZNS1_9scan_implILNS1_25lookback_scan_determinismE0ELb0ELb0ES3_PKS7_PS7_S7_ZZZN2at6native31launch_logcumsumexp_cuda_kernelERKNSE_10TensorBaseESI_lENKUlvE_clEvENKUlvE1_clEvEUlS7_S7_E_S7_EEDaPvRmT3_T4_T5_mT6_P12ihipStream_tbENKUlT_T0_E_clISt17integral_constantIbLb1EESY_IbLb0EEEEDaSU_SV_EUlSU_E0_NS1_11comp_targetILNS1_3genE3ELNS1_11target_archE908ELNS1_3gpuE7ELNS1_3repE0EEENS1_30default_config_static_selectorELNS0_4arch9wavefront6targetE1EEEvT1_,comdat
.Lfunc_end234:
	.size	_ZN7rocprim17ROCPRIM_400000_NS6detail17trampoline_kernelINS0_14default_configENS1_20scan_config_selectorIN3c107complexIdEEEEZZNS1_9scan_implILNS1_25lookback_scan_determinismE0ELb0ELb0ES3_PKS7_PS7_S7_ZZZN2at6native31launch_logcumsumexp_cuda_kernelERKNSE_10TensorBaseESI_lENKUlvE_clEvENKUlvE1_clEvEUlS7_S7_E_S7_EEDaPvRmT3_T4_T5_mT6_P12ihipStream_tbENKUlT_T0_E_clISt17integral_constantIbLb1EESY_IbLb0EEEEDaSU_SV_EUlSU_E0_NS1_11comp_targetILNS1_3genE3ELNS1_11target_archE908ELNS1_3gpuE7ELNS1_3repE0EEENS1_30default_config_static_selectorELNS0_4arch9wavefront6targetE1EEEvT1_, .Lfunc_end234-_ZN7rocprim17ROCPRIM_400000_NS6detail17trampoline_kernelINS0_14default_configENS1_20scan_config_selectorIN3c107complexIdEEEEZZNS1_9scan_implILNS1_25lookback_scan_determinismE0ELb0ELb0ES3_PKS7_PS7_S7_ZZZN2at6native31launch_logcumsumexp_cuda_kernelERKNSE_10TensorBaseESI_lENKUlvE_clEvENKUlvE1_clEvEUlS7_S7_E_S7_EEDaPvRmT3_T4_T5_mT6_P12ihipStream_tbENKUlT_T0_E_clISt17integral_constantIbLb1EESY_IbLb0EEEEDaSU_SV_EUlSU_E0_NS1_11comp_targetILNS1_3genE3ELNS1_11target_archE908ELNS1_3gpuE7ELNS1_3repE0EEENS1_30default_config_static_selectorELNS0_4arch9wavefront6targetE1EEEvT1_
                                        ; -- End function
	.set _ZN7rocprim17ROCPRIM_400000_NS6detail17trampoline_kernelINS0_14default_configENS1_20scan_config_selectorIN3c107complexIdEEEEZZNS1_9scan_implILNS1_25lookback_scan_determinismE0ELb0ELb0ES3_PKS7_PS7_S7_ZZZN2at6native31launch_logcumsumexp_cuda_kernelERKNSE_10TensorBaseESI_lENKUlvE_clEvENKUlvE1_clEvEUlS7_S7_E_S7_EEDaPvRmT3_T4_T5_mT6_P12ihipStream_tbENKUlT_T0_E_clISt17integral_constantIbLb1EESY_IbLb0EEEEDaSU_SV_EUlSU_E0_NS1_11comp_targetILNS1_3genE3ELNS1_11target_archE908ELNS1_3gpuE7ELNS1_3repE0EEENS1_30default_config_static_selectorELNS0_4arch9wavefront6targetE1EEEvT1_.num_vgpr, 0
	.set _ZN7rocprim17ROCPRIM_400000_NS6detail17trampoline_kernelINS0_14default_configENS1_20scan_config_selectorIN3c107complexIdEEEEZZNS1_9scan_implILNS1_25lookback_scan_determinismE0ELb0ELb0ES3_PKS7_PS7_S7_ZZZN2at6native31launch_logcumsumexp_cuda_kernelERKNSE_10TensorBaseESI_lENKUlvE_clEvENKUlvE1_clEvEUlS7_S7_E_S7_EEDaPvRmT3_T4_T5_mT6_P12ihipStream_tbENKUlT_T0_E_clISt17integral_constantIbLb1EESY_IbLb0EEEEDaSU_SV_EUlSU_E0_NS1_11comp_targetILNS1_3genE3ELNS1_11target_archE908ELNS1_3gpuE7ELNS1_3repE0EEENS1_30default_config_static_selectorELNS0_4arch9wavefront6targetE1EEEvT1_.num_agpr, 0
	.set _ZN7rocprim17ROCPRIM_400000_NS6detail17trampoline_kernelINS0_14default_configENS1_20scan_config_selectorIN3c107complexIdEEEEZZNS1_9scan_implILNS1_25lookback_scan_determinismE0ELb0ELb0ES3_PKS7_PS7_S7_ZZZN2at6native31launch_logcumsumexp_cuda_kernelERKNSE_10TensorBaseESI_lENKUlvE_clEvENKUlvE1_clEvEUlS7_S7_E_S7_EEDaPvRmT3_T4_T5_mT6_P12ihipStream_tbENKUlT_T0_E_clISt17integral_constantIbLb1EESY_IbLb0EEEEDaSU_SV_EUlSU_E0_NS1_11comp_targetILNS1_3genE3ELNS1_11target_archE908ELNS1_3gpuE7ELNS1_3repE0EEENS1_30default_config_static_selectorELNS0_4arch9wavefront6targetE1EEEvT1_.numbered_sgpr, 0
	.set _ZN7rocprim17ROCPRIM_400000_NS6detail17trampoline_kernelINS0_14default_configENS1_20scan_config_selectorIN3c107complexIdEEEEZZNS1_9scan_implILNS1_25lookback_scan_determinismE0ELb0ELb0ES3_PKS7_PS7_S7_ZZZN2at6native31launch_logcumsumexp_cuda_kernelERKNSE_10TensorBaseESI_lENKUlvE_clEvENKUlvE1_clEvEUlS7_S7_E_S7_EEDaPvRmT3_T4_T5_mT6_P12ihipStream_tbENKUlT_T0_E_clISt17integral_constantIbLb1EESY_IbLb0EEEEDaSU_SV_EUlSU_E0_NS1_11comp_targetILNS1_3genE3ELNS1_11target_archE908ELNS1_3gpuE7ELNS1_3repE0EEENS1_30default_config_static_selectorELNS0_4arch9wavefront6targetE1EEEvT1_.num_named_barrier, 0
	.set _ZN7rocprim17ROCPRIM_400000_NS6detail17trampoline_kernelINS0_14default_configENS1_20scan_config_selectorIN3c107complexIdEEEEZZNS1_9scan_implILNS1_25lookback_scan_determinismE0ELb0ELb0ES3_PKS7_PS7_S7_ZZZN2at6native31launch_logcumsumexp_cuda_kernelERKNSE_10TensorBaseESI_lENKUlvE_clEvENKUlvE1_clEvEUlS7_S7_E_S7_EEDaPvRmT3_T4_T5_mT6_P12ihipStream_tbENKUlT_T0_E_clISt17integral_constantIbLb1EESY_IbLb0EEEEDaSU_SV_EUlSU_E0_NS1_11comp_targetILNS1_3genE3ELNS1_11target_archE908ELNS1_3gpuE7ELNS1_3repE0EEENS1_30default_config_static_selectorELNS0_4arch9wavefront6targetE1EEEvT1_.private_seg_size, 0
	.set _ZN7rocprim17ROCPRIM_400000_NS6detail17trampoline_kernelINS0_14default_configENS1_20scan_config_selectorIN3c107complexIdEEEEZZNS1_9scan_implILNS1_25lookback_scan_determinismE0ELb0ELb0ES3_PKS7_PS7_S7_ZZZN2at6native31launch_logcumsumexp_cuda_kernelERKNSE_10TensorBaseESI_lENKUlvE_clEvENKUlvE1_clEvEUlS7_S7_E_S7_EEDaPvRmT3_T4_T5_mT6_P12ihipStream_tbENKUlT_T0_E_clISt17integral_constantIbLb1EESY_IbLb0EEEEDaSU_SV_EUlSU_E0_NS1_11comp_targetILNS1_3genE3ELNS1_11target_archE908ELNS1_3gpuE7ELNS1_3repE0EEENS1_30default_config_static_selectorELNS0_4arch9wavefront6targetE1EEEvT1_.uses_vcc, 0
	.set _ZN7rocprim17ROCPRIM_400000_NS6detail17trampoline_kernelINS0_14default_configENS1_20scan_config_selectorIN3c107complexIdEEEEZZNS1_9scan_implILNS1_25lookback_scan_determinismE0ELb0ELb0ES3_PKS7_PS7_S7_ZZZN2at6native31launch_logcumsumexp_cuda_kernelERKNSE_10TensorBaseESI_lENKUlvE_clEvENKUlvE1_clEvEUlS7_S7_E_S7_EEDaPvRmT3_T4_T5_mT6_P12ihipStream_tbENKUlT_T0_E_clISt17integral_constantIbLb1EESY_IbLb0EEEEDaSU_SV_EUlSU_E0_NS1_11comp_targetILNS1_3genE3ELNS1_11target_archE908ELNS1_3gpuE7ELNS1_3repE0EEENS1_30default_config_static_selectorELNS0_4arch9wavefront6targetE1EEEvT1_.uses_flat_scratch, 0
	.set _ZN7rocprim17ROCPRIM_400000_NS6detail17trampoline_kernelINS0_14default_configENS1_20scan_config_selectorIN3c107complexIdEEEEZZNS1_9scan_implILNS1_25lookback_scan_determinismE0ELb0ELb0ES3_PKS7_PS7_S7_ZZZN2at6native31launch_logcumsumexp_cuda_kernelERKNSE_10TensorBaseESI_lENKUlvE_clEvENKUlvE1_clEvEUlS7_S7_E_S7_EEDaPvRmT3_T4_T5_mT6_P12ihipStream_tbENKUlT_T0_E_clISt17integral_constantIbLb1EESY_IbLb0EEEEDaSU_SV_EUlSU_E0_NS1_11comp_targetILNS1_3genE3ELNS1_11target_archE908ELNS1_3gpuE7ELNS1_3repE0EEENS1_30default_config_static_selectorELNS0_4arch9wavefront6targetE1EEEvT1_.has_dyn_sized_stack, 0
	.set _ZN7rocprim17ROCPRIM_400000_NS6detail17trampoline_kernelINS0_14default_configENS1_20scan_config_selectorIN3c107complexIdEEEEZZNS1_9scan_implILNS1_25lookback_scan_determinismE0ELb0ELb0ES3_PKS7_PS7_S7_ZZZN2at6native31launch_logcumsumexp_cuda_kernelERKNSE_10TensorBaseESI_lENKUlvE_clEvENKUlvE1_clEvEUlS7_S7_E_S7_EEDaPvRmT3_T4_T5_mT6_P12ihipStream_tbENKUlT_T0_E_clISt17integral_constantIbLb1EESY_IbLb0EEEEDaSU_SV_EUlSU_E0_NS1_11comp_targetILNS1_3genE3ELNS1_11target_archE908ELNS1_3gpuE7ELNS1_3repE0EEENS1_30default_config_static_selectorELNS0_4arch9wavefront6targetE1EEEvT1_.has_recursion, 0
	.set _ZN7rocprim17ROCPRIM_400000_NS6detail17trampoline_kernelINS0_14default_configENS1_20scan_config_selectorIN3c107complexIdEEEEZZNS1_9scan_implILNS1_25lookback_scan_determinismE0ELb0ELb0ES3_PKS7_PS7_S7_ZZZN2at6native31launch_logcumsumexp_cuda_kernelERKNSE_10TensorBaseESI_lENKUlvE_clEvENKUlvE1_clEvEUlS7_S7_E_S7_EEDaPvRmT3_T4_T5_mT6_P12ihipStream_tbENKUlT_T0_E_clISt17integral_constantIbLb1EESY_IbLb0EEEEDaSU_SV_EUlSU_E0_NS1_11comp_targetILNS1_3genE3ELNS1_11target_archE908ELNS1_3gpuE7ELNS1_3repE0EEENS1_30default_config_static_selectorELNS0_4arch9wavefront6targetE1EEEvT1_.has_indirect_call, 0
	.section	.AMDGPU.csdata,"",@progbits
; Kernel info:
; codeLenInByte = 0
; TotalNumSgprs: 6
; NumVgprs: 0
; NumAgprs: 0
; TotalNumVgprs: 0
; ScratchSize: 0
; MemoryBound: 0
; FloatMode: 240
; IeeeMode: 1
; LDSByteSize: 0 bytes/workgroup (compile time only)
; SGPRBlocks: 0
; VGPRBlocks: 0
; NumSGPRsForWavesPerEU: 6
; NumVGPRsForWavesPerEU: 1
; AccumOffset: 4
; Occupancy: 8
; WaveLimiterHint : 0
; COMPUTE_PGM_RSRC2:SCRATCH_EN: 0
; COMPUTE_PGM_RSRC2:USER_SGPR: 2
; COMPUTE_PGM_RSRC2:TRAP_HANDLER: 0
; COMPUTE_PGM_RSRC2:TGID_X_EN: 1
; COMPUTE_PGM_RSRC2:TGID_Y_EN: 0
; COMPUTE_PGM_RSRC2:TGID_Z_EN: 0
; COMPUTE_PGM_RSRC2:TIDIG_COMP_CNT: 0
; COMPUTE_PGM_RSRC3_GFX90A:ACCUM_OFFSET: 0
; COMPUTE_PGM_RSRC3_GFX90A:TG_SPLIT: 0
	.section	.text._ZN7rocprim17ROCPRIM_400000_NS6detail17trampoline_kernelINS0_14default_configENS1_20scan_config_selectorIN3c107complexIdEEEEZZNS1_9scan_implILNS1_25lookback_scan_determinismE0ELb0ELb0ES3_PKS7_PS7_S7_ZZZN2at6native31launch_logcumsumexp_cuda_kernelERKNSE_10TensorBaseESI_lENKUlvE_clEvENKUlvE1_clEvEUlS7_S7_E_S7_EEDaPvRmT3_T4_T5_mT6_P12ihipStream_tbENKUlT_T0_E_clISt17integral_constantIbLb1EESY_IbLb0EEEEDaSU_SV_EUlSU_E0_NS1_11comp_targetILNS1_3genE2ELNS1_11target_archE906ELNS1_3gpuE6ELNS1_3repE0EEENS1_30default_config_static_selectorELNS0_4arch9wavefront6targetE1EEEvT1_,"axG",@progbits,_ZN7rocprim17ROCPRIM_400000_NS6detail17trampoline_kernelINS0_14default_configENS1_20scan_config_selectorIN3c107complexIdEEEEZZNS1_9scan_implILNS1_25lookback_scan_determinismE0ELb0ELb0ES3_PKS7_PS7_S7_ZZZN2at6native31launch_logcumsumexp_cuda_kernelERKNSE_10TensorBaseESI_lENKUlvE_clEvENKUlvE1_clEvEUlS7_S7_E_S7_EEDaPvRmT3_T4_T5_mT6_P12ihipStream_tbENKUlT_T0_E_clISt17integral_constantIbLb1EESY_IbLb0EEEEDaSU_SV_EUlSU_E0_NS1_11comp_targetILNS1_3genE2ELNS1_11target_archE906ELNS1_3gpuE6ELNS1_3repE0EEENS1_30default_config_static_selectorELNS0_4arch9wavefront6targetE1EEEvT1_,comdat
	.globl	_ZN7rocprim17ROCPRIM_400000_NS6detail17trampoline_kernelINS0_14default_configENS1_20scan_config_selectorIN3c107complexIdEEEEZZNS1_9scan_implILNS1_25lookback_scan_determinismE0ELb0ELb0ES3_PKS7_PS7_S7_ZZZN2at6native31launch_logcumsumexp_cuda_kernelERKNSE_10TensorBaseESI_lENKUlvE_clEvENKUlvE1_clEvEUlS7_S7_E_S7_EEDaPvRmT3_T4_T5_mT6_P12ihipStream_tbENKUlT_T0_E_clISt17integral_constantIbLb1EESY_IbLb0EEEEDaSU_SV_EUlSU_E0_NS1_11comp_targetILNS1_3genE2ELNS1_11target_archE906ELNS1_3gpuE6ELNS1_3repE0EEENS1_30default_config_static_selectorELNS0_4arch9wavefront6targetE1EEEvT1_ ; -- Begin function _ZN7rocprim17ROCPRIM_400000_NS6detail17trampoline_kernelINS0_14default_configENS1_20scan_config_selectorIN3c107complexIdEEEEZZNS1_9scan_implILNS1_25lookback_scan_determinismE0ELb0ELb0ES3_PKS7_PS7_S7_ZZZN2at6native31launch_logcumsumexp_cuda_kernelERKNSE_10TensorBaseESI_lENKUlvE_clEvENKUlvE1_clEvEUlS7_S7_E_S7_EEDaPvRmT3_T4_T5_mT6_P12ihipStream_tbENKUlT_T0_E_clISt17integral_constantIbLb1EESY_IbLb0EEEEDaSU_SV_EUlSU_E0_NS1_11comp_targetILNS1_3genE2ELNS1_11target_archE906ELNS1_3gpuE6ELNS1_3repE0EEENS1_30default_config_static_selectorELNS0_4arch9wavefront6targetE1EEEvT1_
	.p2align	8
	.type	_ZN7rocprim17ROCPRIM_400000_NS6detail17trampoline_kernelINS0_14default_configENS1_20scan_config_selectorIN3c107complexIdEEEEZZNS1_9scan_implILNS1_25lookback_scan_determinismE0ELb0ELb0ES3_PKS7_PS7_S7_ZZZN2at6native31launch_logcumsumexp_cuda_kernelERKNSE_10TensorBaseESI_lENKUlvE_clEvENKUlvE1_clEvEUlS7_S7_E_S7_EEDaPvRmT3_T4_T5_mT6_P12ihipStream_tbENKUlT_T0_E_clISt17integral_constantIbLb1EESY_IbLb0EEEEDaSU_SV_EUlSU_E0_NS1_11comp_targetILNS1_3genE2ELNS1_11target_archE906ELNS1_3gpuE6ELNS1_3repE0EEENS1_30default_config_static_selectorELNS0_4arch9wavefront6targetE1EEEvT1_,@function
_ZN7rocprim17ROCPRIM_400000_NS6detail17trampoline_kernelINS0_14default_configENS1_20scan_config_selectorIN3c107complexIdEEEEZZNS1_9scan_implILNS1_25lookback_scan_determinismE0ELb0ELb0ES3_PKS7_PS7_S7_ZZZN2at6native31launch_logcumsumexp_cuda_kernelERKNSE_10TensorBaseESI_lENKUlvE_clEvENKUlvE1_clEvEUlS7_S7_E_S7_EEDaPvRmT3_T4_T5_mT6_P12ihipStream_tbENKUlT_T0_E_clISt17integral_constantIbLb1EESY_IbLb0EEEEDaSU_SV_EUlSU_E0_NS1_11comp_targetILNS1_3genE2ELNS1_11target_archE906ELNS1_3gpuE6ELNS1_3repE0EEENS1_30default_config_static_selectorELNS0_4arch9wavefront6targetE1EEEvT1_: ; @_ZN7rocprim17ROCPRIM_400000_NS6detail17trampoline_kernelINS0_14default_configENS1_20scan_config_selectorIN3c107complexIdEEEEZZNS1_9scan_implILNS1_25lookback_scan_determinismE0ELb0ELb0ES3_PKS7_PS7_S7_ZZZN2at6native31launch_logcumsumexp_cuda_kernelERKNSE_10TensorBaseESI_lENKUlvE_clEvENKUlvE1_clEvEUlS7_S7_E_S7_EEDaPvRmT3_T4_T5_mT6_P12ihipStream_tbENKUlT_T0_E_clISt17integral_constantIbLb1EESY_IbLb0EEEEDaSU_SV_EUlSU_E0_NS1_11comp_targetILNS1_3genE2ELNS1_11target_archE906ELNS1_3gpuE6ELNS1_3repE0EEENS1_30default_config_static_selectorELNS0_4arch9wavefront6targetE1EEEvT1_
; %bb.0:
	.section	.rodata,"a",@progbits
	.p2align	6, 0x0
	.amdhsa_kernel _ZN7rocprim17ROCPRIM_400000_NS6detail17trampoline_kernelINS0_14default_configENS1_20scan_config_selectorIN3c107complexIdEEEEZZNS1_9scan_implILNS1_25lookback_scan_determinismE0ELb0ELb0ES3_PKS7_PS7_S7_ZZZN2at6native31launch_logcumsumexp_cuda_kernelERKNSE_10TensorBaseESI_lENKUlvE_clEvENKUlvE1_clEvEUlS7_S7_E_S7_EEDaPvRmT3_T4_T5_mT6_P12ihipStream_tbENKUlT_T0_E_clISt17integral_constantIbLb1EESY_IbLb0EEEEDaSU_SV_EUlSU_E0_NS1_11comp_targetILNS1_3genE2ELNS1_11target_archE906ELNS1_3gpuE6ELNS1_3repE0EEENS1_30default_config_static_selectorELNS0_4arch9wavefront6targetE1EEEvT1_
		.amdhsa_group_segment_fixed_size 0
		.amdhsa_private_segment_fixed_size 0
		.amdhsa_kernarg_size 48
		.amdhsa_user_sgpr_count 2
		.amdhsa_user_sgpr_dispatch_ptr 0
		.amdhsa_user_sgpr_queue_ptr 0
		.amdhsa_user_sgpr_kernarg_segment_ptr 1
		.amdhsa_user_sgpr_dispatch_id 0
		.amdhsa_user_sgpr_kernarg_preload_length 0
		.amdhsa_user_sgpr_kernarg_preload_offset 0
		.amdhsa_user_sgpr_private_segment_size 0
		.amdhsa_uses_dynamic_stack 0
		.amdhsa_enable_private_segment 0
		.amdhsa_system_sgpr_workgroup_id_x 1
		.amdhsa_system_sgpr_workgroup_id_y 0
		.amdhsa_system_sgpr_workgroup_id_z 0
		.amdhsa_system_sgpr_workgroup_info 0
		.amdhsa_system_vgpr_workitem_id 0
		.amdhsa_next_free_vgpr 1
		.amdhsa_next_free_sgpr 0
		.amdhsa_accum_offset 4
		.amdhsa_reserve_vcc 0
		.amdhsa_float_round_mode_32 0
		.amdhsa_float_round_mode_16_64 0
		.amdhsa_float_denorm_mode_32 3
		.amdhsa_float_denorm_mode_16_64 3
		.amdhsa_dx10_clamp 1
		.amdhsa_ieee_mode 1
		.amdhsa_fp16_overflow 0
		.amdhsa_tg_split 0
		.amdhsa_exception_fp_ieee_invalid_op 0
		.amdhsa_exception_fp_denorm_src 0
		.amdhsa_exception_fp_ieee_div_zero 0
		.amdhsa_exception_fp_ieee_overflow 0
		.amdhsa_exception_fp_ieee_underflow 0
		.amdhsa_exception_fp_ieee_inexact 0
		.amdhsa_exception_int_div_zero 0
	.end_amdhsa_kernel
	.section	.text._ZN7rocprim17ROCPRIM_400000_NS6detail17trampoline_kernelINS0_14default_configENS1_20scan_config_selectorIN3c107complexIdEEEEZZNS1_9scan_implILNS1_25lookback_scan_determinismE0ELb0ELb0ES3_PKS7_PS7_S7_ZZZN2at6native31launch_logcumsumexp_cuda_kernelERKNSE_10TensorBaseESI_lENKUlvE_clEvENKUlvE1_clEvEUlS7_S7_E_S7_EEDaPvRmT3_T4_T5_mT6_P12ihipStream_tbENKUlT_T0_E_clISt17integral_constantIbLb1EESY_IbLb0EEEEDaSU_SV_EUlSU_E0_NS1_11comp_targetILNS1_3genE2ELNS1_11target_archE906ELNS1_3gpuE6ELNS1_3repE0EEENS1_30default_config_static_selectorELNS0_4arch9wavefront6targetE1EEEvT1_,"axG",@progbits,_ZN7rocprim17ROCPRIM_400000_NS6detail17trampoline_kernelINS0_14default_configENS1_20scan_config_selectorIN3c107complexIdEEEEZZNS1_9scan_implILNS1_25lookback_scan_determinismE0ELb0ELb0ES3_PKS7_PS7_S7_ZZZN2at6native31launch_logcumsumexp_cuda_kernelERKNSE_10TensorBaseESI_lENKUlvE_clEvENKUlvE1_clEvEUlS7_S7_E_S7_EEDaPvRmT3_T4_T5_mT6_P12ihipStream_tbENKUlT_T0_E_clISt17integral_constantIbLb1EESY_IbLb0EEEEDaSU_SV_EUlSU_E0_NS1_11comp_targetILNS1_3genE2ELNS1_11target_archE906ELNS1_3gpuE6ELNS1_3repE0EEENS1_30default_config_static_selectorELNS0_4arch9wavefront6targetE1EEEvT1_,comdat
.Lfunc_end235:
	.size	_ZN7rocprim17ROCPRIM_400000_NS6detail17trampoline_kernelINS0_14default_configENS1_20scan_config_selectorIN3c107complexIdEEEEZZNS1_9scan_implILNS1_25lookback_scan_determinismE0ELb0ELb0ES3_PKS7_PS7_S7_ZZZN2at6native31launch_logcumsumexp_cuda_kernelERKNSE_10TensorBaseESI_lENKUlvE_clEvENKUlvE1_clEvEUlS7_S7_E_S7_EEDaPvRmT3_T4_T5_mT6_P12ihipStream_tbENKUlT_T0_E_clISt17integral_constantIbLb1EESY_IbLb0EEEEDaSU_SV_EUlSU_E0_NS1_11comp_targetILNS1_3genE2ELNS1_11target_archE906ELNS1_3gpuE6ELNS1_3repE0EEENS1_30default_config_static_selectorELNS0_4arch9wavefront6targetE1EEEvT1_, .Lfunc_end235-_ZN7rocprim17ROCPRIM_400000_NS6detail17trampoline_kernelINS0_14default_configENS1_20scan_config_selectorIN3c107complexIdEEEEZZNS1_9scan_implILNS1_25lookback_scan_determinismE0ELb0ELb0ES3_PKS7_PS7_S7_ZZZN2at6native31launch_logcumsumexp_cuda_kernelERKNSE_10TensorBaseESI_lENKUlvE_clEvENKUlvE1_clEvEUlS7_S7_E_S7_EEDaPvRmT3_T4_T5_mT6_P12ihipStream_tbENKUlT_T0_E_clISt17integral_constantIbLb1EESY_IbLb0EEEEDaSU_SV_EUlSU_E0_NS1_11comp_targetILNS1_3genE2ELNS1_11target_archE906ELNS1_3gpuE6ELNS1_3repE0EEENS1_30default_config_static_selectorELNS0_4arch9wavefront6targetE1EEEvT1_
                                        ; -- End function
	.set _ZN7rocprim17ROCPRIM_400000_NS6detail17trampoline_kernelINS0_14default_configENS1_20scan_config_selectorIN3c107complexIdEEEEZZNS1_9scan_implILNS1_25lookback_scan_determinismE0ELb0ELb0ES3_PKS7_PS7_S7_ZZZN2at6native31launch_logcumsumexp_cuda_kernelERKNSE_10TensorBaseESI_lENKUlvE_clEvENKUlvE1_clEvEUlS7_S7_E_S7_EEDaPvRmT3_T4_T5_mT6_P12ihipStream_tbENKUlT_T0_E_clISt17integral_constantIbLb1EESY_IbLb0EEEEDaSU_SV_EUlSU_E0_NS1_11comp_targetILNS1_3genE2ELNS1_11target_archE906ELNS1_3gpuE6ELNS1_3repE0EEENS1_30default_config_static_selectorELNS0_4arch9wavefront6targetE1EEEvT1_.num_vgpr, 0
	.set _ZN7rocprim17ROCPRIM_400000_NS6detail17trampoline_kernelINS0_14default_configENS1_20scan_config_selectorIN3c107complexIdEEEEZZNS1_9scan_implILNS1_25lookback_scan_determinismE0ELb0ELb0ES3_PKS7_PS7_S7_ZZZN2at6native31launch_logcumsumexp_cuda_kernelERKNSE_10TensorBaseESI_lENKUlvE_clEvENKUlvE1_clEvEUlS7_S7_E_S7_EEDaPvRmT3_T4_T5_mT6_P12ihipStream_tbENKUlT_T0_E_clISt17integral_constantIbLb1EESY_IbLb0EEEEDaSU_SV_EUlSU_E0_NS1_11comp_targetILNS1_3genE2ELNS1_11target_archE906ELNS1_3gpuE6ELNS1_3repE0EEENS1_30default_config_static_selectorELNS0_4arch9wavefront6targetE1EEEvT1_.num_agpr, 0
	.set _ZN7rocprim17ROCPRIM_400000_NS6detail17trampoline_kernelINS0_14default_configENS1_20scan_config_selectorIN3c107complexIdEEEEZZNS1_9scan_implILNS1_25lookback_scan_determinismE0ELb0ELb0ES3_PKS7_PS7_S7_ZZZN2at6native31launch_logcumsumexp_cuda_kernelERKNSE_10TensorBaseESI_lENKUlvE_clEvENKUlvE1_clEvEUlS7_S7_E_S7_EEDaPvRmT3_T4_T5_mT6_P12ihipStream_tbENKUlT_T0_E_clISt17integral_constantIbLb1EESY_IbLb0EEEEDaSU_SV_EUlSU_E0_NS1_11comp_targetILNS1_3genE2ELNS1_11target_archE906ELNS1_3gpuE6ELNS1_3repE0EEENS1_30default_config_static_selectorELNS0_4arch9wavefront6targetE1EEEvT1_.numbered_sgpr, 0
	.set _ZN7rocprim17ROCPRIM_400000_NS6detail17trampoline_kernelINS0_14default_configENS1_20scan_config_selectorIN3c107complexIdEEEEZZNS1_9scan_implILNS1_25lookback_scan_determinismE0ELb0ELb0ES3_PKS7_PS7_S7_ZZZN2at6native31launch_logcumsumexp_cuda_kernelERKNSE_10TensorBaseESI_lENKUlvE_clEvENKUlvE1_clEvEUlS7_S7_E_S7_EEDaPvRmT3_T4_T5_mT6_P12ihipStream_tbENKUlT_T0_E_clISt17integral_constantIbLb1EESY_IbLb0EEEEDaSU_SV_EUlSU_E0_NS1_11comp_targetILNS1_3genE2ELNS1_11target_archE906ELNS1_3gpuE6ELNS1_3repE0EEENS1_30default_config_static_selectorELNS0_4arch9wavefront6targetE1EEEvT1_.num_named_barrier, 0
	.set _ZN7rocprim17ROCPRIM_400000_NS6detail17trampoline_kernelINS0_14default_configENS1_20scan_config_selectorIN3c107complexIdEEEEZZNS1_9scan_implILNS1_25lookback_scan_determinismE0ELb0ELb0ES3_PKS7_PS7_S7_ZZZN2at6native31launch_logcumsumexp_cuda_kernelERKNSE_10TensorBaseESI_lENKUlvE_clEvENKUlvE1_clEvEUlS7_S7_E_S7_EEDaPvRmT3_T4_T5_mT6_P12ihipStream_tbENKUlT_T0_E_clISt17integral_constantIbLb1EESY_IbLb0EEEEDaSU_SV_EUlSU_E0_NS1_11comp_targetILNS1_3genE2ELNS1_11target_archE906ELNS1_3gpuE6ELNS1_3repE0EEENS1_30default_config_static_selectorELNS0_4arch9wavefront6targetE1EEEvT1_.private_seg_size, 0
	.set _ZN7rocprim17ROCPRIM_400000_NS6detail17trampoline_kernelINS0_14default_configENS1_20scan_config_selectorIN3c107complexIdEEEEZZNS1_9scan_implILNS1_25lookback_scan_determinismE0ELb0ELb0ES3_PKS7_PS7_S7_ZZZN2at6native31launch_logcumsumexp_cuda_kernelERKNSE_10TensorBaseESI_lENKUlvE_clEvENKUlvE1_clEvEUlS7_S7_E_S7_EEDaPvRmT3_T4_T5_mT6_P12ihipStream_tbENKUlT_T0_E_clISt17integral_constantIbLb1EESY_IbLb0EEEEDaSU_SV_EUlSU_E0_NS1_11comp_targetILNS1_3genE2ELNS1_11target_archE906ELNS1_3gpuE6ELNS1_3repE0EEENS1_30default_config_static_selectorELNS0_4arch9wavefront6targetE1EEEvT1_.uses_vcc, 0
	.set _ZN7rocprim17ROCPRIM_400000_NS6detail17trampoline_kernelINS0_14default_configENS1_20scan_config_selectorIN3c107complexIdEEEEZZNS1_9scan_implILNS1_25lookback_scan_determinismE0ELb0ELb0ES3_PKS7_PS7_S7_ZZZN2at6native31launch_logcumsumexp_cuda_kernelERKNSE_10TensorBaseESI_lENKUlvE_clEvENKUlvE1_clEvEUlS7_S7_E_S7_EEDaPvRmT3_T4_T5_mT6_P12ihipStream_tbENKUlT_T0_E_clISt17integral_constantIbLb1EESY_IbLb0EEEEDaSU_SV_EUlSU_E0_NS1_11comp_targetILNS1_3genE2ELNS1_11target_archE906ELNS1_3gpuE6ELNS1_3repE0EEENS1_30default_config_static_selectorELNS0_4arch9wavefront6targetE1EEEvT1_.uses_flat_scratch, 0
	.set _ZN7rocprim17ROCPRIM_400000_NS6detail17trampoline_kernelINS0_14default_configENS1_20scan_config_selectorIN3c107complexIdEEEEZZNS1_9scan_implILNS1_25lookback_scan_determinismE0ELb0ELb0ES3_PKS7_PS7_S7_ZZZN2at6native31launch_logcumsumexp_cuda_kernelERKNSE_10TensorBaseESI_lENKUlvE_clEvENKUlvE1_clEvEUlS7_S7_E_S7_EEDaPvRmT3_T4_T5_mT6_P12ihipStream_tbENKUlT_T0_E_clISt17integral_constantIbLb1EESY_IbLb0EEEEDaSU_SV_EUlSU_E0_NS1_11comp_targetILNS1_3genE2ELNS1_11target_archE906ELNS1_3gpuE6ELNS1_3repE0EEENS1_30default_config_static_selectorELNS0_4arch9wavefront6targetE1EEEvT1_.has_dyn_sized_stack, 0
	.set _ZN7rocprim17ROCPRIM_400000_NS6detail17trampoline_kernelINS0_14default_configENS1_20scan_config_selectorIN3c107complexIdEEEEZZNS1_9scan_implILNS1_25lookback_scan_determinismE0ELb0ELb0ES3_PKS7_PS7_S7_ZZZN2at6native31launch_logcumsumexp_cuda_kernelERKNSE_10TensorBaseESI_lENKUlvE_clEvENKUlvE1_clEvEUlS7_S7_E_S7_EEDaPvRmT3_T4_T5_mT6_P12ihipStream_tbENKUlT_T0_E_clISt17integral_constantIbLb1EESY_IbLb0EEEEDaSU_SV_EUlSU_E0_NS1_11comp_targetILNS1_3genE2ELNS1_11target_archE906ELNS1_3gpuE6ELNS1_3repE0EEENS1_30default_config_static_selectorELNS0_4arch9wavefront6targetE1EEEvT1_.has_recursion, 0
	.set _ZN7rocprim17ROCPRIM_400000_NS6detail17trampoline_kernelINS0_14default_configENS1_20scan_config_selectorIN3c107complexIdEEEEZZNS1_9scan_implILNS1_25lookback_scan_determinismE0ELb0ELb0ES3_PKS7_PS7_S7_ZZZN2at6native31launch_logcumsumexp_cuda_kernelERKNSE_10TensorBaseESI_lENKUlvE_clEvENKUlvE1_clEvEUlS7_S7_E_S7_EEDaPvRmT3_T4_T5_mT6_P12ihipStream_tbENKUlT_T0_E_clISt17integral_constantIbLb1EESY_IbLb0EEEEDaSU_SV_EUlSU_E0_NS1_11comp_targetILNS1_3genE2ELNS1_11target_archE906ELNS1_3gpuE6ELNS1_3repE0EEENS1_30default_config_static_selectorELNS0_4arch9wavefront6targetE1EEEvT1_.has_indirect_call, 0
	.section	.AMDGPU.csdata,"",@progbits
; Kernel info:
; codeLenInByte = 0
; TotalNumSgprs: 6
; NumVgprs: 0
; NumAgprs: 0
; TotalNumVgprs: 0
; ScratchSize: 0
; MemoryBound: 0
; FloatMode: 240
; IeeeMode: 1
; LDSByteSize: 0 bytes/workgroup (compile time only)
; SGPRBlocks: 0
; VGPRBlocks: 0
; NumSGPRsForWavesPerEU: 6
; NumVGPRsForWavesPerEU: 1
; AccumOffset: 4
; Occupancy: 8
; WaveLimiterHint : 0
; COMPUTE_PGM_RSRC2:SCRATCH_EN: 0
; COMPUTE_PGM_RSRC2:USER_SGPR: 2
; COMPUTE_PGM_RSRC2:TRAP_HANDLER: 0
; COMPUTE_PGM_RSRC2:TGID_X_EN: 1
; COMPUTE_PGM_RSRC2:TGID_Y_EN: 0
; COMPUTE_PGM_RSRC2:TGID_Z_EN: 0
; COMPUTE_PGM_RSRC2:TIDIG_COMP_CNT: 0
; COMPUTE_PGM_RSRC3_GFX90A:ACCUM_OFFSET: 0
; COMPUTE_PGM_RSRC3_GFX90A:TG_SPLIT: 0
	.section	.text._ZN7rocprim17ROCPRIM_400000_NS6detail17trampoline_kernelINS0_14default_configENS1_20scan_config_selectorIN3c107complexIdEEEEZZNS1_9scan_implILNS1_25lookback_scan_determinismE0ELb0ELb0ES3_PKS7_PS7_S7_ZZZN2at6native31launch_logcumsumexp_cuda_kernelERKNSE_10TensorBaseESI_lENKUlvE_clEvENKUlvE1_clEvEUlS7_S7_E_S7_EEDaPvRmT3_T4_T5_mT6_P12ihipStream_tbENKUlT_T0_E_clISt17integral_constantIbLb1EESY_IbLb0EEEEDaSU_SV_EUlSU_E0_NS1_11comp_targetILNS1_3genE10ELNS1_11target_archE1201ELNS1_3gpuE5ELNS1_3repE0EEENS1_30default_config_static_selectorELNS0_4arch9wavefront6targetE1EEEvT1_,"axG",@progbits,_ZN7rocprim17ROCPRIM_400000_NS6detail17trampoline_kernelINS0_14default_configENS1_20scan_config_selectorIN3c107complexIdEEEEZZNS1_9scan_implILNS1_25lookback_scan_determinismE0ELb0ELb0ES3_PKS7_PS7_S7_ZZZN2at6native31launch_logcumsumexp_cuda_kernelERKNSE_10TensorBaseESI_lENKUlvE_clEvENKUlvE1_clEvEUlS7_S7_E_S7_EEDaPvRmT3_T4_T5_mT6_P12ihipStream_tbENKUlT_T0_E_clISt17integral_constantIbLb1EESY_IbLb0EEEEDaSU_SV_EUlSU_E0_NS1_11comp_targetILNS1_3genE10ELNS1_11target_archE1201ELNS1_3gpuE5ELNS1_3repE0EEENS1_30default_config_static_selectorELNS0_4arch9wavefront6targetE1EEEvT1_,comdat
	.globl	_ZN7rocprim17ROCPRIM_400000_NS6detail17trampoline_kernelINS0_14default_configENS1_20scan_config_selectorIN3c107complexIdEEEEZZNS1_9scan_implILNS1_25lookback_scan_determinismE0ELb0ELb0ES3_PKS7_PS7_S7_ZZZN2at6native31launch_logcumsumexp_cuda_kernelERKNSE_10TensorBaseESI_lENKUlvE_clEvENKUlvE1_clEvEUlS7_S7_E_S7_EEDaPvRmT3_T4_T5_mT6_P12ihipStream_tbENKUlT_T0_E_clISt17integral_constantIbLb1EESY_IbLb0EEEEDaSU_SV_EUlSU_E0_NS1_11comp_targetILNS1_3genE10ELNS1_11target_archE1201ELNS1_3gpuE5ELNS1_3repE0EEENS1_30default_config_static_selectorELNS0_4arch9wavefront6targetE1EEEvT1_ ; -- Begin function _ZN7rocprim17ROCPRIM_400000_NS6detail17trampoline_kernelINS0_14default_configENS1_20scan_config_selectorIN3c107complexIdEEEEZZNS1_9scan_implILNS1_25lookback_scan_determinismE0ELb0ELb0ES3_PKS7_PS7_S7_ZZZN2at6native31launch_logcumsumexp_cuda_kernelERKNSE_10TensorBaseESI_lENKUlvE_clEvENKUlvE1_clEvEUlS7_S7_E_S7_EEDaPvRmT3_T4_T5_mT6_P12ihipStream_tbENKUlT_T0_E_clISt17integral_constantIbLb1EESY_IbLb0EEEEDaSU_SV_EUlSU_E0_NS1_11comp_targetILNS1_3genE10ELNS1_11target_archE1201ELNS1_3gpuE5ELNS1_3repE0EEENS1_30default_config_static_selectorELNS0_4arch9wavefront6targetE1EEEvT1_
	.p2align	8
	.type	_ZN7rocprim17ROCPRIM_400000_NS6detail17trampoline_kernelINS0_14default_configENS1_20scan_config_selectorIN3c107complexIdEEEEZZNS1_9scan_implILNS1_25lookback_scan_determinismE0ELb0ELb0ES3_PKS7_PS7_S7_ZZZN2at6native31launch_logcumsumexp_cuda_kernelERKNSE_10TensorBaseESI_lENKUlvE_clEvENKUlvE1_clEvEUlS7_S7_E_S7_EEDaPvRmT3_T4_T5_mT6_P12ihipStream_tbENKUlT_T0_E_clISt17integral_constantIbLb1EESY_IbLb0EEEEDaSU_SV_EUlSU_E0_NS1_11comp_targetILNS1_3genE10ELNS1_11target_archE1201ELNS1_3gpuE5ELNS1_3repE0EEENS1_30default_config_static_selectorELNS0_4arch9wavefront6targetE1EEEvT1_,@function
_ZN7rocprim17ROCPRIM_400000_NS6detail17trampoline_kernelINS0_14default_configENS1_20scan_config_selectorIN3c107complexIdEEEEZZNS1_9scan_implILNS1_25lookback_scan_determinismE0ELb0ELb0ES3_PKS7_PS7_S7_ZZZN2at6native31launch_logcumsumexp_cuda_kernelERKNSE_10TensorBaseESI_lENKUlvE_clEvENKUlvE1_clEvEUlS7_S7_E_S7_EEDaPvRmT3_T4_T5_mT6_P12ihipStream_tbENKUlT_T0_E_clISt17integral_constantIbLb1EESY_IbLb0EEEEDaSU_SV_EUlSU_E0_NS1_11comp_targetILNS1_3genE10ELNS1_11target_archE1201ELNS1_3gpuE5ELNS1_3repE0EEENS1_30default_config_static_selectorELNS0_4arch9wavefront6targetE1EEEvT1_: ; @_ZN7rocprim17ROCPRIM_400000_NS6detail17trampoline_kernelINS0_14default_configENS1_20scan_config_selectorIN3c107complexIdEEEEZZNS1_9scan_implILNS1_25lookback_scan_determinismE0ELb0ELb0ES3_PKS7_PS7_S7_ZZZN2at6native31launch_logcumsumexp_cuda_kernelERKNSE_10TensorBaseESI_lENKUlvE_clEvENKUlvE1_clEvEUlS7_S7_E_S7_EEDaPvRmT3_T4_T5_mT6_P12ihipStream_tbENKUlT_T0_E_clISt17integral_constantIbLb1EESY_IbLb0EEEEDaSU_SV_EUlSU_E0_NS1_11comp_targetILNS1_3genE10ELNS1_11target_archE1201ELNS1_3gpuE5ELNS1_3repE0EEENS1_30default_config_static_selectorELNS0_4arch9wavefront6targetE1EEEvT1_
; %bb.0:
	.section	.rodata,"a",@progbits
	.p2align	6, 0x0
	.amdhsa_kernel _ZN7rocprim17ROCPRIM_400000_NS6detail17trampoline_kernelINS0_14default_configENS1_20scan_config_selectorIN3c107complexIdEEEEZZNS1_9scan_implILNS1_25lookback_scan_determinismE0ELb0ELb0ES3_PKS7_PS7_S7_ZZZN2at6native31launch_logcumsumexp_cuda_kernelERKNSE_10TensorBaseESI_lENKUlvE_clEvENKUlvE1_clEvEUlS7_S7_E_S7_EEDaPvRmT3_T4_T5_mT6_P12ihipStream_tbENKUlT_T0_E_clISt17integral_constantIbLb1EESY_IbLb0EEEEDaSU_SV_EUlSU_E0_NS1_11comp_targetILNS1_3genE10ELNS1_11target_archE1201ELNS1_3gpuE5ELNS1_3repE0EEENS1_30default_config_static_selectorELNS0_4arch9wavefront6targetE1EEEvT1_
		.amdhsa_group_segment_fixed_size 0
		.amdhsa_private_segment_fixed_size 0
		.amdhsa_kernarg_size 48
		.amdhsa_user_sgpr_count 2
		.amdhsa_user_sgpr_dispatch_ptr 0
		.amdhsa_user_sgpr_queue_ptr 0
		.amdhsa_user_sgpr_kernarg_segment_ptr 1
		.amdhsa_user_sgpr_dispatch_id 0
		.amdhsa_user_sgpr_kernarg_preload_length 0
		.amdhsa_user_sgpr_kernarg_preload_offset 0
		.amdhsa_user_sgpr_private_segment_size 0
		.amdhsa_uses_dynamic_stack 0
		.amdhsa_enable_private_segment 0
		.amdhsa_system_sgpr_workgroup_id_x 1
		.amdhsa_system_sgpr_workgroup_id_y 0
		.amdhsa_system_sgpr_workgroup_id_z 0
		.amdhsa_system_sgpr_workgroup_info 0
		.amdhsa_system_vgpr_workitem_id 0
		.amdhsa_next_free_vgpr 1
		.amdhsa_next_free_sgpr 0
		.amdhsa_accum_offset 4
		.amdhsa_reserve_vcc 0
		.amdhsa_float_round_mode_32 0
		.amdhsa_float_round_mode_16_64 0
		.amdhsa_float_denorm_mode_32 3
		.amdhsa_float_denorm_mode_16_64 3
		.amdhsa_dx10_clamp 1
		.amdhsa_ieee_mode 1
		.amdhsa_fp16_overflow 0
		.amdhsa_tg_split 0
		.amdhsa_exception_fp_ieee_invalid_op 0
		.amdhsa_exception_fp_denorm_src 0
		.amdhsa_exception_fp_ieee_div_zero 0
		.amdhsa_exception_fp_ieee_overflow 0
		.amdhsa_exception_fp_ieee_underflow 0
		.amdhsa_exception_fp_ieee_inexact 0
		.amdhsa_exception_int_div_zero 0
	.end_amdhsa_kernel
	.section	.text._ZN7rocprim17ROCPRIM_400000_NS6detail17trampoline_kernelINS0_14default_configENS1_20scan_config_selectorIN3c107complexIdEEEEZZNS1_9scan_implILNS1_25lookback_scan_determinismE0ELb0ELb0ES3_PKS7_PS7_S7_ZZZN2at6native31launch_logcumsumexp_cuda_kernelERKNSE_10TensorBaseESI_lENKUlvE_clEvENKUlvE1_clEvEUlS7_S7_E_S7_EEDaPvRmT3_T4_T5_mT6_P12ihipStream_tbENKUlT_T0_E_clISt17integral_constantIbLb1EESY_IbLb0EEEEDaSU_SV_EUlSU_E0_NS1_11comp_targetILNS1_3genE10ELNS1_11target_archE1201ELNS1_3gpuE5ELNS1_3repE0EEENS1_30default_config_static_selectorELNS0_4arch9wavefront6targetE1EEEvT1_,"axG",@progbits,_ZN7rocprim17ROCPRIM_400000_NS6detail17trampoline_kernelINS0_14default_configENS1_20scan_config_selectorIN3c107complexIdEEEEZZNS1_9scan_implILNS1_25lookback_scan_determinismE0ELb0ELb0ES3_PKS7_PS7_S7_ZZZN2at6native31launch_logcumsumexp_cuda_kernelERKNSE_10TensorBaseESI_lENKUlvE_clEvENKUlvE1_clEvEUlS7_S7_E_S7_EEDaPvRmT3_T4_T5_mT6_P12ihipStream_tbENKUlT_T0_E_clISt17integral_constantIbLb1EESY_IbLb0EEEEDaSU_SV_EUlSU_E0_NS1_11comp_targetILNS1_3genE10ELNS1_11target_archE1201ELNS1_3gpuE5ELNS1_3repE0EEENS1_30default_config_static_selectorELNS0_4arch9wavefront6targetE1EEEvT1_,comdat
.Lfunc_end236:
	.size	_ZN7rocprim17ROCPRIM_400000_NS6detail17trampoline_kernelINS0_14default_configENS1_20scan_config_selectorIN3c107complexIdEEEEZZNS1_9scan_implILNS1_25lookback_scan_determinismE0ELb0ELb0ES3_PKS7_PS7_S7_ZZZN2at6native31launch_logcumsumexp_cuda_kernelERKNSE_10TensorBaseESI_lENKUlvE_clEvENKUlvE1_clEvEUlS7_S7_E_S7_EEDaPvRmT3_T4_T5_mT6_P12ihipStream_tbENKUlT_T0_E_clISt17integral_constantIbLb1EESY_IbLb0EEEEDaSU_SV_EUlSU_E0_NS1_11comp_targetILNS1_3genE10ELNS1_11target_archE1201ELNS1_3gpuE5ELNS1_3repE0EEENS1_30default_config_static_selectorELNS0_4arch9wavefront6targetE1EEEvT1_, .Lfunc_end236-_ZN7rocprim17ROCPRIM_400000_NS6detail17trampoline_kernelINS0_14default_configENS1_20scan_config_selectorIN3c107complexIdEEEEZZNS1_9scan_implILNS1_25lookback_scan_determinismE0ELb0ELb0ES3_PKS7_PS7_S7_ZZZN2at6native31launch_logcumsumexp_cuda_kernelERKNSE_10TensorBaseESI_lENKUlvE_clEvENKUlvE1_clEvEUlS7_S7_E_S7_EEDaPvRmT3_T4_T5_mT6_P12ihipStream_tbENKUlT_T0_E_clISt17integral_constantIbLb1EESY_IbLb0EEEEDaSU_SV_EUlSU_E0_NS1_11comp_targetILNS1_3genE10ELNS1_11target_archE1201ELNS1_3gpuE5ELNS1_3repE0EEENS1_30default_config_static_selectorELNS0_4arch9wavefront6targetE1EEEvT1_
                                        ; -- End function
	.set _ZN7rocprim17ROCPRIM_400000_NS6detail17trampoline_kernelINS0_14default_configENS1_20scan_config_selectorIN3c107complexIdEEEEZZNS1_9scan_implILNS1_25lookback_scan_determinismE0ELb0ELb0ES3_PKS7_PS7_S7_ZZZN2at6native31launch_logcumsumexp_cuda_kernelERKNSE_10TensorBaseESI_lENKUlvE_clEvENKUlvE1_clEvEUlS7_S7_E_S7_EEDaPvRmT3_T4_T5_mT6_P12ihipStream_tbENKUlT_T0_E_clISt17integral_constantIbLb1EESY_IbLb0EEEEDaSU_SV_EUlSU_E0_NS1_11comp_targetILNS1_3genE10ELNS1_11target_archE1201ELNS1_3gpuE5ELNS1_3repE0EEENS1_30default_config_static_selectorELNS0_4arch9wavefront6targetE1EEEvT1_.num_vgpr, 0
	.set _ZN7rocprim17ROCPRIM_400000_NS6detail17trampoline_kernelINS0_14default_configENS1_20scan_config_selectorIN3c107complexIdEEEEZZNS1_9scan_implILNS1_25lookback_scan_determinismE0ELb0ELb0ES3_PKS7_PS7_S7_ZZZN2at6native31launch_logcumsumexp_cuda_kernelERKNSE_10TensorBaseESI_lENKUlvE_clEvENKUlvE1_clEvEUlS7_S7_E_S7_EEDaPvRmT3_T4_T5_mT6_P12ihipStream_tbENKUlT_T0_E_clISt17integral_constantIbLb1EESY_IbLb0EEEEDaSU_SV_EUlSU_E0_NS1_11comp_targetILNS1_3genE10ELNS1_11target_archE1201ELNS1_3gpuE5ELNS1_3repE0EEENS1_30default_config_static_selectorELNS0_4arch9wavefront6targetE1EEEvT1_.num_agpr, 0
	.set _ZN7rocprim17ROCPRIM_400000_NS6detail17trampoline_kernelINS0_14default_configENS1_20scan_config_selectorIN3c107complexIdEEEEZZNS1_9scan_implILNS1_25lookback_scan_determinismE0ELb0ELb0ES3_PKS7_PS7_S7_ZZZN2at6native31launch_logcumsumexp_cuda_kernelERKNSE_10TensorBaseESI_lENKUlvE_clEvENKUlvE1_clEvEUlS7_S7_E_S7_EEDaPvRmT3_T4_T5_mT6_P12ihipStream_tbENKUlT_T0_E_clISt17integral_constantIbLb1EESY_IbLb0EEEEDaSU_SV_EUlSU_E0_NS1_11comp_targetILNS1_3genE10ELNS1_11target_archE1201ELNS1_3gpuE5ELNS1_3repE0EEENS1_30default_config_static_selectorELNS0_4arch9wavefront6targetE1EEEvT1_.numbered_sgpr, 0
	.set _ZN7rocprim17ROCPRIM_400000_NS6detail17trampoline_kernelINS0_14default_configENS1_20scan_config_selectorIN3c107complexIdEEEEZZNS1_9scan_implILNS1_25lookback_scan_determinismE0ELb0ELb0ES3_PKS7_PS7_S7_ZZZN2at6native31launch_logcumsumexp_cuda_kernelERKNSE_10TensorBaseESI_lENKUlvE_clEvENKUlvE1_clEvEUlS7_S7_E_S7_EEDaPvRmT3_T4_T5_mT6_P12ihipStream_tbENKUlT_T0_E_clISt17integral_constantIbLb1EESY_IbLb0EEEEDaSU_SV_EUlSU_E0_NS1_11comp_targetILNS1_3genE10ELNS1_11target_archE1201ELNS1_3gpuE5ELNS1_3repE0EEENS1_30default_config_static_selectorELNS0_4arch9wavefront6targetE1EEEvT1_.num_named_barrier, 0
	.set _ZN7rocprim17ROCPRIM_400000_NS6detail17trampoline_kernelINS0_14default_configENS1_20scan_config_selectorIN3c107complexIdEEEEZZNS1_9scan_implILNS1_25lookback_scan_determinismE0ELb0ELb0ES3_PKS7_PS7_S7_ZZZN2at6native31launch_logcumsumexp_cuda_kernelERKNSE_10TensorBaseESI_lENKUlvE_clEvENKUlvE1_clEvEUlS7_S7_E_S7_EEDaPvRmT3_T4_T5_mT6_P12ihipStream_tbENKUlT_T0_E_clISt17integral_constantIbLb1EESY_IbLb0EEEEDaSU_SV_EUlSU_E0_NS1_11comp_targetILNS1_3genE10ELNS1_11target_archE1201ELNS1_3gpuE5ELNS1_3repE0EEENS1_30default_config_static_selectorELNS0_4arch9wavefront6targetE1EEEvT1_.private_seg_size, 0
	.set _ZN7rocprim17ROCPRIM_400000_NS6detail17trampoline_kernelINS0_14default_configENS1_20scan_config_selectorIN3c107complexIdEEEEZZNS1_9scan_implILNS1_25lookback_scan_determinismE0ELb0ELb0ES3_PKS7_PS7_S7_ZZZN2at6native31launch_logcumsumexp_cuda_kernelERKNSE_10TensorBaseESI_lENKUlvE_clEvENKUlvE1_clEvEUlS7_S7_E_S7_EEDaPvRmT3_T4_T5_mT6_P12ihipStream_tbENKUlT_T0_E_clISt17integral_constantIbLb1EESY_IbLb0EEEEDaSU_SV_EUlSU_E0_NS1_11comp_targetILNS1_3genE10ELNS1_11target_archE1201ELNS1_3gpuE5ELNS1_3repE0EEENS1_30default_config_static_selectorELNS0_4arch9wavefront6targetE1EEEvT1_.uses_vcc, 0
	.set _ZN7rocprim17ROCPRIM_400000_NS6detail17trampoline_kernelINS0_14default_configENS1_20scan_config_selectorIN3c107complexIdEEEEZZNS1_9scan_implILNS1_25lookback_scan_determinismE0ELb0ELb0ES3_PKS7_PS7_S7_ZZZN2at6native31launch_logcumsumexp_cuda_kernelERKNSE_10TensorBaseESI_lENKUlvE_clEvENKUlvE1_clEvEUlS7_S7_E_S7_EEDaPvRmT3_T4_T5_mT6_P12ihipStream_tbENKUlT_T0_E_clISt17integral_constantIbLb1EESY_IbLb0EEEEDaSU_SV_EUlSU_E0_NS1_11comp_targetILNS1_3genE10ELNS1_11target_archE1201ELNS1_3gpuE5ELNS1_3repE0EEENS1_30default_config_static_selectorELNS0_4arch9wavefront6targetE1EEEvT1_.uses_flat_scratch, 0
	.set _ZN7rocprim17ROCPRIM_400000_NS6detail17trampoline_kernelINS0_14default_configENS1_20scan_config_selectorIN3c107complexIdEEEEZZNS1_9scan_implILNS1_25lookback_scan_determinismE0ELb0ELb0ES3_PKS7_PS7_S7_ZZZN2at6native31launch_logcumsumexp_cuda_kernelERKNSE_10TensorBaseESI_lENKUlvE_clEvENKUlvE1_clEvEUlS7_S7_E_S7_EEDaPvRmT3_T4_T5_mT6_P12ihipStream_tbENKUlT_T0_E_clISt17integral_constantIbLb1EESY_IbLb0EEEEDaSU_SV_EUlSU_E0_NS1_11comp_targetILNS1_3genE10ELNS1_11target_archE1201ELNS1_3gpuE5ELNS1_3repE0EEENS1_30default_config_static_selectorELNS0_4arch9wavefront6targetE1EEEvT1_.has_dyn_sized_stack, 0
	.set _ZN7rocprim17ROCPRIM_400000_NS6detail17trampoline_kernelINS0_14default_configENS1_20scan_config_selectorIN3c107complexIdEEEEZZNS1_9scan_implILNS1_25lookback_scan_determinismE0ELb0ELb0ES3_PKS7_PS7_S7_ZZZN2at6native31launch_logcumsumexp_cuda_kernelERKNSE_10TensorBaseESI_lENKUlvE_clEvENKUlvE1_clEvEUlS7_S7_E_S7_EEDaPvRmT3_T4_T5_mT6_P12ihipStream_tbENKUlT_T0_E_clISt17integral_constantIbLb1EESY_IbLb0EEEEDaSU_SV_EUlSU_E0_NS1_11comp_targetILNS1_3genE10ELNS1_11target_archE1201ELNS1_3gpuE5ELNS1_3repE0EEENS1_30default_config_static_selectorELNS0_4arch9wavefront6targetE1EEEvT1_.has_recursion, 0
	.set _ZN7rocprim17ROCPRIM_400000_NS6detail17trampoline_kernelINS0_14default_configENS1_20scan_config_selectorIN3c107complexIdEEEEZZNS1_9scan_implILNS1_25lookback_scan_determinismE0ELb0ELb0ES3_PKS7_PS7_S7_ZZZN2at6native31launch_logcumsumexp_cuda_kernelERKNSE_10TensorBaseESI_lENKUlvE_clEvENKUlvE1_clEvEUlS7_S7_E_S7_EEDaPvRmT3_T4_T5_mT6_P12ihipStream_tbENKUlT_T0_E_clISt17integral_constantIbLb1EESY_IbLb0EEEEDaSU_SV_EUlSU_E0_NS1_11comp_targetILNS1_3genE10ELNS1_11target_archE1201ELNS1_3gpuE5ELNS1_3repE0EEENS1_30default_config_static_selectorELNS0_4arch9wavefront6targetE1EEEvT1_.has_indirect_call, 0
	.section	.AMDGPU.csdata,"",@progbits
; Kernel info:
; codeLenInByte = 0
; TotalNumSgprs: 6
; NumVgprs: 0
; NumAgprs: 0
; TotalNumVgprs: 0
; ScratchSize: 0
; MemoryBound: 0
; FloatMode: 240
; IeeeMode: 1
; LDSByteSize: 0 bytes/workgroup (compile time only)
; SGPRBlocks: 0
; VGPRBlocks: 0
; NumSGPRsForWavesPerEU: 6
; NumVGPRsForWavesPerEU: 1
; AccumOffset: 4
; Occupancy: 8
; WaveLimiterHint : 0
; COMPUTE_PGM_RSRC2:SCRATCH_EN: 0
; COMPUTE_PGM_RSRC2:USER_SGPR: 2
; COMPUTE_PGM_RSRC2:TRAP_HANDLER: 0
; COMPUTE_PGM_RSRC2:TGID_X_EN: 1
; COMPUTE_PGM_RSRC2:TGID_Y_EN: 0
; COMPUTE_PGM_RSRC2:TGID_Z_EN: 0
; COMPUTE_PGM_RSRC2:TIDIG_COMP_CNT: 0
; COMPUTE_PGM_RSRC3_GFX90A:ACCUM_OFFSET: 0
; COMPUTE_PGM_RSRC3_GFX90A:TG_SPLIT: 0
	.section	.text._ZN7rocprim17ROCPRIM_400000_NS6detail17trampoline_kernelINS0_14default_configENS1_20scan_config_selectorIN3c107complexIdEEEEZZNS1_9scan_implILNS1_25lookback_scan_determinismE0ELb0ELb0ES3_PKS7_PS7_S7_ZZZN2at6native31launch_logcumsumexp_cuda_kernelERKNSE_10TensorBaseESI_lENKUlvE_clEvENKUlvE1_clEvEUlS7_S7_E_S7_EEDaPvRmT3_T4_T5_mT6_P12ihipStream_tbENKUlT_T0_E_clISt17integral_constantIbLb1EESY_IbLb0EEEEDaSU_SV_EUlSU_E0_NS1_11comp_targetILNS1_3genE10ELNS1_11target_archE1200ELNS1_3gpuE4ELNS1_3repE0EEENS1_30default_config_static_selectorELNS0_4arch9wavefront6targetE1EEEvT1_,"axG",@progbits,_ZN7rocprim17ROCPRIM_400000_NS6detail17trampoline_kernelINS0_14default_configENS1_20scan_config_selectorIN3c107complexIdEEEEZZNS1_9scan_implILNS1_25lookback_scan_determinismE0ELb0ELb0ES3_PKS7_PS7_S7_ZZZN2at6native31launch_logcumsumexp_cuda_kernelERKNSE_10TensorBaseESI_lENKUlvE_clEvENKUlvE1_clEvEUlS7_S7_E_S7_EEDaPvRmT3_T4_T5_mT6_P12ihipStream_tbENKUlT_T0_E_clISt17integral_constantIbLb1EESY_IbLb0EEEEDaSU_SV_EUlSU_E0_NS1_11comp_targetILNS1_3genE10ELNS1_11target_archE1200ELNS1_3gpuE4ELNS1_3repE0EEENS1_30default_config_static_selectorELNS0_4arch9wavefront6targetE1EEEvT1_,comdat
	.globl	_ZN7rocprim17ROCPRIM_400000_NS6detail17trampoline_kernelINS0_14default_configENS1_20scan_config_selectorIN3c107complexIdEEEEZZNS1_9scan_implILNS1_25lookback_scan_determinismE0ELb0ELb0ES3_PKS7_PS7_S7_ZZZN2at6native31launch_logcumsumexp_cuda_kernelERKNSE_10TensorBaseESI_lENKUlvE_clEvENKUlvE1_clEvEUlS7_S7_E_S7_EEDaPvRmT3_T4_T5_mT6_P12ihipStream_tbENKUlT_T0_E_clISt17integral_constantIbLb1EESY_IbLb0EEEEDaSU_SV_EUlSU_E0_NS1_11comp_targetILNS1_3genE10ELNS1_11target_archE1200ELNS1_3gpuE4ELNS1_3repE0EEENS1_30default_config_static_selectorELNS0_4arch9wavefront6targetE1EEEvT1_ ; -- Begin function _ZN7rocprim17ROCPRIM_400000_NS6detail17trampoline_kernelINS0_14default_configENS1_20scan_config_selectorIN3c107complexIdEEEEZZNS1_9scan_implILNS1_25lookback_scan_determinismE0ELb0ELb0ES3_PKS7_PS7_S7_ZZZN2at6native31launch_logcumsumexp_cuda_kernelERKNSE_10TensorBaseESI_lENKUlvE_clEvENKUlvE1_clEvEUlS7_S7_E_S7_EEDaPvRmT3_T4_T5_mT6_P12ihipStream_tbENKUlT_T0_E_clISt17integral_constantIbLb1EESY_IbLb0EEEEDaSU_SV_EUlSU_E0_NS1_11comp_targetILNS1_3genE10ELNS1_11target_archE1200ELNS1_3gpuE4ELNS1_3repE0EEENS1_30default_config_static_selectorELNS0_4arch9wavefront6targetE1EEEvT1_
	.p2align	8
	.type	_ZN7rocprim17ROCPRIM_400000_NS6detail17trampoline_kernelINS0_14default_configENS1_20scan_config_selectorIN3c107complexIdEEEEZZNS1_9scan_implILNS1_25lookback_scan_determinismE0ELb0ELb0ES3_PKS7_PS7_S7_ZZZN2at6native31launch_logcumsumexp_cuda_kernelERKNSE_10TensorBaseESI_lENKUlvE_clEvENKUlvE1_clEvEUlS7_S7_E_S7_EEDaPvRmT3_T4_T5_mT6_P12ihipStream_tbENKUlT_T0_E_clISt17integral_constantIbLb1EESY_IbLb0EEEEDaSU_SV_EUlSU_E0_NS1_11comp_targetILNS1_3genE10ELNS1_11target_archE1200ELNS1_3gpuE4ELNS1_3repE0EEENS1_30default_config_static_selectorELNS0_4arch9wavefront6targetE1EEEvT1_,@function
_ZN7rocprim17ROCPRIM_400000_NS6detail17trampoline_kernelINS0_14default_configENS1_20scan_config_selectorIN3c107complexIdEEEEZZNS1_9scan_implILNS1_25lookback_scan_determinismE0ELb0ELb0ES3_PKS7_PS7_S7_ZZZN2at6native31launch_logcumsumexp_cuda_kernelERKNSE_10TensorBaseESI_lENKUlvE_clEvENKUlvE1_clEvEUlS7_S7_E_S7_EEDaPvRmT3_T4_T5_mT6_P12ihipStream_tbENKUlT_T0_E_clISt17integral_constantIbLb1EESY_IbLb0EEEEDaSU_SV_EUlSU_E0_NS1_11comp_targetILNS1_3genE10ELNS1_11target_archE1200ELNS1_3gpuE4ELNS1_3repE0EEENS1_30default_config_static_selectorELNS0_4arch9wavefront6targetE1EEEvT1_: ; @_ZN7rocprim17ROCPRIM_400000_NS6detail17trampoline_kernelINS0_14default_configENS1_20scan_config_selectorIN3c107complexIdEEEEZZNS1_9scan_implILNS1_25lookback_scan_determinismE0ELb0ELb0ES3_PKS7_PS7_S7_ZZZN2at6native31launch_logcumsumexp_cuda_kernelERKNSE_10TensorBaseESI_lENKUlvE_clEvENKUlvE1_clEvEUlS7_S7_E_S7_EEDaPvRmT3_T4_T5_mT6_P12ihipStream_tbENKUlT_T0_E_clISt17integral_constantIbLb1EESY_IbLb0EEEEDaSU_SV_EUlSU_E0_NS1_11comp_targetILNS1_3genE10ELNS1_11target_archE1200ELNS1_3gpuE4ELNS1_3repE0EEENS1_30default_config_static_selectorELNS0_4arch9wavefront6targetE1EEEvT1_
; %bb.0:
	.section	.rodata,"a",@progbits
	.p2align	6, 0x0
	.amdhsa_kernel _ZN7rocprim17ROCPRIM_400000_NS6detail17trampoline_kernelINS0_14default_configENS1_20scan_config_selectorIN3c107complexIdEEEEZZNS1_9scan_implILNS1_25lookback_scan_determinismE0ELb0ELb0ES3_PKS7_PS7_S7_ZZZN2at6native31launch_logcumsumexp_cuda_kernelERKNSE_10TensorBaseESI_lENKUlvE_clEvENKUlvE1_clEvEUlS7_S7_E_S7_EEDaPvRmT3_T4_T5_mT6_P12ihipStream_tbENKUlT_T0_E_clISt17integral_constantIbLb1EESY_IbLb0EEEEDaSU_SV_EUlSU_E0_NS1_11comp_targetILNS1_3genE10ELNS1_11target_archE1200ELNS1_3gpuE4ELNS1_3repE0EEENS1_30default_config_static_selectorELNS0_4arch9wavefront6targetE1EEEvT1_
		.amdhsa_group_segment_fixed_size 0
		.amdhsa_private_segment_fixed_size 0
		.amdhsa_kernarg_size 48
		.amdhsa_user_sgpr_count 2
		.amdhsa_user_sgpr_dispatch_ptr 0
		.amdhsa_user_sgpr_queue_ptr 0
		.amdhsa_user_sgpr_kernarg_segment_ptr 1
		.amdhsa_user_sgpr_dispatch_id 0
		.amdhsa_user_sgpr_kernarg_preload_length 0
		.amdhsa_user_sgpr_kernarg_preload_offset 0
		.amdhsa_user_sgpr_private_segment_size 0
		.amdhsa_uses_dynamic_stack 0
		.amdhsa_enable_private_segment 0
		.amdhsa_system_sgpr_workgroup_id_x 1
		.amdhsa_system_sgpr_workgroup_id_y 0
		.amdhsa_system_sgpr_workgroup_id_z 0
		.amdhsa_system_sgpr_workgroup_info 0
		.amdhsa_system_vgpr_workitem_id 0
		.amdhsa_next_free_vgpr 1
		.amdhsa_next_free_sgpr 0
		.amdhsa_accum_offset 4
		.amdhsa_reserve_vcc 0
		.amdhsa_float_round_mode_32 0
		.amdhsa_float_round_mode_16_64 0
		.amdhsa_float_denorm_mode_32 3
		.amdhsa_float_denorm_mode_16_64 3
		.amdhsa_dx10_clamp 1
		.amdhsa_ieee_mode 1
		.amdhsa_fp16_overflow 0
		.amdhsa_tg_split 0
		.amdhsa_exception_fp_ieee_invalid_op 0
		.amdhsa_exception_fp_denorm_src 0
		.amdhsa_exception_fp_ieee_div_zero 0
		.amdhsa_exception_fp_ieee_overflow 0
		.amdhsa_exception_fp_ieee_underflow 0
		.amdhsa_exception_fp_ieee_inexact 0
		.amdhsa_exception_int_div_zero 0
	.end_amdhsa_kernel
	.section	.text._ZN7rocprim17ROCPRIM_400000_NS6detail17trampoline_kernelINS0_14default_configENS1_20scan_config_selectorIN3c107complexIdEEEEZZNS1_9scan_implILNS1_25lookback_scan_determinismE0ELb0ELb0ES3_PKS7_PS7_S7_ZZZN2at6native31launch_logcumsumexp_cuda_kernelERKNSE_10TensorBaseESI_lENKUlvE_clEvENKUlvE1_clEvEUlS7_S7_E_S7_EEDaPvRmT3_T4_T5_mT6_P12ihipStream_tbENKUlT_T0_E_clISt17integral_constantIbLb1EESY_IbLb0EEEEDaSU_SV_EUlSU_E0_NS1_11comp_targetILNS1_3genE10ELNS1_11target_archE1200ELNS1_3gpuE4ELNS1_3repE0EEENS1_30default_config_static_selectorELNS0_4arch9wavefront6targetE1EEEvT1_,"axG",@progbits,_ZN7rocprim17ROCPRIM_400000_NS6detail17trampoline_kernelINS0_14default_configENS1_20scan_config_selectorIN3c107complexIdEEEEZZNS1_9scan_implILNS1_25lookback_scan_determinismE0ELb0ELb0ES3_PKS7_PS7_S7_ZZZN2at6native31launch_logcumsumexp_cuda_kernelERKNSE_10TensorBaseESI_lENKUlvE_clEvENKUlvE1_clEvEUlS7_S7_E_S7_EEDaPvRmT3_T4_T5_mT6_P12ihipStream_tbENKUlT_T0_E_clISt17integral_constantIbLb1EESY_IbLb0EEEEDaSU_SV_EUlSU_E0_NS1_11comp_targetILNS1_3genE10ELNS1_11target_archE1200ELNS1_3gpuE4ELNS1_3repE0EEENS1_30default_config_static_selectorELNS0_4arch9wavefront6targetE1EEEvT1_,comdat
.Lfunc_end237:
	.size	_ZN7rocprim17ROCPRIM_400000_NS6detail17trampoline_kernelINS0_14default_configENS1_20scan_config_selectorIN3c107complexIdEEEEZZNS1_9scan_implILNS1_25lookback_scan_determinismE0ELb0ELb0ES3_PKS7_PS7_S7_ZZZN2at6native31launch_logcumsumexp_cuda_kernelERKNSE_10TensorBaseESI_lENKUlvE_clEvENKUlvE1_clEvEUlS7_S7_E_S7_EEDaPvRmT3_T4_T5_mT6_P12ihipStream_tbENKUlT_T0_E_clISt17integral_constantIbLb1EESY_IbLb0EEEEDaSU_SV_EUlSU_E0_NS1_11comp_targetILNS1_3genE10ELNS1_11target_archE1200ELNS1_3gpuE4ELNS1_3repE0EEENS1_30default_config_static_selectorELNS0_4arch9wavefront6targetE1EEEvT1_, .Lfunc_end237-_ZN7rocprim17ROCPRIM_400000_NS6detail17trampoline_kernelINS0_14default_configENS1_20scan_config_selectorIN3c107complexIdEEEEZZNS1_9scan_implILNS1_25lookback_scan_determinismE0ELb0ELb0ES3_PKS7_PS7_S7_ZZZN2at6native31launch_logcumsumexp_cuda_kernelERKNSE_10TensorBaseESI_lENKUlvE_clEvENKUlvE1_clEvEUlS7_S7_E_S7_EEDaPvRmT3_T4_T5_mT6_P12ihipStream_tbENKUlT_T0_E_clISt17integral_constantIbLb1EESY_IbLb0EEEEDaSU_SV_EUlSU_E0_NS1_11comp_targetILNS1_3genE10ELNS1_11target_archE1200ELNS1_3gpuE4ELNS1_3repE0EEENS1_30default_config_static_selectorELNS0_4arch9wavefront6targetE1EEEvT1_
                                        ; -- End function
	.set _ZN7rocprim17ROCPRIM_400000_NS6detail17trampoline_kernelINS0_14default_configENS1_20scan_config_selectorIN3c107complexIdEEEEZZNS1_9scan_implILNS1_25lookback_scan_determinismE0ELb0ELb0ES3_PKS7_PS7_S7_ZZZN2at6native31launch_logcumsumexp_cuda_kernelERKNSE_10TensorBaseESI_lENKUlvE_clEvENKUlvE1_clEvEUlS7_S7_E_S7_EEDaPvRmT3_T4_T5_mT6_P12ihipStream_tbENKUlT_T0_E_clISt17integral_constantIbLb1EESY_IbLb0EEEEDaSU_SV_EUlSU_E0_NS1_11comp_targetILNS1_3genE10ELNS1_11target_archE1200ELNS1_3gpuE4ELNS1_3repE0EEENS1_30default_config_static_selectorELNS0_4arch9wavefront6targetE1EEEvT1_.num_vgpr, 0
	.set _ZN7rocprim17ROCPRIM_400000_NS6detail17trampoline_kernelINS0_14default_configENS1_20scan_config_selectorIN3c107complexIdEEEEZZNS1_9scan_implILNS1_25lookback_scan_determinismE0ELb0ELb0ES3_PKS7_PS7_S7_ZZZN2at6native31launch_logcumsumexp_cuda_kernelERKNSE_10TensorBaseESI_lENKUlvE_clEvENKUlvE1_clEvEUlS7_S7_E_S7_EEDaPvRmT3_T4_T5_mT6_P12ihipStream_tbENKUlT_T0_E_clISt17integral_constantIbLb1EESY_IbLb0EEEEDaSU_SV_EUlSU_E0_NS1_11comp_targetILNS1_3genE10ELNS1_11target_archE1200ELNS1_3gpuE4ELNS1_3repE0EEENS1_30default_config_static_selectorELNS0_4arch9wavefront6targetE1EEEvT1_.num_agpr, 0
	.set _ZN7rocprim17ROCPRIM_400000_NS6detail17trampoline_kernelINS0_14default_configENS1_20scan_config_selectorIN3c107complexIdEEEEZZNS1_9scan_implILNS1_25lookback_scan_determinismE0ELb0ELb0ES3_PKS7_PS7_S7_ZZZN2at6native31launch_logcumsumexp_cuda_kernelERKNSE_10TensorBaseESI_lENKUlvE_clEvENKUlvE1_clEvEUlS7_S7_E_S7_EEDaPvRmT3_T4_T5_mT6_P12ihipStream_tbENKUlT_T0_E_clISt17integral_constantIbLb1EESY_IbLb0EEEEDaSU_SV_EUlSU_E0_NS1_11comp_targetILNS1_3genE10ELNS1_11target_archE1200ELNS1_3gpuE4ELNS1_3repE0EEENS1_30default_config_static_selectorELNS0_4arch9wavefront6targetE1EEEvT1_.numbered_sgpr, 0
	.set _ZN7rocprim17ROCPRIM_400000_NS6detail17trampoline_kernelINS0_14default_configENS1_20scan_config_selectorIN3c107complexIdEEEEZZNS1_9scan_implILNS1_25lookback_scan_determinismE0ELb0ELb0ES3_PKS7_PS7_S7_ZZZN2at6native31launch_logcumsumexp_cuda_kernelERKNSE_10TensorBaseESI_lENKUlvE_clEvENKUlvE1_clEvEUlS7_S7_E_S7_EEDaPvRmT3_T4_T5_mT6_P12ihipStream_tbENKUlT_T0_E_clISt17integral_constantIbLb1EESY_IbLb0EEEEDaSU_SV_EUlSU_E0_NS1_11comp_targetILNS1_3genE10ELNS1_11target_archE1200ELNS1_3gpuE4ELNS1_3repE0EEENS1_30default_config_static_selectorELNS0_4arch9wavefront6targetE1EEEvT1_.num_named_barrier, 0
	.set _ZN7rocprim17ROCPRIM_400000_NS6detail17trampoline_kernelINS0_14default_configENS1_20scan_config_selectorIN3c107complexIdEEEEZZNS1_9scan_implILNS1_25lookback_scan_determinismE0ELb0ELb0ES3_PKS7_PS7_S7_ZZZN2at6native31launch_logcumsumexp_cuda_kernelERKNSE_10TensorBaseESI_lENKUlvE_clEvENKUlvE1_clEvEUlS7_S7_E_S7_EEDaPvRmT3_T4_T5_mT6_P12ihipStream_tbENKUlT_T0_E_clISt17integral_constantIbLb1EESY_IbLb0EEEEDaSU_SV_EUlSU_E0_NS1_11comp_targetILNS1_3genE10ELNS1_11target_archE1200ELNS1_3gpuE4ELNS1_3repE0EEENS1_30default_config_static_selectorELNS0_4arch9wavefront6targetE1EEEvT1_.private_seg_size, 0
	.set _ZN7rocprim17ROCPRIM_400000_NS6detail17trampoline_kernelINS0_14default_configENS1_20scan_config_selectorIN3c107complexIdEEEEZZNS1_9scan_implILNS1_25lookback_scan_determinismE0ELb0ELb0ES3_PKS7_PS7_S7_ZZZN2at6native31launch_logcumsumexp_cuda_kernelERKNSE_10TensorBaseESI_lENKUlvE_clEvENKUlvE1_clEvEUlS7_S7_E_S7_EEDaPvRmT3_T4_T5_mT6_P12ihipStream_tbENKUlT_T0_E_clISt17integral_constantIbLb1EESY_IbLb0EEEEDaSU_SV_EUlSU_E0_NS1_11comp_targetILNS1_3genE10ELNS1_11target_archE1200ELNS1_3gpuE4ELNS1_3repE0EEENS1_30default_config_static_selectorELNS0_4arch9wavefront6targetE1EEEvT1_.uses_vcc, 0
	.set _ZN7rocprim17ROCPRIM_400000_NS6detail17trampoline_kernelINS0_14default_configENS1_20scan_config_selectorIN3c107complexIdEEEEZZNS1_9scan_implILNS1_25lookback_scan_determinismE0ELb0ELb0ES3_PKS7_PS7_S7_ZZZN2at6native31launch_logcumsumexp_cuda_kernelERKNSE_10TensorBaseESI_lENKUlvE_clEvENKUlvE1_clEvEUlS7_S7_E_S7_EEDaPvRmT3_T4_T5_mT6_P12ihipStream_tbENKUlT_T0_E_clISt17integral_constantIbLb1EESY_IbLb0EEEEDaSU_SV_EUlSU_E0_NS1_11comp_targetILNS1_3genE10ELNS1_11target_archE1200ELNS1_3gpuE4ELNS1_3repE0EEENS1_30default_config_static_selectorELNS0_4arch9wavefront6targetE1EEEvT1_.uses_flat_scratch, 0
	.set _ZN7rocprim17ROCPRIM_400000_NS6detail17trampoline_kernelINS0_14default_configENS1_20scan_config_selectorIN3c107complexIdEEEEZZNS1_9scan_implILNS1_25lookback_scan_determinismE0ELb0ELb0ES3_PKS7_PS7_S7_ZZZN2at6native31launch_logcumsumexp_cuda_kernelERKNSE_10TensorBaseESI_lENKUlvE_clEvENKUlvE1_clEvEUlS7_S7_E_S7_EEDaPvRmT3_T4_T5_mT6_P12ihipStream_tbENKUlT_T0_E_clISt17integral_constantIbLb1EESY_IbLb0EEEEDaSU_SV_EUlSU_E0_NS1_11comp_targetILNS1_3genE10ELNS1_11target_archE1200ELNS1_3gpuE4ELNS1_3repE0EEENS1_30default_config_static_selectorELNS0_4arch9wavefront6targetE1EEEvT1_.has_dyn_sized_stack, 0
	.set _ZN7rocprim17ROCPRIM_400000_NS6detail17trampoline_kernelINS0_14default_configENS1_20scan_config_selectorIN3c107complexIdEEEEZZNS1_9scan_implILNS1_25lookback_scan_determinismE0ELb0ELb0ES3_PKS7_PS7_S7_ZZZN2at6native31launch_logcumsumexp_cuda_kernelERKNSE_10TensorBaseESI_lENKUlvE_clEvENKUlvE1_clEvEUlS7_S7_E_S7_EEDaPvRmT3_T4_T5_mT6_P12ihipStream_tbENKUlT_T0_E_clISt17integral_constantIbLb1EESY_IbLb0EEEEDaSU_SV_EUlSU_E0_NS1_11comp_targetILNS1_3genE10ELNS1_11target_archE1200ELNS1_3gpuE4ELNS1_3repE0EEENS1_30default_config_static_selectorELNS0_4arch9wavefront6targetE1EEEvT1_.has_recursion, 0
	.set _ZN7rocprim17ROCPRIM_400000_NS6detail17trampoline_kernelINS0_14default_configENS1_20scan_config_selectorIN3c107complexIdEEEEZZNS1_9scan_implILNS1_25lookback_scan_determinismE0ELb0ELb0ES3_PKS7_PS7_S7_ZZZN2at6native31launch_logcumsumexp_cuda_kernelERKNSE_10TensorBaseESI_lENKUlvE_clEvENKUlvE1_clEvEUlS7_S7_E_S7_EEDaPvRmT3_T4_T5_mT6_P12ihipStream_tbENKUlT_T0_E_clISt17integral_constantIbLb1EESY_IbLb0EEEEDaSU_SV_EUlSU_E0_NS1_11comp_targetILNS1_3genE10ELNS1_11target_archE1200ELNS1_3gpuE4ELNS1_3repE0EEENS1_30default_config_static_selectorELNS0_4arch9wavefront6targetE1EEEvT1_.has_indirect_call, 0
	.section	.AMDGPU.csdata,"",@progbits
; Kernel info:
; codeLenInByte = 0
; TotalNumSgprs: 6
; NumVgprs: 0
; NumAgprs: 0
; TotalNumVgprs: 0
; ScratchSize: 0
; MemoryBound: 0
; FloatMode: 240
; IeeeMode: 1
; LDSByteSize: 0 bytes/workgroup (compile time only)
; SGPRBlocks: 0
; VGPRBlocks: 0
; NumSGPRsForWavesPerEU: 6
; NumVGPRsForWavesPerEU: 1
; AccumOffset: 4
; Occupancy: 8
; WaveLimiterHint : 0
; COMPUTE_PGM_RSRC2:SCRATCH_EN: 0
; COMPUTE_PGM_RSRC2:USER_SGPR: 2
; COMPUTE_PGM_RSRC2:TRAP_HANDLER: 0
; COMPUTE_PGM_RSRC2:TGID_X_EN: 1
; COMPUTE_PGM_RSRC2:TGID_Y_EN: 0
; COMPUTE_PGM_RSRC2:TGID_Z_EN: 0
; COMPUTE_PGM_RSRC2:TIDIG_COMP_CNT: 0
; COMPUTE_PGM_RSRC3_GFX90A:ACCUM_OFFSET: 0
; COMPUTE_PGM_RSRC3_GFX90A:TG_SPLIT: 0
	.section	.text._ZN7rocprim17ROCPRIM_400000_NS6detail17trampoline_kernelINS0_14default_configENS1_20scan_config_selectorIN3c107complexIdEEEEZZNS1_9scan_implILNS1_25lookback_scan_determinismE0ELb0ELb0ES3_PKS7_PS7_S7_ZZZN2at6native31launch_logcumsumexp_cuda_kernelERKNSE_10TensorBaseESI_lENKUlvE_clEvENKUlvE1_clEvEUlS7_S7_E_S7_EEDaPvRmT3_T4_T5_mT6_P12ihipStream_tbENKUlT_T0_E_clISt17integral_constantIbLb1EESY_IbLb0EEEEDaSU_SV_EUlSU_E0_NS1_11comp_targetILNS1_3genE9ELNS1_11target_archE1100ELNS1_3gpuE3ELNS1_3repE0EEENS1_30default_config_static_selectorELNS0_4arch9wavefront6targetE1EEEvT1_,"axG",@progbits,_ZN7rocprim17ROCPRIM_400000_NS6detail17trampoline_kernelINS0_14default_configENS1_20scan_config_selectorIN3c107complexIdEEEEZZNS1_9scan_implILNS1_25lookback_scan_determinismE0ELb0ELb0ES3_PKS7_PS7_S7_ZZZN2at6native31launch_logcumsumexp_cuda_kernelERKNSE_10TensorBaseESI_lENKUlvE_clEvENKUlvE1_clEvEUlS7_S7_E_S7_EEDaPvRmT3_T4_T5_mT6_P12ihipStream_tbENKUlT_T0_E_clISt17integral_constantIbLb1EESY_IbLb0EEEEDaSU_SV_EUlSU_E0_NS1_11comp_targetILNS1_3genE9ELNS1_11target_archE1100ELNS1_3gpuE3ELNS1_3repE0EEENS1_30default_config_static_selectorELNS0_4arch9wavefront6targetE1EEEvT1_,comdat
	.globl	_ZN7rocprim17ROCPRIM_400000_NS6detail17trampoline_kernelINS0_14default_configENS1_20scan_config_selectorIN3c107complexIdEEEEZZNS1_9scan_implILNS1_25lookback_scan_determinismE0ELb0ELb0ES3_PKS7_PS7_S7_ZZZN2at6native31launch_logcumsumexp_cuda_kernelERKNSE_10TensorBaseESI_lENKUlvE_clEvENKUlvE1_clEvEUlS7_S7_E_S7_EEDaPvRmT3_T4_T5_mT6_P12ihipStream_tbENKUlT_T0_E_clISt17integral_constantIbLb1EESY_IbLb0EEEEDaSU_SV_EUlSU_E0_NS1_11comp_targetILNS1_3genE9ELNS1_11target_archE1100ELNS1_3gpuE3ELNS1_3repE0EEENS1_30default_config_static_selectorELNS0_4arch9wavefront6targetE1EEEvT1_ ; -- Begin function _ZN7rocprim17ROCPRIM_400000_NS6detail17trampoline_kernelINS0_14default_configENS1_20scan_config_selectorIN3c107complexIdEEEEZZNS1_9scan_implILNS1_25lookback_scan_determinismE0ELb0ELb0ES3_PKS7_PS7_S7_ZZZN2at6native31launch_logcumsumexp_cuda_kernelERKNSE_10TensorBaseESI_lENKUlvE_clEvENKUlvE1_clEvEUlS7_S7_E_S7_EEDaPvRmT3_T4_T5_mT6_P12ihipStream_tbENKUlT_T0_E_clISt17integral_constantIbLb1EESY_IbLb0EEEEDaSU_SV_EUlSU_E0_NS1_11comp_targetILNS1_3genE9ELNS1_11target_archE1100ELNS1_3gpuE3ELNS1_3repE0EEENS1_30default_config_static_selectorELNS0_4arch9wavefront6targetE1EEEvT1_
	.p2align	8
	.type	_ZN7rocprim17ROCPRIM_400000_NS6detail17trampoline_kernelINS0_14default_configENS1_20scan_config_selectorIN3c107complexIdEEEEZZNS1_9scan_implILNS1_25lookback_scan_determinismE0ELb0ELb0ES3_PKS7_PS7_S7_ZZZN2at6native31launch_logcumsumexp_cuda_kernelERKNSE_10TensorBaseESI_lENKUlvE_clEvENKUlvE1_clEvEUlS7_S7_E_S7_EEDaPvRmT3_T4_T5_mT6_P12ihipStream_tbENKUlT_T0_E_clISt17integral_constantIbLb1EESY_IbLb0EEEEDaSU_SV_EUlSU_E0_NS1_11comp_targetILNS1_3genE9ELNS1_11target_archE1100ELNS1_3gpuE3ELNS1_3repE0EEENS1_30default_config_static_selectorELNS0_4arch9wavefront6targetE1EEEvT1_,@function
_ZN7rocprim17ROCPRIM_400000_NS6detail17trampoline_kernelINS0_14default_configENS1_20scan_config_selectorIN3c107complexIdEEEEZZNS1_9scan_implILNS1_25lookback_scan_determinismE0ELb0ELb0ES3_PKS7_PS7_S7_ZZZN2at6native31launch_logcumsumexp_cuda_kernelERKNSE_10TensorBaseESI_lENKUlvE_clEvENKUlvE1_clEvEUlS7_S7_E_S7_EEDaPvRmT3_T4_T5_mT6_P12ihipStream_tbENKUlT_T0_E_clISt17integral_constantIbLb1EESY_IbLb0EEEEDaSU_SV_EUlSU_E0_NS1_11comp_targetILNS1_3genE9ELNS1_11target_archE1100ELNS1_3gpuE3ELNS1_3repE0EEENS1_30default_config_static_selectorELNS0_4arch9wavefront6targetE1EEEvT1_: ; @_ZN7rocprim17ROCPRIM_400000_NS6detail17trampoline_kernelINS0_14default_configENS1_20scan_config_selectorIN3c107complexIdEEEEZZNS1_9scan_implILNS1_25lookback_scan_determinismE0ELb0ELb0ES3_PKS7_PS7_S7_ZZZN2at6native31launch_logcumsumexp_cuda_kernelERKNSE_10TensorBaseESI_lENKUlvE_clEvENKUlvE1_clEvEUlS7_S7_E_S7_EEDaPvRmT3_T4_T5_mT6_P12ihipStream_tbENKUlT_T0_E_clISt17integral_constantIbLb1EESY_IbLb0EEEEDaSU_SV_EUlSU_E0_NS1_11comp_targetILNS1_3genE9ELNS1_11target_archE1100ELNS1_3gpuE3ELNS1_3repE0EEENS1_30default_config_static_selectorELNS0_4arch9wavefront6targetE1EEEvT1_
; %bb.0:
	.section	.rodata,"a",@progbits
	.p2align	6, 0x0
	.amdhsa_kernel _ZN7rocprim17ROCPRIM_400000_NS6detail17trampoline_kernelINS0_14default_configENS1_20scan_config_selectorIN3c107complexIdEEEEZZNS1_9scan_implILNS1_25lookback_scan_determinismE0ELb0ELb0ES3_PKS7_PS7_S7_ZZZN2at6native31launch_logcumsumexp_cuda_kernelERKNSE_10TensorBaseESI_lENKUlvE_clEvENKUlvE1_clEvEUlS7_S7_E_S7_EEDaPvRmT3_T4_T5_mT6_P12ihipStream_tbENKUlT_T0_E_clISt17integral_constantIbLb1EESY_IbLb0EEEEDaSU_SV_EUlSU_E0_NS1_11comp_targetILNS1_3genE9ELNS1_11target_archE1100ELNS1_3gpuE3ELNS1_3repE0EEENS1_30default_config_static_selectorELNS0_4arch9wavefront6targetE1EEEvT1_
		.amdhsa_group_segment_fixed_size 0
		.amdhsa_private_segment_fixed_size 0
		.amdhsa_kernarg_size 48
		.amdhsa_user_sgpr_count 2
		.amdhsa_user_sgpr_dispatch_ptr 0
		.amdhsa_user_sgpr_queue_ptr 0
		.amdhsa_user_sgpr_kernarg_segment_ptr 1
		.amdhsa_user_sgpr_dispatch_id 0
		.amdhsa_user_sgpr_kernarg_preload_length 0
		.amdhsa_user_sgpr_kernarg_preload_offset 0
		.amdhsa_user_sgpr_private_segment_size 0
		.amdhsa_uses_dynamic_stack 0
		.amdhsa_enable_private_segment 0
		.amdhsa_system_sgpr_workgroup_id_x 1
		.amdhsa_system_sgpr_workgroup_id_y 0
		.amdhsa_system_sgpr_workgroup_id_z 0
		.amdhsa_system_sgpr_workgroup_info 0
		.amdhsa_system_vgpr_workitem_id 0
		.amdhsa_next_free_vgpr 1
		.amdhsa_next_free_sgpr 0
		.amdhsa_accum_offset 4
		.amdhsa_reserve_vcc 0
		.amdhsa_float_round_mode_32 0
		.amdhsa_float_round_mode_16_64 0
		.amdhsa_float_denorm_mode_32 3
		.amdhsa_float_denorm_mode_16_64 3
		.amdhsa_dx10_clamp 1
		.amdhsa_ieee_mode 1
		.amdhsa_fp16_overflow 0
		.amdhsa_tg_split 0
		.amdhsa_exception_fp_ieee_invalid_op 0
		.amdhsa_exception_fp_denorm_src 0
		.amdhsa_exception_fp_ieee_div_zero 0
		.amdhsa_exception_fp_ieee_overflow 0
		.amdhsa_exception_fp_ieee_underflow 0
		.amdhsa_exception_fp_ieee_inexact 0
		.amdhsa_exception_int_div_zero 0
	.end_amdhsa_kernel
	.section	.text._ZN7rocprim17ROCPRIM_400000_NS6detail17trampoline_kernelINS0_14default_configENS1_20scan_config_selectorIN3c107complexIdEEEEZZNS1_9scan_implILNS1_25lookback_scan_determinismE0ELb0ELb0ES3_PKS7_PS7_S7_ZZZN2at6native31launch_logcumsumexp_cuda_kernelERKNSE_10TensorBaseESI_lENKUlvE_clEvENKUlvE1_clEvEUlS7_S7_E_S7_EEDaPvRmT3_T4_T5_mT6_P12ihipStream_tbENKUlT_T0_E_clISt17integral_constantIbLb1EESY_IbLb0EEEEDaSU_SV_EUlSU_E0_NS1_11comp_targetILNS1_3genE9ELNS1_11target_archE1100ELNS1_3gpuE3ELNS1_3repE0EEENS1_30default_config_static_selectorELNS0_4arch9wavefront6targetE1EEEvT1_,"axG",@progbits,_ZN7rocprim17ROCPRIM_400000_NS6detail17trampoline_kernelINS0_14default_configENS1_20scan_config_selectorIN3c107complexIdEEEEZZNS1_9scan_implILNS1_25lookback_scan_determinismE0ELb0ELb0ES3_PKS7_PS7_S7_ZZZN2at6native31launch_logcumsumexp_cuda_kernelERKNSE_10TensorBaseESI_lENKUlvE_clEvENKUlvE1_clEvEUlS7_S7_E_S7_EEDaPvRmT3_T4_T5_mT6_P12ihipStream_tbENKUlT_T0_E_clISt17integral_constantIbLb1EESY_IbLb0EEEEDaSU_SV_EUlSU_E0_NS1_11comp_targetILNS1_3genE9ELNS1_11target_archE1100ELNS1_3gpuE3ELNS1_3repE0EEENS1_30default_config_static_selectorELNS0_4arch9wavefront6targetE1EEEvT1_,comdat
.Lfunc_end238:
	.size	_ZN7rocprim17ROCPRIM_400000_NS6detail17trampoline_kernelINS0_14default_configENS1_20scan_config_selectorIN3c107complexIdEEEEZZNS1_9scan_implILNS1_25lookback_scan_determinismE0ELb0ELb0ES3_PKS7_PS7_S7_ZZZN2at6native31launch_logcumsumexp_cuda_kernelERKNSE_10TensorBaseESI_lENKUlvE_clEvENKUlvE1_clEvEUlS7_S7_E_S7_EEDaPvRmT3_T4_T5_mT6_P12ihipStream_tbENKUlT_T0_E_clISt17integral_constantIbLb1EESY_IbLb0EEEEDaSU_SV_EUlSU_E0_NS1_11comp_targetILNS1_3genE9ELNS1_11target_archE1100ELNS1_3gpuE3ELNS1_3repE0EEENS1_30default_config_static_selectorELNS0_4arch9wavefront6targetE1EEEvT1_, .Lfunc_end238-_ZN7rocprim17ROCPRIM_400000_NS6detail17trampoline_kernelINS0_14default_configENS1_20scan_config_selectorIN3c107complexIdEEEEZZNS1_9scan_implILNS1_25lookback_scan_determinismE0ELb0ELb0ES3_PKS7_PS7_S7_ZZZN2at6native31launch_logcumsumexp_cuda_kernelERKNSE_10TensorBaseESI_lENKUlvE_clEvENKUlvE1_clEvEUlS7_S7_E_S7_EEDaPvRmT3_T4_T5_mT6_P12ihipStream_tbENKUlT_T0_E_clISt17integral_constantIbLb1EESY_IbLb0EEEEDaSU_SV_EUlSU_E0_NS1_11comp_targetILNS1_3genE9ELNS1_11target_archE1100ELNS1_3gpuE3ELNS1_3repE0EEENS1_30default_config_static_selectorELNS0_4arch9wavefront6targetE1EEEvT1_
                                        ; -- End function
	.set _ZN7rocprim17ROCPRIM_400000_NS6detail17trampoline_kernelINS0_14default_configENS1_20scan_config_selectorIN3c107complexIdEEEEZZNS1_9scan_implILNS1_25lookback_scan_determinismE0ELb0ELb0ES3_PKS7_PS7_S7_ZZZN2at6native31launch_logcumsumexp_cuda_kernelERKNSE_10TensorBaseESI_lENKUlvE_clEvENKUlvE1_clEvEUlS7_S7_E_S7_EEDaPvRmT3_T4_T5_mT6_P12ihipStream_tbENKUlT_T0_E_clISt17integral_constantIbLb1EESY_IbLb0EEEEDaSU_SV_EUlSU_E0_NS1_11comp_targetILNS1_3genE9ELNS1_11target_archE1100ELNS1_3gpuE3ELNS1_3repE0EEENS1_30default_config_static_selectorELNS0_4arch9wavefront6targetE1EEEvT1_.num_vgpr, 0
	.set _ZN7rocprim17ROCPRIM_400000_NS6detail17trampoline_kernelINS0_14default_configENS1_20scan_config_selectorIN3c107complexIdEEEEZZNS1_9scan_implILNS1_25lookback_scan_determinismE0ELb0ELb0ES3_PKS7_PS7_S7_ZZZN2at6native31launch_logcumsumexp_cuda_kernelERKNSE_10TensorBaseESI_lENKUlvE_clEvENKUlvE1_clEvEUlS7_S7_E_S7_EEDaPvRmT3_T4_T5_mT6_P12ihipStream_tbENKUlT_T0_E_clISt17integral_constantIbLb1EESY_IbLb0EEEEDaSU_SV_EUlSU_E0_NS1_11comp_targetILNS1_3genE9ELNS1_11target_archE1100ELNS1_3gpuE3ELNS1_3repE0EEENS1_30default_config_static_selectorELNS0_4arch9wavefront6targetE1EEEvT1_.num_agpr, 0
	.set _ZN7rocprim17ROCPRIM_400000_NS6detail17trampoline_kernelINS0_14default_configENS1_20scan_config_selectorIN3c107complexIdEEEEZZNS1_9scan_implILNS1_25lookback_scan_determinismE0ELb0ELb0ES3_PKS7_PS7_S7_ZZZN2at6native31launch_logcumsumexp_cuda_kernelERKNSE_10TensorBaseESI_lENKUlvE_clEvENKUlvE1_clEvEUlS7_S7_E_S7_EEDaPvRmT3_T4_T5_mT6_P12ihipStream_tbENKUlT_T0_E_clISt17integral_constantIbLb1EESY_IbLb0EEEEDaSU_SV_EUlSU_E0_NS1_11comp_targetILNS1_3genE9ELNS1_11target_archE1100ELNS1_3gpuE3ELNS1_3repE0EEENS1_30default_config_static_selectorELNS0_4arch9wavefront6targetE1EEEvT1_.numbered_sgpr, 0
	.set _ZN7rocprim17ROCPRIM_400000_NS6detail17trampoline_kernelINS0_14default_configENS1_20scan_config_selectorIN3c107complexIdEEEEZZNS1_9scan_implILNS1_25lookback_scan_determinismE0ELb0ELb0ES3_PKS7_PS7_S7_ZZZN2at6native31launch_logcumsumexp_cuda_kernelERKNSE_10TensorBaseESI_lENKUlvE_clEvENKUlvE1_clEvEUlS7_S7_E_S7_EEDaPvRmT3_T4_T5_mT6_P12ihipStream_tbENKUlT_T0_E_clISt17integral_constantIbLb1EESY_IbLb0EEEEDaSU_SV_EUlSU_E0_NS1_11comp_targetILNS1_3genE9ELNS1_11target_archE1100ELNS1_3gpuE3ELNS1_3repE0EEENS1_30default_config_static_selectorELNS0_4arch9wavefront6targetE1EEEvT1_.num_named_barrier, 0
	.set _ZN7rocprim17ROCPRIM_400000_NS6detail17trampoline_kernelINS0_14default_configENS1_20scan_config_selectorIN3c107complexIdEEEEZZNS1_9scan_implILNS1_25lookback_scan_determinismE0ELb0ELb0ES3_PKS7_PS7_S7_ZZZN2at6native31launch_logcumsumexp_cuda_kernelERKNSE_10TensorBaseESI_lENKUlvE_clEvENKUlvE1_clEvEUlS7_S7_E_S7_EEDaPvRmT3_T4_T5_mT6_P12ihipStream_tbENKUlT_T0_E_clISt17integral_constantIbLb1EESY_IbLb0EEEEDaSU_SV_EUlSU_E0_NS1_11comp_targetILNS1_3genE9ELNS1_11target_archE1100ELNS1_3gpuE3ELNS1_3repE0EEENS1_30default_config_static_selectorELNS0_4arch9wavefront6targetE1EEEvT1_.private_seg_size, 0
	.set _ZN7rocprim17ROCPRIM_400000_NS6detail17trampoline_kernelINS0_14default_configENS1_20scan_config_selectorIN3c107complexIdEEEEZZNS1_9scan_implILNS1_25lookback_scan_determinismE0ELb0ELb0ES3_PKS7_PS7_S7_ZZZN2at6native31launch_logcumsumexp_cuda_kernelERKNSE_10TensorBaseESI_lENKUlvE_clEvENKUlvE1_clEvEUlS7_S7_E_S7_EEDaPvRmT3_T4_T5_mT6_P12ihipStream_tbENKUlT_T0_E_clISt17integral_constantIbLb1EESY_IbLb0EEEEDaSU_SV_EUlSU_E0_NS1_11comp_targetILNS1_3genE9ELNS1_11target_archE1100ELNS1_3gpuE3ELNS1_3repE0EEENS1_30default_config_static_selectorELNS0_4arch9wavefront6targetE1EEEvT1_.uses_vcc, 0
	.set _ZN7rocprim17ROCPRIM_400000_NS6detail17trampoline_kernelINS0_14default_configENS1_20scan_config_selectorIN3c107complexIdEEEEZZNS1_9scan_implILNS1_25lookback_scan_determinismE0ELb0ELb0ES3_PKS7_PS7_S7_ZZZN2at6native31launch_logcumsumexp_cuda_kernelERKNSE_10TensorBaseESI_lENKUlvE_clEvENKUlvE1_clEvEUlS7_S7_E_S7_EEDaPvRmT3_T4_T5_mT6_P12ihipStream_tbENKUlT_T0_E_clISt17integral_constantIbLb1EESY_IbLb0EEEEDaSU_SV_EUlSU_E0_NS1_11comp_targetILNS1_3genE9ELNS1_11target_archE1100ELNS1_3gpuE3ELNS1_3repE0EEENS1_30default_config_static_selectorELNS0_4arch9wavefront6targetE1EEEvT1_.uses_flat_scratch, 0
	.set _ZN7rocprim17ROCPRIM_400000_NS6detail17trampoline_kernelINS0_14default_configENS1_20scan_config_selectorIN3c107complexIdEEEEZZNS1_9scan_implILNS1_25lookback_scan_determinismE0ELb0ELb0ES3_PKS7_PS7_S7_ZZZN2at6native31launch_logcumsumexp_cuda_kernelERKNSE_10TensorBaseESI_lENKUlvE_clEvENKUlvE1_clEvEUlS7_S7_E_S7_EEDaPvRmT3_T4_T5_mT6_P12ihipStream_tbENKUlT_T0_E_clISt17integral_constantIbLb1EESY_IbLb0EEEEDaSU_SV_EUlSU_E0_NS1_11comp_targetILNS1_3genE9ELNS1_11target_archE1100ELNS1_3gpuE3ELNS1_3repE0EEENS1_30default_config_static_selectorELNS0_4arch9wavefront6targetE1EEEvT1_.has_dyn_sized_stack, 0
	.set _ZN7rocprim17ROCPRIM_400000_NS6detail17trampoline_kernelINS0_14default_configENS1_20scan_config_selectorIN3c107complexIdEEEEZZNS1_9scan_implILNS1_25lookback_scan_determinismE0ELb0ELb0ES3_PKS7_PS7_S7_ZZZN2at6native31launch_logcumsumexp_cuda_kernelERKNSE_10TensorBaseESI_lENKUlvE_clEvENKUlvE1_clEvEUlS7_S7_E_S7_EEDaPvRmT3_T4_T5_mT6_P12ihipStream_tbENKUlT_T0_E_clISt17integral_constantIbLb1EESY_IbLb0EEEEDaSU_SV_EUlSU_E0_NS1_11comp_targetILNS1_3genE9ELNS1_11target_archE1100ELNS1_3gpuE3ELNS1_3repE0EEENS1_30default_config_static_selectorELNS0_4arch9wavefront6targetE1EEEvT1_.has_recursion, 0
	.set _ZN7rocprim17ROCPRIM_400000_NS6detail17trampoline_kernelINS0_14default_configENS1_20scan_config_selectorIN3c107complexIdEEEEZZNS1_9scan_implILNS1_25lookback_scan_determinismE0ELb0ELb0ES3_PKS7_PS7_S7_ZZZN2at6native31launch_logcumsumexp_cuda_kernelERKNSE_10TensorBaseESI_lENKUlvE_clEvENKUlvE1_clEvEUlS7_S7_E_S7_EEDaPvRmT3_T4_T5_mT6_P12ihipStream_tbENKUlT_T0_E_clISt17integral_constantIbLb1EESY_IbLb0EEEEDaSU_SV_EUlSU_E0_NS1_11comp_targetILNS1_3genE9ELNS1_11target_archE1100ELNS1_3gpuE3ELNS1_3repE0EEENS1_30default_config_static_selectorELNS0_4arch9wavefront6targetE1EEEvT1_.has_indirect_call, 0
	.section	.AMDGPU.csdata,"",@progbits
; Kernel info:
; codeLenInByte = 0
; TotalNumSgprs: 6
; NumVgprs: 0
; NumAgprs: 0
; TotalNumVgprs: 0
; ScratchSize: 0
; MemoryBound: 0
; FloatMode: 240
; IeeeMode: 1
; LDSByteSize: 0 bytes/workgroup (compile time only)
; SGPRBlocks: 0
; VGPRBlocks: 0
; NumSGPRsForWavesPerEU: 6
; NumVGPRsForWavesPerEU: 1
; AccumOffset: 4
; Occupancy: 8
; WaveLimiterHint : 0
; COMPUTE_PGM_RSRC2:SCRATCH_EN: 0
; COMPUTE_PGM_RSRC2:USER_SGPR: 2
; COMPUTE_PGM_RSRC2:TRAP_HANDLER: 0
; COMPUTE_PGM_RSRC2:TGID_X_EN: 1
; COMPUTE_PGM_RSRC2:TGID_Y_EN: 0
; COMPUTE_PGM_RSRC2:TGID_Z_EN: 0
; COMPUTE_PGM_RSRC2:TIDIG_COMP_CNT: 0
; COMPUTE_PGM_RSRC3_GFX90A:ACCUM_OFFSET: 0
; COMPUTE_PGM_RSRC3_GFX90A:TG_SPLIT: 0
	.section	.text._ZN7rocprim17ROCPRIM_400000_NS6detail17trampoline_kernelINS0_14default_configENS1_20scan_config_selectorIN3c107complexIdEEEEZZNS1_9scan_implILNS1_25lookback_scan_determinismE0ELb0ELb0ES3_PKS7_PS7_S7_ZZZN2at6native31launch_logcumsumexp_cuda_kernelERKNSE_10TensorBaseESI_lENKUlvE_clEvENKUlvE1_clEvEUlS7_S7_E_S7_EEDaPvRmT3_T4_T5_mT6_P12ihipStream_tbENKUlT_T0_E_clISt17integral_constantIbLb1EESY_IbLb0EEEEDaSU_SV_EUlSU_E0_NS1_11comp_targetILNS1_3genE8ELNS1_11target_archE1030ELNS1_3gpuE2ELNS1_3repE0EEENS1_30default_config_static_selectorELNS0_4arch9wavefront6targetE1EEEvT1_,"axG",@progbits,_ZN7rocprim17ROCPRIM_400000_NS6detail17trampoline_kernelINS0_14default_configENS1_20scan_config_selectorIN3c107complexIdEEEEZZNS1_9scan_implILNS1_25lookback_scan_determinismE0ELb0ELb0ES3_PKS7_PS7_S7_ZZZN2at6native31launch_logcumsumexp_cuda_kernelERKNSE_10TensorBaseESI_lENKUlvE_clEvENKUlvE1_clEvEUlS7_S7_E_S7_EEDaPvRmT3_T4_T5_mT6_P12ihipStream_tbENKUlT_T0_E_clISt17integral_constantIbLb1EESY_IbLb0EEEEDaSU_SV_EUlSU_E0_NS1_11comp_targetILNS1_3genE8ELNS1_11target_archE1030ELNS1_3gpuE2ELNS1_3repE0EEENS1_30default_config_static_selectorELNS0_4arch9wavefront6targetE1EEEvT1_,comdat
	.globl	_ZN7rocprim17ROCPRIM_400000_NS6detail17trampoline_kernelINS0_14default_configENS1_20scan_config_selectorIN3c107complexIdEEEEZZNS1_9scan_implILNS1_25lookback_scan_determinismE0ELb0ELb0ES3_PKS7_PS7_S7_ZZZN2at6native31launch_logcumsumexp_cuda_kernelERKNSE_10TensorBaseESI_lENKUlvE_clEvENKUlvE1_clEvEUlS7_S7_E_S7_EEDaPvRmT3_T4_T5_mT6_P12ihipStream_tbENKUlT_T0_E_clISt17integral_constantIbLb1EESY_IbLb0EEEEDaSU_SV_EUlSU_E0_NS1_11comp_targetILNS1_3genE8ELNS1_11target_archE1030ELNS1_3gpuE2ELNS1_3repE0EEENS1_30default_config_static_selectorELNS0_4arch9wavefront6targetE1EEEvT1_ ; -- Begin function _ZN7rocprim17ROCPRIM_400000_NS6detail17trampoline_kernelINS0_14default_configENS1_20scan_config_selectorIN3c107complexIdEEEEZZNS1_9scan_implILNS1_25lookback_scan_determinismE0ELb0ELb0ES3_PKS7_PS7_S7_ZZZN2at6native31launch_logcumsumexp_cuda_kernelERKNSE_10TensorBaseESI_lENKUlvE_clEvENKUlvE1_clEvEUlS7_S7_E_S7_EEDaPvRmT3_T4_T5_mT6_P12ihipStream_tbENKUlT_T0_E_clISt17integral_constantIbLb1EESY_IbLb0EEEEDaSU_SV_EUlSU_E0_NS1_11comp_targetILNS1_3genE8ELNS1_11target_archE1030ELNS1_3gpuE2ELNS1_3repE0EEENS1_30default_config_static_selectorELNS0_4arch9wavefront6targetE1EEEvT1_
	.p2align	8
	.type	_ZN7rocprim17ROCPRIM_400000_NS6detail17trampoline_kernelINS0_14default_configENS1_20scan_config_selectorIN3c107complexIdEEEEZZNS1_9scan_implILNS1_25lookback_scan_determinismE0ELb0ELb0ES3_PKS7_PS7_S7_ZZZN2at6native31launch_logcumsumexp_cuda_kernelERKNSE_10TensorBaseESI_lENKUlvE_clEvENKUlvE1_clEvEUlS7_S7_E_S7_EEDaPvRmT3_T4_T5_mT6_P12ihipStream_tbENKUlT_T0_E_clISt17integral_constantIbLb1EESY_IbLb0EEEEDaSU_SV_EUlSU_E0_NS1_11comp_targetILNS1_3genE8ELNS1_11target_archE1030ELNS1_3gpuE2ELNS1_3repE0EEENS1_30default_config_static_selectorELNS0_4arch9wavefront6targetE1EEEvT1_,@function
_ZN7rocprim17ROCPRIM_400000_NS6detail17trampoline_kernelINS0_14default_configENS1_20scan_config_selectorIN3c107complexIdEEEEZZNS1_9scan_implILNS1_25lookback_scan_determinismE0ELb0ELb0ES3_PKS7_PS7_S7_ZZZN2at6native31launch_logcumsumexp_cuda_kernelERKNSE_10TensorBaseESI_lENKUlvE_clEvENKUlvE1_clEvEUlS7_S7_E_S7_EEDaPvRmT3_T4_T5_mT6_P12ihipStream_tbENKUlT_T0_E_clISt17integral_constantIbLb1EESY_IbLb0EEEEDaSU_SV_EUlSU_E0_NS1_11comp_targetILNS1_3genE8ELNS1_11target_archE1030ELNS1_3gpuE2ELNS1_3repE0EEENS1_30default_config_static_selectorELNS0_4arch9wavefront6targetE1EEEvT1_: ; @_ZN7rocprim17ROCPRIM_400000_NS6detail17trampoline_kernelINS0_14default_configENS1_20scan_config_selectorIN3c107complexIdEEEEZZNS1_9scan_implILNS1_25lookback_scan_determinismE0ELb0ELb0ES3_PKS7_PS7_S7_ZZZN2at6native31launch_logcumsumexp_cuda_kernelERKNSE_10TensorBaseESI_lENKUlvE_clEvENKUlvE1_clEvEUlS7_S7_E_S7_EEDaPvRmT3_T4_T5_mT6_P12ihipStream_tbENKUlT_T0_E_clISt17integral_constantIbLb1EESY_IbLb0EEEEDaSU_SV_EUlSU_E0_NS1_11comp_targetILNS1_3genE8ELNS1_11target_archE1030ELNS1_3gpuE2ELNS1_3repE0EEENS1_30default_config_static_selectorELNS0_4arch9wavefront6targetE1EEEvT1_
; %bb.0:
	.section	.rodata,"a",@progbits
	.p2align	6, 0x0
	.amdhsa_kernel _ZN7rocprim17ROCPRIM_400000_NS6detail17trampoline_kernelINS0_14default_configENS1_20scan_config_selectorIN3c107complexIdEEEEZZNS1_9scan_implILNS1_25lookback_scan_determinismE0ELb0ELb0ES3_PKS7_PS7_S7_ZZZN2at6native31launch_logcumsumexp_cuda_kernelERKNSE_10TensorBaseESI_lENKUlvE_clEvENKUlvE1_clEvEUlS7_S7_E_S7_EEDaPvRmT3_T4_T5_mT6_P12ihipStream_tbENKUlT_T0_E_clISt17integral_constantIbLb1EESY_IbLb0EEEEDaSU_SV_EUlSU_E0_NS1_11comp_targetILNS1_3genE8ELNS1_11target_archE1030ELNS1_3gpuE2ELNS1_3repE0EEENS1_30default_config_static_selectorELNS0_4arch9wavefront6targetE1EEEvT1_
		.amdhsa_group_segment_fixed_size 0
		.amdhsa_private_segment_fixed_size 0
		.amdhsa_kernarg_size 48
		.amdhsa_user_sgpr_count 2
		.amdhsa_user_sgpr_dispatch_ptr 0
		.amdhsa_user_sgpr_queue_ptr 0
		.amdhsa_user_sgpr_kernarg_segment_ptr 1
		.amdhsa_user_sgpr_dispatch_id 0
		.amdhsa_user_sgpr_kernarg_preload_length 0
		.amdhsa_user_sgpr_kernarg_preload_offset 0
		.amdhsa_user_sgpr_private_segment_size 0
		.amdhsa_uses_dynamic_stack 0
		.amdhsa_enable_private_segment 0
		.amdhsa_system_sgpr_workgroup_id_x 1
		.amdhsa_system_sgpr_workgroup_id_y 0
		.amdhsa_system_sgpr_workgroup_id_z 0
		.amdhsa_system_sgpr_workgroup_info 0
		.amdhsa_system_vgpr_workitem_id 0
		.amdhsa_next_free_vgpr 1
		.amdhsa_next_free_sgpr 0
		.amdhsa_accum_offset 4
		.amdhsa_reserve_vcc 0
		.amdhsa_float_round_mode_32 0
		.amdhsa_float_round_mode_16_64 0
		.amdhsa_float_denorm_mode_32 3
		.amdhsa_float_denorm_mode_16_64 3
		.amdhsa_dx10_clamp 1
		.amdhsa_ieee_mode 1
		.amdhsa_fp16_overflow 0
		.amdhsa_tg_split 0
		.amdhsa_exception_fp_ieee_invalid_op 0
		.amdhsa_exception_fp_denorm_src 0
		.amdhsa_exception_fp_ieee_div_zero 0
		.amdhsa_exception_fp_ieee_overflow 0
		.amdhsa_exception_fp_ieee_underflow 0
		.amdhsa_exception_fp_ieee_inexact 0
		.amdhsa_exception_int_div_zero 0
	.end_amdhsa_kernel
	.section	.text._ZN7rocprim17ROCPRIM_400000_NS6detail17trampoline_kernelINS0_14default_configENS1_20scan_config_selectorIN3c107complexIdEEEEZZNS1_9scan_implILNS1_25lookback_scan_determinismE0ELb0ELb0ES3_PKS7_PS7_S7_ZZZN2at6native31launch_logcumsumexp_cuda_kernelERKNSE_10TensorBaseESI_lENKUlvE_clEvENKUlvE1_clEvEUlS7_S7_E_S7_EEDaPvRmT3_T4_T5_mT6_P12ihipStream_tbENKUlT_T0_E_clISt17integral_constantIbLb1EESY_IbLb0EEEEDaSU_SV_EUlSU_E0_NS1_11comp_targetILNS1_3genE8ELNS1_11target_archE1030ELNS1_3gpuE2ELNS1_3repE0EEENS1_30default_config_static_selectorELNS0_4arch9wavefront6targetE1EEEvT1_,"axG",@progbits,_ZN7rocprim17ROCPRIM_400000_NS6detail17trampoline_kernelINS0_14default_configENS1_20scan_config_selectorIN3c107complexIdEEEEZZNS1_9scan_implILNS1_25lookback_scan_determinismE0ELb0ELb0ES3_PKS7_PS7_S7_ZZZN2at6native31launch_logcumsumexp_cuda_kernelERKNSE_10TensorBaseESI_lENKUlvE_clEvENKUlvE1_clEvEUlS7_S7_E_S7_EEDaPvRmT3_T4_T5_mT6_P12ihipStream_tbENKUlT_T0_E_clISt17integral_constantIbLb1EESY_IbLb0EEEEDaSU_SV_EUlSU_E0_NS1_11comp_targetILNS1_3genE8ELNS1_11target_archE1030ELNS1_3gpuE2ELNS1_3repE0EEENS1_30default_config_static_selectorELNS0_4arch9wavefront6targetE1EEEvT1_,comdat
.Lfunc_end239:
	.size	_ZN7rocprim17ROCPRIM_400000_NS6detail17trampoline_kernelINS0_14default_configENS1_20scan_config_selectorIN3c107complexIdEEEEZZNS1_9scan_implILNS1_25lookback_scan_determinismE0ELb0ELb0ES3_PKS7_PS7_S7_ZZZN2at6native31launch_logcumsumexp_cuda_kernelERKNSE_10TensorBaseESI_lENKUlvE_clEvENKUlvE1_clEvEUlS7_S7_E_S7_EEDaPvRmT3_T4_T5_mT6_P12ihipStream_tbENKUlT_T0_E_clISt17integral_constantIbLb1EESY_IbLb0EEEEDaSU_SV_EUlSU_E0_NS1_11comp_targetILNS1_3genE8ELNS1_11target_archE1030ELNS1_3gpuE2ELNS1_3repE0EEENS1_30default_config_static_selectorELNS0_4arch9wavefront6targetE1EEEvT1_, .Lfunc_end239-_ZN7rocprim17ROCPRIM_400000_NS6detail17trampoline_kernelINS0_14default_configENS1_20scan_config_selectorIN3c107complexIdEEEEZZNS1_9scan_implILNS1_25lookback_scan_determinismE0ELb0ELb0ES3_PKS7_PS7_S7_ZZZN2at6native31launch_logcumsumexp_cuda_kernelERKNSE_10TensorBaseESI_lENKUlvE_clEvENKUlvE1_clEvEUlS7_S7_E_S7_EEDaPvRmT3_T4_T5_mT6_P12ihipStream_tbENKUlT_T0_E_clISt17integral_constantIbLb1EESY_IbLb0EEEEDaSU_SV_EUlSU_E0_NS1_11comp_targetILNS1_3genE8ELNS1_11target_archE1030ELNS1_3gpuE2ELNS1_3repE0EEENS1_30default_config_static_selectorELNS0_4arch9wavefront6targetE1EEEvT1_
                                        ; -- End function
	.set _ZN7rocprim17ROCPRIM_400000_NS6detail17trampoline_kernelINS0_14default_configENS1_20scan_config_selectorIN3c107complexIdEEEEZZNS1_9scan_implILNS1_25lookback_scan_determinismE0ELb0ELb0ES3_PKS7_PS7_S7_ZZZN2at6native31launch_logcumsumexp_cuda_kernelERKNSE_10TensorBaseESI_lENKUlvE_clEvENKUlvE1_clEvEUlS7_S7_E_S7_EEDaPvRmT3_T4_T5_mT6_P12ihipStream_tbENKUlT_T0_E_clISt17integral_constantIbLb1EESY_IbLb0EEEEDaSU_SV_EUlSU_E0_NS1_11comp_targetILNS1_3genE8ELNS1_11target_archE1030ELNS1_3gpuE2ELNS1_3repE0EEENS1_30default_config_static_selectorELNS0_4arch9wavefront6targetE1EEEvT1_.num_vgpr, 0
	.set _ZN7rocprim17ROCPRIM_400000_NS6detail17trampoline_kernelINS0_14default_configENS1_20scan_config_selectorIN3c107complexIdEEEEZZNS1_9scan_implILNS1_25lookback_scan_determinismE0ELb0ELb0ES3_PKS7_PS7_S7_ZZZN2at6native31launch_logcumsumexp_cuda_kernelERKNSE_10TensorBaseESI_lENKUlvE_clEvENKUlvE1_clEvEUlS7_S7_E_S7_EEDaPvRmT3_T4_T5_mT6_P12ihipStream_tbENKUlT_T0_E_clISt17integral_constantIbLb1EESY_IbLb0EEEEDaSU_SV_EUlSU_E0_NS1_11comp_targetILNS1_3genE8ELNS1_11target_archE1030ELNS1_3gpuE2ELNS1_3repE0EEENS1_30default_config_static_selectorELNS0_4arch9wavefront6targetE1EEEvT1_.num_agpr, 0
	.set _ZN7rocprim17ROCPRIM_400000_NS6detail17trampoline_kernelINS0_14default_configENS1_20scan_config_selectorIN3c107complexIdEEEEZZNS1_9scan_implILNS1_25lookback_scan_determinismE0ELb0ELb0ES3_PKS7_PS7_S7_ZZZN2at6native31launch_logcumsumexp_cuda_kernelERKNSE_10TensorBaseESI_lENKUlvE_clEvENKUlvE1_clEvEUlS7_S7_E_S7_EEDaPvRmT3_T4_T5_mT6_P12ihipStream_tbENKUlT_T0_E_clISt17integral_constantIbLb1EESY_IbLb0EEEEDaSU_SV_EUlSU_E0_NS1_11comp_targetILNS1_3genE8ELNS1_11target_archE1030ELNS1_3gpuE2ELNS1_3repE0EEENS1_30default_config_static_selectorELNS0_4arch9wavefront6targetE1EEEvT1_.numbered_sgpr, 0
	.set _ZN7rocprim17ROCPRIM_400000_NS6detail17trampoline_kernelINS0_14default_configENS1_20scan_config_selectorIN3c107complexIdEEEEZZNS1_9scan_implILNS1_25lookback_scan_determinismE0ELb0ELb0ES3_PKS7_PS7_S7_ZZZN2at6native31launch_logcumsumexp_cuda_kernelERKNSE_10TensorBaseESI_lENKUlvE_clEvENKUlvE1_clEvEUlS7_S7_E_S7_EEDaPvRmT3_T4_T5_mT6_P12ihipStream_tbENKUlT_T0_E_clISt17integral_constantIbLb1EESY_IbLb0EEEEDaSU_SV_EUlSU_E0_NS1_11comp_targetILNS1_3genE8ELNS1_11target_archE1030ELNS1_3gpuE2ELNS1_3repE0EEENS1_30default_config_static_selectorELNS0_4arch9wavefront6targetE1EEEvT1_.num_named_barrier, 0
	.set _ZN7rocprim17ROCPRIM_400000_NS6detail17trampoline_kernelINS0_14default_configENS1_20scan_config_selectorIN3c107complexIdEEEEZZNS1_9scan_implILNS1_25lookback_scan_determinismE0ELb0ELb0ES3_PKS7_PS7_S7_ZZZN2at6native31launch_logcumsumexp_cuda_kernelERKNSE_10TensorBaseESI_lENKUlvE_clEvENKUlvE1_clEvEUlS7_S7_E_S7_EEDaPvRmT3_T4_T5_mT6_P12ihipStream_tbENKUlT_T0_E_clISt17integral_constantIbLb1EESY_IbLb0EEEEDaSU_SV_EUlSU_E0_NS1_11comp_targetILNS1_3genE8ELNS1_11target_archE1030ELNS1_3gpuE2ELNS1_3repE0EEENS1_30default_config_static_selectorELNS0_4arch9wavefront6targetE1EEEvT1_.private_seg_size, 0
	.set _ZN7rocprim17ROCPRIM_400000_NS6detail17trampoline_kernelINS0_14default_configENS1_20scan_config_selectorIN3c107complexIdEEEEZZNS1_9scan_implILNS1_25lookback_scan_determinismE0ELb0ELb0ES3_PKS7_PS7_S7_ZZZN2at6native31launch_logcumsumexp_cuda_kernelERKNSE_10TensorBaseESI_lENKUlvE_clEvENKUlvE1_clEvEUlS7_S7_E_S7_EEDaPvRmT3_T4_T5_mT6_P12ihipStream_tbENKUlT_T0_E_clISt17integral_constantIbLb1EESY_IbLb0EEEEDaSU_SV_EUlSU_E0_NS1_11comp_targetILNS1_3genE8ELNS1_11target_archE1030ELNS1_3gpuE2ELNS1_3repE0EEENS1_30default_config_static_selectorELNS0_4arch9wavefront6targetE1EEEvT1_.uses_vcc, 0
	.set _ZN7rocprim17ROCPRIM_400000_NS6detail17trampoline_kernelINS0_14default_configENS1_20scan_config_selectorIN3c107complexIdEEEEZZNS1_9scan_implILNS1_25lookback_scan_determinismE0ELb0ELb0ES3_PKS7_PS7_S7_ZZZN2at6native31launch_logcumsumexp_cuda_kernelERKNSE_10TensorBaseESI_lENKUlvE_clEvENKUlvE1_clEvEUlS7_S7_E_S7_EEDaPvRmT3_T4_T5_mT6_P12ihipStream_tbENKUlT_T0_E_clISt17integral_constantIbLb1EESY_IbLb0EEEEDaSU_SV_EUlSU_E0_NS1_11comp_targetILNS1_3genE8ELNS1_11target_archE1030ELNS1_3gpuE2ELNS1_3repE0EEENS1_30default_config_static_selectorELNS0_4arch9wavefront6targetE1EEEvT1_.uses_flat_scratch, 0
	.set _ZN7rocprim17ROCPRIM_400000_NS6detail17trampoline_kernelINS0_14default_configENS1_20scan_config_selectorIN3c107complexIdEEEEZZNS1_9scan_implILNS1_25lookback_scan_determinismE0ELb0ELb0ES3_PKS7_PS7_S7_ZZZN2at6native31launch_logcumsumexp_cuda_kernelERKNSE_10TensorBaseESI_lENKUlvE_clEvENKUlvE1_clEvEUlS7_S7_E_S7_EEDaPvRmT3_T4_T5_mT6_P12ihipStream_tbENKUlT_T0_E_clISt17integral_constantIbLb1EESY_IbLb0EEEEDaSU_SV_EUlSU_E0_NS1_11comp_targetILNS1_3genE8ELNS1_11target_archE1030ELNS1_3gpuE2ELNS1_3repE0EEENS1_30default_config_static_selectorELNS0_4arch9wavefront6targetE1EEEvT1_.has_dyn_sized_stack, 0
	.set _ZN7rocprim17ROCPRIM_400000_NS6detail17trampoline_kernelINS0_14default_configENS1_20scan_config_selectorIN3c107complexIdEEEEZZNS1_9scan_implILNS1_25lookback_scan_determinismE0ELb0ELb0ES3_PKS7_PS7_S7_ZZZN2at6native31launch_logcumsumexp_cuda_kernelERKNSE_10TensorBaseESI_lENKUlvE_clEvENKUlvE1_clEvEUlS7_S7_E_S7_EEDaPvRmT3_T4_T5_mT6_P12ihipStream_tbENKUlT_T0_E_clISt17integral_constantIbLb1EESY_IbLb0EEEEDaSU_SV_EUlSU_E0_NS1_11comp_targetILNS1_3genE8ELNS1_11target_archE1030ELNS1_3gpuE2ELNS1_3repE0EEENS1_30default_config_static_selectorELNS0_4arch9wavefront6targetE1EEEvT1_.has_recursion, 0
	.set _ZN7rocprim17ROCPRIM_400000_NS6detail17trampoline_kernelINS0_14default_configENS1_20scan_config_selectorIN3c107complexIdEEEEZZNS1_9scan_implILNS1_25lookback_scan_determinismE0ELb0ELb0ES3_PKS7_PS7_S7_ZZZN2at6native31launch_logcumsumexp_cuda_kernelERKNSE_10TensorBaseESI_lENKUlvE_clEvENKUlvE1_clEvEUlS7_S7_E_S7_EEDaPvRmT3_T4_T5_mT6_P12ihipStream_tbENKUlT_T0_E_clISt17integral_constantIbLb1EESY_IbLb0EEEEDaSU_SV_EUlSU_E0_NS1_11comp_targetILNS1_3genE8ELNS1_11target_archE1030ELNS1_3gpuE2ELNS1_3repE0EEENS1_30default_config_static_selectorELNS0_4arch9wavefront6targetE1EEEvT1_.has_indirect_call, 0
	.section	.AMDGPU.csdata,"",@progbits
; Kernel info:
; codeLenInByte = 0
; TotalNumSgprs: 6
; NumVgprs: 0
; NumAgprs: 0
; TotalNumVgprs: 0
; ScratchSize: 0
; MemoryBound: 0
; FloatMode: 240
; IeeeMode: 1
; LDSByteSize: 0 bytes/workgroup (compile time only)
; SGPRBlocks: 0
; VGPRBlocks: 0
; NumSGPRsForWavesPerEU: 6
; NumVGPRsForWavesPerEU: 1
; AccumOffset: 4
; Occupancy: 8
; WaveLimiterHint : 0
; COMPUTE_PGM_RSRC2:SCRATCH_EN: 0
; COMPUTE_PGM_RSRC2:USER_SGPR: 2
; COMPUTE_PGM_RSRC2:TRAP_HANDLER: 0
; COMPUTE_PGM_RSRC2:TGID_X_EN: 1
; COMPUTE_PGM_RSRC2:TGID_Y_EN: 0
; COMPUTE_PGM_RSRC2:TGID_Z_EN: 0
; COMPUTE_PGM_RSRC2:TIDIG_COMP_CNT: 0
; COMPUTE_PGM_RSRC3_GFX90A:ACCUM_OFFSET: 0
; COMPUTE_PGM_RSRC3_GFX90A:TG_SPLIT: 0
	.section	.text._ZN7rocprim17ROCPRIM_400000_NS6detail31init_lookback_scan_state_kernelINS1_19lookback_scan_stateIN3c107complexIdEELb0ELb0EEENS1_16block_id_wrapperIjLb1EEEEEvT_jT0_jPNSA_10value_typeE,"axG",@progbits,_ZN7rocprim17ROCPRIM_400000_NS6detail31init_lookback_scan_state_kernelINS1_19lookback_scan_stateIN3c107complexIdEELb0ELb0EEENS1_16block_id_wrapperIjLb1EEEEEvT_jT0_jPNSA_10value_typeE,comdat
	.protected	_ZN7rocprim17ROCPRIM_400000_NS6detail31init_lookback_scan_state_kernelINS1_19lookback_scan_stateIN3c107complexIdEELb0ELb0EEENS1_16block_id_wrapperIjLb1EEEEEvT_jT0_jPNSA_10value_typeE ; -- Begin function _ZN7rocprim17ROCPRIM_400000_NS6detail31init_lookback_scan_state_kernelINS1_19lookback_scan_stateIN3c107complexIdEELb0ELb0EEENS1_16block_id_wrapperIjLb1EEEEEvT_jT0_jPNSA_10value_typeE
	.globl	_ZN7rocprim17ROCPRIM_400000_NS6detail31init_lookback_scan_state_kernelINS1_19lookback_scan_stateIN3c107complexIdEELb0ELb0EEENS1_16block_id_wrapperIjLb1EEEEEvT_jT0_jPNSA_10value_typeE
	.p2align	8
	.type	_ZN7rocprim17ROCPRIM_400000_NS6detail31init_lookback_scan_state_kernelINS1_19lookback_scan_stateIN3c107complexIdEELb0ELb0EEENS1_16block_id_wrapperIjLb1EEEEEvT_jT0_jPNSA_10value_typeE,@function
_ZN7rocprim17ROCPRIM_400000_NS6detail31init_lookback_scan_state_kernelINS1_19lookback_scan_stateIN3c107complexIdEELb0ELb0EEENS1_16block_id_wrapperIjLb1EEEEEvT_jT0_jPNSA_10value_typeE: ; @_ZN7rocprim17ROCPRIM_400000_NS6detail31init_lookback_scan_state_kernelINS1_19lookback_scan_stateIN3c107complexIdEELb0ELb0EEENS1_16block_id_wrapperIjLb1EEEEEvT_jT0_jPNSA_10value_typeE
; %bb.0:
	s_load_dword s3, s[0:1], 0x44
	s_load_dwordx2 s[10:11], s[0:1], 0x30
	s_load_dwordx2 s[8:9], s[0:1], 0x10
	s_load_dword s16, s[0:1], 0x18
	s_waitcnt lgkmcnt(0)
	s_and_b32 s3, s3, 0xffff
	s_mul_i32 s2, s2, s3
	s_cmp_eq_u64 s[10:11], 0
	v_add_u32_e32 v0, s2, v0
	s_cbranch_scc1 .LBB240_6
; %bb.1:
	s_load_dword s4, s[0:1], 0x28
	s_mov_b32 s13, 0
	s_waitcnt lgkmcnt(0)
	s_cmp_lt_u32 s4, s16
	s_cselect_b32 s2, s4, 0
	v_cmp_eq_u32_e32 vcc, s2, v0
	s_and_saveexec_b64 s[2:3], vcc
	s_cbranch_execz .LBB240_5
; %bb.2:
	s_add_i32 s12, s4, 64
	v_mov_b32_e32 v1, s12
	global_load_ubyte v2, v1, s[8:9] sc1
	s_load_dwordx4 s[4:7], s[0:1], 0x0
	v_mov_b32_e32 v1, 0
	s_add_u32 s14, s8, s12
	s_addc_u32 s15, s9, 0
	s_waitcnt vmcnt(0)
	v_cmp_ne_u32_sdwa s[18:19], v2, v1 src0_sel:WORD_0 src1_sel:DWORD
	s_and_b64 vcc, exec, s[18:19]
	v_readfirstlane_b32 s17, v2
	s_cbranch_vccnz .LBB240_4
.LBB240_3:                              ; =>This Inner Loop Header: Depth=1
	global_load_ubyte v2, v1, s[14:15] sc1
	s_waitcnt vmcnt(0)
	v_cmp_eq_u32_sdwa s[18:19], v2, v1 src0_sel:WORD_0 src1_sel:DWORD
	s_and_b64 vcc, exec, s[18:19]
	v_readfirstlane_b32 s17, v2
	s_cbranch_vccnz .LBB240_3
.LBB240_4:
	s_and_b32 s14, 0xffff, s17
	s_cmp_eq_u32 s14, 1
	s_waitcnt lgkmcnt(0)
	s_cselect_b32 s7, s5, s7
	s_cselect_b32 s6, s4, s6
	s_lshl_b64 s[4:5], s[12:13], 4
	s_add_u32 s4, s6, s4
	s_addc_u32 s5, s7, s5
	v_mov_b32_e32 v1, 0
	s_waitcnt vmcnt(0)
	global_load_dword v2, v1, s[4:5] sc1
	global_load_dword v3, v1, s[4:5] offset:4 sc1
	global_load_dword v4, v1, s[4:5] offset:8 sc1
	;; [unrolled: 1-line block ×3, first 2 shown]
	s_waitcnt vmcnt(0)
	global_store_dwordx4 v1, v[2:5], s[10:11]
.LBB240_5:
	s_or_b64 exec, exec, s[2:3]
.LBB240_6:
	v_cmp_eq_u32_e32 vcc, 0, v0
	s_and_saveexec_b64 s[2:3], vcc
	s_cbranch_execnz .LBB240_10
; %bb.7:
	s_or_b64 exec, exec, s[2:3]
	v_cmp_gt_u32_e32 vcc, s16, v0
	s_and_saveexec_b64 s[0:1], vcc
	s_cbranch_execnz .LBB240_11
.LBB240_8:
	s_or_b64 exec, exec, s[0:1]
	v_cmp_gt_u32_e32 vcc, 64, v0
	s_and_saveexec_b64 s[0:1], vcc
	s_cbranch_execnz .LBB240_12
.LBB240_9:
	s_endpgm
.LBB240_10:
	s_load_dwordx2 s[0:1], s[0:1], 0x20
	v_mov_b32_e32 v1, 0
	s_waitcnt lgkmcnt(0)
	global_store_dword v1, v1, s[0:1]
	s_or_b64 exec, exec, s[2:3]
	v_cmp_gt_u32_e32 vcc, s16, v0
	s_and_saveexec_b64 s[0:1], vcc
	s_cbranch_execz .LBB240_8
.LBB240_11:
	v_add_u32_e32 v1, 64, v0
	v_mov_b32_e32 v2, 0
	global_store_byte v1, v2, s[8:9]
	s_or_b64 exec, exec, s[0:1]
	v_cmp_gt_u32_e32 vcc, 64, v0
	s_and_saveexec_b64 s[0:1], vcc
	s_cbranch_execz .LBB240_9
.LBB240_12:
	v_mov_b32_e32 v1, 0xff
	global_store_byte v0, v1, s[8:9]
	s_endpgm
	.section	.rodata,"a",@progbits
	.p2align	6, 0x0
	.amdhsa_kernel _ZN7rocprim17ROCPRIM_400000_NS6detail31init_lookback_scan_state_kernelINS1_19lookback_scan_stateIN3c107complexIdEELb0ELb0EEENS1_16block_id_wrapperIjLb1EEEEEvT_jT0_jPNSA_10value_typeE
		.amdhsa_group_segment_fixed_size 0
		.amdhsa_private_segment_fixed_size 0
		.amdhsa_kernarg_size 312
		.amdhsa_user_sgpr_count 2
		.amdhsa_user_sgpr_dispatch_ptr 0
		.amdhsa_user_sgpr_queue_ptr 0
		.amdhsa_user_sgpr_kernarg_segment_ptr 1
		.amdhsa_user_sgpr_dispatch_id 0
		.amdhsa_user_sgpr_kernarg_preload_length 0
		.amdhsa_user_sgpr_kernarg_preload_offset 0
		.amdhsa_user_sgpr_private_segment_size 0
		.amdhsa_uses_dynamic_stack 0
		.amdhsa_enable_private_segment 0
		.amdhsa_system_sgpr_workgroup_id_x 1
		.amdhsa_system_sgpr_workgroup_id_y 0
		.amdhsa_system_sgpr_workgroup_id_z 0
		.amdhsa_system_sgpr_workgroup_info 0
		.amdhsa_system_vgpr_workitem_id 0
		.amdhsa_next_free_vgpr 6
		.amdhsa_next_free_sgpr 20
		.amdhsa_accum_offset 8
		.amdhsa_reserve_vcc 1
		.amdhsa_float_round_mode_32 0
		.amdhsa_float_round_mode_16_64 0
		.amdhsa_float_denorm_mode_32 3
		.amdhsa_float_denorm_mode_16_64 3
		.amdhsa_dx10_clamp 1
		.amdhsa_ieee_mode 1
		.amdhsa_fp16_overflow 0
		.amdhsa_tg_split 0
		.amdhsa_exception_fp_ieee_invalid_op 0
		.amdhsa_exception_fp_denorm_src 0
		.amdhsa_exception_fp_ieee_div_zero 0
		.amdhsa_exception_fp_ieee_overflow 0
		.amdhsa_exception_fp_ieee_underflow 0
		.amdhsa_exception_fp_ieee_inexact 0
		.amdhsa_exception_int_div_zero 0
	.end_amdhsa_kernel
	.section	.text._ZN7rocprim17ROCPRIM_400000_NS6detail31init_lookback_scan_state_kernelINS1_19lookback_scan_stateIN3c107complexIdEELb0ELb0EEENS1_16block_id_wrapperIjLb1EEEEEvT_jT0_jPNSA_10value_typeE,"axG",@progbits,_ZN7rocprim17ROCPRIM_400000_NS6detail31init_lookback_scan_state_kernelINS1_19lookback_scan_stateIN3c107complexIdEELb0ELb0EEENS1_16block_id_wrapperIjLb1EEEEEvT_jT0_jPNSA_10value_typeE,comdat
.Lfunc_end240:
	.size	_ZN7rocprim17ROCPRIM_400000_NS6detail31init_lookback_scan_state_kernelINS1_19lookback_scan_stateIN3c107complexIdEELb0ELb0EEENS1_16block_id_wrapperIjLb1EEEEEvT_jT0_jPNSA_10value_typeE, .Lfunc_end240-_ZN7rocprim17ROCPRIM_400000_NS6detail31init_lookback_scan_state_kernelINS1_19lookback_scan_stateIN3c107complexIdEELb0ELb0EEENS1_16block_id_wrapperIjLb1EEEEEvT_jT0_jPNSA_10value_typeE
                                        ; -- End function
	.set _ZN7rocprim17ROCPRIM_400000_NS6detail31init_lookback_scan_state_kernelINS1_19lookback_scan_stateIN3c107complexIdEELb0ELb0EEENS1_16block_id_wrapperIjLb1EEEEEvT_jT0_jPNSA_10value_typeE.num_vgpr, 6
	.set _ZN7rocprim17ROCPRIM_400000_NS6detail31init_lookback_scan_state_kernelINS1_19lookback_scan_stateIN3c107complexIdEELb0ELb0EEENS1_16block_id_wrapperIjLb1EEEEEvT_jT0_jPNSA_10value_typeE.num_agpr, 0
	.set _ZN7rocprim17ROCPRIM_400000_NS6detail31init_lookback_scan_state_kernelINS1_19lookback_scan_stateIN3c107complexIdEELb0ELb0EEENS1_16block_id_wrapperIjLb1EEEEEvT_jT0_jPNSA_10value_typeE.numbered_sgpr, 20
	.set _ZN7rocprim17ROCPRIM_400000_NS6detail31init_lookback_scan_state_kernelINS1_19lookback_scan_stateIN3c107complexIdEELb0ELb0EEENS1_16block_id_wrapperIjLb1EEEEEvT_jT0_jPNSA_10value_typeE.num_named_barrier, 0
	.set _ZN7rocprim17ROCPRIM_400000_NS6detail31init_lookback_scan_state_kernelINS1_19lookback_scan_stateIN3c107complexIdEELb0ELb0EEENS1_16block_id_wrapperIjLb1EEEEEvT_jT0_jPNSA_10value_typeE.private_seg_size, 0
	.set _ZN7rocprim17ROCPRIM_400000_NS6detail31init_lookback_scan_state_kernelINS1_19lookback_scan_stateIN3c107complexIdEELb0ELb0EEENS1_16block_id_wrapperIjLb1EEEEEvT_jT0_jPNSA_10value_typeE.uses_vcc, 1
	.set _ZN7rocprim17ROCPRIM_400000_NS6detail31init_lookback_scan_state_kernelINS1_19lookback_scan_stateIN3c107complexIdEELb0ELb0EEENS1_16block_id_wrapperIjLb1EEEEEvT_jT0_jPNSA_10value_typeE.uses_flat_scratch, 0
	.set _ZN7rocprim17ROCPRIM_400000_NS6detail31init_lookback_scan_state_kernelINS1_19lookback_scan_stateIN3c107complexIdEELb0ELb0EEENS1_16block_id_wrapperIjLb1EEEEEvT_jT0_jPNSA_10value_typeE.has_dyn_sized_stack, 0
	.set _ZN7rocprim17ROCPRIM_400000_NS6detail31init_lookback_scan_state_kernelINS1_19lookback_scan_stateIN3c107complexIdEELb0ELb0EEENS1_16block_id_wrapperIjLb1EEEEEvT_jT0_jPNSA_10value_typeE.has_recursion, 0
	.set _ZN7rocprim17ROCPRIM_400000_NS6detail31init_lookback_scan_state_kernelINS1_19lookback_scan_stateIN3c107complexIdEELb0ELb0EEENS1_16block_id_wrapperIjLb1EEEEEvT_jT0_jPNSA_10value_typeE.has_indirect_call, 0
	.section	.AMDGPU.csdata,"",@progbits
; Kernel info:
; codeLenInByte = 420
; TotalNumSgprs: 26
; NumVgprs: 6
; NumAgprs: 0
; TotalNumVgprs: 6
; ScratchSize: 0
; MemoryBound: 0
; FloatMode: 240
; IeeeMode: 1
; LDSByteSize: 0 bytes/workgroup (compile time only)
; SGPRBlocks: 3
; VGPRBlocks: 0
; NumSGPRsForWavesPerEU: 26
; NumVGPRsForWavesPerEU: 6
; AccumOffset: 8
; Occupancy: 8
; WaveLimiterHint : 0
; COMPUTE_PGM_RSRC2:SCRATCH_EN: 0
; COMPUTE_PGM_RSRC2:USER_SGPR: 2
; COMPUTE_PGM_RSRC2:TRAP_HANDLER: 0
; COMPUTE_PGM_RSRC2:TGID_X_EN: 1
; COMPUTE_PGM_RSRC2:TGID_Y_EN: 0
; COMPUTE_PGM_RSRC2:TGID_Z_EN: 0
; COMPUTE_PGM_RSRC2:TIDIG_COMP_CNT: 0
; COMPUTE_PGM_RSRC3_GFX90A:ACCUM_OFFSET: 1
; COMPUTE_PGM_RSRC3_GFX90A:TG_SPLIT: 0
	.section	.text._ZN7rocprim17ROCPRIM_400000_NS6detail17trampoline_kernelINS0_14default_configENS1_20scan_config_selectorIN3c107complexIdEEEEZZNS1_9scan_implILNS1_25lookback_scan_determinismE0ELb0ELb0ES3_PKS7_PS7_S7_ZZZN2at6native31launch_logcumsumexp_cuda_kernelERKNSE_10TensorBaseESI_lENKUlvE_clEvENKUlvE1_clEvEUlS7_S7_E_S7_EEDaPvRmT3_T4_T5_mT6_P12ihipStream_tbENKUlT_T0_E_clISt17integral_constantIbLb0EESY_IbLb1EEEEDaSU_SV_EUlSU_E_NS1_11comp_targetILNS1_3genE0ELNS1_11target_archE4294967295ELNS1_3gpuE0ELNS1_3repE0EEENS1_30default_config_static_selectorELNS0_4arch9wavefront6targetE1EEEvT1_,"axG",@progbits,_ZN7rocprim17ROCPRIM_400000_NS6detail17trampoline_kernelINS0_14default_configENS1_20scan_config_selectorIN3c107complexIdEEEEZZNS1_9scan_implILNS1_25lookback_scan_determinismE0ELb0ELb0ES3_PKS7_PS7_S7_ZZZN2at6native31launch_logcumsumexp_cuda_kernelERKNSE_10TensorBaseESI_lENKUlvE_clEvENKUlvE1_clEvEUlS7_S7_E_S7_EEDaPvRmT3_T4_T5_mT6_P12ihipStream_tbENKUlT_T0_E_clISt17integral_constantIbLb0EESY_IbLb1EEEEDaSU_SV_EUlSU_E_NS1_11comp_targetILNS1_3genE0ELNS1_11target_archE4294967295ELNS1_3gpuE0ELNS1_3repE0EEENS1_30default_config_static_selectorELNS0_4arch9wavefront6targetE1EEEvT1_,comdat
	.globl	_ZN7rocprim17ROCPRIM_400000_NS6detail17trampoline_kernelINS0_14default_configENS1_20scan_config_selectorIN3c107complexIdEEEEZZNS1_9scan_implILNS1_25lookback_scan_determinismE0ELb0ELb0ES3_PKS7_PS7_S7_ZZZN2at6native31launch_logcumsumexp_cuda_kernelERKNSE_10TensorBaseESI_lENKUlvE_clEvENKUlvE1_clEvEUlS7_S7_E_S7_EEDaPvRmT3_T4_T5_mT6_P12ihipStream_tbENKUlT_T0_E_clISt17integral_constantIbLb0EESY_IbLb1EEEEDaSU_SV_EUlSU_E_NS1_11comp_targetILNS1_3genE0ELNS1_11target_archE4294967295ELNS1_3gpuE0ELNS1_3repE0EEENS1_30default_config_static_selectorELNS0_4arch9wavefront6targetE1EEEvT1_ ; -- Begin function _ZN7rocprim17ROCPRIM_400000_NS6detail17trampoline_kernelINS0_14default_configENS1_20scan_config_selectorIN3c107complexIdEEEEZZNS1_9scan_implILNS1_25lookback_scan_determinismE0ELb0ELb0ES3_PKS7_PS7_S7_ZZZN2at6native31launch_logcumsumexp_cuda_kernelERKNSE_10TensorBaseESI_lENKUlvE_clEvENKUlvE1_clEvEUlS7_S7_E_S7_EEDaPvRmT3_T4_T5_mT6_P12ihipStream_tbENKUlT_T0_E_clISt17integral_constantIbLb0EESY_IbLb1EEEEDaSU_SV_EUlSU_E_NS1_11comp_targetILNS1_3genE0ELNS1_11target_archE4294967295ELNS1_3gpuE0ELNS1_3repE0EEENS1_30default_config_static_selectorELNS0_4arch9wavefront6targetE1EEEvT1_
	.p2align	8
	.type	_ZN7rocprim17ROCPRIM_400000_NS6detail17trampoline_kernelINS0_14default_configENS1_20scan_config_selectorIN3c107complexIdEEEEZZNS1_9scan_implILNS1_25lookback_scan_determinismE0ELb0ELb0ES3_PKS7_PS7_S7_ZZZN2at6native31launch_logcumsumexp_cuda_kernelERKNSE_10TensorBaseESI_lENKUlvE_clEvENKUlvE1_clEvEUlS7_S7_E_S7_EEDaPvRmT3_T4_T5_mT6_P12ihipStream_tbENKUlT_T0_E_clISt17integral_constantIbLb0EESY_IbLb1EEEEDaSU_SV_EUlSU_E_NS1_11comp_targetILNS1_3genE0ELNS1_11target_archE4294967295ELNS1_3gpuE0ELNS1_3repE0EEENS1_30default_config_static_selectorELNS0_4arch9wavefront6targetE1EEEvT1_,@function
_ZN7rocprim17ROCPRIM_400000_NS6detail17trampoline_kernelINS0_14default_configENS1_20scan_config_selectorIN3c107complexIdEEEEZZNS1_9scan_implILNS1_25lookback_scan_determinismE0ELb0ELb0ES3_PKS7_PS7_S7_ZZZN2at6native31launch_logcumsumexp_cuda_kernelERKNSE_10TensorBaseESI_lENKUlvE_clEvENKUlvE1_clEvEUlS7_S7_E_S7_EEDaPvRmT3_T4_T5_mT6_P12ihipStream_tbENKUlT_T0_E_clISt17integral_constantIbLb0EESY_IbLb1EEEEDaSU_SV_EUlSU_E_NS1_11comp_targetILNS1_3genE0ELNS1_11target_archE4294967295ELNS1_3gpuE0ELNS1_3repE0EEENS1_30default_config_static_selectorELNS0_4arch9wavefront6targetE1EEEvT1_: ; @_ZN7rocprim17ROCPRIM_400000_NS6detail17trampoline_kernelINS0_14default_configENS1_20scan_config_selectorIN3c107complexIdEEEEZZNS1_9scan_implILNS1_25lookback_scan_determinismE0ELb0ELb0ES3_PKS7_PS7_S7_ZZZN2at6native31launch_logcumsumexp_cuda_kernelERKNSE_10TensorBaseESI_lENKUlvE_clEvENKUlvE1_clEvEUlS7_S7_E_S7_EEDaPvRmT3_T4_T5_mT6_P12ihipStream_tbENKUlT_T0_E_clISt17integral_constantIbLb0EESY_IbLb1EEEEDaSU_SV_EUlSU_E_NS1_11comp_targetILNS1_3genE0ELNS1_11target_archE4294967295ELNS1_3gpuE0ELNS1_3repE0EEENS1_30default_config_static_selectorELNS0_4arch9wavefront6targetE1EEEvT1_
; %bb.0:
	s_load_dwordx4 s[64:67], s[0:1], 0x38
	s_load_dwordx2 s[46:47], s[0:1], 0x48
	v_mov_b32_e32 v56, v0
	v_cmp_ne_u32_e64 s[36:37], 0, v56
	v_cmp_eq_u32_e64 s[38:39], 0, v56
	s_mov_b32 s32, 0
	s_and_saveexec_b64 s[2:3], s[38:39]
	s_cbranch_execz .LBB241_4
; %bb.1:
	s_mov_b64 s[6:7], exec
	v_mbcnt_lo_u32_b32 v0, s6, 0
	v_mbcnt_hi_u32_b32 v0, s7, v0
	v_cmp_eq_u32_e32 vcc, 0, v0
                                        ; implicit-def: $vgpr1
	s_and_saveexec_b64 s[4:5], vcc
	s_cbranch_execz .LBB241_3
; %bb.2:
	s_load_dwordx2 s[8:9], s[0:1], 0x78
	s_bcnt1_i32_b64 s6, s[6:7]
	v_mov_b32_e32 v1, 0
	v_mov_b32_e32 v2, s6
	s_waitcnt lgkmcnt(0)
	global_atomic_add v1, v1, v2, s[8:9] sc0
.LBB241_3:
	s_or_b64 exec, exec, s[4:5]
	s_waitcnt vmcnt(0)
	v_readfirstlane_b32 s4, v1
	v_mov_b32_e32 v1, 0
	s_nop 0
	v_add_u32_e32 v0, s4, v0
	ds_write_b32 v1, v0
.LBB241_4:
	s_or_b64 exec, exec, s[2:3]
	s_load_dwordx8 s[56:63], s[0:1], 0x0
	s_load_dword s2, s[0:1], 0x50
	s_load_dwordx8 s[48:55], s[0:1], 0x58
	v_mov_b32_e32 v131, 0
	s_waitcnt lgkmcnt(0)
	s_barrier
	ds_read_b32 v0, v131
	s_lshl_b64 s[58:59], s[58:59], 4
	s_add_u32 s3, s56, s58
	s_addc_u32 s4, s57, s59
	s_add_i32 s2, s2, -1
	s_waitcnt lgkmcnt(0)
	v_readfirstlane_b32 s69, v0
	s_mul_i32 s5, s2, 0x500
	s_mov_b32 s1, 0
	s_mul_i32 s0, s69, 0x500
	s_sub_u32 s33, s62, s5
	s_subb_u32 s68, s63, 0
	s_lshl_b64 s[56:57], s[0:1], 4
	v_cmp_ne_u32_e64 s[34:35], s2, v0
	s_add_u32 s2, s3, s56
	s_addc_u32 s3, s4, s57
	s_mov_b64 s[0:1], -1
	s_and_b64 vcc, exec, s[34:35]
	v_lshlrev_b32_e32 v130, 4, v56
	s_barrier
	s_cbranch_vccz .LBB241_6
; %bb.5:
	v_lshl_add_u64 v[32:33], s[2:3], 0, v[130:131]
	v_add_co_u32_e32 v16, vcc, 0x1000, v32
	global_load_dwordx4 v[0:3], v130, s[2:3]
	global_load_dwordx4 v[4:7], v130, s[2:3] offset:2048
	v_addc_co_u32_e32 v17, vcc, 0, v33, vcc
	v_add_co_u32_e32 v24, vcc, 0x2000, v32
	global_load_dwordx4 v[8:11], v[16:17], off
	global_load_dwordx4 v[12:15], v[16:17], off offset:2048
	v_addc_co_u32_e32 v25, vcc, 0, v33, vcc
	v_add_co_u32_e32 v34, vcc, 0x3000, v32
	global_load_dwordx4 v[16:19], v[24:25], off
	global_load_dwordx4 v[20:23], v[24:25], off offset:2048
	;; [unrolled: 4-line block ×3, first 2 shown]
	v_addc_co_u32_e32 v41, vcc, 0, v33, vcc
	global_load_dwordx4 v[32:35], v[40:41], off
	global_load_dwordx4 v[36:39], v[40:41], off offset:2048
	s_mov_b64 s[0:1], 0
	s_waitcnt vmcnt(9)
	ds_write_b128 v130, v[0:3]
	s_waitcnt vmcnt(8)
	ds_write_b128 v130, v[4:7] offset:2048
	s_waitcnt vmcnt(7)
	ds_write_b128 v130, v[8:11] offset:4096
	;; [unrolled: 2-line block ×9, first 2 shown]
	s_waitcnt lgkmcnt(0)
	s_barrier
.LBB241_6:
	s_andn2_b64 vcc, exec, s[0:1]
	v_cmp_gt_u32_e64 s[0:1], s33, v56
	s_cbranch_vccnz .LBB241_28
; %bb.7:
	v_mov_b32_e32 v0, 0
	global_load_dwordx4 v[2:5], v0, s[2:3]
	s_waitcnt vmcnt(0)
	v_mov_b64_e32 v[8:9], v[4:5]
	v_mov_b64_e32 v[6:7], v[2:3]
	s_and_saveexec_b64 s[4:5], s[0:1]
	s_cbranch_execz .LBB241_9
; %bb.8:
	global_load_dwordx4 v[6:9], v130, s[2:3]
.LBB241_9:
	s_or_b64 exec, exec, s[4:5]
	v_or_b32_e32 v0, 0x80, v56
	v_cmp_gt_u32_e32 vcc, s33, v0
	v_mov_b64_e32 v[12:13], v[4:5]
	v_mov_b64_e32 v[10:11], v[2:3]
	s_and_saveexec_b64 s[0:1], vcc
	s_cbranch_execz .LBB241_11
; %bb.10:
	global_load_dwordx4 v[10:13], v130, s[2:3] offset:2048
.LBB241_11:
	s_or_b64 exec, exec, s[0:1]
	v_or_b32_e32 v0, 0x100, v56
	v_cmp_gt_u32_e32 vcc, s33, v0
	v_mov_b64_e32 v[16:17], v[4:5]
	v_mov_b64_e32 v[14:15], v[2:3]
	s_and_saveexec_b64 s[0:1], vcc
	s_cbranch_execz .LBB241_13
; %bb.12:
	v_lshlrev_b32_e32 v0, 4, v0
	global_load_dwordx4 v[14:17], v0, s[2:3]
.LBB241_13:
	s_or_b64 exec, exec, s[0:1]
	v_or_b32_e32 v0, 0x180, v56
	v_cmp_gt_u32_e32 vcc, s33, v0
	v_mov_b64_e32 v[20:21], v[4:5]
	v_mov_b64_e32 v[18:19], v[2:3]
	s_and_saveexec_b64 s[0:1], vcc
	s_cbranch_execz .LBB241_15
; %bb.14:
	v_lshlrev_b32_e32 v0, 4, v0
	global_load_dwordx4 v[18:21], v0, s[2:3]
.LBB241_15:
	;; [unrolled: 11-line block ×7, first 2 shown]
	s_or_b64 exec, exec, s[0:1]
	v_or_b32_e32 v0, 0x480, v56
	v_cmp_gt_u32_e32 vcc, s33, v0
	s_and_saveexec_b64 s[0:1], vcc
	s_cbranch_execz .LBB241_27
; %bb.26:
	v_lshlrev_b32_e32 v0, 4, v0
	global_load_dwordx4 v[2:5], v0, s[2:3]
.LBB241_27:
	s_or_b64 exec, exec, s[0:1]
	s_waitcnt vmcnt(0)
	ds_write_b128 v130, v[6:9]
	ds_write_b128 v130, v[10:13] offset:2048
	ds_write_b128 v130, v[14:17] offset:4096
	;; [unrolled: 1-line block ×9, first 2 shown]
	s_waitcnt lgkmcnt(0)
	s_barrier
.LBB241_28:
	v_mul_u32_u24_e32 v57, 0xa0, v56
	ds_read_b128 v[58:61], v57
	ds_read_b128 v[94:97], v57 offset:16
	ds_read_b128 v[90:93], v57 offset:32
	;; [unrolled: 1-line block ×9, first 2 shown]
	s_cmp_lg_u32 s69, 0
	s_waitcnt lgkmcnt(0)
	s_barrier
	s_cbranch_scc0 .LBB241_88
; %bb.29:
	s_getpc_b64 s[42:43]
	s_add_u32 s42, s42, _ZZZZN2at6native31launch_logcumsumexp_cuda_kernelERKNS_10TensorBaseES3_lENKUlvE_clEvENKUlvE1_clEvENKUlN3c107complexIdEES8_E_clES8_S8_@rel32@lo+4
	s_addc_u32 s43, s43, _ZZZZN2at6native31launch_logcumsumexp_cuda_kernelERKNS_10TensorBaseES3_lENKUlvE_clEvENKUlvE1_clEvENKUlN3c107complexIdEES8_E_clES8_S8_@rel32@hi+12
	v_mov_b32_e32 v0, v58
	v_mov_b32_e32 v1, v59
	;; [unrolled: 1-line block ×8, first 2 shown]
	s_swappc_b64 s[30:31], s[42:43]
	v_mov_b32_e32 v4, v90
	v_mov_b32_e32 v5, v91
	v_mov_b32_e32 v6, v92
	v_mov_b32_e32 v7, v93
	s_swappc_b64 s[30:31], s[42:43]
	v_mov_b32_e32 v4, v86
	v_mov_b32_e32 v5, v87
	v_mov_b32_e32 v6, v88
	v_mov_b32_e32 v7, v89
	;; [unrolled: 5-line block ×8, first 2 shown]
	s_swappc_b64 s[30:31], s[42:43]
	v_mov_b32_e32 v44, v0
	v_mbcnt_lo_u32_b32 v0, -1, 0
	v_mbcnt_hi_u32_b32 v52, -1, v0
	v_mov_b32_e32 v45, v1
	v_mov_b32_e32 v46, v2
	;; [unrolled: 1-line block ×3, first 2 shown]
	v_and_b32_e32 v40, 15, v52
	v_mov_b32_dpp v0, v44 row_shr:1 row_mask:0xf bank_mask:0xf
	v_mov_b32_dpp v1, v45 row_shr:1 row_mask:0xf bank_mask:0xf
	;; [unrolled: 1-line block ×4, first 2 shown]
	v_cmp_ne_u32_e32 vcc, 0, v40
	s_and_saveexec_b64 s[44:45], vcc
	s_cbranch_execz .LBB241_31
; %bb.30:
	v_mov_b32_e32 v4, v44
	v_mov_b32_e32 v5, v45
	;; [unrolled: 1-line block ×4, first 2 shown]
	s_swappc_b64 s[30:31], s[42:43]
	v_mov_b32_e32 v44, v0
	v_mov_b32_e32 v45, v1
	;; [unrolled: 1-line block ×4, first 2 shown]
.LBB241_31:
	s_or_b64 exec, exec, s[44:45]
	v_mov_b32_dpp v0, v44 row_shr:2 row_mask:0xf bank_mask:0xf
	v_mov_b32_dpp v1, v45 row_shr:2 row_mask:0xf bank_mask:0xf
	v_mov_b32_dpp v2, v46 row_shr:2 row_mask:0xf bank_mask:0xf
	v_mov_b32_dpp v3, v47 row_shr:2 row_mask:0xf bank_mask:0xf
	v_cmp_lt_u32_e32 vcc, 1, v40
	s_and_saveexec_b64 s[42:43], vcc
	s_cbranch_execz .LBB241_33
; %bb.32:
	s_getpc_b64 s[0:1]
	s_add_u32 s0, s0, _ZZZZN2at6native31launch_logcumsumexp_cuda_kernelERKNS_10TensorBaseES3_lENKUlvE_clEvENKUlvE1_clEvENKUlN3c107complexIdEES8_E_clES8_S8_@rel32@lo+4
	s_addc_u32 s1, s1, _ZZZZN2at6native31launch_logcumsumexp_cuda_kernelERKNS_10TensorBaseES3_lENKUlvE_clEvENKUlvE1_clEvENKUlN3c107complexIdEES8_E_clES8_S8_@rel32@hi+12
	v_mov_b32_e32 v4, v44
	v_mov_b32_e32 v5, v45
	v_mov_b32_e32 v6, v46
	v_mov_b32_e32 v7, v47
	s_swappc_b64 s[30:31], s[0:1]
	v_mov_b32_e32 v44, v0
	v_mov_b32_e32 v45, v1
	v_mov_b32_e32 v46, v2
	v_mov_b32_e32 v47, v3
.LBB241_33:
	s_or_b64 exec, exec, s[42:43]
	v_mov_b32_dpp v0, v44 row_shr:4 row_mask:0xf bank_mask:0xf
	v_mov_b32_dpp v1, v45 row_shr:4 row_mask:0xf bank_mask:0xf
	v_mov_b32_dpp v2, v46 row_shr:4 row_mask:0xf bank_mask:0xf
	v_mov_b32_dpp v3, v47 row_shr:4 row_mask:0xf bank_mask:0xf
	v_cmp_lt_u32_e32 vcc, 3, v40
	s_and_saveexec_b64 s[42:43], vcc
	s_cbranch_execz .LBB241_35
; %bb.34:
	s_getpc_b64 s[0:1]
	s_add_u32 s0, s0, _ZZZZN2at6native31launch_logcumsumexp_cuda_kernelERKNS_10TensorBaseES3_lENKUlvE_clEvENKUlvE1_clEvENKUlN3c107complexIdEES8_E_clES8_S8_@rel32@lo+4
	s_addc_u32 s1, s1, _ZZZZN2at6native31launch_logcumsumexp_cuda_kernelERKNS_10TensorBaseES3_lENKUlvE_clEvENKUlvE1_clEvENKUlN3c107complexIdEES8_E_clES8_S8_@rel32@hi+12
	v_mov_b32_e32 v4, v44
	v_mov_b32_e32 v5, v45
	v_mov_b32_e32 v6, v46
	v_mov_b32_e32 v7, v47
	s_swappc_b64 s[30:31], s[0:1]
	v_mov_b32_e32 v44, v0
	v_mov_b32_e32 v45, v1
	v_mov_b32_e32 v46, v2
	v_mov_b32_e32 v47, v3
.LBB241_35:
	;; [unrolled: 22-line block ×3, first 2 shown]
	s_or_b64 exec, exec, s[42:43]
	v_and_b32_e32 v4, 16, v52
	v_mov_b32_dpp v0, v44 row_bcast:15 row_mask:0xf bank_mask:0xf
	v_mov_b32_dpp v1, v45 row_bcast:15 row_mask:0xf bank_mask:0xf
	;; [unrolled: 1-line block ×4, first 2 shown]
	v_cmp_ne_u32_e32 vcc, 0, v4
	s_and_saveexec_b64 s[42:43], vcc
	s_cbranch_execz .LBB241_39
; %bb.38:
	s_getpc_b64 s[0:1]
	s_add_u32 s0, s0, _ZZZZN2at6native31launch_logcumsumexp_cuda_kernelERKNS_10TensorBaseES3_lENKUlvE_clEvENKUlvE1_clEvENKUlN3c107complexIdEES8_E_clES8_S8_@rel32@lo+4
	s_addc_u32 s1, s1, _ZZZZN2at6native31launch_logcumsumexp_cuda_kernelERKNS_10TensorBaseES3_lENKUlvE_clEvENKUlvE1_clEvENKUlN3c107complexIdEES8_E_clES8_S8_@rel32@hi+12
	v_mov_b32_e32 v4, v44
	v_mov_b32_e32 v5, v45
	;; [unrolled: 1-line block ×4, first 2 shown]
	s_swappc_b64 s[30:31], s[0:1]
	v_mov_b32_e32 v44, v0
	v_mov_b32_e32 v45, v1
	;; [unrolled: 1-line block ×4, first 2 shown]
.LBB241_39:
	s_or_b64 exec, exec, s[42:43]
	v_mov_b32_dpp v0, v44 row_bcast:31 row_mask:0xf bank_mask:0xf
	v_mov_b32_dpp v1, v45 row_bcast:31 row_mask:0xf bank_mask:0xf
	;; [unrolled: 1-line block ×4, first 2 shown]
	v_cmp_lt_u32_e32 vcc, 31, v52
	s_and_saveexec_b64 s[42:43], vcc
	s_cbranch_execz .LBB241_41
; %bb.40:
	s_getpc_b64 s[0:1]
	s_add_u32 s0, s0, _ZZZZN2at6native31launch_logcumsumexp_cuda_kernelERKNS_10TensorBaseES3_lENKUlvE_clEvENKUlvE1_clEvENKUlN3c107complexIdEES8_E_clES8_S8_@rel32@lo+4
	s_addc_u32 s1, s1, _ZZZZN2at6native31launch_logcumsumexp_cuda_kernelERKNS_10TensorBaseES3_lENKUlvE_clEvENKUlvE1_clEvENKUlN3c107complexIdEES8_E_clES8_S8_@rel32@hi+12
	v_mov_b32_e32 v4, v44
	v_mov_b32_e32 v5, v45
	;; [unrolled: 1-line block ×4, first 2 shown]
	s_swappc_b64 s[30:31], s[0:1]
	v_mov_b32_e32 v44, v0
	v_mov_b32_e32 v45, v1
	;; [unrolled: 1-line block ×4, first 2 shown]
.LBB241_41:
	s_or_b64 exec, exec, s[42:43]
	v_or_b32_e32 v0, 63, v56
	v_lshrrev_b32_e32 v53, 6, v56
	v_cmp_eq_u32_e32 vcc, v56, v0
	s_and_saveexec_b64 s[0:1], vcc
; %bb.42:
	v_lshlrev_b32_e32 v0, 4, v53
	ds_write_b128 v0, v[44:47]
; %bb.43:
	s_or_b64 exec, exec, s[0:1]
	v_cmp_gt_u32_e32 vcc, 2, v56
	s_waitcnt lgkmcnt(0)
	s_barrier
	s_and_saveexec_b64 s[42:43], vcc
	s_cbranch_execz .LBB241_47
; %bb.44:
	ds_read_b128 v[4:7], v130
	v_and_b32_e32 v8, 1, v52
	v_cmp_eq_u32_e32 vcc, 1, v8
	s_waitcnt lgkmcnt(0)
	v_mov_b32_dpp v0, v4 row_shr:1 row_mask:0xf bank_mask:0xf
	v_mov_b32_dpp v1, v5 row_shr:1 row_mask:0xf bank_mask:0xf
	;; [unrolled: 1-line block ×4, first 2 shown]
	s_and_saveexec_b64 s[44:45], vcc
	s_cbranch_execz .LBB241_46
; %bb.45:
	s_getpc_b64 s[0:1]
	s_add_u32 s0, s0, _ZZZZN2at6native31launch_logcumsumexp_cuda_kernelERKNS_10TensorBaseES3_lENKUlvE_clEvENKUlvE1_clEvENKUlN3c107complexIdEES8_E_clES8_S8_@rel32@lo+4
	s_addc_u32 s1, s1, _ZZZZN2at6native31launch_logcumsumexp_cuda_kernelERKNS_10TensorBaseES3_lENKUlvE_clEvENKUlvE1_clEvENKUlN3c107complexIdEES8_E_clES8_S8_@rel32@hi+12
	s_swappc_b64 s[30:31], s[0:1]
	v_mov_b32_e32 v4, v0
	v_mov_b32_e32 v5, v1
	;; [unrolled: 1-line block ×4, first 2 shown]
.LBB241_46:
	s_or_b64 exec, exec, s[44:45]
	ds_write_b128 v130, v[4:7]
.LBB241_47:
	s_or_b64 exec, exec, s[42:43]
	v_cmp_gt_u32_e64 s[44:45], 64, v56
	v_cmp_lt_u32_e32 vcc, 63, v56
	v_mov_b64_e32 v[42:43], 0
	v_mov_b64_e32 v[40:41], 0
	s_waitcnt lgkmcnt(0)
	s_barrier
	s_and_saveexec_b64 s[42:43], vcc
	s_cbranch_execz .LBB241_49
; %bb.48:
	v_lshl_add_u32 v0, v53, 4, -16
	ds_read_b128 v[40:43], v0
	s_getpc_b64 s[0:1]
	s_add_u32 s0, s0, _ZZZZN2at6native31launch_logcumsumexp_cuda_kernelERKNS_10TensorBaseES3_lENKUlvE_clEvENKUlvE1_clEvENKUlN3c107complexIdEES8_E_clES8_S8_@rel32@lo+4
	s_addc_u32 s1, s1, _ZZZZN2at6native31launch_logcumsumexp_cuda_kernelERKNS_10TensorBaseES3_lENKUlvE_clEvENKUlvE1_clEvENKUlN3c107complexIdEES8_E_clES8_S8_@rel32@hi+12
	v_mov_b32_e32 v4, v44
	v_mov_b32_e32 v5, v45
	;; [unrolled: 1-line block ×3, first 2 shown]
	s_waitcnt lgkmcnt(0)
	v_mov_b32_e32 v0, v40
	v_mov_b32_e32 v1, v41
	;; [unrolled: 1-line block ×5, first 2 shown]
	s_swappc_b64 s[30:31], s[0:1]
	v_mov_b32_e32 v44, v0
	v_mov_b32_e32 v45, v1
	;; [unrolled: 1-line block ×4, first 2 shown]
.LBB241_49:
	s_or_b64 exec, exec, s[42:43]
	v_subrev_co_u32_e64 v0, s[42:43], 1, v52
	v_and_b32_e32 v1, 64, v52
	v_cmp_lt_i32_e32 vcc, v0, v1
	s_nop 1
	v_cndmask_b32_e32 v0, v0, v52, vcc
	v_lshlrev_b32_e32 v0, 2, v0
	ds_bpermute_b32 v102, v0, v44
	ds_bpermute_b32 v103, v0, v45
	ds_bpermute_b32 v104, v0, v46
	ds_bpermute_b32 v105, v0, v47
	s_and_saveexec_b64 s[62:63], s[44:45]
	s_cbranch_execz .LBB241_93
; %bb.50:
	v_mov_b32_e32 v1, 0
	ds_read_b128 v[44:47], v1 offset:16
	s_and_saveexec_b64 s[0:1], s[42:43]
	s_cbranch_execz .LBB241_52
; %bb.51:
	s_add_i32 s2, s69, 64
	s_mov_b32 s3, 0
	s_lshl_b64 s[4:5], s[2:3], 4
	s_add_u32 s4, s64, s4
	s_addc_u32 s5, s65, s5
	v_mov_b32_e32 v0, 1
	v_mov_b32_e32 v2, s2
	s_waitcnt lgkmcnt(0)
	global_store_dword v1, v44, s[4:5] sc1
	global_store_dword v1, v45, s[4:5] offset:4 sc1
	global_store_dword v1, v46, s[4:5] offset:8 sc1
	;; [unrolled: 1-line block ×3, first 2 shown]
	s_waitcnt vmcnt(0)
	global_store_byte v2, v0, s[46:47] sc1
.LBB241_52:
	s_or_b64 exec, exec, s[0:1]
	v_xad_u32 v98, v52, -1, s69
	v_add_u32_e32 v0, 64, v98
	global_load_ubyte v106, v0, s[46:47] sc1
	s_waitcnt vmcnt(0)
	v_cmp_eq_u16_e32 vcc, 0, v106
	s_and_saveexec_b64 s[0:1], vcc
	s_cbranch_execz .LBB241_56
; %bb.53:
	v_lshl_add_u64 v[2:3], s[46:47], 0, v[0:1]
	s_mov_b64 s[2:3], 0
.LBB241_54:                             ; =>This Inner Loop Header: Depth=1
	global_load_ubyte v106, v[2:3], off sc1
	s_waitcnt vmcnt(0)
	v_cmp_ne_u16_e32 vcc, 0, v106
	s_or_b64 s[2:3], vcc, s[2:3]
	s_andn2_b64 exec, exec, s[2:3]
	s_cbranch_execnz .LBB241_54
; %bb.55:
	s_or_b64 exec, exec, s[2:3]
.LBB241_56:
	s_or_b64 exec, exec, s[0:1]
	v_mov_b32_e32 v2, s67
	v_mov_b32_e32 v3, s65
	v_cmp_eq_u16_e32 vcc, 1, v106
	v_mov_b32_e32 v4, s64
	s_waitcnt vmcnt(0)
	v_cndmask_b32_e32 v3, v2, v3, vcc
	v_mov_b32_e32 v2, s66
	v_cndmask_b32_e32 v2, v2, v4, vcc
	v_lshl_add_u64 v[0:1], v[0:1], 4, v[2:3]
	s_waitcnt lgkmcnt(0)
	global_load_dword v4, v[0:1], off sc1
	global_load_dword v5, v[0:1], off offset:4 sc1
	global_load_dword v6, v[0:1], off offset:8 sc1
	global_load_dword v7, v[0:1], off offset:12 sc1
	v_cmp_eq_u16_e32 vcc, 2, v106
	v_lshlrev_b64 v[100:101], v52, -1
	v_and_b32_e32 v107, 63, v52
	v_and_b32_e32 v0, vcc_hi, v101
	v_and_b32_e32 v8, vcc_lo, v100
	v_cmp_ne_u32_e32 vcc, 63, v107
	v_or_b32_e32 v0, 0x80000000, v0
	v_ffbl_b32_e32 v9, v0
	v_addc_co_u32_e32 v1, vcc, 0, v52, vcc
	v_lshlrev_b32_e32 v108, 2, v1
	v_add_u32_e32 v9, 32, v9
	v_ffbl_b32_e32 v8, v8
	v_min_u32_e32 v53, v8, v9
	v_cmp_lt_u32_e32 vcc, v107, v53
	s_waitcnt vmcnt(3)
	ds_bpermute_b32 v0, v108, v4
	s_waitcnt vmcnt(2)
	ds_bpermute_b32 v1, v108, v5
	;; [unrolled: 2-line block ×4, first 2 shown]
	s_and_saveexec_b64 s[44:45], vcc
	s_cbranch_execz .LBB241_58
; %bb.57:
	s_getpc_b64 s[0:1]
	s_add_u32 s0, s0, _ZZZZN2at6native31launch_logcumsumexp_cuda_kernelERKNS_10TensorBaseES3_lENKUlvE_clEvENKUlvE1_clEvENKUlN3c107complexIdEES8_E_clES8_S8_@rel32@lo+4
	s_addc_u32 s1, s1, _ZZZZN2at6native31launch_logcumsumexp_cuda_kernelERKNS_10TensorBaseES3_lENKUlvE_clEvENKUlvE1_clEvENKUlN3c107complexIdEES8_E_clES8_S8_@rel32@hi+12
	s_swappc_b64 s[30:31], s[0:1]
	v_mov_b32_e32 v4, v0
	v_mov_b32_e32 v5, v1
	v_mov_b32_e32 v6, v2
	v_mov_b32_e32 v7, v3
.LBB241_58:
	s_or_b64 exec, exec, s[44:45]
	v_cmp_gt_u32_e32 vcc, 62, v107
	v_add_u32_e32 v110, 2, v107
	s_waitcnt lgkmcnt(3)
	v_cndmask_b32_e64 v0, 0, 2, vcc
	v_add_lshl_u32 v109, v0, v52, 2
	ds_bpermute_b32 v0, v109, v4
	s_waitcnt lgkmcnt(3)
	ds_bpermute_b32 v1, v109, v5
	s_waitcnt lgkmcnt(3)
	ds_bpermute_b32 v2, v109, v6
	s_waitcnt lgkmcnt(3)
	ds_bpermute_b32 v3, v109, v7
	v_cmp_le_u32_e32 vcc, v110, v53
	s_and_saveexec_b64 s[44:45], vcc
	s_cbranch_execz .LBB241_60
; %bb.59:
	s_getpc_b64 s[0:1]
	s_add_u32 s0, s0, _ZZZZN2at6native31launch_logcumsumexp_cuda_kernelERKNS_10TensorBaseES3_lENKUlvE_clEvENKUlvE1_clEvENKUlN3c107complexIdEES8_E_clES8_S8_@rel32@lo+4
	s_addc_u32 s1, s1, _ZZZZN2at6native31launch_logcumsumexp_cuda_kernelERKNS_10TensorBaseES3_lENKUlvE_clEvENKUlvE1_clEvENKUlN3c107complexIdEES8_E_clES8_S8_@rel32@hi+12
	s_swappc_b64 s[30:31], s[0:1]
	v_mov_b32_e32 v4, v0
	v_mov_b32_e32 v5, v1
	v_mov_b32_e32 v6, v2
	v_mov_b32_e32 v7, v3
.LBB241_60:
	s_or_b64 exec, exec, s[44:45]
	v_cmp_gt_u32_e32 vcc, 60, v107
	v_add_u32_e32 v112, 4, v107
	s_waitcnt lgkmcnt(3)
	v_cndmask_b32_e64 v0, 0, 4, vcc
	v_add_lshl_u32 v111, v0, v52, 2
	ds_bpermute_b32 v0, v111, v4
	s_waitcnt lgkmcnt(3)
	ds_bpermute_b32 v1, v111, v5
	s_waitcnt lgkmcnt(3)
	ds_bpermute_b32 v2, v111, v6
	s_waitcnt lgkmcnt(3)
	ds_bpermute_b32 v3, v111, v7
	v_cmp_le_u32_e32 vcc, v112, v53
	;; [unrolled: 26-line block ×4, first 2 shown]
	s_and_saveexec_b64 s[44:45], vcc
	s_cbranch_execz .LBB241_66
; %bb.65:
	s_getpc_b64 s[0:1]
	s_add_u32 s0, s0, _ZZZZN2at6native31launch_logcumsumexp_cuda_kernelERKNS_10TensorBaseES3_lENKUlvE_clEvENKUlvE1_clEvENKUlN3c107complexIdEES8_E_clES8_S8_@rel32@lo+4
	s_addc_u32 s1, s1, _ZZZZN2at6native31launch_logcumsumexp_cuda_kernelERKNS_10TensorBaseES3_lENKUlvE_clEvENKUlvE1_clEvENKUlN3c107complexIdEES8_E_clES8_S8_@rel32@hi+12
	s_swappc_b64 s[30:31], s[0:1]
	v_mov_b32_e32 v4, v0
	v_mov_b32_e32 v5, v1
	v_mov_b32_e32 v6, v2
	v_mov_b32_e32 v7, v3
.LBB241_66:
	s_or_b64 exec, exec, s[44:45]
	s_waitcnt lgkmcnt(3)
	v_mov_b32_e32 v0, 0x80
	v_lshl_or_b32 v117, v52, 2, v0
	ds_bpermute_b32 v0, v117, v4
	s_waitcnt lgkmcnt(3)
	ds_bpermute_b32 v1, v117, v5
	s_waitcnt lgkmcnt(3)
	;; [unrolled: 2-line block ×3, first 2 shown]
	ds_bpermute_b32 v3, v117, v7
	v_add_u32_e32 v118, 32, v107
	v_cmp_le_u32_e32 vcc, v118, v53
	s_and_saveexec_b64 s[44:45], vcc
	s_cbranch_execz .LBB241_68
; %bb.67:
	s_getpc_b64 s[0:1]
	s_add_u32 s0, s0, _ZZZZN2at6native31launch_logcumsumexp_cuda_kernelERKNS_10TensorBaseES3_lENKUlvE_clEvENKUlvE1_clEvENKUlN3c107complexIdEES8_E_clES8_S8_@rel32@lo+4
	s_addc_u32 s1, s1, _ZZZZN2at6native31launch_logcumsumexp_cuda_kernelERKNS_10TensorBaseES3_lENKUlvE_clEvENKUlvE1_clEvENKUlN3c107complexIdEES8_E_clES8_S8_@rel32@hi+12
	s_swappc_b64 s[30:31], s[0:1]
	v_mov_b32_e32 v4, v0
	v_mov_b32_e32 v5, v1
	;; [unrolled: 1-line block ×4, first 2 shown]
.LBB241_68:
	s_or_b64 exec, exec, s[44:45]
	v_mov_b32_e32 v99, 0
	v_mov_b32_e32 v119, 2
	s_branch .LBB241_71
.LBB241_69:                             ;   in Loop: Header=BB241_71 Depth=1
	s_or_b64 exec, exec, s[44:45]
	s_getpc_b64 s[0:1]
	s_add_u32 s0, s0, _ZZZZN2at6native31launch_logcumsumexp_cuda_kernelERKNS_10TensorBaseES3_lENKUlvE_clEvENKUlvE1_clEvENKUlN3c107complexIdEES8_E_clES8_S8_@rel32@lo+4
	s_addc_u32 s1, s1, _ZZZZN2at6native31launch_logcumsumexp_cuda_kernelERKNS_10TensorBaseES3_lENKUlvE_clEvENKUlvE1_clEvENKUlN3c107complexIdEES8_E_clES8_S8_@rel32@hi+12
	s_waitcnt lgkmcnt(3)
	v_mov_b32_e32 v0, v4
	s_waitcnt lgkmcnt(2)
	v_mov_b32_e32 v1, v5
	;; [unrolled: 2-line block ×4, first 2 shown]
	v_mov_b32_e32 v4, v52
	v_mov_b32_e32 v5, v53
	;; [unrolled: 1-line block ×4, first 2 shown]
	v_subrev_u32_e32 v98, 64, v98
	s_swappc_b64 s[30:31], s[0:1]
	v_mov_b32_e32 v4, v0
	v_mov_b32_e32 v5, v1
	;; [unrolled: 1-line block ×4, first 2 shown]
	s_mov_b64 s[0:1], 0
.LBB241_70:                             ;   in Loop: Header=BB241_71 Depth=1
	s_and_b64 vcc, exec, s[0:1]
	s_cbranch_vccnz .LBB241_89
.LBB241_71:                             ; =>This Loop Header: Depth=1
                                        ;     Child Loop BB241_74 Depth 2
	v_cmp_ne_u16_sdwa s[0:1], v106, v119 src0_sel:BYTE_0 src1_sel:DWORD
	v_mov_b64_e32 v[54:55], v[6:7]
	v_mov_b64_e32 v[52:53], v[4:5]
	s_cmp_lg_u64 s[0:1], exec
	s_mov_b64 s[0:1], -1
                                        ; implicit-def: $vgpr6_vgpr7
                                        ; implicit-def: $vgpr4_vgpr5
                                        ; implicit-def: $vgpr106
	s_cbranch_scc1 .LBB241_70
; %bb.72:                               ;   in Loop: Header=BB241_71 Depth=1
	global_load_ubyte v106, v98, s[46:47] sc1
	s_waitcnt vmcnt(0)
	v_cmp_eq_u16_e32 vcc, 0, v106
	s_and_saveexec_b64 s[0:1], vcc
	s_cbranch_execz .LBB241_76
; %bb.73:                               ;   in Loop: Header=BB241_71 Depth=1
	s_waitcnt lgkmcnt(2)
	v_lshl_add_u64 v[0:1], s[46:47], 0, v[98:99]
	s_mov_b64 s[2:3], 0
.LBB241_74:                             ;   Parent Loop BB241_71 Depth=1
                                        ; =>  This Inner Loop Header: Depth=2
	global_load_ubyte v106, v[0:1], off sc1
	s_waitcnt vmcnt(0)
	v_cmp_ne_u16_e32 vcc, 0, v106
	s_or_b64 s[2:3], vcc, s[2:3]
	s_andn2_b64 exec, exec, s[2:3]
	s_cbranch_execnz .LBB241_74
; %bb.75:                               ;   in Loop: Header=BB241_71 Depth=1
	s_or_b64 exec, exec, s[2:3]
.LBB241_76:                             ;   in Loop: Header=BB241_71 Depth=1
	s_or_b64 exec, exec, s[0:1]
	s_waitcnt lgkmcnt(3)
	v_mov_b32_e32 v0, s67
	s_waitcnt lgkmcnt(2)
	v_mov_b32_e32 v1, s65
	v_cmp_eq_u16_e32 vcc, 1, v106
	s_waitcnt lgkmcnt(1)
	v_mov_b32_e32 v2, s64
	s_waitcnt vmcnt(0)
	v_cndmask_b32_e32 v1, v0, v1, vcc
	v_mov_b32_e32 v0, s66
	v_cndmask_b32_e32 v0, v0, v2, vcc
	v_lshl_add_u64 v[0:1], v[98:99], 4, v[0:1]
	s_waitcnt lgkmcnt(0)
	global_load_dword v4, v[0:1], off sc1
	global_load_dword v5, v[0:1], off offset:4 sc1
	global_load_dword v6, v[0:1], off offset:8 sc1
	;; [unrolled: 1-line block ×3, first 2 shown]
	v_cmp_eq_u16_e32 vcc, 2, v106
	s_waitcnt vmcnt(2)
	ds_bpermute_b32 v1, v108, v5
	v_and_b32_e32 v0, vcc_hi, v101
	v_or_b32_e32 v0, 0x80000000, v0
	v_ffbl_b32_e32 v9, v0
	ds_bpermute_b32 v0, v108, v4
	s_waitcnt vmcnt(1)
	ds_bpermute_b32 v2, v108, v6
	s_waitcnt vmcnt(0)
	ds_bpermute_b32 v3, v108, v7
	v_and_b32_e32 v8, vcc_lo, v100
	v_add_u32_e32 v9, 32, v9
	v_ffbl_b32_e32 v8, v8
	v_min_u32_e32 v120, v8, v9
	v_cmp_lt_u32_e32 vcc, v107, v120
	s_and_saveexec_b64 s[44:45], vcc
	s_cbranch_execz .LBB241_78
; %bb.77:                               ;   in Loop: Header=BB241_71 Depth=1
	s_getpc_b64 s[0:1]
	s_add_u32 s0, s0, _ZZZZN2at6native31launch_logcumsumexp_cuda_kernelERKNS_10TensorBaseES3_lENKUlvE_clEvENKUlvE1_clEvENKUlN3c107complexIdEES8_E_clES8_S8_@rel32@lo+4
	s_addc_u32 s1, s1, _ZZZZN2at6native31launch_logcumsumexp_cuda_kernelERKNS_10TensorBaseES3_lENKUlvE_clEvENKUlvE1_clEvENKUlN3c107complexIdEES8_E_clES8_S8_@rel32@hi+12
	s_swappc_b64 s[30:31], s[0:1]
	v_mov_b32_e32 v4, v0
	v_mov_b32_e32 v5, v1
	v_mov_b32_e32 v6, v2
	v_mov_b32_e32 v7, v3
.LBB241_78:                             ;   in Loop: Header=BB241_71 Depth=1
	s_or_b64 exec, exec, s[44:45]
	s_waitcnt lgkmcnt(2)
	ds_bpermute_b32 v0, v109, v4
	ds_bpermute_b32 v1, v109, v5
	s_waitcnt lgkmcnt(3)
	ds_bpermute_b32 v2, v109, v6
	s_waitcnt lgkmcnt(3)
	ds_bpermute_b32 v3, v109, v7
	v_cmp_le_u32_e32 vcc, v110, v120
	s_and_saveexec_b64 s[44:45], vcc
	s_cbranch_execz .LBB241_80
; %bb.79:                               ;   in Loop: Header=BB241_71 Depth=1
	s_getpc_b64 s[0:1]
	s_add_u32 s0, s0, _ZZZZN2at6native31launch_logcumsumexp_cuda_kernelERKNS_10TensorBaseES3_lENKUlvE_clEvENKUlvE1_clEvENKUlN3c107complexIdEES8_E_clES8_S8_@rel32@lo+4
	s_addc_u32 s1, s1, _ZZZZN2at6native31launch_logcumsumexp_cuda_kernelERKNS_10TensorBaseES3_lENKUlvE_clEvENKUlvE1_clEvENKUlN3c107complexIdEES8_E_clES8_S8_@rel32@hi+12
	s_swappc_b64 s[30:31], s[0:1]
	v_mov_b32_e32 v4, v0
	v_mov_b32_e32 v5, v1
	v_mov_b32_e32 v6, v2
	v_mov_b32_e32 v7, v3
.LBB241_80:                             ;   in Loop: Header=BB241_71 Depth=1
	s_or_b64 exec, exec, s[44:45]
	s_waitcnt lgkmcnt(3)
	ds_bpermute_b32 v0, v111, v4
	s_waitcnt lgkmcnt(3)
	ds_bpermute_b32 v1, v111, v5
	s_waitcnt lgkmcnt(3)
	ds_bpermute_b32 v2, v111, v6
	s_waitcnt lgkmcnt(3)
	ds_bpermute_b32 v3, v111, v7
	v_cmp_le_u32_e32 vcc, v112, v120
	s_and_saveexec_b64 s[44:45], vcc
	s_cbranch_execz .LBB241_82
; %bb.81:                               ;   in Loop: Header=BB241_71 Depth=1
	s_getpc_b64 s[0:1]
	s_add_u32 s0, s0, _ZZZZN2at6native31launch_logcumsumexp_cuda_kernelERKNS_10TensorBaseES3_lENKUlvE_clEvENKUlvE1_clEvENKUlN3c107complexIdEES8_E_clES8_S8_@rel32@lo+4
	s_addc_u32 s1, s1, _ZZZZN2at6native31launch_logcumsumexp_cuda_kernelERKNS_10TensorBaseES3_lENKUlvE_clEvENKUlvE1_clEvENKUlN3c107complexIdEES8_E_clES8_S8_@rel32@hi+12
	s_swappc_b64 s[30:31], s[0:1]
	v_mov_b32_e32 v4, v0
	v_mov_b32_e32 v5, v1
	v_mov_b32_e32 v6, v2
	v_mov_b32_e32 v7, v3
.LBB241_82:                             ;   in Loop: Header=BB241_71 Depth=1
	s_or_b64 exec, exec, s[44:45]
	s_waitcnt lgkmcnt(3)
	ds_bpermute_b32 v0, v113, v4
	s_waitcnt lgkmcnt(3)
	;; [unrolled: 22-line block ×4, first 2 shown]
	ds_bpermute_b32 v1, v117, v5
	s_waitcnt lgkmcnt(3)
	ds_bpermute_b32 v2, v117, v6
	s_waitcnt lgkmcnt(3)
	ds_bpermute_b32 v3, v117, v7
	v_cmp_le_u32_e32 vcc, v118, v120
	s_and_saveexec_b64 s[44:45], vcc
	s_cbranch_execz .LBB241_69
; %bb.87:                               ;   in Loop: Header=BB241_71 Depth=1
	s_getpc_b64 s[0:1]
	s_add_u32 s0, s0, _ZZZZN2at6native31launch_logcumsumexp_cuda_kernelERKNS_10TensorBaseES3_lENKUlvE_clEvENKUlvE1_clEvENKUlN3c107complexIdEES8_E_clES8_S8_@rel32@lo+4
	s_addc_u32 s1, s1, _ZZZZN2at6native31launch_logcumsumexp_cuda_kernelERKNS_10TensorBaseES3_lENKUlvE_clEvENKUlvE1_clEvENKUlN3c107complexIdEES8_E_clES8_S8_@rel32@hi+12
	s_swappc_b64 s[30:31], s[0:1]
	v_mov_b32_e32 v4, v0
	v_mov_b32_e32 v5, v1
	;; [unrolled: 1-line block ×4, first 2 shown]
	s_branch .LBB241_69
.LBB241_88:
                                        ; implicit-def: $vgpr44_vgpr45
                                        ; implicit-def: $vgpr98_vgpr99
                                        ; implicit-def: $vgpr102_vgpr103
                                        ; implicit-def: $vgpr106_vgpr107
                                        ; implicit-def: $vgpr110_vgpr111
                                        ; implicit-def: $vgpr114_vgpr115
                                        ; implicit-def: $vgpr118_vgpr119
                                        ; implicit-def: $vgpr122_vgpr123
                                        ; implicit-def: $vgpr126_vgpr127
                                        ; implicit-def: $vgpr40_vgpr41
	s_cbranch_execnz .LBB241_96
	s_branch .LBB241_123
.LBB241_89:
	s_and_saveexec_b64 s[44:45], s[42:43]
	s_cbranch_execz .LBB241_91
; %bb.90:
	s_getpc_b64 s[0:1]
	s_add_u32 s0, s0, _ZZZZN2at6native31launch_logcumsumexp_cuda_kernelERKNS_10TensorBaseES3_lENKUlvE_clEvENKUlvE1_clEvENKUlN3c107complexIdEES8_E_clES8_S8_@rel32@lo+4
	s_addc_u32 s1, s1, _ZZZZN2at6native31launch_logcumsumexp_cuda_kernelERKNS_10TensorBaseES3_lENKUlvE_clEvENKUlvE1_clEvENKUlN3c107complexIdEES8_E_clES8_S8_@rel32@hi+12
	s_waitcnt lgkmcnt(3)
	v_mov_b32_e32 v0, v52
	s_waitcnt lgkmcnt(2)
	v_mov_b32_e32 v1, v53
	;; [unrolled: 2-line block ×4, first 2 shown]
	v_mov_b32_e32 v4, v44
	v_mov_b32_e32 v5, v45
	;; [unrolled: 1-line block ×4, first 2 shown]
	s_swappc_b64 s[30:31], s[0:1]
	s_add_i32 s0, s69, 64
	s_mov_b32 s1, 0
	s_lshl_b64 s[2:3], s[0:1], 4
	s_add_u32 s2, s66, s2
	s_addc_u32 s3, s67, s3
	v_mov_b32_e32 v4, 0
	global_store_dword v4, v0, s[2:3] sc1
	global_store_dword v4, v1, s[2:3] offset:4 sc1
	global_store_dword v4, v2, s[2:3] offset:8 sc1
	;; [unrolled: 1-line block ×3, first 2 shown]
	v_mov_b32_e32 v0, 2
	v_mov_b32_e32 v1, s0
	s_waitcnt vmcnt(0)
	global_store_byte v1, v0, s[46:47] sc1
.LBB241_91:
	s_or_b64 exec, exec, s[44:45]
	s_and_b64 exec, exec, s[38:39]
	s_cbranch_execz .LBB241_93
; %bb.92:
	s_waitcnt lgkmcnt(3)
	v_mov_b32_e32 v0, 0
	ds_write_b128 v0, v[52:55] offset:16
.LBB241_93:
	s_or_b64 exec, exec, s[62:63]
	s_waitcnt lgkmcnt(3)
	v_mov_b32_e32 v0, 0
	s_waitcnt lgkmcnt(0)
	s_barrier
	ds_read_b128 v[8:11], v0 offset:16
	v_mov_b64_e32 v[6:7], v[60:61]
	v_mov_b64_e32 v[4:5], v[58:59]
	s_and_saveexec_b64 s[44:45], s[36:37]
	s_cbranch_execz .LBB241_95
; %bb.94:
	v_cndmask_b32_e64 v2, v104, v42, s[42:43]
	v_cndmask_b32_e64 v3, v105, v43, s[42:43]
	;; [unrolled: 1-line block ×4, first 2 shown]
	s_getpc_b64 s[0:1]
	s_add_u32 s0, s0, _ZZZZN2at6native31launch_logcumsumexp_cuda_kernelERKNS_10TensorBaseES3_lENKUlvE_clEvENKUlvE1_clEvENKUlN3c107complexIdEES8_E_clES8_S8_@rel32@lo+4
	s_addc_u32 s1, s1, _ZZZZN2at6native31launch_logcumsumexp_cuda_kernelERKNS_10TensorBaseES3_lENKUlvE_clEvENKUlvE1_clEvENKUlN3c107complexIdEES8_E_clES8_S8_@rel32@hi+12
	s_waitcnt lgkmcnt(0)
	v_mov_b64_e32 v[42:43], v[10:11]
	v_mov_b32_e32 v4, v58
	v_mov_b32_e32 v5, v59
	;; [unrolled: 1-line block ×4, first 2 shown]
	v_mov_b64_e32 v[40:41], v[8:9]
	s_swappc_b64 s[30:31], s[0:1]
	v_mov_b64_e32 v[8:9], v[40:41]
	v_mov_b32_e32 v4, v0
	v_mov_b32_e32 v5, v1
	;; [unrolled: 1-line block ×4, first 2 shown]
	v_mov_b64_e32 v[10:11], v[42:43]
.LBB241_95:
	s_or_b64 exec, exec, s[44:45]
	s_waitcnt lgkmcnt(0)
	v_mov_b64_e32 v[0:1], v[8:9]
	s_getpc_b64 s[42:43]
	s_add_u32 s42, s42, _ZZZZN2at6native31launch_logcumsumexp_cuda_kernelERKNS_10TensorBaseES3_lENKUlvE_clEvENKUlvE1_clEvENKUlN3c107complexIdEES8_E_clES8_S8_@rel32@lo+4
	s_addc_u32 s43, s43, _ZZZZN2at6native31launch_logcumsumexp_cuda_kernelERKNS_10TensorBaseES3_lENKUlvE_clEvENKUlvE1_clEvENKUlN3c107complexIdEES8_E_clES8_S8_@rel32@hi+12
	v_mov_b64_e32 v[2:3], v[10:11]
	s_swappc_b64 s[30:31], s[42:43]
	v_mov_b32_e32 v4, v94
	v_mov_b32_e32 v5, v95
	v_mov_b32_e32 v6, v96
	v_mov_b32_e32 v7, v97
	v_mov_b32_e32 v44, v0
	v_mov_b32_e32 v45, v1
	v_mov_b32_e32 v46, v2
	v_mov_b32_e32 v47, v3
	s_swappc_b64 s[30:31], s[42:43]
	v_mov_b32_e32 v4, v90
	v_mov_b32_e32 v5, v91
	v_mov_b32_e32 v6, v92
	v_mov_b32_e32 v7, v93
	v_mov_b32_e32 v98, v0
	v_mov_b32_e32 v99, v1
	v_mov_b32_e32 v100, v2
	v_mov_b32_e32 v101, v3
	;; [unrolled: 9-line block ×9, first 2 shown]
	s_swappc_b64 s[30:31], s[42:43]
	v_mov_b32_e32 v40, v0
	v_mov_b32_e32 v41, v1
	v_mov_b32_e32 v42, v2
	v_mov_b32_e32 v43, v3
	s_branch .LBB241_123
.LBB241_96:
	s_cmp_lg_u64 s[52:53], 0
	s_cselect_b64 s[0:1], -1, 0
	s_and_b64 s[0:1], s[38:39], s[0:1]
	s_and_saveexec_b64 s[38:39], s[0:1]
	s_cbranch_execz .LBB241_98
; %bb.97:
	v_mov_b32_e32 v0, 0
	global_load_dwordx4 v[0:3], v0, s[48:49]
	s_getpc_b64 s[0:1]
	s_add_u32 s0, s0, _ZZZZN2at6native31launch_logcumsumexp_cuda_kernelERKNS_10TensorBaseES3_lENKUlvE_clEvENKUlvE1_clEvENKUlN3c107complexIdEES8_E_clES8_S8_@rel32@lo+4
	s_addc_u32 s1, s1, _ZZZZN2at6native31launch_logcumsumexp_cuda_kernelERKNS_10TensorBaseES3_lENKUlvE_clEvENKUlvE1_clEvENKUlN3c107complexIdEES8_E_clES8_S8_@rel32@hi+12
	v_mov_b32_e32 v4, v58
	v_mov_b32_e32 v5, v59
	;; [unrolled: 1-line block ×4, first 2 shown]
	s_swappc_b64 s[30:31], s[0:1]
	v_mov_b32_e32 v58, v0
	v_mov_b32_e32 v59, v1
	;; [unrolled: 1-line block ×4, first 2 shown]
.LBB241_98:
	s_or_b64 exec, exec, s[38:39]
	s_getpc_b64 s[38:39]
	s_add_u32 s38, s38, _ZZZZN2at6native31launch_logcumsumexp_cuda_kernelERKNS_10TensorBaseES3_lENKUlvE_clEvENKUlvE1_clEvENKUlN3c107complexIdEES8_E_clES8_S8_@rel32@lo+4
	s_addc_u32 s39, s39, _ZZZZN2at6native31launch_logcumsumexp_cuda_kernelERKNS_10TensorBaseES3_lENKUlvE_clEvENKUlvE1_clEvENKUlN3c107complexIdEES8_E_clES8_S8_@rel32@hi+12
	v_mov_b32_e32 v0, v58
	v_mov_b32_e32 v1, v59
	v_mov_b32_e32 v2, v60
	v_mov_b32_e32 v3, v61
	v_mov_b32_e32 v4, v94
	v_mov_b32_e32 v5, v95
	v_mov_b32_e32 v6, v96
	v_mov_b32_e32 v7, v97
	s_swappc_b64 s[30:31], s[38:39]
	v_mov_b32_e32 v4, v90
	v_mov_b32_e32 v5, v91
	v_mov_b32_e32 v6, v92
	v_mov_b32_e32 v7, v93
	v_mov_b32_e32 v98, v0
	v_mov_b32_e32 v99, v1
	v_mov_b32_e32 v100, v2
	v_mov_b32_e32 v101, v3
	s_swappc_b64 s[30:31], s[38:39]
	;; [unrolled: 9-line block ×9, first 2 shown]
	v_mov_b32_e32 v40, v0
	v_mbcnt_lo_u32_b32 v0, -1, 0
	v_mbcnt_hi_u32_b32 v131, -1, v0
	v_mov_b32_e32 v41, v1
	v_mov_b32_e32 v42, v2
	;; [unrolled: 1-line block ×3, first 2 shown]
	v_and_b32_e32 v52, 15, v131
	v_mov_b32_dpp v4, v40 row_shr:1 row_mask:0xf bank_mask:0xf
	v_mov_b32_dpp v5, v41 row_shr:1 row_mask:0xf bank_mask:0xf
	;; [unrolled: 1-line block ×4, first 2 shown]
	v_cmp_ne_u32_e32 vcc, 0, v52
	v_mov_b64_e32 v[46:47], v[42:43]
	v_mov_b64_e32 v[44:45], v[40:41]
	v_mov_b32_e32 v0, v40
	s_and_saveexec_b64 s[42:43], vcc
	s_cbranch_execz .LBB241_100
; %bb.99:
	v_mov_b32_e32 v0, v4
	v_mov_b32_e32 v1, v5
	;; [unrolled: 1-line block ×8, first 2 shown]
	s_swappc_b64 s[30:31], s[38:39]
	v_mov_b32_e32 v44, v0
	v_mov_b32_e32 v45, v1
	;; [unrolled: 1-line block ×4, first 2 shown]
.LBB241_100:
	s_or_b64 exec, exec, s[42:43]
	v_mov_b32_dpp v4, v0 row_shr:2 row_mask:0xf bank_mask:0xf
	v_mov_b32_dpp v5, v1 row_shr:2 row_mask:0xf bank_mask:0xf
	v_mov_b32_dpp v6, v2 row_shr:2 row_mask:0xf bank_mask:0xf
	v_mov_b32_dpp v7, v3 row_shr:2 row_mask:0xf bank_mask:0xf
	v_cmp_lt_u32_e32 vcc, 1, v52
	s_and_saveexec_b64 s[38:39], vcc
	s_cbranch_execz .LBB241_102
; %bb.101:
	s_getpc_b64 s[0:1]
	s_add_u32 s0, s0, _ZZZZN2at6native31launch_logcumsumexp_cuda_kernelERKNS_10TensorBaseES3_lENKUlvE_clEvENKUlvE1_clEvENKUlN3c107complexIdEES8_E_clES8_S8_@rel32@lo+4
	s_addc_u32 s1, s1, _ZZZZN2at6native31launch_logcumsumexp_cuda_kernelERKNS_10TensorBaseES3_lENKUlvE_clEvENKUlvE1_clEvENKUlN3c107complexIdEES8_E_clES8_S8_@rel32@hi+12
	v_mov_b32_e32 v0, v4
	v_mov_b32_e32 v1, v5
	v_mov_b32_e32 v2, v6
	v_mov_b32_e32 v3, v7
	v_mov_b32_e32 v4, v44
	v_mov_b32_e32 v5, v45
	v_mov_b32_e32 v6, v46
	v_mov_b32_e32 v7, v47
	s_swappc_b64 s[30:31], s[0:1]
	v_mov_b64_e32 v[46:47], v[2:3]
	v_mov_b64_e32 v[44:45], v[0:1]
.LBB241_102:
	s_or_b64 exec, exec, s[38:39]
	v_mov_b32_dpp v4, v0 row_shr:4 row_mask:0xf bank_mask:0xf
	v_mov_b32_dpp v5, v1 row_shr:4 row_mask:0xf bank_mask:0xf
	v_mov_b32_dpp v6, v2 row_shr:4 row_mask:0xf bank_mask:0xf
	v_mov_b32_dpp v7, v3 row_shr:4 row_mask:0xf bank_mask:0xf
	v_cmp_lt_u32_e32 vcc, 3, v52
	s_and_saveexec_b64 s[38:39], vcc
	s_cbranch_execz .LBB241_104
; %bb.103:
	s_getpc_b64 s[0:1]
	s_add_u32 s0, s0, _ZZZZN2at6native31launch_logcumsumexp_cuda_kernelERKNS_10TensorBaseES3_lENKUlvE_clEvENKUlvE1_clEvENKUlN3c107complexIdEES8_E_clES8_S8_@rel32@lo+4
	s_addc_u32 s1, s1, _ZZZZN2at6native31launch_logcumsumexp_cuda_kernelERKNS_10TensorBaseES3_lENKUlvE_clEvENKUlvE1_clEvENKUlN3c107complexIdEES8_E_clES8_S8_@rel32@hi+12
	v_mov_b32_e32 v0, v4
	v_mov_b32_e32 v1, v5
	v_mov_b32_e32 v2, v6
	v_mov_b32_e32 v3, v7
	v_mov_b32_e32 v4, v44
	v_mov_b32_e32 v5, v45
	v_mov_b32_e32 v6, v46
	v_mov_b32_e32 v7, v47
	s_swappc_b64 s[30:31], s[0:1]
	v_mov_b64_e32 v[46:47], v[2:3]
	v_mov_b64_e32 v[44:45], v[0:1]
.LBB241_104:
	s_or_b64 exec, exec, s[38:39]
	v_mov_b32_dpp v4, v0 row_shr:8 row_mask:0xf bank_mask:0xf
	v_mov_b32_dpp v5, v1 row_shr:8 row_mask:0xf bank_mask:0xf
	v_mov_b32_dpp v6, v2 row_shr:8 row_mask:0xf bank_mask:0xf
	v_mov_b32_dpp v7, v3 row_shr:8 row_mask:0xf bank_mask:0xf
	v_cmp_lt_u32_e32 vcc, 7, v52
	s_and_saveexec_b64 s[38:39], vcc
	s_cbranch_execz .LBB241_106
; %bb.105:
	s_getpc_b64 s[0:1]
	s_add_u32 s0, s0, _ZZZZN2at6native31launch_logcumsumexp_cuda_kernelERKNS_10TensorBaseES3_lENKUlvE_clEvENKUlvE1_clEvENKUlN3c107complexIdEES8_E_clES8_S8_@rel32@lo+4
	s_addc_u32 s1, s1, _ZZZZN2at6native31launch_logcumsumexp_cuda_kernelERKNS_10TensorBaseES3_lENKUlvE_clEvENKUlvE1_clEvENKUlN3c107complexIdEES8_E_clES8_S8_@rel32@hi+12
	v_mov_b32_e32 v0, v4
	v_mov_b32_e32 v1, v5
	v_mov_b32_e32 v2, v6
	v_mov_b32_e32 v3, v7
	v_mov_b32_e32 v4, v44
	v_mov_b32_e32 v5, v45
	v_mov_b32_e32 v6, v46
	v_mov_b32_e32 v7, v47
	s_swappc_b64 s[30:31], s[0:1]
	v_mov_b64_e32 v[46:47], v[2:3]
	v_mov_b64_e32 v[44:45], v[0:1]
.LBB241_106:
	s_or_b64 exec, exec, s[38:39]
	v_and_b32_e32 v8, 16, v131
	v_mov_b32_dpp v4, v0 row_bcast:15 row_mask:0xf bank_mask:0xf
	v_mov_b32_dpp v5, v1 row_bcast:15 row_mask:0xf bank_mask:0xf
	;; [unrolled: 1-line block ×4, first 2 shown]
	v_cmp_ne_u32_e32 vcc, 0, v8
	s_and_saveexec_b64 s[38:39], vcc
	s_cbranch_execz .LBB241_108
; %bb.107:
	s_getpc_b64 s[0:1]
	s_add_u32 s0, s0, _ZZZZN2at6native31launch_logcumsumexp_cuda_kernelERKNS_10TensorBaseES3_lENKUlvE_clEvENKUlvE1_clEvENKUlN3c107complexIdEES8_E_clES8_S8_@rel32@lo+4
	s_addc_u32 s1, s1, _ZZZZN2at6native31launch_logcumsumexp_cuda_kernelERKNS_10TensorBaseES3_lENKUlvE_clEvENKUlvE1_clEvENKUlN3c107complexIdEES8_E_clES8_S8_@rel32@hi+12
	v_mov_b32_e32 v0, v4
	v_mov_b32_e32 v1, v5
	;; [unrolled: 1-line block ×8, first 2 shown]
	s_swappc_b64 s[30:31], s[0:1]
	v_mov_b32_e32 v44, v0
	v_mov_b32_e32 v45, v1
	;; [unrolled: 1-line block ×4, first 2 shown]
.LBB241_108:
	s_or_b64 exec, exec, s[38:39]
	v_mov_b32_dpp v0, v0 row_bcast:31 row_mask:0xf bank_mask:0xf
	v_mov_b32_dpp v1, v1 row_bcast:31 row_mask:0xf bank_mask:0xf
	;; [unrolled: 1-line block ×4, first 2 shown]
	v_cmp_lt_u32_e32 vcc, 31, v131
	s_and_saveexec_b64 s[38:39], vcc
	s_cbranch_execz .LBB241_110
; %bb.109:
	s_getpc_b64 s[0:1]
	s_add_u32 s0, s0, _ZZZZN2at6native31launch_logcumsumexp_cuda_kernelERKNS_10TensorBaseES3_lENKUlvE_clEvENKUlvE1_clEvENKUlN3c107complexIdEES8_E_clES8_S8_@rel32@lo+4
	s_addc_u32 s1, s1, _ZZZZN2at6native31launch_logcumsumexp_cuda_kernelERKNS_10TensorBaseES3_lENKUlvE_clEvENKUlvE1_clEvENKUlN3c107complexIdEES8_E_clES8_S8_@rel32@hi+12
	v_mov_b32_e32 v4, v44
	v_mov_b32_e32 v5, v45
	;; [unrolled: 1-line block ×4, first 2 shown]
	s_swappc_b64 s[30:31], s[0:1]
	v_mov_b32_e32 v44, v0
	v_mov_b32_e32 v45, v1
	;; [unrolled: 1-line block ×4, first 2 shown]
.LBB241_110:
	s_or_b64 exec, exec, s[38:39]
	v_or_b32_e32 v0, 63, v56
	v_lshrrev_b32_e32 v132, 6, v56
	v_cmp_eq_u32_e32 vcc, v56, v0
	s_and_saveexec_b64 s[0:1], vcc
; %bb.111:
	v_lshlrev_b32_e32 v0, 4, v132
	ds_write_b128 v0, v[44:47]
; %bb.112:
	s_or_b64 exec, exec, s[0:1]
	v_cmp_gt_u32_e32 vcc, 2, v56
	s_waitcnt lgkmcnt(0)
	s_barrier
	s_and_saveexec_b64 s[38:39], vcc
	s_cbranch_execz .LBB241_116
; %bb.113:
	s_movk_i32 s0, 0xff70
	v_mad_i32_i24 v0, v56, s0, v57
	ds_read_b128 v[4:7], v0
	v_and_b32_e32 v8, 1, v131
	v_mul_i32_i24_e32 v52, 0xffffff70, v56
	v_cmp_eq_u32_e32 vcc, 1, v8
	s_waitcnt lgkmcnt(0)
	v_mov_b32_dpp v0, v4 row_shr:1 row_mask:0xf bank_mask:0xf
	v_mov_b32_dpp v1, v5 row_shr:1 row_mask:0xf bank_mask:0xf
	;; [unrolled: 1-line block ×4, first 2 shown]
	s_and_saveexec_b64 s[42:43], vcc
	s_cbranch_execz .LBB241_115
; %bb.114:
	s_getpc_b64 s[0:1]
	s_add_u32 s0, s0, _ZZZZN2at6native31launch_logcumsumexp_cuda_kernelERKNS_10TensorBaseES3_lENKUlvE_clEvENKUlvE1_clEvENKUlN3c107complexIdEES8_E_clES8_S8_@rel32@lo+4
	s_addc_u32 s1, s1, _ZZZZN2at6native31launch_logcumsumexp_cuda_kernelERKNS_10TensorBaseES3_lENKUlvE_clEvENKUlvE1_clEvENKUlN3c107complexIdEES8_E_clES8_S8_@rel32@hi+12
	s_swappc_b64 s[30:31], s[0:1]
	v_mov_b32_e32 v4, v0
	v_mov_b32_e32 v5, v1
	;; [unrolled: 1-line block ×4, first 2 shown]
.LBB241_115:
	s_or_b64 exec, exec, s[42:43]
	v_add_u32_e32 v0, v57, v52
	ds_write_b128 v0, v[4:7]
.LBB241_116:
	s_or_b64 exec, exec, s[38:39]
	v_cmp_lt_u32_e32 vcc, 63, v56
	v_mov_b64_e32 v[54:55], 0
	v_mov_b64_e32 v[52:53], 0
	s_waitcnt lgkmcnt(0)
	s_barrier
	s_and_saveexec_b64 s[38:39], vcc
	s_cbranch_execz .LBB241_118
; %bb.117:
	v_lshl_add_u32 v0, v132, 4, -16
	ds_read_b128 v[52:55], v0
	s_getpc_b64 s[0:1]
	s_add_u32 s0, s0, _ZZZZN2at6native31launch_logcumsumexp_cuda_kernelERKNS_10TensorBaseES3_lENKUlvE_clEvENKUlvE1_clEvENKUlN3c107complexIdEES8_E_clES8_S8_@rel32@lo+4
	s_addc_u32 s1, s1, _ZZZZN2at6native31launch_logcumsumexp_cuda_kernelERKNS_10TensorBaseES3_lENKUlvE_clEvENKUlvE1_clEvENKUlN3c107complexIdEES8_E_clES8_S8_@rel32@hi+12
	v_mov_b32_e32 v4, v44
	v_mov_b32_e32 v5, v45
	;; [unrolled: 1-line block ×3, first 2 shown]
	s_waitcnt lgkmcnt(0)
	v_mov_b32_e32 v0, v52
	v_mov_b32_e32 v1, v53
	;; [unrolled: 1-line block ×5, first 2 shown]
	s_swappc_b64 s[30:31], s[0:1]
	v_mov_b32_e32 v44, v0
	v_mov_b32_e32 v45, v1
	;; [unrolled: 1-line block ×4, first 2 shown]
.LBB241_118:
	s_or_b64 exec, exec, s[38:39]
	v_add_u32_e32 v0, -1, v131
	v_and_b32_e32 v1, 64, v131
	v_cmp_lt_i32_e32 vcc, v0, v1
	s_nop 1
	v_cndmask_b32_e32 v0, v0, v131, vcc
	v_lshlrev_b32_e32 v3, 2, v0
	ds_bpermute_b32 v0, v3, v44
	ds_bpermute_b32 v1, v3, v45
	;; [unrolled: 1-line block ×4, first 2 shown]
	s_and_saveexec_b64 s[38:39], s[36:37]
	s_cbranch_execz .LBB241_120
; %bb.119:
	v_cmp_eq_u32_e32 vcc, 0, v131
	s_getpc_b64 s[36:37]
	s_add_u32 s36, s36, _ZZZZN2at6native31launch_logcumsumexp_cuda_kernelERKNS_10TensorBaseES3_lENKUlvE_clEvENKUlvE1_clEvENKUlN3c107complexIdEES8_E_clES8_S8_@rel32@lo+4
	s_addc_u32 s37, s37, _ZZZZN2at6native31launch_logcumsumexp_cuda_kernelERKNS_10TensorBaseES3_lENKUlvE_clEvENKUlvE1_clEvENKUlN3c107complexIdEES8_E_clES8_S8_@rel32@hi+12
	s_waitcnt lgkmcnt(3)
	v_cndmask_b32_e32 v0, v0, v52, vcc
	s_waitcnt lgkmcnt(2)
	v_cndmask_b32_e32 v1, v1, v53, vcc
	;; [unrolled: 2-line block ×4, first 2 shown]
	v_mov_b32_e32 v4, v58
	v_mov_b32_e32 v5, v59
	;; [unrolled: 1-line block ×4, first 2 shown]
	s_swappc_b64 s[30:31], s[36:37]
	v_mov_b32_e32 v4, v94
	v_mov_b32_e32 v5, v95
	;; [unrolled: 1-line block ×8, first 2 shown]
	;;#ASMSTART
	;;#ASMEND
	s_swappc_b64 s[30:31], s[36:37]
	v_mov_b32_e32 v4, v90
	v_mov_b32_e32 v5, v91
	v_mov_b32_e32 v6, v92
	v_mov_b32_e32 v7, v93
	v_mov_b32_e32 v98, v0
	v_mov_b32_e32 v99, v1
	v_mov_b32_e32 v100, v2
	v_mov_b32_e32 v101, v3
	s_swappc_b64 s[30:31], s[36:37]
	v_mov_b32_e32 v4, v86
	v_mov_b32_e32 v5, v87
	v_mov_b32_e32 v6, v88
	v_mov_b32_e32 v7, v89
	v_mov_b32_e32 v102, v0
	v_mov_b32_e32 v103, v1
	v_mov_b32_e32 v104, v2
	v_mov_b32_e32 v105, v3
	s_swappc_b64 s[30:31], s[36:37]
	v_mov_b32_e32 v4, v82
	v_mov_b32_e32 v5, v83
	v_mov_b32_e32 v6, v84
	v_mov_b32_e32 v7, v85
	v_mov_b32_e32 v106, v0
	v_mov_b32_e32 v107, v1
	v_mov_b32_e32 v108, v2
	v_mov_b32_e32 v109, v3
	s_swappc_b64 s[30:31], s[36:37]
	v_mov_b32_e32 v4, v78
	v_mov_b32_e32 v5, v79
	v_mov_b32_e32 v6, v80
	v_mov_b32_e32 v7, v81
	v_mov_b32_e32 v110, v0
	v_mov_b32_e32 v111, v1
	v_mov_b32_e32 v112, v2
	v_mov_b32_e32 v113, v3
	s_swappc_b64 s[30:31], s[36:37]
	v_mov_b32_e32 v4, v74
	v_mov_b32_e32 v5, v75
	v_mov_b32_e32 v6, v76
	v_mov_b32_e32 v7, v77
	v_mov_b32_e32 v114, v0
	v_mov_b32_e32 v115, v1
	v_mov_b32_e32 v116, v2
	v_mov_b32_e32 v117, v3
	s_swappc_b64 s[30:31], s[36:37]
	v_mov_b32_e32 v4, v70
	v_mov_b32_e32 v5, v71
	v_mov_b32_e32 v6, v72
	v_mov_b32_e32 v7, v73
	v_mov_b32_e32 v118, v0
	v_mov_b32_e32 v119, v1
	v_mov_b32_e32 v120, v2
	v_mov_b32_e32 v121, v3
	s_swappc_b64 s[30:31], s[36:37]
	v_mov_b32_e32 v4, v66
	v_mov_b32_e32 v5, v67
	v_mov_b32_e32 v6, v68
	v_mov_b32_e32 v7, v69
	v_mov_b32_e32 v122, v0
	v_mov_b32_e32 v123, v1
	v_mov_b32_e32 v124, v2
	v_mov_b32_e32 v125, v3
	s_swappc_b64 s[30:31], s[36:37]
	v_mov_b32_e32 v4, v62
	v_mov_b32_e32 v5, v63
	v_mov_b32_e32 v6, v64
	v_mov_b32_e32 v7, v65
	v_mov_b32_e32 v126, v0
	v_mov_b32_e32 v127, v1
	v_mov_b32_e32 v128, v2
	v_mov_b32_e32 v129, v3
	s_swappc_b64 s[30:31], s[36:37]
	v_mov_b32_e32 v40, v0
	v_mov_b32_e32 v41, v1
	;; [unrolled: 1-line block ×4, first 2 shown]
.LBB241_120:
	s_or_b64 exec, exec, s[38:39]
	s_movk_i32 s0, 0x7f
	v_cmp_eq_u32_e32 vcc, s0, v56
	s_and_saveexec_b64 s[0:1], vcc
	s_cbranch_execz .LBB241_122
; %bb.121:
	s_waitcnt lgkmcnt(3)
	v_mov_b32_e32 v0, 0
	s_waitcnt lgkmcnt(2)
	v_mov_b32_e32 v1, 2
	global_store_dword v0, v40, s[66:67] offset:1024 sc1
	global_store_dword v0, v41, s[66:67] offset:1028 sc1
	;; [unrolled: 1-line block ×4, first 2 shown]
	s_waitcnt vmcnt(0) lgkmcnt(0)
	global_store_byte v0, v1, s[46:47] offset:64 sc1
.LBB241_122:
	s_or_b64 exec, exec, s[0:1]
	v_mov_b64_e32 v[44:45], v[58:59]
	v_mov_b64_e32 v[46:47], v[60:61]
.LBB241_123:
	s_add_u32 s0, s60, s58
	s_addc_u32 s1, s61, s59
	s_add_u32 s0, s0, s56
	s_addc_u32 s1, s1, s57
	s_mov_b64 s[2:3], -1
	s_and_b64 vcc, exec, s[34:35]
	s_waitcnt lgkmcnt(0)
	s_barrier
	s_cbranch_vccz .LBB241_125
; %bb.124:
	v_mov_b32_e32 v131, 0
	ds_write_b128 v57, v[44:47]
	ds_write_b128 v57, v[98:101] offset:16
	ds_write_b128 v57, v[102:105] offset:32
	;; [unrolled: 1-line block ×9, first 2 shown]
	s_waitcnt lgkmcnt(0)
	s_barrier
	ds_read_b128 v[0:3], v130
	ds_read_b128 v[4:7], v130 offset:2048
	ds_read_b128 v[8:11], v130 offset:4096
	;; [unrolled: 1-line block ×9, first 2 shown]
	v_lshl_add_u64 v[48:49], s[0:1], 0, v[130:131]
	s_movk_i32 s2, 0x1000
	s_waitcnt lgkmcnt(9)
	global_store_dwordx4 v130, v[0:3], s[0:1]
	s_waitcnt lgkmcnt(8)
	global_store_dwordx4 v130, v[4:7], s[0:1] offset:2048
	v_add_co_u32_e32 v0, vcc, s2, v48
	s_movk_i32 s2, 0x2000
	s_nop 0
	v_addc_co_u32_e32 v1, vcc, 0, v49, vcc
	v_add_co_u32_e32 v2, vcc, s2, v48
	s_mov_b64 s[2:3], 0
	s_nop 0
	v_addc_co_u32_e32 v3, vcc, 0, v49, vcc
	s_waitcnt lgkmcnt(7)
	global_store_dwordx4 v[2:3], v[8:11], off offset:-4096
	s_waitcnt lgkmcnt(6)
	global_store_dwordx4 v[0:1], v[12:15], off offset:2048
	s_waitcnt lgkmcnt(5)
	global_store_dwordx4 v[2:3], v[16:19], off
	s_waitcnt lgkmcnt(4)
	global_store_dwordx4 v[2:3], v[20:23], off offset:2048
	v_add_co_u32_e32 v0, vcc, 0x3000, v48
	s_nop 1
	v_addc_co_u32_e32 v1, vcc, 0, v49, vcc
	s_waitcnt lgkmcnt(3)
	global_store_dwordx4 v[0:1], v[24:27], off
	s_waitcnt lgkmcnt(2)
	global_store_dwordx4 v[0:1], v[28:31], off offset:2048
	v_add_co_u32_e32 v0, vcc, 0x4000, v48
	s_nop 1
	v_addc_co_u32_e32 v1, vcc, 0, v49, vcc
	s_waitcnt lgkmcnt(1)
	global_store_dwordx4 v[0:1], v[32:35], off
	s_waitcnt lgkmcnt(0)
	global_store_dwordx4 v[0:1], v[36:39], off offset:2048
.LBB241_125:
	s_andn2_b64 vcc, exec, s[2:3]
	s_cbranch_vccnz .LBB241_181
; %bb.126:
	s_movk_i32 s2, 0xff70
	v_mad_i32_i24 v0, v56, s2, v57
	ds_write_b128 v57, v[44:47]
	ds_write_b128 v57, v[98:101] offset:16
	ds_write_b128 v57, v[102:105] offset:32
	;; [unrolled: 1-line block ×9, first 2 shown]
	s_waitcnt lgkmcnt(0)
	s_barrier
	ds_read_b128 v[6:9], v0
	ds_read_b128 v[2:5], v0 offset:2048
	ds_read_b128 v[10:13], v0 offset:4096
	;; [unrolled: 1-line block ×9, first 2 shown]
	v_mov_b32_e32 v131, 0
	v_lshl_add_u64 v[0:1], s[0:1], 0, v[130:131]
	v_cmp_gt_u32_e32 vcc, s33, v56
	s_and_saveexec_b64 s[0:1], vcc
	s_cbranch_execz .LBB241_128
; %bb.127:
	s_waitcnt lgkmcnt(9)
	global_store_dwordx4 v[0:1], v[6:9], off
.LBB241_128:
	s_or_b64 exec, exec, s[0:1]
	v_or_b32_e32 v42, 0x80, v56
	v_cmp_gt_u32_e32 vcc, s33, v42
	s_and_saveexec_b64 s[0:1], vcc
	s_cbranch_execz .LBB241_130
; %bb.129:
	s_waitcnt lgkmcnt(8)
	global_store_dwordx4 v[0:1], v[2:5], off offset:2048
.LBB241_130:
	s_or_b64 exec, exec, s[0:1]
	v_or_b32_e32 v42, 0x100, v56
	v_cmp_gt_u32_e32 vcc, s33, v42
	s_and_saveexec_b64 s[0:1], vcc
	s_cbranch_execz .LBB241_132
; %bb.131:
	v_add_co_u32_e32 v42, vcc, 0x1000, v0
	s_nop 1
	v_addc_co_u32_e32 v43, vcc, 0, v1, vcc
	s_waitcnt lgkmcnt(7)
	global_store_dwordx4 v[42:43], v[10:13], off
.LBB241_132:
	s_or_b64 exec, exec, s[0:1]
	v_or_b32_e32 v42, 0x180, v56
	v_cmp_gt_u32_e32 vcc, s33, v42
	s_and_saveexec_b64 s[0:1], vcc
	s_cbranch_execz .LBB241_134
; %bb.133:
	v_add_co_u32_e32 v42, vcc, 0x1000, v0
	s_nop 1
	v_addc_co_u32_e32 v43, vcc, 0, v1, vcc
	s_waitcnt lgkmcnt(6)
	global_store_dwordx4 v[42:43], v[14:17], off offset:2048
.LBB241_134:
	s_or_b64 exec, exec, s[0:1]
	v_or_b32_e32 v42, 0x200, v56
	v_cmp_gt_u32_e32 vcc, s33, v42
	s_and_saveexec_b64 s[0:1], vcc
	s_cbranch_execz .LBB241_136
; %bb.135:
	v_add_co_u32_e32 v42, vcc, 0x2000, v0
	s_nop 1
	v_addc_co_u32_e32 v43, vcc, 0, v1, vcc
	s_waitcnt lgkmcnt(5)
	global_store_dwordx4 v[42:43], v[22:25], off
.LBB241_136:
	s_or_b64 exec, exec, s[0:1]
	v_or_b32_e32 v42, 0x280, v56
	v_cmp_gt_u32_e32 vcc, s33, v42
	s_and_saveexec_b64 s[0:1], vcc
	s_cbranch_execz .LBB241_138
; %bb.137:
	v_add_co_u32_e32 v42, vcc, 0x2000, v0
	s_nop 1
	v_addc_co_u32_e32 v43, vcc, 0, v1, vcc
	s_waitcnt lgkmcnt(4)
	global_store_dwordx4 v[42:43], v[18:21], off offset:2048
.LBB241_138:
	;; [unrolled: 24-line block ×4, first 2 shown]
	s_or_b64 exec, exec, s[0:1]
	v_cmp_lt_u64_e64 s[0:1], s[54:55], 2
	s_and_b64 vcc, exec, s[0:1]
	s_cbranch_vccnz .LBB241_181
; %bb.147:
	s_add_u32 s0, s33, -1
	s_addc_u32 s1, s68, -1
	s_mul_i32 s5, s1, 0xcccccccd
	s_mul_hi_u32 s6, s0, 0xcccccccd
	s_mul_hi_u32 s4, s1, 0xcccccccd
	s_add_u32 s5, s5, s6
	s_mul_i32 s3, s0, 0xcccccccc
	s_addc_u32 s4, s4, 0
	s_mul_hi_u32 s2, s0, 0xcccccccc
	s_add_u32 s3, s3, s5
	s_addc_u32 s2, s2, 0
	s_add_u32 s2, s4, s2
	s_addc_u32 s3, 0, 0
	s_mul_i32 s5, s1, 0xcccccccc
	s_mul_hi_u32 s4, s1, 0xcccccccc
	s_add_u32 s2, s5, s2
	s_addc_u32 s3, s4, s3
	v_mov_b32_e32 v57, v131
	s_lshr_b64 s[2:3], s[2:3], 3
	v_cmp_eq_u64_e32 vcc, s[2:3], v[56:57]
	s_and_saveexec_b64 s[2:3], vcc
	s_cbranch_execz .LBB241_181
; %bb.148:
	v_mul_u32_u24_e32 v0, 10, v56
	v_mul_hi_u32_u24_e32 v1, 10, v56
	v_mov_b32_e32 v42, s1
	v_sub_co_u32_e32 v0, vcc, s0, v0
	s_nop 1
	v_subb_co_u32_e32 v1, vcc, v42, v1, vcc
	v_cmp_lt_i64_e32 vcc, 4, v[0:1]
	s_and_saveexec_b64 s[0:1], vcc
	s_xor_b64 s[0:1], exec, s[0:1]
	s_cbranch_execz .LBB241_166
; %bb.149:
	v_cmp_lt_i64_e32 vcc, 6, v[0:1]
	s_and_saveexec_b64 s[2:3], vcc
	s_xor_b64 s[2:3], exec, s[2:3]
	s_cbranch_execz .LBB241_159
; %bb.150:
	;; [unrolled: 5-line block ×4, first 2 shown]
	v_mov_b32_e32 v0, 0
	s_waitcnt lgkmcnt(0)
	global_store_dwordx4 v0, v[38:41], s[50:51]
                                        ; implicit-def: $vgpr26_vgpr27_vgpr28_vgpr29
.LBB241_153:
	s_andn2_saveexec_b64 s[6:7], s[6:7]
	s_cbranch_execz .LBB241_155
; %bb.154:
	v_mov_b32_e32 v0, 0
	s_waitcnt lgkmcnt(1)
	global_store_dwordx4 v0, v[26:29], s[50:51]
.LBB241_155:
	s_or_b64 exec, exec, s[6:7]
                                        ; implicit-def: $vgpr34_vgpr35_vgpr36_vgpr37
.LBB241_156:
	s_andn2_saveexec_b64 s[4:5], s[4:5]
	s_cbranch_execz .LBB241_158
; %bb.157:
	v_mov_b32_e32 v0, 0
	s_waitcnt lgkmcnt(2)
	global_store_dwordx4 v0, v[34:37], s[50:51]
.LBB241_158:
	s_or_b64 exec, exec, s[4:5]
                                        ; implicit-def: $vgpr18_vgpr19_vgpr20_vgpr21
                                        ; implicit-def: $vgpr0_vgpr1
                                        ; implicit-def: $vgpr30_vgpr31_vgpr32_vgpr33
.LBB241_159:
	s_andn2_saveexec_b64 s[2:3], s[2:3]
	s_cbranch_execz .LBB241_165
; %bb.160:
	v_cmp_lt_i64_e32 vcc, 5, v[0:1]
	s_and_saveexec_b64 s[4:5], vcc
	s_xor_b64 s[4:5], exec, s[4:5]
	s_cbranch_execz .LBB241_162
; %bb.161:
	v_mov_b32_e32 v0, 0
	s_waitcnt lgkmcnt(3)
	global_store_dwordx4 v0, v[30:33], s[50:51]
                                        ; implicit-def: $vgpr18_vgpr19_vgpr20_vgpr21
.LBB241_162:
	s_andn2_saveexec_b64 s[4:5], s[4:5]
	s_cbranch_execz .LBB241_164
; %bb.163:
	v_mov_b32_e32 v0, 0
	s_waitcnt lgkmcnt(4)
	global_store_dwordx4 v0, v[18:21], s[50:51]
.LBB241_164:
	s_or_b64 exec, exec, s[4:5]
.LBB241_165:
	s_or_b64 exec, exec, s[2:3]
                                        ; implicit-def: $vgpr0_vgpr1
                                        ; implicit-def: $vgpr14_vgpr15_vgpr16_vgpr17
                                        ; implicit-def: $vgpr10_vgpr11_vgpr12_vgpr13
                                        ; implicit-def: $vgpr2_vgpr3_vgpr4_vgpr5
                                        ; implicit-def: $vgpr22_vgpr23_vgpr24_vgpr25
                                        ; implicit-def: $vgpr6_vgpr7_vgpr8_vgpr9
.LBB241_166:
	s_andn2_saveexec_b64 s[0:1], s[0:1]
	s_cbranch_execz .LBB241_181
; %bb.167:
	v_cmp_lt_i64_e32 vcc, 2, v[0:1]
	s_and_saveexec_b64 s[0:1], vcc
	s_xor_b64 s[0:1], exec, s[0:1]
	s_cbranch_execz .LBB241_173
; %bb.168:
	v_cmp_lt_i64_e32 vcc, 3, v[0:1]
	s_and_saveexec_b64 s[2:3], vcc
	s_xor_b64 s[2:3], exec, s[2:3]
	s_cbranch_execz .LBB241_170
; %bb.169:
	v_mov_b32_e32 v0, 0
	s_waitcnt lgkmcnt(5)
	global_store_dwordx4 v0, v[22:25], s[50:51]
                                        ; implicit-def: $vgpr14_vgpr15_vgpr16_vgpr17
.LBB241_170:
	s_andn2_saveexec_b64 s[2:3], s[2:3]
	s_cbranch_execz .LBB241_172
; %bb.171:
	v_mov_b32_e32 v0, 0
	s_waitcnt lgkmcnt(6)
	global_store_dwordx4 v0, v[14:17], s[50:51]
.LBB241_172:
	s_or_b64 exec, exec, s[2:3]
                                        ; implicit-def: $vgpr0_vgpr1
                                        ; implicit-def: $vgpr10_vgpr11_vgpr12_vgpr13
                                        ; implicit-def: $vgpr2_vgpr3_vgpr4_vgpr5
                                        ; implicit-def: $vgpr6_vgpr7_vgpr8_vgpr9
.LBB241_173:
	s_andn2_saveexec_b64 s[0:1], s[0:1]
	s_cbranch_execz .LBB241_181
; %bb.174:
	v_cmp_lt_i64_e32 vcc, 1, v[0:1]
	s_and_saveexec_b64 s[0:1], vcc
	s_xor_b64 s[0:1], exec, s[0:1]
	s_cbranch_execz .LBB241_176
; %bb.175:
	v_mov_b32_e32 v0, 0
	s_waitcnt lgkmcnt(7)
	global_store_dwordx4 v0, v[10:13], s[50:51]
                                        ; implicit-def: $vgpr2_vgpr3_vgpr4_vgpr5
                                        ; implicit-def: $vgpr0_vgpr1
                                        ; implicit-def: $vgpr6_vgpr7_vgpr8_vgpr9
.LBB241_176:
	s_andn2_saveexec_b64 s[0:1], s[0:1]
	s_cbranch_execz .LBB241_181
; %bb.177:
	v_cmp_ne_u64_e32 vcc, 1, v[0:1]
	s_and_saveexec_b64 s[0:1], vcc
	s_xor_b64 s[0:1], exec, s[0:1]
	s_cbranch_execz .LBB241_179
; %bb.178:
	v_mov_b32_e32 v0, 0
	s_waitcnt lgkmcnt(9)
	global_store_dwordx4 v0, v[6:9], s[50:51]
                                        ; implicit-def: $vgpr2_vgpr3_vgpr4_vgpr5
.LBB241_179:
	s_andn2_saveexec_b64 s[0:1], s[0:1]
	s_cbranch_execz .LBB241_181
; %bb.180:
	v_mov_b32_e32 v0, 0
	s_waitcnt lgkmcnt(8)
	global_store_dwordx4 v0, v[2:5], s[50:51]
.LBB241_181:
	s_endpgm
	.section	.rodata,"a",@progbits
	.p2align	6, 0x0
	.amdhsa_kernel _ZN7rocprim17ROCPRIM_400000_NS6detail17trampoline_kernelINS0_14default_configENS1_20scan_config_selectorIN3c107complexIdEEEEZZNS1_9scan_implILNS1_25lookback_scan_determinismE0ELb0ELb0ES3_PKS7_PS7_S7_ZZZN2at6native31launch_logcumsumexp_cuda_kernelERKNSE_10TensorBaseESI_lENKUlvE_clEvENKUlvE1_clEvEUlS7_S7_E_S7_EEDaPvRmT3_T4_T5_mT6_P12ihipStream_tbENKUlT_T0_E_clISt17integral_constantIbLb0EESY_IbLb1EEEEDaSU_SV_EUlSU_E_NS1_11comp_targetILNS1_3genE0ELNS1_11target_archE4294967295ELNS1_3gpuE0ELNS1_3repE0EEENS1_30default_config_static_selectorELNS0_4arch9wavefront6targetE1EEEvT1_
		.amdhsa_group_segment_fixed_size 20480
		.amdhsa_private_segment_fixed_size 0
		.amdhsa_kernarg_size 128
		.amdhsa_user_sgpr_count 2
		.amdhsa_user_sgpr_dispatch_ptr 0
		.amdhsa_user_sgpr_queue_ptr 0
		.amdhsa_user_sgpr_kernarg_segment_ptr 1
		.amdhsa_user_sgpr_dispatch_id 0
		.amdhsa_user_sgpr_kernarg_preload_length 0
		.amdhsa_user_sgpr_kernarg_preload_offset 0
		.amdhsa_user_sgpr_private_segment_size 0
		.amdhsa_uses_dynamic_stack 0
		.amdhsa_enable_private_segment 0
		.amdhsa_system_sgpr_workgroup_id_x 1
		.amdhsa_system_sgpr_workgroup_id_y 0
		.amdhsa_system_sgpr_workgroup_id_z 0
		.amdhsa_system_sgpr_workgroup_info 0
		.amdhsa_system_vgpr_workitem_id 0
		.amdhsa_next_free_vgpr 133
		.amdhsa_next_free_sgpr 96
		.amdhsa_accum_offset 136
		.amdhsa_reserve_vcc 1
		.amdhsa_float_round_mode_32 0
		.amdhsa_float_round_mode_16_64 0
		.amdhsa_float_denorm_mode_32 3
		.amdhsa_float_denorm_mode_16_64 3
		.amdhsa_dx10_clamp 1
		.amdhsa_ieee_mode 1
		.amdhsa_fp16_overflow 0
		.amdhsa_tg_split 0
		.amdhsa_exception_fp_ieee_invalid_op 0
		.amdhsa_exception_fp_denorm_src 0
		.amdhsa_exception_fp_ieee_div_zero 0
		.amdhsa_exception_fp_ieee_overflow 0
		.amdhsa_exception_fp_ieee_underflow 0
		.amdhsa_exception_fp_ieee_inexact 0
		.amdhsa_exception_int_div_zero 0
	.end_amdhsa_kernel
	.section	.text._ZN7rocprim17ROCPRIM_400000_NS6detail17trampoline_kernelINS0_14default_configENS1_20scan_config_selectorIN3c107complexIdEEEEZZNS1_9scan_implILNS1_25lookback_scan_determinismE0ELb0ELb0ES3_PKS7_PS7_S7_ZZZN2at6native31launch_logcumsumexp_cuda_kernelERKNSE_10TensorBaseESI_lENKUlvE_clEvENKUlvE1_clEvEUlS7_S7_E_S7_EEDaPvRmT3_T4_T5_mT6_P12ihipStream_tbENKUlT_T0_E_clISt17integral_constantIbLb0EESY_IbLb1EEEEDaSU_SV_EUlSU_E_NS1_11comp_targetILNS1_3genE0ELNS1_11target_archE4294967295ELNS1_3gpuE0ELNS1_3repE0EEENS1_30default_config_static_selectorELNS0_4arch9wavefront6targetE1EEEvT1_,"axG",@progbits,_ZN7rocprim17ROCPRIM_400000_NS6detail17trampoline_kernelINS0_14default_configENS1_20scan_config_selectorIN3c107complexIdEEEEZZNS1_9scan_implILNS1_25lookback_scan_determinismE0ELb0ELb0ES3_PKS7_PS7_S7_ZZZN2at6native31launch_logcumsumexp_cuda_kernelERKNSE_10TensorBaseESI_lENKUlvE_clEvENKUlvE1_clEvEUlS7_S7_E_S7_EEDaPvRmT3_T4_T5_mT6_P12ihipStream_tbENKUlT_T0_E_clISt17integral_constantIbLb0EESY_IbLb1EEEEDaSU_SV_EUlSU_E_NS1_11comp_targetILNS1_3genE0ELNS1_11target_archE4294967295ELNS1_3gpuE0ELNS1_3repE0EEENS1_30default_config_static_selectorELNS0_4arch9wavefront6targetE1EEEvT1_,comdat
.Lfunc_end241:
	.size	_ZN7rocprim17ROCPRIM_400000_NS6detail17trampoline_kernelINS0_14default_configENS1_20scan_config_selectorIN3c107complexIdEEEEZZNS1_9scan_implILNS1_25lookback_scan_determinismE0ELb0ELb0ES3_PKS7_PS7_S7_ZZZN2at6native31launch_logcumsumexp_cuda_kernelERKNSE_10TensorBaseESI_lENKUlvE_clEvENKUlvE1_clEvEUlS7_S7_E_S7_EEDaPvRmT3_T4_T5_mT6_P12ihipStream_tbENKUlT_T0_E_clISt17integral_constantIbLb0EESY_IbLb1EEEEDaSU_SV_EUlSU_E_NS1_11comp_targetILNS1_3genE0ELNS1_11target_archE4294967295ELNS1_3gpuE0ELNS1_3repE0EEENS1_30default_config_static_selectorELNS0_4arch9wavefront6targetE1EEEvT1_, .Lfunc_end241-_ZN7rocprim17ROCPRIM_400000_NS6detail17trampoline_kernelINS0_14default_configENS1_20scan_config_selectorIN3c107complexIdEEEEZZNS1_9scan_implILNS1_25lookback_scan_determinismE0ELb0ELb0ES3_PKS7_PS7_S7_ZZZN2at6native31launch_logcumsumexp_cuda_kernelERKNSE_10TensorBaseESI_lENKUlvE_clEvENKUlvE1_clEvEUlS7_S7_E_S7_EEDaPvRmT3_T4_T5_mT6_P12ihipStream_tbENKUlT_T0_E_clISt17integral_constantIbLb0EESY_IbLb1EEEEDaSU_SV_EUlSU_E_NS1_11comp_targetILNS1_3genE0ELNS1_11target_archE4294967295ELNS1_3gpuE0ELNS1_3repE0EEENS1_30default_config_static_selectorELNS0_4arch9wavefront6targetE1EEEvT1_
                                        ; -- End function
	.set _ZN7rocprim17ROCPRIM_400000_NS6detail17trampoline_kernelINS0_14default_configENS1_20scan_config_selectorIN3c107complexIdEEEEZZNS1_9scan_implILNS1_25lookback_scan_determinismE0ELb0ELb0ES3_PKS7_PS7_S7_ZZZN2at6native31launch_logcumsumexp_cuda_kernelERKNSE_10TensorBaseESI_lENKUlvE_clEvENKUlvE1_clEvEUlS7_S7_E_S7_EEDaPvRmT3_T4_T5_mT6_P12ihipStream_tbENKUlT_T0_E_clISt17integral_constantIbLb0EESY_IbLb1EEEEDaSU_SV_EUlSU_E_NS1_11comp_targetILNS1_3genE0ELNS1_11target_archE4294967295ELNS1_3gpuE0ELNS1_3repE0EEENS1_30default_config_static_selectorELNS0_4arch9wavefront6targetE1EEEvT1_.num_vgpr, max(133, .L_ZZZZN2at6native31launch_logcumsumexp_cuda_kernelERKNS_10TensorBaseES3_lENKUlvE_clEvENKUlvE1_clEvENKUlN3c107complexIdEES8_E_clES8_S8_.num_vgpr)
	.set _ZN7rocprim17ROCPRIM_400000_NS6detail17trampoline_kernelINS0_14default_configENS1_20scan_config_selectorIN3c107complexIdEEEEZZNS1_9scan_implILNS1_25lookback_scan_determinismE0ELb0ELb0ES3_PKS7_PS7_S7_ZZZN2at6native31launch_logcumsumexp_cuda_kernelERKNSE_10TensorBaseESI_lENKUlvE_clEvENKUlvE1_clEvEUlS7_S7_E_S7_EEDaPvRmT3_T4_T5_mT6_P12ihipStream_tbENKUlT_T0_E_clISt17integral_constantIbLb0EESY_IbLb1EEEEDaSU_SV_EUlSU_E_NS1_11comp_targetILNS1_3genE0ELNS1_11target_archE4294967295ELNS1_3gpuE0ELNS1_3repE0EEENS1_30default_config_static_selectorELNS0_4arch9wavefront6targetE1EEEvT1_.num_agpr, max(0, .L_ZZZZN2at6native31launch_logcumsumexp_cuda_kernelERKNS_10TensorBaseES3_lENKUlvE_clEvENKUlvE1_clEvENKUlN3c107complexIdEES8_E_clES8_S8_.num_agpr)
	.set _ZN7rocprim17ROCPRIM_400000_NS6detail17trampoline_kernelINS0_14default_configENS1_20scan_config_selectorIN3c107complexIdEEEEZZNS1_9scan_implILNS1_25lookback_scan_determinismE0ELb0ELb0ES3_PKS7_PS7_S7_ZZZN2at6native31launch_logcumsumexp_cuda_kernelERKNSE_10TensorBaseESI_lENKUlvE_clEvENKUlvE1_clEvEUlS7_S7_E_S7_EEDaPvRmT3_T4_T5_mT6_P12ihipStream_tbENKUlT_T0_E_clISt17integral_constantIbLb0EESY_IbLb1EEEEDaSU_SV_EUlSU_E_NS1_11comp_targetILNS1_3genE0ELNS1_11target_archE4294967295ELNS1_3gpuE0ELNS1_3repE0EEENS1_30default_config_static_selectorELNS0_4arch9wavefront6targetE1EEEvT1_.numbered_sgpr, max(70, .L_ZZZZN2at6native31launch_logcumsumexp_cuda_kernelERKNS_10TensorBaseES3_lENKUlvE_clEvENKUlvE1_clEvENKUlN3c107complexIdEES8_E_clES8_S8_.numbered_sgpr)
	.set _ZN7rocprim17ROCPRIM_400000_NS6detail17trampoline_kernelINS0_14default_configENS1_20scan_config_selectorIN3c107complexIdEEEEZZNS1_9scan_implILNS1_25lookback_scan_determinismE0ELb0ELb0ES3_PKS7_PS7_S7_ZZZN2at6native31launch_logcumsumexp_cuda_kernelERKNSE_10TensorBaseESI_lENKUlvE_clEvENKUlvE1_clEvEUlS7_S7_E_S7_EEDaPvRmT3_T4_T5_mT6_P12ihipStream_tbENKUlT_T0_E_clISt17integral_constantIbLb0EESY_IbLb1EEEEDaSU_SV_EUlSU_E_NS1_11comp_targetILNS1_3genE0ELNS1_11target_archE4294967295ELNS1_3gpuE0ELNS1_3repE0EEENS1_30default_config_static_selectorELNS0_4arch9wavefront6targetE1EEEvT1_.num_named_barrier, max(0, .L_ZZZZN2at6native31launch_logcumsumexp_cuda_kernelERKNS_10TensorBaseES3_lENKUlvE_clEvENKUlvE1_clEvENKUlN3c107complexIdEES8_E_clES8_S8_.num_named_barrier)
	.set _ZN7rocprim17ROCPRIM_400000_NS6detail17trampoline_kernelINS0_14default_configENS1_20scan_config_selectorIN3c107complexIdEEEEZZNS1_9scan_implILNS1_25lookback_scan_determinismE0ELb0ELb0ES3_PKS7_PS7_S7_ZZZN2at6native31launch_logcumsumexp_cuda_kernelERKNSE_10TensorBaseESI_lENKUlvE_clEvENKUlvE1_clEvEUlS7_S7_E_S7_EEDaPvRmT3_T4_T5_mT6_P12ihipStream_tbENKUlT_T0_E_clISt17integral_constantIbLb0EESY_IbLb1EEEEDaSU_SV_EUlSU_E_NS1_11comp_targetILNS1_3genE0ELNS1_11target_archE4294967295ELNS1_3gpuE0ELNS1_3repE0EEENS1_30default_config_static_selectorELNS0_4arch9wavefront6targetE1EEEvT1_.private_seg_size, 0+max(.L_ZZZZN2at6native31launch_logcumsumexp_cuda_kernelERKNS_10TensorBaseES3_lENKUlvE_clEvENKUlvE1_clEvENKUlN3c107complexIdEES8_E_clES8_S8_.private_seg_size)
	.set _ZN7rocprim17ROCPRIM_400000_NS6detail17trampoline_kernelINS0_14default_configENS1_20scan_config_selectorIN3c107complexIdEEEEZZNS1_9scan_implILNS1_25lookback_scan_determinismE0ELb0ELb0ES3_PKS7_PS7_S7_ZZZN2at6native31launch_logcumsumexp_cuda_kernelERKNSE_10TensorBaseESI_lENKUlvE_clEvENKUlvE1_clEvEUlS7_S7_E_S7_EEDaPvRmT3_T4_T5_mT6_P12ihipStream_tbENKUlT_T0_E_clISt17integral_constantIbLb0EESY_IbLb1EEEEDaSU_SV_EUlSU_E_NS1_11comp_targetILNS1_3genE0ELNS1_11target_archE4294967295ELNS1_3gpuE0ELNS1_3repE0EEENS1_30default_config_static_selectorELNS0_4arch9wavefront6targetE1EEEvT1_.uses_vcc, or(1, .L_ZZZZN2at6native31launch_logcumsumexp_cuda_kernelERKNS_10TensorBaseES3_lENKUlvE_clEvENKUlvE1_clEvENKUlN3c107complexIdEES8_E_clES8_S8_.uses_vcc)
	.set _ZN7rocprim17ROCPRIM_400000_NS6detail17trampoline_kernelINS0_14default_configENS1_20scan_config_selectorIN3c107complexIdEEEEZZNS1_9scan_implILNS1_25lookback_scan_determinismE0ELb0ELb0ES3_PKS7_PS7_S7_ZZZN2at6native31launch_logcumsumexp_cuda_kernelERKNSE_10TensorBaseESI_lENKUlvE_clEvENKUlvE1_clEvEUlS7_S7_E_S7_EEDaPvRmT3_T4_T5_mT6_P12ihipStream_tbENKUlT_T0_E_clISt17integral_constantIbLb0EESY_IbLb1EEEEDaSU_SV_EUlSU_E_NS1_11comp_targetILNS1_3genE0ELNS1_11target_archE4294967295ELNS1_3gpuE0ELNS1_3repE0EEENS1_30default_config_static_selectorELNS0_4arch9wavefront6targetE1EEEvT1_.uses_flat_scratch, or(0, .L_ZZZZN2at6native31launch_logcumsumexp_cuda_kernelERKNS_10TensorBaseES3_lENKUlvE_clEvENKUlvE1_clEvENKUlN3c107complexIdEES8_E_clES8_S8_.uses_flat_scratch)
	.set _ZN7rocprim17ROCPRIM_400000_NS6detail17trampoline_kernelINS0_14default_configENS1_20scan_config_selectorIN3c107complexIdEEEEZZNS1_9scan_implILNS1_25lookback_scan_determinismE0ELb0ELb0ES3_PKS7_PS7_S7_ZZZN2at6native31launch_logcumsumexp_cuda_kernelERKNSE_10TensorBaseESI_lENKUlvE_clEvENKUlvE1_clEvEUlS7_S7_E_S7_EEDaPvRmT3_T4_T5_mT6_P12ihipStream_tbENKUlT_T0_E_clISt17integral_constantIbLb0EESY_IbLb1EEEEDaSU_SV_EUlSU_E_NS1_11comp_targetILNS1_3genE0ELNS1_11target_archE4294967295ELNS1_3gpuE0ELNS1_3repE0EEENS1_30default_config_static_selectorELNS0_4arch9wavefront6targetE1EEEvT1_.has_dyn_sized_stack, or(0, .L_ZZZZN2at6native31launch_logcumsumexp_cuda_kernelERKNS_10TensorBaseES3_lENKUlvE_clEvENKUlvE1_clEvENKUlN3c107complexIdEES8_E_clES8_S8_.has_dyn_sized_stack)
	.set _ZN7rocprim17ROCPRIM_400000_NS6detail17trampoline_kernelINS0_14default_configENS1_20scan_config_selectorIN3c107complexIdEEEEZZNS1_9scan_implILNS1_25lookback_scan_determinismE0ELb0ELb0ES3_PKS7_PS7_S7_ZZZN2at6native31launch_logcumsumexp_cuda_kernelERKNSE_10TensorBaseESI_lENKUlvE_clEvENKUlvE1_clEvEUlS7_S7_E_S7_EEDaPvRmT3_T4_T5_mT6_P12ihipStream_tbENKUlT_T0_E_clISt17integral_constantIbLb0EESY_IbLb1EEEEDaSU_SV_EUlSU_E_NS1_11comp_targetILNS1_3genE0ELNS1_11target_archE4294967295ELNS1_3gpuE0ELNS1_3repE0EEENS1_30default_config_static_selectorELNS0_4arch9wavefront6targetE1EEEvT1_.has_recursion, or(0, .L_ZZZZN2at6native31launch_logcumsumexp_cuda_kernelERKNS_10TensorBaseES3_lENKUlvE_clEvENKUlvE1_clEvENKUlN3c107complexIdEES8_E_clES8_S8_.has_recursion)
	.set _ZN7rocprim17ROCPRIM_400000_NS6detail17trampoline_kernelINS0_14default_configENS1_20scan_config_selectorIN3c107complexIdEEEEZZNS1_9scan_implILNS1_25lookback_scan_determinismE0ELb0ELb0ES3_PKS7_PS7_S7_ZZZN2at6native31launch_logcumsumexp_cuda_kernelERKNSE_10TensorBaseESI_lENKUlvE_clEvENKUlvE1_clEvEUlS7_S7_E_S7_EEDaPvRmT3_T4_T5_mT6_P12ihipStream_tbENKUlT_T0_E_clISt17integral_constantIbLb0EESY_IbLb1EEEEDaSU_SV_EUlSU_E_NS1_11comp_targetILNS1_3genE0ELNS1_11target_archE4294967295ELNS1_3gpuE0ELNS1_3repE0EEENS1_30default_config_static_selectorELNS0_4arch9wavefront6targetE1EEEvT1_.has_indirect_call, or(0, .L_ZZZZN2at6native31launch_logcumsumexp_cuda_kernelERKNS_10TensorBaseES3_lENKUlvE_clEvENKUlvE1_clEvENKUlN3c107complexIdEES8_E_clES8_S8_.has_indirect_call)
	.section	.AMDGPU.csdata,"",@progbits
; Kernel info:
; codeLenInByte = 8848
; TotalNumSgprs: 76
; NumVgprs: 133
; NumAgprs: 0
; TotalNumVgprs: 133
; ScratchSize: 0
; MemoryBound: 1
; FloatMode: 240
; IeeeMode: 1
; LDSByteSize: 20480 bytes/workgroup (compile time only)
; SGPRBlocks: 12
; VGPRBlocks: 16
; NumSGPRsForWavesPerEU: 102
; NumVGPRsForWavesPerEU: 133
; AccumOffset: 136
; Occupancy: 3
; WaveLimiterHint : 1
; COMPUTE_PGM_RSRC2:SCRATCH_EN: 0
; COMPUTE_PGM_RSRC2:USER_SGPR: 2
; COMPUTE_PGM_RSRC2:TRAP_HANDLER: 0
; COMPUTE_PGM_RSRC2:TGID_X_EN: 1
; COMPUTE_PGM_RSRC2:TGID_Y_EN: 0
; COMPUTE_PGM_RSRC2:TGID_Z_EN: 0
; COMPUTE_PGM_RSRC2:TIDIG_COMP_CNT: 0
; COMPUTE_PGM_RSRC3_GFX90A:ACCUM_OFFSET: 33
; COMPUTE_PGM_RSRC3_GFX90A:TG_SPLIT: 0
	.section	.text._ZN7rocprim17ROCPRIM_400000_NS6detail17trampoline_kernelINS0_14default_configENS1_20scan_config_selectorIN3c107complexIdEEEEZZNS1_9scan_implILNS1_25lookback_scan_determinismE0ELb0ELb0ES3_PKS7_PS7_S7_ZZZN2at6native31launch_logcumsumexp_cuda_kernelERKNSE_10TensorBaseESI_lENKUlvE_clEvENKUlvE1_clEvEUlS7_S7_E_S7_EEDaPvRmT3_T4_T5_mT6_P12ihipStream_tbENKUlT_T0_E_clISt17integral_constantIbLb0EESY_IbLb1EEEEDaSU_SV_EUlSU_E_NS1_11comp_targetILNS1_3genE5ELNS1_11target_archE942ELNS1_3gpuE9ELNS1_3repE0EEENS1_30default_config_static_selectorELNS0_4arch9wavefront6targetE1EEEvT1_,"axG",@progbits,_ZN7rocprim17ROCPRIM_400000_NS6detail17trampoline_kernelINS0_14default_configENS1_20scan_config_selectorIN3c107complexIdEEEEZZNS1_9scan_implILNS1_25lookback_scan_determinismE0ELb0ELb0ES3_PKS7_PS7_S7_ZZZN2at6native31launch_logcumsumexp_cuda_kernelERKNSE_10TensorBaseESI_lENKUlvE_clEvENKUlvE1_clEvEUlS7_S7_E_S7_EEDaPvRmT3_T4_T5_mT6_P12ihipStream_tbENKUlT_T0_E_clISt17integral_constantIbLb0EESY_IbLb1EEEEDaSU_SV_EUlSU_E_NS1_11comp_targetILNS1_3genE5ELNS1_11target_archE942ELNS1_3gpuE9ELNS1_3repE0EEENS1_30default_config_static_selectorELNS0_4arch9wavefront6targetE1EEEvT1_,comdat
	.globl	_ZN7rocprim17ROCPRIM_400000_NS6detail17trampoline_kernelINS0_14default_configENS1_20scan_config_selectorIN3c107complexIdEEEEZZNS1_9scan_implILNS1_25lookback_scan_determinismE0ELb0ELb0ES3_PKS7_PS7_S7_ZZZN2at6native31launch_logcumsumexp_cuda_kernelERKNSE_10TensorBaseESI_lENKUlvE_clEvENKUlvE1_clEvEUlS7_S7_E_S7_EEDaPvRmT3_T4_T5_mT6_P12ihipStream_tbENKUlT_T0_E_clISt17integral_constantIbLb0EESY_IbLb1EEEEDaSU_SV_EUlSU_E_NS1_11comp_targetILNS1_3genE5ELNS1_11target_archE942ELNS1_3gpuE9ELNS1_3repE0EEENS1_30default_config_static_selectorELNS0_4arch9wavefront6targetE1EEEvT1_ ; -- Begin function _ZN7rocprim17ROCPRIM_400000_NS6detail17trampoline_kernelINS0_14default_configENS1_20scan_config_selectorIN3c107complexIdEEEEZZNS1_9scan_implILNS1_25lookback_scan_determinismE0ELb0ELb0ES3_PKS7_PS7_S7_ZZZN2at6native31launch_logcumsumexp_cuda_kernelERKNSE_10TensorBaseESI_lENKUlvE_clEvENKUlvE1_clEvEUlS7_S7_E_S7_EEDaPvRmT3_T4_T5_mT6_P12ihipStream_tbENKUlT_T0_E_clISt17integral_constantIbLb0EESY_IbLb1EEEEDaSU_SV_EUlSU_E_NS1_11comp_targetILNS1_3genE5ELNS1_11target_archE942ELNS1_3gpuE9ELNS1_3repE0EEENS1_30default_config_static_selectorELNS0_4arch9wavefront6targetE1EEEvT1_
	.p2align	8
	.type	_ZN7rocprim17ROCPRIM_400000_NS6detail17trampoline_kernelINS0_14default_configENS1_20scan_config_selectorIN3c107complexIdEEEEZZNS1_9scan_implILNS1_25lookback_scan_determinismE0ELb0ELb0ES3_PKS7_PS7_S7_ZZZN2at6native31launch_logcumsumexp_cuda_kernelERKNSE_10TensorBaseESI_lENKUlvE_clEvENKUlvE1_clEvEUlS7_S7_E_S7_EEDaPvRmT3_T4_T5_mT6_P12ihipStream_tbENKUlT_T0_E_clISt17integral_constantIbLb0EESY_IbLb1EEEEDaSU_SV_EUlSU_E_NS1_11comp_targetILNS1_3genE5ELNS1_11target_archE942ELNS1_3gpuE9ELNS1_3repE0EEENS1_30default_config_static_selectorELNS0_4arch9wavefront6targetE1EEEvT1_,@function
_ZN7rocprim17ROCPRIM_400000_NS6detail17trampoline_kernelINS0_14default_configENS1_20scan_config_selectorIN3c107complexIdEEEEZZNS1_9scan_implILNS1_25lookback_scan_determinismE0ELb0ELb0ES3_PKS7_PS7_S7_ZZZN2at6native31launch_logcumsumexp_cuda_kernelERKNSE_10TensorBaseESI_lENKUlvE_clEvENKUlvE1_clEvEUlS7_S7_E_S7_EEDaPvRmT3_T4_T5_mT6_P12ihipStream_tbENKUlT_T0_E_clISt17integral_constantIbLb0EESY_IbLb1EEEEDaSU_SV_EUlSU_E_NS1_11comp_targetILNS1_3genE5ELNS1_11target_archE942ELNS1_3gpuE9ELNS1_3repE0EEENS1_30default_config_static_selectorELNS0_4arch9wavefront6targetE1EEEvT1_: ; @_ZN7rocprim17ROCPRIM_400000_NS6detail17trampoline_kernelINS0_14default_configENS1_20scan_config_selectorIN3c107complexIdEEEEZZNS1_9scan_implILNS1_25lookback_scan_determinismE0ELb0ELb0ES3_PKS7_PS7_S7_ZZZN2at6native31launch_logcumsumexp_cuda_kernelERKNSE_10TensorBaseESI_lENKUlvE_clEvENKUlvE1_clEvEUlS7_S7_E_S7_EEDaPvRmT3_T4_T5_mT6_P12ihipStream_tbENKUlT_T0_E_clISt17integral_constantIbLb0EESY_IbLb1EEEEDaSU_SV_EUlSU_E_NS1_11comp_targetILNS1_3genE5ELNS1_11target_archE942ELNS1_3gpuE9ELNS1_3repE0EEENS1_30default_config_static_selectorELNS0_4arch9wavefront6targetE1EEEvT1_
; %bb.0:
	.section	.rodata,"a",@progbits
	.p2align	6, 0x0
	.amdhsa_kernel _ZN7rocprim17ROCPRIM_400000_NS6detail17trampoline_kernelINS0_14default_configENS1_20scan_config_selectorIN3c107complexIdEEEEZZNS1_9scan_implILNS1_25lookback_scan_determinismE0ELb0ELb0ES3_PKS7_PS7_S7_ZZZN2at6native31launch_logcumsumexp_cuda_kernelERKNSE_10TensorBaseESI_lENKUlvE_clEvENKUlvE1_clEvEUlS7_S7_E_S7_EEDaPvRmT3_T4_T5_mT6_P12ihipStream_tbENKUlT_T0_E_clISt17integral_constantIbLb0EESY_IbLb1EEEEDaSU_SV_EUlSU_E_NS1_11comp_targetILNS1_3genE5ELNS1_11target_archE942ELNS1_3gpuE9ELNS1_3repE0EEENS1_30default_config_static_selectorELNS0_4arch9wavefront6targetE1EEEvT1_
		.amdhsa_group_segment_fixed_size 0
		.amdhsa_private_segment_fixed_size 0
		.amdhsa_kernarg_size 128
		.amdhsa_user_sgpr_count 2
		.amdhsa_user_sgpr_dispatch_ptr 0
		.amdhsa_user_sgpr_queue_ptr 0
		.amdhsa_user_sgpr_kernarg_segment_ptr 1
		.amdhsa_user_sgpr_dispatch_id 0
		.amdhsa_user_sgpr_kernarg_preload_length 0
		.amdhsa_user_sgpr_kernarg_preload_offset 0
		.amdhsa_user_sgpr_private_segment_size 0
		.amdhsa_uses_dynamic_stack 0
		.amdhsa_enable_private_segment 0
		.amdhsa_system_sgpr_workgroup_id_x 1
		.amdhsa_system_sgpr_workgroup_id_y 0
		.amdhsa_system_sgpr_workgroup_id_z 0
		.amdhsa_system_sgpr_workgroup_info 0
		.amdhsa_system_vgpr_workitem_id 0
		.amdhsa_next_free_vgpr 1
		.amdhsa_next_free_sgpr 0
		.amdhsa_accum_offset 4
		.amdhsa_reserve_vcc 0
		.amdhsa_float_round_mode_32 0
		.amdhsa_float_round_mode_16_64 0
		.amdhsa_float_denorm_mode_32 3
		.amdhsa_float_denorm_mode_16_64 3
		.amdhsa_dx10_clamp 1
		.amdhsa_ieee_mode 1
		.amdhsa_fp16_overflow 0
		.amdhsa_tg_split 0
		.amdhsa_exception_fp_ieee_invalid_op 0
		.amdhsa_exception_fp_denorm_src 0
		.amdhsa_exception_fp_ieee_div_zero 0
		.amdhsa_exception_fp_ieee_overflow 0
		.amdhsa_exception_fp_ieee_underflow 0
		.amdhsa_exception_fp_ieee_inexact 0
		.amdhsa_exception_int_div_zero 0
	.end_amdhsa_kernel
	.section	.text._ZN7rocprim17ROCPRIM_400000_NS6detail17trampoline_kernelINS0_14default_configENS1_20scan_config_selectorIN3c107complexIdEEEEZZNS1_9scan_implILNS1_25lookback_scan_determinismE0ELb0ELb0ES3_PKS7_PS7_S7_ZZZN2at6native31launch_logcumsumexp_cuda_kernelERKNSE_10TensorBaseESI_lENKUlvE_clEvENKUlvE1_clEvEUlS7_S7_E_S7_EEDaPvRmT3_T4_T5_mT6_P12ihipStream_tbENKUlT_T0_E_clISt17integral_constantIbLb0EESY_IbLb1EEEEDaSU_SV_EUlSU_E_NS1_11comp_targetILNS1_3genE5ELNS1_11target_archE942ELNS1_3gpuE9ELNS1_3repE0EEENS1_30default_config_static_selectorELNS0_4arch9wavefront6targetE1EEEvT1_,"axG",@progbits,_ZN7rocprim17ROCPRIM_400000_NS6detail17trampoline_kernelINS0_14default_configENS1_20scan_config_selectorIN3c107complexIdEEEEZZNS1_9scan_implILNS1_25lookback_scan_determinismE0ELb0ELb0ES3_PKS7_PS7_S7_ZZZN2at6native31launch_logcumsumexp_cuda_kernelERKNSE_10TensorBaseESI_lENKUlvE_clEvENKUlvE1_clEvEUlS7_S7_E_S7_EEDaPvRmT3_T4_T5_mT6_P12ihipStream_tbENKUlT_T0_E_clISt17integral_constantIbLb0EESY_IbLb1EEEEDaSU_SV_EUlSU_E_NS1_11comp_targetILNS1_3genE5ELNS1_11target_archE942ELNS1_3gpuE9ELNS1_3repE0EEENS1_30default_config_static_selectorELNS0_4arch9wavefront6targetE1EEEvT1_,comdat
.Lfunc_end242:
	.size	_ZN7rocprim17ROCPRIM_400000_NS6detail17trampoline_kernelINS0_14default_configENS1_20scan_config_selectorIN3c107complexIdEEEEZZNS1_9scan_implILNS1_25lookback_scan_determinismE0ELb0ELb0ES3_PKS7_PS7_S7_ZZZN2at6native31launch_logcumsumexp_cuda_kernelERKNSE_10TensorBaseESI_lENKUlvE_clEvENKUlvE1_clEvEUlS7_S7_E_S7_EEDaPvRmT3_T4_T5_mT6_P12ihipStream_tbENKUlT_T0_E_clISt17integral_constantIbLb0EESY_IbLb1EEEEDaSU_SV_EUlSU_E_NS1_11comp_targetILNS1_3genE5ELNS1_11target_archE942ELNS1_3gpuE9ELNS1_3repE0EEENS1_30default_config_static_selectorELNS0_4arch9wavefront6targetE1EEEvT1_, .Lfunc_end242-_ZN7rocprim17ROCPRIM_400000_NS6detail17trampoline_kernelINS0_14default_configENS1_20scan_config_selectorIN3c107complexIdEEEEZZNS1_9scan_implILNS1_25lookback_scan_determinismE0ELb0ELb0ES3_PKS7_PS7_S7_ZZZN2at6native31launch_logcumsumexp_cuda_kernelERKNSE_10TensorBaseESI_lENKUlvE_clEvENKUlvE1_clEvEUlS7_S7_E_S7_EEDaPvRmT3_T4_T5_mT6_P12ihipStream_tbENKUlT_T0_E_clISt17integral_constantIbLb0EESY_IbLb1EEEEDaSU_SV_EUlSU_E_NS1_11comp_targetILNS1_3genE5ELNS1_11target_archE942ELNS1_3gpuE9ELNS1_3repE0EEENS1_30default_config_static_selectorELNS0_4arch9wavefront6targetE1EEEvT1_
                                        ; -- End function
	.set _ZN7rocprim17ROCPRIM_400000_NS6detail17trampoline_kernelINS0_14default_configENS1_20scan_config_selectorIN3c107complexIdEEEEZZNS1_9scan_implILNS1_25lookback_scan_determinismE0ELb0ELb0ES3_PKS7_PS7_S7_ZZZN2at6native31launch_logcumsumexp_cuda_kernelERKNSE_10TensorBaseESI_lENKUlvE_clEvENKUlvE1_clEvEUlS7_S7_E_S7_EEDaPvRmT3_T4_T5_mT6_P12ihipStream_tbENKUlT_T0_E_clISt17integral_constantIbLb0EESY_IbLb1EEEEDaSU_SV_EUlSU_E_NS1_11comp_targetILNS1_3genE5ELNS1_11target_archE942ELNS1_3gpuE9ELNS1_3repE0EEENS1_30default_config_static_selectorELNS0_4arch9wavefront6targetE1EEEvT1_.num_vgpr, 0
	.set _ZN7rocprim17ROCPRIM_400000_NS6detail17trampoline_kernelINS0_14default_configENS1_20scan_config_selectorIN3c107complexIdEEEEZZNS1_9scan_implILNS1_25lookback_scan_determinismE0ELb0ELb0ES3_PKS7_PS7_S7_ZZZN2at6native31launch_logcumsumexp_cuda_kernelERKNSE_10TensorBaseESI_lENKUlvE_clEvENKUlvE1_clEvEUlS7_S7_E_S7_EEDaPvRmT3_T4_T5_mT6_P12ihipStream_tbENKUlT_T0_E_clISt17integral_constantIbLb0EESY_IbLb1EEEEDaSU_SV_EUlSU_E_NS1_11comp_targetILNS1_3genE5ELNS1_11target_archE942ELNS1_3gpuE9ELNS1_3repE0EEENS1_30default_config_static_selectorELNS0_4arch9wavefront6targetE1EEEvT1_.num_agpr, 0
	.set _ZN7rocprim17ROCPRIM_400000_NS6detail17trampoline_kernelINS0_14default_configENS1_20scan_config_selectorIN3c107complexIdEEEEZZNS1_9scan_implILNS1_25lookback_scan_determinismE0ELb0ELb0ES3_PKS7_PS7_S7_ZZZN2at6native31launch_logcumsumexp_cuda_kernelERKNSE_10TensorBaseESI_lENKUlvE_clEvENKUlvE1_clEvEUlS7_S7_E_S7_EEDaPvRmT3_T4_T5_mT6_P12ihipStream_tbENKUlT_T0_E_clISt17integral_constantIbLb0EESY_IbLb1EEEEDaSU_SV_EUlSU_E_NS1_11comp_targetILNS1_3genE5ELNS1_11target_archE942ELNS1_3gpuE9ELNS1_3repE0EEENS1_30default_config_static_selectorELNS0_4arch9wavefront6targetE1EEEvT1_.numbered_sgpr, 0
	.set _ZN7rocprim17ROCPRIM_400000_NS6detail17trampoline_kernelINS0_14default_configENS1_20scan_config_selectorIN3c107complexIdEEEEZZNS1_9scan_implILNS1_25lookback_scan_determinismE0ELb0ELb0ES3_PKS7_PS7_S7_ZZZN2at6native31launch_logcumsumexp_cuda_kernelERKNSE_10TensorBaseESI_lENKUlvE_clEvENKUlvE1_clEvEUlS7_S7_E_S7_EEDaPvRmT3_T4_T5_mT6_P12ihipStream_tbENKUlT_T0_E_clISt17integral_constantIbLb0EESY_IbLb1EEEEDaSU_SV_EUlSU_E_NS1_11comp_targetILNS1_3genE5ELNS1_11target_archE942ELNS1_3gpuE9ELNS1_3repE0EEENS1_30default_config_static_selectorELNS0_4arch9wavefront6targetE1EEEvT1_.num_named_barrier, 0
	.set _ZN7rocprim17ROCPRIM_400000_NS6detail17trampoline_kernelINS0_14default_configENS1_20scan_config_selectorIN3c107complexIdEEEEZZNS1_9scan_implILNS1_25lookback_scan_determinismE0ELb0ELb0ES3_PKS7_PS7_S7_ZZZN2at6native31launch_logcumsumexp_cuda_kernelERKNSE_10TensorBaseESI_lENKUlvE_clEvENKUlvE1_clEvEUlS7_S7_E_S7_EEDaPvRmT3_T4_T5_mT6_P12ihipStream_tbENKUlT_T0_E_clISt17integral_constantIbLb0EESY_IbLb1EEEEDaSU_SV_EUlSU_E_NS1_11comp_targetILNS1_3genE5ELNS1_11target_archE942ELNS1_3gpuE9ELNS1_3repE0EEENS1_30default_config_static_selectorELNS0_4arch9wavefront6targetE1EEEvT1_.private_seg_size, 0
	.set _ZN7rocprim17ROCPRIM_400000_NS6detail17trampoline_kernelINS0_14default_configENS1_20scan_config_selectorIN3c107complexIdEEEEZZNS1_9scan_implILNS1_25lookback_scan_determinismE0ELb0ELb0ES3_PKS7_PS7_S7_ZZZN2at6native31launch_logcumsumexp_cuda_kernelERKNSE_10TensorBaseESI_lENKUlvE_clEvENKUlvE1_clEvEUlS7_S7_E_S7_EEDaPvRmT3_T4_T5_mT6_P12ihipStream_tbENKUlT_T0_E_clISt17integral_constantIbLb0EESY_IbLb1EEEEDaSU_SV_EUlSU_E_NS1_11comp_targetILNS1_3genE5ELNS1_11target_archE942ELNS1_3gpuE9ELNS1_3repE0EEENS1_30default_config_static_selectorELNS0_4arch9wavefront6targetE1EEEvT1_.uses_vcc, 0
	.set _ZN7rocprim17ROCPRIM_400000_NS6detail17trampoline_kernelINS0_14default_configENS1_20scan_config_selectorIN3c107complexIdEEEEZZNS1_9scan_implILNS1_25lookback_scan_determinismE0ELb0ELb0ES3_PKS7_PS7_S7_ZZZN2at6native31launch_logcumsumexp_cuda_kernelERKNSE_10TensorBaseESI_lENKUlvE_clEvENKUlvE1_clEvEUlS7_S7_E_S7_EEDaPvRmT3_T4_T5_mT6_P12ihipStream_tbENKUlT_T0_E_clISt17integral_constantIbLb0EESY_IbLb1EEEEDaSU_SV_EUlSU_E_NS1_11comp_targetILNS1_3genE5ELNS1_11target_archE942ELNS1_3gpuE9ELNS1_3repE0EEENS1_30default_config_static_selectorELNS0_4arch9wavefront6targetE1EEEvT1_.uses_flat_scratch, 0
	.set _ZN7rocprim17ROCPRIM_400000_NS6detail17trampoline_kernelINS0_14default_configENS1_20scan_config_selectorIN3c107complexIdEEEEZZNS1_9scan_implILNS1_25lookback_scan_determinismE0ELb0ELb0ES3_PKS7_PS7_S7_ZZZN2at6native31launch_logcumsumexp_cuda_kernelERKNSE_10TensorBaseESI_lENKUlvE_clEvENKUlvE1_clEvEUlS7_S7_E_S7_EEDaPvRmT3_T4_T5_mT6_P12ihipStream_tbENKUlT_T0_E_clISt17integral_constantIbLb0EESY_IbLb1EEEEDaSU_SV_EUlSU_E_NS1_11comp_targetILNS1_3genE5ELNS1_11target_archE942ELNS1_3gpuE9ELNS1_3repE0EEENS1_30default_config_static_selectorELNS0_4arch9wavefront6targetE1EEEvT1_.has_dyn_sized_stack, 0
	.set _ZN7rocprim17ROCPRIM_400000_NS6detail17trampoline_kernelINS0_14default_configENS1_20scan_config_selectorIN3c107complexIdEEEEZZNS1_9scan_implILNS1_25lookback_scan_determinismE0ELb0ELb0ES3_PKS7_PS7_S7_ZZZN2at6native31launch_logcumsumexp_cuda_kernelERKNSE_10TensorBaseESI_lENKUlvE_clEvENKUlvE1_clEvEUlS7_S7_E_S7_EEDaPvRmT3_T4_T5_mT6_P12ihipStream_tbENKUlT_T0_E_clISt17integral_constantIbLb0EESY_IbLb1EEEEDaSU_SV_EUlSU_E_NS1_11comp_targetILNS1_3genE5ELNS1_11target_archE942ELNS1_3gpuE9ELNS1_3repE0EEENS1_30default_config_static_selectorELNS0_4arch9wavefront6targetE1EEEvT1_.has_recursion, 0
	.set _ZN7rocprim17ROCPRIM_400000_NS6detail17trampoline_kernelINS0_14default_configENS1_20scan_config_selectorIN3c107complexIdEEEEZZNS1_9scan_implILNS1_25lookback_scan_determinismE0ELb0ELb0ES3_PKS7_PS7_S7_ZZZN2at6native31launch_logcumsumexp_cuda_kernelERKNSE_10TensorBaseESI_lENKUlvE_clEvENKUlvE1_clEvEUlS7_S7_E_S7_EEDaPvRmT3_T4_T5_mT6_P12ihipStream_tbENKUlT_T0_E_clISt17integral_constantIbLb0EESY_IbLb1EEEEDaSU_SV_EUlSU_E_NS1_11comp_targetILNS1_3genE5ELNS1_11target_archE942ELNS1_3gpuE9ELNS1_3repE0EEENS1_30default_config_static_selectorELNS0_4arch9wavefront6targetE1EEEvT1_.has_indirect_call, 0
	.section	.AMDGPU.csdata,"",@progbits
; Kernel info:
; codeLenInByte = 0
; TotalNumSgprs: 6
; NumVgprs: 0
; NumAgprs: 0
; TotalNumVgprs: 0
; ScratchSize: 0
; MemoryBound: 0
; FloatMode: 240
; IeeeMode: 1
; LDSByteSize: 0 bytes/workgroup (compile time only)
; SGPRBlocks: 0
; VGPRBlocks: 0
; NumSGPRsForWavesPerEU: 6
; NumVGPRsForWavesPerEU: 1
; AccumOffset: 4
; Occupancy: 8
; WaveLimiterHint : 0
; COMPUTE_PGM_RSRC2:SCRATCH_EN: 0
; COMPUTE_PGM_RSRC2:USER_SGPR: 2
; COMPUTE_PGM_RSRC2:TRAP_HANDLER: 0
; COMPUTE_PGM_RSRC2:TGID_X_EN: 1
; COMPUTE_PGM_RSRC2:TGID_Y_EN: 0
; COMPUTE_PGM_RSRC2:TGID_Z_EN: 0
; COMPUTE_PGM_RSRC2:TIDIG_COMP_CNT: 0
; COMPUTE_PGM_RSRC3_GFX90A:ACCUM_OFFSET: 0
; COMPUTE_PGM_RSRC3_GFX90A:TG_SPLIT: 0
	.section	.text._ZN7rocprim17ROCPRIM_400000_NS6detail17trampoline_kernelINS0_14default_configENS1_20scan_config_selectorIN3c107complexIdEEEEZZNS1_9scan_implILNS1_25lookback_scan_determinismE0ELb0ELb0ES3_PKS7_PS7_S7_ZZZN2at6native31launch_logcumsumexp_cuda_kernelERKNSE_10TensorBaseESI_lENKUlvE_clEvENKUlvE1_clEvEUlS7_S7_E_S7_EEDaPvRmT3_T4_T5_mT6_P12ihipStream_tbENKUlT_T0_E_clISt17integral_constantIbLb0EESY_IbLb1EEEEDaSU_SV_EUlSU_E_NS1_11comp_targetILNS1_3genE4ELNS1_11target_archE910ELNS1_3gpuE8ELNS1_3repE0EEENS1_30default_config_static_selectorELNS0_4arch9wavefront6targetE1EEEvT1_,"axG",@progbits,_ZN7rocprim17ROCPRIM_400000_NS6detail17trampoline_kernelINS0_14default_configENS1_20scan_config_selectorIN3c107complexIdEEEEZZNS1_9scan_implILNS1_25lookback_scan_determinismE0ELb0ELb0ES3_PKS7_PS7_S7_ZZZN2at6native31launch_logcumsumexp_cuda_kernelERKNSE_10TensorBaseESI_lENKUlvE_clEvENKUlvE1_clEvEUlS7_S7_E_S7_EEDaPvRmT3_T4_T5_mT6_P12ihipStream_tbENKUlT_T0_E_clISt17integral_constantIbLb0EESY_IbLb1EEEEDaSU_SV_EUlSU_E_NS1_11comp_targetILNS1_3genE4ELNS1_11target_archE910ELNS1_3gpuE8ELNS1_3repE0EEENS1_30default_config_static_selectorELNS0_4arch9wavefront6targetE1EEEvT1_,comdat
	.globl	_ZN7rocprim17ROCPRIM_400000_NS6detail17trampoline_kernelINS0_14default_configENS1_20scan_config_selectorIN3c107complexIdEEEEZZNS1_9scan_implILNS1_25lookback_scan_determinismE0ELb0ELb0ES3_PKS7_PS7_S7_ZZZN2at6native31launch_logcumsumexp_cuda_kernelERKNSE_10TensorBaseESI_lENKUlvE_clEvENKUlvE1_clEvEUlS7_S7_E_S7_EEDaPvRmT3_T4_T5_mT6_P12ihipStream_tbENKUlT_T0_E_clISt17integral_constantIbLb0EESY_IbLb1EEEEDaSU_SV_EUlSU_E_NS1_11comp_targetILNS1_3genE4ELNS1_11target_archE910ELNS1_3gpuE8ELNS1_3repE0EEENS1_30default_config_static_selectorELNS0_4arch9wavefront6targetE1EEEvT1_ ; -- Begin function _ZN7rocprim17ROCPRIM_400000_NS6detail17trampoline_kernelINS0_14default_configENS1_20scan_config_selectorIN3c107complexIdEEEEZZNS1_9scan_implILNS1_25lookback_scan_determinismE0ELb0ELb0ES3_PKS7_PS7_S7_ZZZN2at6native31launch_logcumsumexp_cuda_kernelERKNSE_10TensorBaseESI_lENKUlvE_clEvENKUlvE1_clEvEUlS7_S7_E_S7_EEDaPvRmT3_T4_T5_mT6_P12ihipStream_tbENKUlT_T0_E_clISt17integral_constantIbLb0EESY_IbLb1EEEEDaSU_SV_EUlSU_E_NS1_11comp_targetILNS1_3genE4ELNS1_11target_archE910ELNS1_3gpuE8ELNS1_3repE0EEENS1_30default_config_static_selectorELNS0_4arch9wavefront6targetE1EEEvT1_
	.p2align	8
	.type	_ZN7rocprim17ROCPRIM_400000_NS6detail17trampoline_kernelINS0_14default_configENS1_20scan_config_selectorIN3c107complexIdEEEEZZNS1_9scan_implILNS1_25lookback_scan_determinismE0ELb0ELb0ES3_PKS7_PS7_S7_ZZZN2at6native31launch_logcumsumexp_cuda_kernelERKNSE_10TensorBaseESI_lENKUlvE_clEvENKUlvE1_clEvEUlS7_S7_E_S7_EEDaPvRmT3_T4_T5_mT6_P12ihipStream_tbENKUlT_T0_E_clISt17integral_constantIbLb0EESY_IbLb1EEEEDaSU_SV_EUlSU_E_NS1_11comp_targetILNS1_3genE4ELNS1_11target_archE910ELNS1_3gpuE8ELNS1_3repE0EEENS1_30default_config_static_selectorELNS0_4arch9wavefront6targetE1EEEvT1_,@function
_ZN7rocprim17ROCPRIM_400000_NS6detail17trampoline_kernelINS0_14default_configENS1_20scan_config_selectorIN3c107complexIdEEEEZZNS1_9scan_implILNS1_25lookback_scan_determinismE0ELb0ELb0ES3_PKS7_PS7_S7_ZZZN2at6native31launch_logcumsumexp_cuda_kernelERKNSE_10TensorBaseESI_lENKUlvE_clEvENKUlvE1_clEvEUlS7_S7_E_S7_EEDaPvRmT3_T4_T5_mT6_P12ihipStream_tbENKUlT_T0_E_clISt17integral_constantIbLb0EESY_IbLb1EEEEDaSU_SV_EUlSU_E_NS1_11comp_targetILNS1_3genE4ELNS1_11target_archE910ELNS1_3gpuE8ELNS1_3repE0EEENS1_30default_config_static_selectorELNS0_4arch9wavefront6targetE1EEEvT1_: ; @_ZN7rocprim17ROCPRIM_400000_NS6detail17trampoline_kernelINS0_14default_configENS1_20scan_config_selectorIN3c107complexIdEEEEZZNS1_9scan_implILNS1_25lookback_scan_determinismE0ELb0ELb0ES3_PKS7_PS7_S7_ZZZN2at6native31launch_logcumsumexp_cuda_kernelERKNSE_10TensorBaseESI_lENKUlvE_clEvENKUlvE1_clEvEUlS7_S7_E_S7_EEDaPvRmT3_T4_T5_mT6_P12ihipStream_tbENKUlT_T0_E_clISt17integral_constantIbLb0EESY_IbLb1EEEEDaSU_SV_EUlSU_E_NS1_11comp_targetILNS1_3genE4ELNS1_11target_archE910ELNS1_3gpuE8ELNS1_3repE0EEENS1_30default_config_static_selectorELNS0_4arch9wavefront6targetE1EEEvT1_
; %bb.0:
	.section	.rodata,"a",@progbits
	.p2align	6, 0x0
	.amdhsa_kernel _ZN7rocprim17ROCPRIM_400000_NS6detail17trampoline_kernelINS0_14default_configENS1_20scan_config_selectorIN3c107complexIdEEEEZZNS1_9scan_implILNS1_25lookback_scan_determinismE0ELb0ELb0ES3_PKS7_PS7_S7_ZZZN2at6native31launch_logcumsumexp_cuda_kernelERKNSE_10TensorBaseESI_lENKUlvE_clEvENKUlvE1_clEvEUlS7_S7_E_S7_EEDaPvRmT3_T4_T5_mT6_P12ihipStream_tbENKUlT_T0_E_clISt17integral_constantIbLb0EESY_IbLb1EEEEDaSU_SV_EUlSU_E_NS1_11comp_targetILNS1_3genE4ELNS1_11target_archE910ELNS1_3gpuE8ELNS1_3repE0EEENS1_30default_config_static_selectorELNS0_4arch9wavefront6targetE1EEEvT1_
		.amdhsa_group_segment_fixed_size 0
		.amdhsa_private_segment_fixed_size 0
		.amdhsa_kernarg_size 128
		.amdhsa_user_sgpr_count 2
		.amdhsa_user_sgpr_dispatch_ptr 0
		.amdhsa_user_sgpr_queue_ptr 0
		.amdhsa_user_sgpr_kernarg_segment_ptr 1
		.amdhsa_user_sgpr_dispatch_id 0
		.amdhsa_user_sgpr_kernarg_preload_length 0
		.amdhsa_user_sgpr_kernarg_preload_offset 0
		.amdhsa_user_sgpr_private_segment_size 0
		.amdhsa_uses_dynamic_stack 0
		.amdhsa_enable_private_segment 0
		.amdhsa_system_sgpr_workgroup_id_x 1
		.amdhsa_system_sgpr_workgroup_id_y 0
		.amdhsa_system_sgpr_workgroup_id_z 0
		.amdhsa_system_sgpr_workgroup_info 0
		.amdhsa_system_vgpr_workitem_id 0
		.amdhsa_next_free_vgpr 1
		.amdhsa_next_free_sgpr 0
		.amdhsa_accum_offset 4
		.amdhsa_reserve_vcc 0
		.amdhsa_float_round_mode_32 0
		.amdhsa_float_round_mode_16_64 0
		.amdhsa_float_denorm_mode_32 3
		.amdhsa_float_denorm_mode_16_64 3
		.amdhsa_dx10_clamp 1
		.amdhsa_ieee_mode 1
		.amdhsa_fp16_overflow 0
		.amdhsa_tg_split 0
		.amdhsa_exception_fp_ieee_invalid_op 0
		.amdhsa_exception_fp_denorm_src 0
		.amdhsa_exception_fp_ieee_div_zero 0
		.amdhsa_exception_fp_ieee_overflow 0
		.amdhsa_exception_fp_ieee_underflow 0
		.amdhsa_exception_fp_ieee_inexact 0
		.amdhsa_exception_int_div_zero 0
	.end_amdhsa_kernel
	.section	.text._ZN7rocprim17ROCPRIM_400000_NS6detail17trampoline_kernelINS0_14default_configENS1_20scan_config_selectorIN3c107complexIdEEEEZZNS1_9scan_implILNS1_25lookback_scan_determinismE0ELb0ELb0ES3_PKS7_PS7_S7_ZZZN2at6native31launch_logcumsumexp_cuda_kernelERKNSE_10TensorBaseESI_lENKUlvE_clEvENKUlvE1_clEvEUlS7_S7_E_S7_EEDaPvRmT3_T4_T5_mT6_P12ihipStream_tbENKUlT_T0_E_clISt17integral_constantIbLb0EESY_IbLb1EEEEDaSU_SV_EUlSU_E_NS1_11comp_targetILNS1_3genE4ELNS1_11target_archE910ELNS1_3gpuE8ELNS1_3repE0EEENS1_30default_config_static_selectorELNS0_4arch9wavefront6targetE1EEEvT1_,"axG",@progbits,_ZN7rocprim17ROCPRIM_400000_NS6detail17trampoline_kernelINS0_14default_configENS1_20scan_config_selectorIN3c107complexIdEEEEZZNS1_9scan_implILNS1_25lookback_scan_determinismE0ELb0ELb0ES3_PKS7_PS7_S7_ZZZN2at6native31launch_logcumsumexp_cuda_kernelERKNSE_10TensorBaseESI_lENKUlvE_clEvENKUlvE1_clEvEUlS7_S7_E_S7_EEDaPvRmT3_T4_T5_mT6_P12ihipStream_tbENKUlT_T0_E_clISt17integral_constantIbLb0EESY_IbLb1EEEEDaSU_SV_EUlSU_E_NS1_11comp_targetILNS1_3genE4ELNS1_11target_archE910ELNS1_3gpuE8ELNS1_3repE0EEENS1_30default_config_static_selectorELNS0_4arch9wavefront6targetE1EEEvT1_,comdat
.Lfunc_end243:
	.size	_ZN7rocprim17ROCPRIM_400000_NS6detail17trampoline_kernelINS0_14default_configENS1_20scan_config_selectorIN3c107complexIdEEEEZZNS1_9scan_implILNS1_25lookback_scan_determinismE0ELb0ELb0ES3_PKS7_PS7_S7_ZZZN2at6native31launch_logcumsumexp_cuda_kernelERKNSE_10TensorBaseESI_lENKUlvE_clEvENKUlvE1_clEvEUlS7_S7_E_S7_EEDaPvRmT3_T4_T5_mT6_P12ihipStream_tbENKUlT_T0_E_clISt17integral_constantIbLb0EESY_IbLb1EEEEDaSU_SV_EUlSU_E_NS1_11comp_targetILNS1_3genE4ELNS1_11target_archE910ELNS1_3gpuE8ELNS1_3repE0EEENS1_30default_config_static_selectorELNS0_4arch9wavefront6targetE1EEEvT1_, .Lfunc_end243-_ZN7rocprim17ROCPRIM_400000_NS6detail17trampoline_kernelINS0_14default_configENS1_20scan_config_selectorIN3c107complexIdEEEEZZNS1_9scan_implILNS1_25lookback_scan_determinismE0ELb0ELb0ES3_PKS7_PS7_S7_ZZZN2at6native31launch_logcumsumexp_cuda_kernelERKNSE_10TensorBaseESI_lENKUlvE_clEvENKUlvE1_clEvEUlS7_S7_E_S7_EEDaPvRmT3_T4_T5_mT6_P12ihipStream_tbENKUlT_T0_E_clISt17integral_constantIbLb0EESY_IbLb1EEEEDaSU_SV_EUlSU_E_NS1_11comp_targetILNS1_3genE4ELNS1_11target_archE910ELNS1_3gpuE8ELNS1_3repE0EEENS1_30default_config_static_selectorELNS0_4arch9wavefront6targetE1EEEvT1_
                                        ; -- End function
	.set _ZN7rocprim17ROCPRIM_400000_NS6detail17trampoline_kernelINS0_14default_configENS1_20scan_config_selectorIN3c107complexIdEEEEZZNS1_9scan_implILNS1_25lookback_scan_determinismE0ELb0ELb0ES3_PKS7_PS7_S7_ZZZN2at6native31launch_logcumsumexp_cuda_kernelERKNSE_10TensorBaseESI_lENKUlvE_clEvENKUlvE1_clEvEUlS7_S7_E_S7_EEDaPvRmT3_T4_T5_mT6_P12ihipStream_tbENKUlT_T0_E_clISt17integral_constantIbLb0EESY_IbLb1EEEEDaSU_SV_EUlSU_E_NS1_11comp_targetILNS1_3genE4ELNS1_11target_archE910ELNS1_3gpuE8ELNS1_3repE0EEENS1_30default_config_static_selectorELNS0_4arch9wavefront6targetE1EEEvT1_.num_vgpr, 0
	.set _ZN7rocprim17ROCPRIM_400000_NS6detail17trampoline_kernelINS0_14default_configENS1_20scan_config_selectorIN3c107complexIdEEEEZZNS1_9scan_implILNS1_25lookback_scan_determinismE0ELb0ELb0ES3_PKS7_PS7_S7_ZZZN2at6native31launch_logcumsumexp_cuda_kernelERKNSE_10TensorBaseESI_lENKUlvE_clEvENKUlvE1_clEvEUlS7_S7_E_S7_EEDaPvRmT3_T4_T5_mT6_P12ihipStream_tbENKUlT_T0_E_clISt17integral_constantIbLb0EESY_IbLb1EEEEDaSU_SV_EUlSU_E_NS1_11comp_targetILNS1_3genE4ELNS1_11target_archE910ELNS1_3gpuE8ELNS1_3repE0EEENS1_30default_config_static_selectorELNS0_4arch9wavefront6targetE1EEEvT1_.num_agpr, 0
	.set _ZN7rocprim17ROCPRIM_400000_NS6detail17trampoline_kernelINS0_14default_configENS1_20scan_config_selectorIN3c107complexIdEEEEZZNS1_9scan_implILNS1_25lookback_scan_determinismE0ELb0ELb0ES3_PKS7_PS7_S7_ZZZN2at6native31launch_logcumsumexp_cuda_kernelERKNSE_10TensorBaseESI_lENKUlvE_clEvENKUlvE1_clEvEUlS7_S7_E_S7_EEDaPvRmT3_T4_T5_mT6_P12ihipStream_tbENKUlT_T0_E_clISt17integral_constantIbLb0EESY_IbLb1EEEEDaSU_SV_EUlSU_E_NS1_11comp_targetILNS1_3genE4ELNS1_11target_archE910ELNS1_3gpuE8ELNS1_3repE0EEENS1_30default_config_static_selectorELNS0_4arch9wavefront6targetE1EEEvT1_.numbered_sgpr, 0
	.set _ZN7rocprim17ROCPRIM_400000_NS6detail17trampoline_kernelINS0_14default_configENS1_20scan_config_selectorIN3c107complexIdEEEEZZNS1_9scan_implILNS1_25lookback_scan_determinismE0ELb0ELb0ES3_PKS7_PS7_S7_ZZZN2at6native31launch_logcumsumexp_cuda_kernelERKNSE_10TensorBaseESI_lENKUlvE_clEvENKUlvE1_clEvEUlS7_S7_E_S7_EEDaPvRmT3_T4_T5_mT6_P12ihipStream_tbENKUlT_T0_E_clISt17integral_constantIbLb0EESY_IbLb1EEEEDaSU_SV_EUlSU_E_NS1_11comp_targetILNS1_3genE4ELNS1_11target_archE910ELNS1_3gpuE8ELNS1_3repE0EEENS1_30default_config_static_selectorELNS0_4arch9wavefront6targetE1EEEvT1_.num_named_barrier, 0
	.set _ZN7rocprim17ROCPRIM_400000_NS6detail17trampoline_kernelINS0_14default_configENS1_20scan_config_selectorIN3c107complexIdEEEEZZNS1_9scan_implILNS1_25lookback_scan_determinismE0ELb0ELb0ES3_PKS7_PS7_S7_ZZZN2at6native31launch_logcumsumexp_cuda_kernelERKNSE_10TensorBaseESI_lENKUlvE_clEvENKUlvE1_clEvEUlS7_S7_E_S7_EEDaPvRmT3_T4_T5_mT6_P12ihipStream_tbENKUlT_T0_E_clISt17integral_constantIbLb0EESY_IbLb1EEEEDaSU_SV_EUlSU_E_NS1_11comp_targetILNS1_3genE4ELNS1_11target_archE910ELNS1_3gpuE8ELNS1_3repE0EEENS1_30default_config_static_selectorELNS0_4arch9wavefront6targetE1EEEvT1_.private_seg_size, 0
	.set _ZN7rocprim17ROCPRIM_400000_NS6detail17trampoline_kernelINS0_14default_configENS1_20scan_config_selectorIN3c107complexIdEEEEZZNS1_9scan_implILNS1_25lookback_scan_determinismE0ELb0ELb0ES3_PKS7_PS7_S7_ZZZN2at6native31launch_logcumsumexp_cuda_kernelERKNSE_10TensorBaseESI_lENKUlvE_clEvENKUlvE1_clEvEUlS7_S7_E_S7_EEDaPvRmT3_T4_T5_mT6_P12ihipStream_tbENKUlT_T0_E_clISt17integral_constantIbLb0EESY_IbLb1EEEEDaSU_SV_EUlSU_E_NS1_11comp_targetILNS1_3genE4ELNS1_11target_archE910ELNS1_3gpuE8ELNS1_3repE0EEENS1_30default_config_static_selectorELNS0_4arch9wavefront6targetE1EEEvT1_.uses_vcc, 0
	.set _ZN7rocprim17ROCPRIM_400000_NS6detail17trampoline_kernelINS0_14default_configENS1_20scan_config_selectorIN3c107complexIdEEEEZZNS1_9scan_implILNS1_25lookback_scan_determinismE0ELb0ELb0ES3_PKS7_PS7_S7_ZZZN2at6native31launch_logcumsumexp_cuda_kernelERKNSE_10TensorBaseESI_lENKUlvE_clEvENKUlvE1_clEvEUlS7_S7_E_S7_EEDaPvRmT3_T4_T5_mT6_P12ihipStream_tbENKUlT_T0_E_clISt17integral_constantIbLb0EESY_IbLb1EEEEDaSU_SV_EUlSU_E_NS1_11comp_targetILNS1_3genE4ELNS1_11target_archE910ELNS1_3gpuE8ELNS1_3repE0EEENS1_30default_config_static_selectorELNS0_4arch9wavefront6targetE1EEEvT1_.uses_flat_scratch, 0
	.set _ZN7rocprim17ROCPRIM_400000_NS6detail17trampoline_kernelINS0_14default_configENS1_20scan_config_selectorIN3c107complexIdEEEEZZNS1_9scan_implILNS1_25lookback_scan_determinismE0ELb0ELb0ES3_PKS7_PS7_S7_ZZZN2at6native31launch_logcumsumexp_cuda_kernelERKNSE_10TensorBaseESI_lENKUlvE_clEvENKUlvE1_clEvEUlS7_S7_E_S7_EEDaPvRmT3_T4_T5_mT6_P12ihipStream_tbENKUlT_T0_E_clISt17integral_constantIbLb0EESY_IbLb1EEEEDaSU_SV_EUlSU_E_NS1_11comp_targetILNS1_3genE4ELNS1_11target_archE910ELNS1_3gpuE8ELNS1_3repE0EEENS1_30default_config_static_selectorELNS0_4arch9wavefront6targetE1EEEvT1_.has_dyn_sized_stack, 0
	.set _ZN7rocprim17ROCPRIM_400000_NS6detail17trampoline_kernelINS0_14default_configENS1_20scan_config_selectorIN3c107complexIdEEEEZZNS1_9scan_implILNS1_25lookback_scan_determinismE0ELb0ELb0ES3_PKS7_PS7_S7_ZZZN2at6native31launch_logcumsumexp_cuda_kernelERKNSE_10TensorBaseESI_lENKUlvE_clEvENKUlvE1_clEvEUlS7_S7_E_S7_EEDaPvRmT3_T4_T5_mT6_P12ihipStream_tbENKUlT_T0_E_clISt17integral_constantIbLb0EESY_IbLb1EEEEDaSU_SV_EUlSU_E_NS1_11comp_targetILNS1_3genE4ELNS1_11target_archE910ELNS1_3gpuE8ELNS1_3repE0EEENS1_30default_config_static_selectorELNS0_4arch9wavefront6targetE1EEEvT1_.has_recursion, 0
	.set _ZN7rocprim17ROCPRIM_400000_NS6detail17trampoline_kernelINS0_14default_configENS1_20scan_config_selectorIN3c107complexIdEEEEZZNS1_9scan_implILNS1_25lookback_scan_determinismE0ELb0ELb0ES3_PKS7_PS7_S7_ZZZN2at6native31launch_logcumsumexp_cuda_kernelERKNSE_10TensorBaseESI_lENKUlvE_clEvENKUlvE1_clEvEUlS7_S7_E_S7_EEDaPvRmT3_T4_T5_mT6_P12ihipStream_tbENKUlT_T0_E_clISt17integral_constantIbLb0EESY_IbLb1EEEEDaSU_SV_EUlSU_E_NS1_11comp_targetILNS1_3genE4ELNS1_11target_archE910ELNS1_3gpuE8ELNS1_3repE0EEENS1_30default_config_static_selectorELNS0_4arch9wavefront6targetE1EEEvT1_.has_indirect_call, 0
	.section	.AMDGPU.csdata,"",@progbits
; Kernel info:
; codeLenInByte = 0
; TotalNumSgprs: 6
; NumVgprs: 0
; NumAgprs: 0
; TotalNumVgprs: 0
; ScratchSize: 0
; MemoryBound: 0
; FloatMode: 240
; IeeeMode: 1
; LDSByteSize: 0 bytes/workgroup (compile time only)
; SGPRBlocks: 0
; VGPRBlocks: 0
; NumSGPRsForWavesPerEU: 6
; NumVGPRsForWavesPerEU: 1
; AccumOffset: 4
; Occupancy: 8
; WaveLimiterHint : 0
; COMPUTE_PGM_RSRC2:SCRATCH_EN: 0
; COMPUTE_PGM_RSRC2:USER_SGPR: 2
; COMPUTE_PGM_RSRC2:TRAP_HANDLER: 0
; COMPUTE_PGM_RSRC2:TGID_X_EN: 1
; COMPUTE_PGM_RSRC2:TGID_Y_EN: 0
; COMPUTE_PGM_RSRC2:TGID_Z_EN: 0
; COMPUTE_PGM_RSRC2:TIDIG_COMP_CNT: 0
; COMPUTE_PGM_RSRC3_GFX90A:ACCUM_OFFSET: 0
; COMPUTE_PGM_RSRC3_GFX90A:TG_SPLIT: 0
	.section	.text._ZN7rocprim17ROCPRIM_400000_NS6detail17trampoline_kernelINS0_14default_configENS1_20scan_config_selectorIN3c107complexIdEEEEZZNS1_9scan_implILNS1_25lookback_scan_determinismE0ELb0ELb0ES3_PKS7_PS7_S7_ZZZN2at6native31launch_logcumsumexp_cuda_kernelERKNSE_10TensorBaseESI_lENKUlvE_clEvENKUlvE1_clEvEUlS7_S7_E_S7_EEDaPvRmT3_T4_T5_mT6_P12ihipStream_tbENKUlT_T0_E_clISt17integral_constantIbLb0EESY_IbLb1EEEEDaSU_SV_EUlSU_E_NS1_11comp_targetILNS1_3genE3ELNS1_11target_archE908ELNS1_3gpuE7ELNS1_3repE0EEENS1_30default_config_static_selectorELNS0_4arch9wavefront6targetE1EEEvT1_,"axG",@progbits,_ZN7rocprim17ROCPRIM_400000_NS6detail17trampoline_kernelINS0_14default_configENS1_20scan_config_selectorIN3c107complexIdEEEEZZNS1_9scan_implILNS1_25lookback_scan_determinismE0ELb0ELb0ES3_PKS7_PS7_S7_ZZZN2at6native31launch_logcumsumexp_cuda_kernelERKNSE_10TensorBaseESI_lENKUlvE_clEvENKUlvE1_clEvEUlS7_S7_E_S7_EEDaPvRmT3_T4_T5_mT6_P12ihipStream_tbENKUlT_T0_E_clISt17integral_constantIbLb0EESY_IbLb1EEEEDaSU_SV_EUlSU_E_NS1_11comp_targetILNS1_3genE3ELNS1_11target_archE908ELNS1_3gpuE7ELNS1_3repE0EEENS1_30default_config_static_selectorELNS0_4arch9wavefront6targetE1EEEvT1_,comdat
	.globl	_ZN7rocprim17ROCPRIM_400000_NS6detail17trampoline_kernelINS0_14default_configENS1_20scan_config_selectorIN3c107complexIdEEEEZZNS1_9scan_implILNS1_25lookback_scan_determinismE0ELb0ELb0ES3_PKS7_PS7_S7_ZZZN2at6native31launch_logcumsumexp_cuda_kernelERKNSE_10TensorBaseESI_lENKUlvE_clEvENKUlvE1_clEvEUlS7_S7_E_S7_EEDaPvRmT3_T4_T5_mT6_P12ihipStream_tbENKUlT_T0_E_clISt17integral_constantIbLb0EESY_IbLb1EEEEDaSU_SV_EUlSU_E_NS1_11comp_targetILNS1_3genE3ELNS1_11target_archE908ELNS1_3gpuE7ELNS1_3repE0EEENS1_30default_config_static_selectorELNS0_4arch9wavefront6targetE1EEEvT1_ ; -- Begin function _ZN7rocprim17ROCPRIM_400000_NS6detail17trampoline_kernelINS0_14default_configENS1_20scan_config_selectorIN3c107complexIdEEEEZZNS1_9scan_implILNS1_25lookback_scan_determinismE0ELb0ELb0ES3_PKS7_PS7_S7_ZZZN2at6native31launch_logcumsumexp_cuda_kernelERKNSE_10TensorBaseESI_lENKUlvE_clEvENKUlvE1_clEvEUlS7_S7_E_S7_EEDaPvRmT3_T4_T5_mT6_P12ihipStream_tbENKUlT_T0_E_clISt17integral_constantIbLb0EESY_IbLb1EEEEDaSU_SV_EUlSU_E_NS1_11comp_targetILNS1_3genE3ELNS1_11target_archE908ELNS1_3gpuE7ELNS1_3repE0EEENS1_30default_config_static_selectorELNS0_4arch9wavefront6targetE1EEEvT1_
	.p2align	8
	.type	_ZN7rocprim17ROCPRIM_400000_NS6detail17trampoline_kernelINS0_14default_configENS1_20scan_config_selectorIN3c107complexIdEEEEZZNS1_9scan_implILNS1_25lookback_scan_determinismE0ELb0ELb0ES3_PKS7_PS7_S7_ZZZN2at6native31launch_logcumsumexp_cuda_kernelERKNSE_10TensorBaseESI_lENKUlvE_clEvENKUlvE1_clEvEUlS7_S7_E_S7_EEDaPvRmT3_T4_T5_mT6_P12ihipStream_tbENKUlT_T0_E_clISt17integral_constantIbLb0EESY_IbLb1EEEEDaSU_SV_EUlSU_E_NS1_11comp_targetILNS1_3genE3ELNS1_11target_archE908ELNS1_3gpuE7ELNS1_3repE0EEENS1_30default_config_static_selectorELNS0_4arch9wavefront6targetE1EEEvT1_,@function
_ZN7rocprim17ROCPRIM_400000_NS6detail17trampoline_kernelINS0_14default_configENS1_20scan_config_selectorIN3c107complexIdEEEEZZNS1_9scan_implILNS1_25lookback_scan_determinismE0ELb0ELb0ES3_PKS7_PS7_S7_ZZZN2at6native31launch_logcumsumexp_cuda_kernelERKNSE_10TensorBaseESI_lENKUlvE_clEvENKUlvE1_clEvEUlS7_S7_E_S7_EEDaPvRmT3_T4_T5_mT6_P12ihipStream_tbENKUlT_T0_E_clISt17integral_constantIbLb0EESY_IbLb1EEEEDaSU_SV_EUlSU_E_NS1_11comp_targetILNS1_3genE3ELNS1_11target_archE908ELNS1_3gpuE7ELNS1_3repE0EEENS1_30default_config_static_selectorELNS0_4arch9wavefront6targetE1EEEvT1_: ; @_ZN7rocprim17ROCPRIM_400000_NS6detail17trampoline_kernelINS0_14default_configENS1_20scan_config_selectorIN3c107complexIdEEEEZZNS1_9scan_implILNS1_25lookback_scan_determinismE0ELb0ELb0ES3_PKS7_PS7_S7_ZZZN2at6native31launch_logcumsumexp_cuda_kernelERKNSE_10TensorBaseESI_lENKUlvE_clEvENKUlvE1_clEvEUlS7_S7_E_S7_EEDaPvRmT3_T4_T5_mT6_P12ihipStream_tbENKUlT_T0_E_clISt17integral_constantIbLb0EESY_IbLb1EEEEDaSU_SV_EUlSU_E_NS1_11comp_targetILNS1_3genE3ELNS1_11target_archE908ELNS1_3gpuE7ELNS1_3repE0EEENS1_30default_config_static_selectorELNS0_4arch9wavefront6targetE1EEEvT1_
; %bb.0:
	.section	.rodata,"a",@progbits
	.p2align	6, 0x0
	.amdhsa_kernel _ZN7rocprim17ROCPRIM_400000_NS6detail17trampoline_kernelINS0_14default_configENS1_20scan_config_selectorIN3c107complexIdEEEEZZNS1_9scan_implILNS1_25lookback_scan_determinismE0ELb0ELb0ES3_PKS7_PS7_S7_ZZZN2at6native31launch_logcumsumexp_cuda_kernelERKNSE_10TensorBaseESI_lENKUlvE_clEvENKUlvE1_clEvEUlS7_S7_E_S7_EEDaPvRmT3_T4_T5_mT6_P12ihipStream_tbENKUlT_T0_E_clISt17integral_constantIbLb0EESY_IbLb1EEEEDaSU_SV_EUlSU_E_NS1_11comp_targetILNS1_3genE3ELNS1_11target_archE908ELNS1_3gpuE7ELNS1_3repE0EEENS1_30default_config_static_selectorELNS0_4arch9wavefront6targetE1EEEvT1_
		.amdhsa_group_segment_fixed_size 0
		.amdhsa_private_segment_fixed_size 0
		.amdhsa_kernarg_size 128
		.amdhsa_user_sgpr_count 2
		.amdhsa_user_sgpr_dispatch_ptr 0
		.amdhsa_user_sgpr_queue_ptr 0
		.amdhsa_user_sgpr_kernarg_segment_ptr 1
		.amdhsa_user_sgpr_dispatch_id 0
		.amdhsa_user_sgpr_kernarg_preload_length 0
		.amdhsa_user_sgpr_kernarg_preload_offset 0
		.amdhsa_user_sgpr_private_segment_size 0
		.amdhsa_uses_dynamic_stack 0
		.amdhsa_enable_private_segment 0
		.amdhsa_system_sgpr_workgroup_id_x 1
		.amdhsa_system_sgpr_workgroup_id_y 0
		.amdhsa_system_sgpr_workgroup_id_z 0
		.amdhsa_system_sgpr_workgroup_info 0
		.amdhsa_system_vgpr_workitem_id 0
		.amdhsa_next_free_vgpr 1
		.amdhsa_next_free_sgpr 0
		.amdhsa_accum_offset 4
		.amdhsa_reserve_vcc 0
		.amdhsa_float_round_mode_32 0
		.amdhsa_float_round_mode_16_64 0
		.amdhsa_float_denorm_mode_32 3
		.amdhsa_float_denorm_mode_16_64 3
		.amdhsa_dx10_clamp 1
		.amdhsa_ieee_mode 1
		.amdhsa_fp16_overflow 0
		.amdhsa_tg_split 0
		.amdhsa_exception_fp_ieee_invalid_op 0
		.amdhsa_exception_fp_denorm_src 0
		.amdhsa_exception_fp_ieee_div_zero 0
		.amdhsa_exception_fp_ieee_overflow 0
		.amdhsa_exception_fp_ieee_underflow 0
		.amdhsa_exception_fp_ieee_inexact 0
		.amdhsa_exception_int_div_zero 0
	.end_amdhsa_kernel
	.section	.text._ZN7rocprim17ROCPRIM_400000_NS6detail17trampoline_kernelINS0_14default_configENS1_20scan_config_selectorIN3c107complexIdEEEEZZNS1_9scan_implILNS1_25lookback_scan_determinismE0ELb0ELb0ES3_PKS7_PS7_S7_ZZZN2at6native31launch_logcumsumexp_cuda_kernelERKNSE_10TensorBaseESI_lENKUlvE_clEvENKUlvE1_clEvEUlS7_S7_E_S7_EEDaPvRmT3_T4_T5_mT6_P12ihipStream_tbENKUlT_T0_E_clISt17integral_constantIbLb0EESY_IbLb1EEEEDaSU_SV_EUlSU_E_NS1_11comp_targetILNS1_3genE3ELNS1_11target_archE908ELNS1_3gpuE7ELNS1_3repE0EEENS1_30default_config_static_selectorELNS0_4arch9wavefront6targetE1EEEvT1_,"axG",@progbits,_ZN7rocprim17ROCPRIM_400000_NS6detail17trampoline_kernelINS0_14default_configENS1_20scan_config_selectorIN3c107complexIdEEEEZZNS1_9scan_implILNS1_25lookback_scan_determinismE0ELb0ELb0ES3_PKS7_PS7_S7_ZZZN2at6native31launch_logcumsumexp_cuda_kernelERKNSE_10TensorBaseESI_lENKUlvE_clEvENKUlvE1_clEvEUlS7_S7_E_S7_EEDaPvRmT3_T4_T5_mT6_P12ihipStream_tbENKUlT_T0_E_clISt17integral_constantIbLb0EESY_IbLb1EEEEDaSU_SV_EUlSU_E_NS1_11comp_targetILNS1_3genE3ELNS1_11target_archE908ELNS1_3gpuE7ELNS1_3repE0EEENS1_30default_config_static_selectorELNS0_4arch9wavefront6targetE1EEEvT1_,comdat
.Lfunc_end244:
	.size	_ZN7rocprim17ROCPRIM_400000_NS6detail17trampoline_kernelINS0_14default_configENS1_20scan_config_selectorIN3c107complexIdEEEEZZNS1_9scan_implILNS1_25lookback_scan_determinismE0ELb0ELb0ES3_PKS7_PS7_S7_ZZZN2at6native31launch_logcumsumexp_cuda_kernelERKNSE_10TensorBaseESI_lENKUlvE_clEvENKUlvE1_clEvEUlS7_S7_E_S7_EEDaPvRmT3_T4_T5_mT6_P12ihipStream_tbENKUlT_T0_E_clISt17integral_constantIbLb0EESY_IbLb1EEEEDaSU_SV_EUlSU_E_NS1_11comp_targetILNS1_3genE3ELNS1_11target_archE908ELNS1_3gpuE7ELNS1_3repE0EEENS1_30default_config_static_selectorELNS0_4arch9wavefront6targetE1EEEvT1_, .Lfunc_end244-_ZN7rocprim17ROCPRIM_400000_NS6detail17trampoline_kernelINS0_14default_configENS1_20scan_config_selectorIN3c107complexIdEEEEZZNS1_9scan_implILNS1_25lookback_scan_determinismE0ELb0ELb0ES3_PKS7_PS7_S7_ZZZN2at6native31launch_logcumsumexp_cuda_kernelERKNSE_10TensorBaseESI_lENKUlvE_clEvENKUlvE1_clEvEUlS7_S7_E_S7_EEDaPvRmT3_T4_T5_mT6_P12ihipStream_tbENKUlT_T0_E_clISt17integral_constantIbLb0EESY_IbLb1EEEEDaSU_SV_EUlSU_E_NS1_11comp_targetILNS1_3genE3ELNS1_11target_archE908ELNS1_3gpuE7ELNS1_3repE0EEENS1_30default_config_static_selectorELNS0_4arch9wavefront6targetE1EEEvT1_
                                        ; -- End function
	.set _ZN7rocprim17ROCPRIM_400000_NS6detail17trampoline_kernelINS0_14default_configENS1_20scan_config_selectorIN3c107complexIdEEEEZZNS1_9scan_implILNS1_25lookback_scan_determinismE0ELb0ELb0ES3_PKS7_PS7_S7_ZZZN2at6native31launch_logcumsumexp_cuda_kernelERKNSE_10TensorBaseESI_lENKUlvE_clEvENKUlvE1_clEvEUlS7_S7_E_S7_EEDaPvRmT3_T4_T5_mT6_P12ihipStream_tbENKUlT_T0_E_clISt17integral_constantIbLb0EESY_IbLb1EEEEDaSU_SV_EUlSU_E_NS1_11comp_targetILNS1_3genE3ELNS1_11target_archE908ELNS1_3gpuE7ELNS1_3repE0EEENS1_30default_config_static_selectorELNS0_4arch9wavefront6targetE1EEEvT1_.num_vgpr, 0
	.set _ZN7rocprim17ROCPRIM_400000_NS6detail17trampoline_kernelINS0_14default_configENS1_20scan_config_selectorIN3c107complexIdEEEEZZNS1_9scan_implILNS1_25lookback_scan_determinismE0ELb0ELb0ES3_PKS7_PS7_S7_ZZZN2at6native31launch_logcumsumexp_cuda_kernelERKNSE_10TensorBaseESI_lENKUlvE_clEvENKUlvE1_clEvEUlS7_S7_E_S7_EEDaPvRmT3_T4_T5_mT6_P12ihipStream_tbENKUlT_T0_E_clISt17integral_constantIbLb0EESY_IbLb1EEEEDaSU_SV_EUlSU_E_NS1_11comp_targetILNS1_3genE3ELNS1_11target_archE908ELNS1_3gpuE7ELNS1_3repE0EEENS1_30default_config_static_selectorELNS0_4arch9wavefront6targetE1EEEvT1_.num_agpr, 0
	.set _ZN7rocprim17ROCPRIM_400000_NS6detail17trampoline_kernelINS0_14default_configENS1_20scan_config_selectorIN3c107complexIdEEEEZZNS1_9scan_implILNS1_25lookback_scan_determinismE0ELb0ELb0ES3_PKS7_PS7_S7_ZZZN2at6native31launch_logcumsumexp_cuda_kernelERKNSE_10TensorBaseESI_lENKUlvE_clEvENKUlvE1_clEvEUlS7_S7_E_S7_EEDaPvRmT3_T4_T5_mT6_P12ihipStream_tbENKUlT_T0_E_clISt17integral_constantIbLb0EESY_IbLb1EEEEDaSU_SV_EUlSU_E_NS1_11comp_targetILNS1_3genE3ELNS1_11target_archE908ELNS1_3gpuE7ELNS1_3repE0EEENS1_30default_config_static_selectorELNS0_4arch9wavefront6targetE1EEEvT1_.numbered_sgpr, 0
	.set _ZN7rocprim17ROCPRIM_400000_NS6detail17trampoline_kernelINS0_14default_configENS1_20scan_config_selectorIN3c107complexIdEEEEZZNS1_9scan_implILNS1_25lookback_scan_determinismE0ELb0ELb0ES3_PKS7_PS7_S7_ZZZN2at6native31launch_logcumsumexp_cuda_kernelERKNSE_10TensorBaseESI_lENKUlvE_clEvENKUlvE1_clEvEUlS7_S7_E_S7_EEDaPvRmT3_T4_T5_mT6_P12ihipStream_tbENKUlT_T0_E_clISt17integral_constantIbLb0EESY_IbLb1EEEEDaSU_SV_EUlSU_E_NS1_11comp_targetILNS1_3genE3ELNS1_11target_archE908ELNS1_3gpuE7ELNS1_3repE0EEENS1_30default_config_static_selectorELNS0_4arch9wavefront6targetE1EEEvT1_.num_named_barrier, 0
	.set _ZN7rocprim17ROCPRIM_400000_NS6detail17trampoline_kernelINS0_14default_configENS1_20scan_config_selectorIN3c107complexIdEEEEZZNS1_9scan_implILNS1_25lookback_scan_determinismE0ELb0ELb0ES3_PKS7_PS7_S7_ZZZN2at6native31launch_logcumsumexp_cuda_kernelERKNSE_10TensorBaseESI_lENKUlvE_clEvENKUlvE1_clEvEUlS7_S7_E_S7_EEDaPvRmT3_T4_T5_mT6_P12ihipStream_tbENKUlT_T0_E_clISt17integral_constantIbLb0EESY_IbLb1EEEEDaSU_SV_EUlSU_E_NS1_11comp_targetILNS1_3genE3ELNS1_11target_archE908ELNS1_3gpuE7ELNS1_3repE0EEENS1_30default_config_static_selectorELNS0_4arch9wavefront6targetE1EEEvT1_.private_seg_size, 0
	.set _ZN7rocprim17ROCPRIM_400000_NS6detail17trampoline_kernelINS0_14default_configENS1_20scan_config_selectorIN3c107complexIdEEEEZZNS1_9scan_implILNS1_25lookback_scan_determinismE0ELb0ELb0ES3_PKS7_PS7_S7_ZZZN2at6native31launch_logcumsumexp_cuda_kernelERKNSE_10TensorBaseESI_lENKUlvE_clEvENKUlvE1_clEvEUlS7_S7_E_S7_EEDaPvRmT3_T4_T5_mT6_P12ihipStream_tbENKUlT_T0_E_clISt17integral_constantIbLb0EESY_IbLb1EEEEDaSU_SV_EUlSU_E_NS1_11comp_targetILNS1_3genE3ELNS1_11target_archE908ELNS1_3gpuE7ELNS1_3repE0EEENS1_30default_config_static_selectorELNS0_4arch9wavefront6targetE1EEEvT1_.uses_vcc, 0
	.set _ZN7rocprim17ROCPRIM_400000_NS6detail17trampoline_kernelINS0_14default_configENS1_20scan_config_selectorIN3c107complexIdEEEEZZNS1_9scan_implILNS1_25lookback_scan_determinismE0ELb0ELb0ES3_PKS7_PS7_S7_ZZZN2at6native31launch_logcumsumexp_cuda_kernelERKNSE_10TensorBaseESI_lENKUlvE_clEvENKUlvE1_clEvEUlS7_S7_E_S7_EEDaPvRmT3_T4_T5_mT6_P12ihipStream_tbENKUlT_T0_E_clISt17integral_constantIbLb0EESY_IbLb1EEEEDaSU_SV_EUlSU_E_NS1_11comp_targetILNS1_3genE3ELNS1_11target_archE908ELNS1_3gpuE7ELNS1_3repE0EEENS1_30default_config_static_selectorELNS0_4arch9wavefront6targetE1EEEvT1_.uses_flat_scratch, 0
	.set _ZN7rocprim17ROCPRIM_400000_NS6detail17trampoline_kernelINS0_14default_configENS1_20scan_config_selectorIN3c107complexIdEEEEZZNS1_9scan_implILNS1_25lookback_scan_determinismE0ELb0ELb0ES3_PKS7_PS7_S7_ZZZN2at6native31launch_logcumsumexp_cuda_kernelERKNSE_10TensorBaseESI_lENKUlvE_clEvENKUlvE1_clEvEUlS7_S7_E_S7_EEDaPvRmT3_T4_T5_mT6_P12ihipStream_tbENKUlT_T0_E_clISt17integral_constantIbLb0EESY_IbLb1EEEEDaSU_SV_EUlSU_E_NS1_11comp_targetILNS1_3genE3ELNS1_11target_archE908ELNS1_3gpuE7ELNS1_3repE0EEENS1_30default_config_static_selectorELNS0_4arch9wavefront6targetE1EEEvT1_.has_dyn_sized_stack, 0
	.set _ZN7rocprim17ROCPRIM_400000_NS6detail17trampoline_kernelINS0_14default_configENS1_20scan_config_selectorIN3c107complexIdEEEEZZNS1_9scan_implILNS1_25lookback_scan_determinismE0ELb0ELb0ES3_PKS7_PS7_S7_ZZZN2at6native31launch_logcumsumexp_cuda_kernelERKNSE_10TensorBaseESI_lENKUlvE_clEvENKUlvE1_clEvEUlS7_S7_E_S7_EEDaPvRmT3_T4_T5_mT6_P12ihipStream_tbENKUlT_T0_E_clISt17integral_constantIbLb0EESY_IbLb1EEEEDaSU_SV_EUlSU_E_NS1_11comp_targetILNS1_3genE3ELNS1_11target_archE908ELNS1_3gpuE7ELNS1_3repE0EEENS1_30default_config_static_selectorELNS0_4arch9wavefront6targetE1EEEvT1_.has_recursion, 0
	.set _ZN7rocprim17ROCPRIM_400000_NS6detail17trampoline_kernelINS0_14default_configENS1_20scan_config_selectorIN3c107complexIdEEEEZZNS1_9scan_implILNS1_25lookback_scan_determinismE0ELb0ELb0ES3_PKS7_PS7_S7_ZZZN2at6native31launch_logcumsumexp_cuda_kernelERKNSE_10TensorBaseESI_lENKUlvE_clEvENKUlvE1_clEvEUlS7_S7_E_S7_EEDaPvRmT3_T4_T5_mT6_P12ihipStream_tbENKUlT_T0_E_clISt17integral_constantIbLb0EESY_IbLb1EEEEDaSU_SV_EUlSU_E_NS1_11comp_targetILNS1_3genE3ELNS1_11target_archE908ELNS1_3gpuE7ELNS1_3repE0EEENS1_30default_config_static_selectorELNS0_4arch9wavefront6targetE1EEEvT1_.has_indirect_call, 0
	.section	.AMDGPU.csdata,"",@progbits
; Kernel info:
; codeLenInByte = 0
; TotalNumSgprs: 6
; NumVgprs: 0
; NumAgprs: 0
; TotalNumVgprs: 0
; ScratchSize: 0
; MemoryBound: 0
; FloatMode: 240
; IeeeMode: 1
; LDSByteSize: 0 bytes/workgroup (compile time only)
; SGPRBlocks: 0
; VGPRBlocks: 0
; NumSGPRsForWavesPerEU: 6
; NumVGPRsForWavesPerEU: 1
; AccumOffset: 4
; Occupancy: 8
; WaveLimiterHint : 0
; COMPUTE_PGM_RSRC2:SCRATCH_EN: 0
; COMPUTE_PGM_RSRC2:USER_SGPR: 2
; COMPUTE_PGM_RSRC2:TRAP_HANDLER: 0
; COMPUTE_PGM_RSRC2:TGID_X_EN: 1
; COMPUTE_PGM_RSRC2:TGID_Y_EN: 0
; COMPUTE_PGM_RSRC2:TGID_Z_EN: 0
; COMPUTE_PGM_RSRC2:TIDIG_COMP_CNT: 0
; COMPUTE_PGM_RSRC3_GFX90A:ACCUM_OFFSET: 0
; COMPUTE_PGM_RSRC3_GFX90A:TG_SPLIT: 0
	.section	.text._ZN7rocprim17ROCPRIM_400000_NS6detail17trampoline_kernelINS0_14default_configENS1_20scan_config_selectorIN3c107complexIdEEEEZZNS1_9scan_implILNS1_25lookback_scan_determinismE0ELb0ELb0ES3_PKS7_PS7_S7_ZZZN2at6native31launch_logcumsumexp_cuda_kernelERKNSE_10TensorBaseESI_lENKUlvE_clEvENKUlvE1_clEvEUlS7_S7_E_S7_EEDaPvRmT3_T4_T5_mT6_P12ihipStream_tbENKUlT_T0_E_clISt17integral_constantIbLb0EESY_IbLb1EEEEDaSU_SV_EUlSU_E_NS1_11comp_targetILNS1_3genE2ELNS1_11target_archE906ELNS1_3gpuE6ELNS1_3repE0EEENS1_30default_config_static_selectorELNS0_4arch9wavefront6targetE1EEEvT1_,"axG",@progbits,_ZN7rocprim17ROCPRIM_400000_NS6detail17trampoline_kernelINS0_14default_configENS1_20scan_config_selectorIN3c107complexIdEEEEZZNS1_9scan_implILNS1_25lookback_scan_determinismE0ELb0ELb0ES3_PKS7_PS7_S7_ZZZN2at6native31launch_logcumsumexp_cuda_kernelERKNSE_10TensorBaseESI_lENKUlvE_clEvENKUlvE1_clEvEUlS7_S7_E_S7_EEDaPvRmT3_T4_T5_mT6_P12ihipStream_tbENKUlT_T0_E_clISt17integral_constantIbLb0EESY_IbLb1EEEEDaSU_SV_EUlSU_E_NS1_11comp_targetILNS1_3genE2ELNS1_11target_archE906ELNS1_3gpuE6ELNS1_3repE0EEENS1_30default_config_static_selectorELNS0_4arch9wavefront6targetE1EEEvT1_,comdat
	.globl	_ZN7rocprim17ROCPRIM_400000_NS6detail17trampoline_kernelINS0_14default_configENS1_20scan_config_selectorIN3c107complexIdEEEEZZNS1_9scan_implILNS1_25lookback_scan_determinismE0ELb0ELb0ES3_PKS7_PS7_S7_ZZZN2at6native31launch_logcumsumexp_cuda_kernelERKNSE_10TensorBaseESI_lENKUlvE_clEvENKUlvE1_clEvEUlS7_S7_E_S7_EEDaPvRmT3_T4_T5_mT6_P12ihipStream_tbENKUlT_T0_E_clISt17integral_constantIbLb0EESY_IbLb1EEEEDaSU_SV_EUlSU_E_NS1_11comp_targetILNS1_3genE2ELNS1_11target_archE906ELNS1_3gpuE6ELNS1_3repE0EEENS1_30default_config_static_selectorELNS0_4arch9wavefront6targetE1EEEvT1_ ; -- Begin function _ZN7rocprim17ROCPRIM_400000_NS6detail17trampoline_kernelINS0_14default_configENS1_20scan_config_selectorIN3c107complexIdEEEEZZNS1_9scan_implILNS1_25lookback_scan_determinismE0ELb0ELb0ES3_PKS7_PS7_S7_ZZZN2at6native31launch_logcumsumexp_cuda_kernelERKNSE_10TensorBaseESI_lENKUlvE_clEvENKUlvE1_clEvEUlS7_S7_E_S7_EEDaPvRmT3_T4_T5_mT6_P12ihipStream_tbENKUlT_T0_E_clISt17integral_constantIbLb0EESY_IbLb1EEEEDaSU_SV_EUlSU_E_NS1_11comp_targetILNS1_3genE2ELNS1_11target_archE906ELNS1_3gpuE6ELNS1_3repE0EEENS1_30default_config_static_selectorELNS0_4arch9wavefront6targetE1EEEvT1_
	.p2align	8
	.type	_ZN7rocprim17ROCPRIM_400000_NS6detail17trampoline_kernelINS0_14default_configENS1_20scan_config_selectorIN3c107complexIdEEEEZZNS1_9scan_implILNS1_25lookback_scan_determinismE0ELb0ELb0ES3_PKS7_PS7_S7_ZZZN2at6native31launch_logcumsumexp_cuda_kernelERKNSE_10TensorBaseESI_lENKUlvE_clEvENKUlvE1_clEvEUlS7_S7_E_S7_EEDaPvRmT3_T4_T5_mT6_P12ihipStream_tbENKUlT_T0_E_clISt17integral_constantIbLb0EESY_IbLb1EEEEDaSU_SV_EUlSU_E_NS1_11comp_targetILNS1_3genE2ELNS1_11target_archE906ELNS1_3gpuE6ELNS1_3repE0EEENS1_30default_config_static_selectorELNS0_4arch9wavefront6targetE1EEEvT1_,@function
_ZN7rocprim17ROCPRIM_400000_NS6detail17trampoline_kernelINS0_14default_configENS1_20scan_config_selectorIN3c107complexIdEEEEZZNS1_9scan_implILNS1_25lookback_scan_determinismE0ELb0ELb0ES3_PKS7_PS7_S7_ZZZN2at6native31launch_logcumsumexp_cuda_kernelERKNSE_10TensorBaseESI_lENKUlvE_clEvENKUlvE1_clEvEUlS7_S7_E_S7_EEDaPvRmT3_T4_T5_mT6_P12ihipStream_tbENKUlT_T0_E_clISt17integral_constantIbLb0EESY_IbLb1EEEEDaSU_SV_EUlSU_E_NS1_11comp_targetILNS1_3genE2ELNS1_11target_archE906ELNS1_3gpuE6ELNS1_3repE0EEENS1_30default_config_static_selectorELNS0_4arch9wavefront6targetE1EEEvT1_: ; @_ZN7rocprim17ROCPRIM_400000_NS6detail17trampoline_kernelINS0_14default_configENS1_20scan_config_selectorIN3c107complexIdEEEEZZNS1_9scan_implILNS1_25lookback_scan_determinismE0ELb0ELb0ES3_PKS7_PS7_S7_ZZZN2at6native31launch_logcumsumexp_cuda_kernelERKNSE_10TensorBaseESI_lENKUlvE_clEvENKUlvE1_clEvEUlS7_S7_E_S7_EEDaPvRmT3_T4_T5_mT6_P12ihipStream_tbENKUlT_T0_E_clISt17integral_constantIbLb0EESY_IbLb1EEEEDaSU_SV_EUlSU_E_NS1_11comp_targetILNS1_3genE2ELNS1_11target_archE906ELNS1_3gpuE6ELNS1_3repE0EEENS1_30default_config_static_selectorELNS0_4arch9wavefront6targetE1EEEvT1_
; %bb.0:
	.section	.rodata,"a",@progbits
	.p2align	6, 0x0
	.amdhsa_kernel _ZN7rocprim17ROCPRIM_400000_NS6detail17trampoline_kernelINS0_14default_configENS1_20scan_config_selectorIN3c107complexIdEEEEZZNS1_9scan_implILNS1_25lookback_scan_determinismE0ELb0ELb0ES3_PKS7_PS7_S7_ZZZN2at6native31launch_logcumsumexp_cuda_kernelERKNSE_10TensorBaseESI_lENKUlvE_clEvENKUlvE1_clEvEUlS7_S7_E_S7_EEDaPvRmT3_T4_T5_mT6_P12ihipStream_tbENKUlT_T0_E_clISt17integral_constantIbLb0EESY_IbLb1EEEEDaSU_SV_EUlSU_E_NS1_11comp_targetILNS1_3genE2ELNS1_11target_archE906ELNS1_3gpuE6ELNS1_3repE0EEENS1_30default_config_static_selectorELNS0_4arch9wavefront6targetE1EEEvT1_
		.amdhsa_group_segment_fixed_size 0
		.amdhsa_private_segment_fixed_size 0
		.amdhsa_kernarg_size 128
		.amdhsa_user_sgpr_count 2
		.amdhsa_user_sgpr_dispatch_ptr 0
		.amdhsa_user_sgpr_queue_ptr 0
		.amdhsa_user_sgpr_kernarg_segment_ptr 1
		.amdhsa_user_sgpr_dispatch_id 0
		.amdhsa_user_sgpr_kernarg_preload_length 0
		.amdhsa_user_sgpr_kernarg_preload_offset 0
		.amdhsa_user_sgpr_private_segment_size 0
		.amdhsa_uses_dynamic_stack 0
		.amdhsa_enable_private_segment 0
		.amdhsa_system_sgpr_workgroup_id_x 1
		.amdhsa_system_sgpr_workgroup_id_y 0
		.amdhsa_system_sgpr_workgroup_id_z 0
		.amdhsa_system_sgpr_workgroup_info 0
		.amdhsa_system_vgpr_workitem_id 0
		.amdhsa_next_free_vgpr 1
		.amdhsa_next_free_sgpr 0
		.amdhsa_accum_offset 4
		.amdhsa_reserve_vcc 0
		.amdhsa_float_round_mode_32 0
		.amdhsa_float_round_mode_16_64 0
		.amdhsa_float_denorm_mode_32 3
		.amdhsa_float_denorm_mode_16_64 3
		.amdhsa_dx10_clamp 1
		.amdhsa_ieee_mode 1
		.amdhsa_fp16_overflow 0
		.amdhsa_tg_split 0
		.amdhsa_exception_fp_ieee_invalid_op 0
		.amdhsa_exception_fp_denorm_src 0
		.amdhsa_exception_fp_ieee_div_zero 0
		.amdhsa_exception_fp_ieee_overflow 0
		.amdhsa_exception_fp_ieee_underflow 0
		.amdhsa_exception_fp_ieee_inexact 0
		.amdhsa_exception_int_div_zero 0
	.end_amdhsa_kernel
	.section	.text._ZN7rocprim17ROCPRIM_400000_NS6detail17trampoline_kernelINS0_14default_configENS1_20scan_config_selectorIN3c107complexIdEEEEZZNS1_9scan_implILNS1_25lookback_scan_determinismE0ELb0ELb0ES3_PKS7_PS7_S7_ZZZN2at6native31launch_logcumsumexp_cuda_kernelERKNSE_10TensorBaseESI_lENKUlvE_clEvENKUlvE1_clEvEUlS7_S7_E_S7_EEDaPvRmT3_T4_T5_mT6_P12ihipStream_tbENKUlT_T0_E_clISt17integral_constantIbLb0EESY_IbLb1EEEEDaSU_SV_EUlSU_E_NS1_11comp_targetILNS1_3genE2ELNS1_11target_archE906ELNS1_3gpuE6ELNS1_3repE0EEENS1_30default_config_static_selectorELNS0_4arch9wavefront6targetE1EEEvT1_,"axG",@progbits,_ZN7rocprim17ROCPRIM_400000_NS6detail17trampoline_kernelINS0_14default_configENS1_20scan_config_selectorIN3c107complexIdEEEEZZNS1_9scan_implILNS1_25lookback_scan_determinismE0ELb0ELb0ES3_PKS7_PS7_S7_ZZZN2at6native31launch_logcumsumexp_cuda_kernelERKNSE_10TensorBaseESI_lENKUlvE_clEvENKUlvE1_clEvEUlS7_S7_E_S7_EEDaPvRmT3_T4_T5_mT6_P12ihipStream_tbENKUlT_T0_E_clISt17integral_constantIbLb0EESY_IbLb1EEEEDaSU_SV_EUlSU_E_NS1_11comp_targetILNS1_3genE2ELNS1_11target_archE906ELNS1_3gpuE6ELNS1_3repE0EEENS1_30default_config_static_selectorELNS0_4arch9wavefront6targetE1EEEvT1_,comdat
.Lfunc_end245:
	.size	_ZN7rocprim17ROCPRIM_400000_NS6detail17trampoline_kernelINS0_14default_configENS1_20scan_config_selectorIN3c107complexIdEEEEZZNS1_9scan_implILNS1_25lookback_scan_determinismE0ELb0ELb0ES3_PKS7_PS7_S7_ZZZN2at6native31launch_logcumsumexp_cuda_kernelERKNSE_10TensorBaseESI_lENKUlvE_clEvENKUlvE1_clEvEUlS7_S7_E_S7_EEDaPvRmT3_T4_T5_mT6_P12ihipStream_tbENKUlT_T0_E_clISt17integral_constantIbLb0EESY_IbLb1EEEEDaSU_SV_EUlSU_E_NS1_11comp_targetILNS1_3genE2ELNS1_11target_archE906ELNS1_3gpuE6ELNS1_3repE0EEENS1_30default_config_static_selectorELNS0_4arch9wavefront6targetE1EEEvT1_, .Lfunc_end245-_ZN7rocprim17ROCPRIM_400000_NS6detail17trampoline_kernelINS0_14default_configENS1_20scan_config_selectorIN3c107complexIdEEEEZZNS1_9scan_implILNS1_25lookback_scan_determinismE0ELb0ELb0ES3_PKS7_PS7_S7_ZZZN2at6native31launch_logcumsumexp_cuda_kernelERKNSE_10TensorBaseESI_lENKUlvE_clEvENKUlvE1_clEvEUlS7_S7_E_S7_EEDaPvRmT3_T4_T5_mT6_P12ihipStream_tbENKUlT_T0_E_clISt17integral_constantIbLb0EESY_IbLb1EEEEDaSU_SV_EUlSU_E_NS1_11comp_targetILNS1_3genE2ELNS1_11target_archE906ELNS1_3gpuE6ELNS1_3repE0EEENS1_30default_config_static_selectorELNS0_4arch9wavefront6targetE1EEEvT1_
                                        ; -- End function
	.set _ZN7rocprim17ROCPRIM_400000_NS6detail17trampoline_kernelINS0_14default_configENS1_20scan_config_selectorIN3c107complexIdEEEEZZNS1_9scan_implILNS1_25lookback_scan_determinismE0ELb0ELb0ES3_PKS7_PS7_S7_ZZZN2at6native31launch_logcumsumexp_cuda_kernelERKNSE_10TensorBaseESI_lENKUlvE_clEvENKUlvE1_clEvEUlS7_S7_E_S7_EEDaPvRmT3_T4_T5_mT6_P12ihipStream_tbENKUlT_T0_E_clISt17integral_constantIbLb0EESY_IbLb1EEEEDaSU_SV_EUlSU_E_NS1_11comp_targetILNS1_3genE2ELNS1_11target_archE906ELNS1_3gpuE6ELNS1_3repE0EEENS1_30default_config_static_selectorELNS0_4arch9wavefront6targetE1EEEvT1_.num_vgpr, 0
	.set _ZN7rocprim17ROCPRIM_400000_NS6detail17trampoline_kernelINS0_14default_configENS1_20scan_config_selectorIN3c107complexIdEEEEZZNS1_9scan_implILNS1_25lookback_scan_determinismE0ELb0ELb0ES3_PKS7_PS7_S7_ZZZN2at6native31launch_logcumsumexp_cuda_kernelERKNSE_10TensorBaseESI_lENKUlvE_clEvENKUlvE1_clEvEUlS7_S7_E_S7_EEDaPvRmT3_T4_T5_mT6_P12ihipStream_tbENKUlT_T0_E_clISt17integral_constantIbLb0EESY_IbLb1EEEEDaSU_SV_EUlSU_E_NS1_11comp_targetILNS1_3genE2ELNS1_11target_archE906ELNS1_3gpuE6ELNS1_3repE0EEENS1_30default_config_static_selectorELNS0_4arch9wavefront6targetE1EEEvT1_.num_agpr, 0
	.set _ZN7rocprim17ROCPRIM_400000_NS6detail17trampoline_kernelINS0_14default_configENS1_20scan_config_selectorIN3c107complexIdEEEEZZNS1_9scan_implILNS1_25lookback_scan_determinismE0ELb0ELb0ES3_PKS7_PS7_S7_ZZZN2at6native31launch_logcumsumexp_cuda_kernelERKNSE_10TensorBaseESI_lENKUlvE_clEvENKUlvE1_clEvEUlS7_S7_E_S7_EEDaPvRmT3_T4_T5_mT6_P12ihipStream_tbENKUlT_T0_E_clISt17integral_constantIbLb0EESY_IbLb1EEEEDaSU_SV_EUlSU_E_NS1_11comp_targetILNS1_3genE2ELNS1_11target_archE906ELNS1_3gpuE6ELNS1_3repE0EEENS1_30default_config_static_selectorELNS0_4arch9wavefront6targetE1EEEvT1_.numbered_sgpr, 0
	.set _ZN7rocprim17ROCPRIM_400000_NS6detail17trampoline_kernelINS0_14default_configENS1_20scan_config_selectorIN3c107complexIdEEEEZZNS1_9scan_implILNS1_25lookback_scan_determinismE0ELb0ELb0ES3_PKS7_PS7_S7_ZZZN2at6native31launch_logcumsumexp_cuda_kernelERKNSE_10TensorBaseESI_lENKUlvE_clEvENKUlvE1_clEvEUlS7_S7_E_S7_EEDaPvRmT3_T4_T5_mT6_P12ihipStream_tbENKUlT_T0_E_clISt17integral_constantIbLb0EESY_IbLb1EEEEDaSU_SV_EUlSU_E_NS1_11comp_targetILNS1_3genE2ELNS1_11target_archE906ELNS1_3gpuE6ELNS1_3repE0EEENS1_30default_config_static_selectorELNS0_4arch9wavefront6targetE1EEEvT1_.num_named_barrier, 0
	.set _ZN7rocprim17ROCPRIM_400000_NS6detail17trampoline_kernelINS0_14default_configENS1_20scan_config_selectorIN3c107complexIdEEEEZZNS1_9scan_implILNS1_25lookback_scan_determinismE0ELb0ELb0ES3_PKS7_PS7_S7_ZZZN2at6native31launch_logcumsumexp_cuda_kernelERKNSE_10TensorBaseESI_lENKUlvE_clEvENKUlvE1_clEvEUlS7_S7_E_S7_EEDaPvRmT3_T4_T5_mT6_P12ihipStream_tbENKUlT_T0_E_clISt17integral_constantIbLb0EESY_IbLb1EEEEDaSU_SV_EUlSU_E_NS1_11comp_targetILNS1_3genE2ELNS1_11target_archE906ELNS1_3gpuE6ELNS1_3repE0EEENS1_30default_config_static_selectorELNS0_4arch9wavefront6targetE1EEEvT1_.private_seg_size, 0
	.set _ZN7rocprim17ROCPRIM_400000_NS6detail17trampoline_kernelINS0_14default_configENS1_20scan_config_selectorIN3c107complexIdEEEEZZNS1_9scan_implILNS1_25lookback_scan_determinismE0ELb0ELb0ES3_PKS7_PS7_S7_ZZZN2at6native31launch_logcumsumexp_cuda_kernelERKNSE_10TensorBaseESI_lENKUlvE_clEvENKUlvE1_clEvEUlS7_S7_E_S7_EEDaPvRmT3_T4_T5_mT6_P12ihipStream_tbENKUlT_T0_E_clISt17integral_constantIbLb0EESY_IbLb1EEEEDaSU_SV_EUlSU_E_NS1_11comp_targetILNS1_3genE2ELNS1_11target_archE906ELNS1_3gpuE6ELNS1_3repE0EEENS1_30default_config_static_selectorELNS0_4arch9wavefront6targetE1EEEvT1_.uses_vcc, 0
	.set _ZN7rocprim17ROCPRIM_400000_NS6detail17trampoline_kernelINS0_14default_configENS1_20scan_config_selectorIN3c107complexIdEEEEZZNS1_9scan_implILNS1_25lookback_scan_determinismE0ELb0ELb0ES3_PKS7_PS7_S7_ZZZN2at6native31launch_logcumsumexp_cuda_kernelERKNSE_10TensorBaseESI_lENKUlvE_clEvENKUlvE1_clEvEUlS7_S7_E_S7_EEDaPvRmT3_T4_T5_mT6_P12ihipStream_tbENKUlT_T0_E_clISt17integral_constantIbLb0EESY_IbLb1EEEEDaSU_SV_EUlSU_E_NS1_11comp_targetILNS1_3genE2ELNS1_11target_archE906ELNS1_3gpuE6ELNS1_3repE0EEENS1_30default_config_static_selectorELNS0_4arch9wavefront6targetE1EEEvT1_.uses_flat_scratch, 0
	.set _ZN7rocprim17ROCPRIM_400000_NS6detail17trampoline_kernelINS0_14default_configENS1_20scan_config_selectorIN3c107complexIdEEEEZZNS1_9scan_implILNS1_25lookback_scan_determinismE0ELb0ELb0ES3_PKS7_PS7_S7_ZZZN2at6native31launch_logcumsumexp_cuda_kernelERKNSE_10TensorBaseESI_lENKUlvE_clEvENKUlvE1_clEvEUlS7_S7_E_S7_EEDaPvRmT3_T4_T5_mT6_P12ihipStream_tbENKUlT_T0_E_clISt17integral_constantIbLb0EESY_IbLb1EEEEDaSU_SV_EUlSU_E_NS1_11comp_targetILNS1_3genE2ELNS1_11target_archE906ELNS1_3gpuE6ELNS1_3repE0EEENS1_30default_config_static_selectorELNS0_4arch9wavefront6targetE1EEEvT1_.has_dyn_sized_stack, 0
	.set _ZN7rocprim17ROCPRIM_400000_NS6detail17trampoline_kernelINS0_14default_configENS1_20scan_config_selectorIN3c107complexIdEEEEZZNS1_9scan_implILNS1_25lookback_scan_determinismE0ELb0ELb0ES3_PKS7_PS7_S7_ZZZN2at6native31launch_logcumsumexp_cuda_kernelERKNSE_10TensorBaseESI_lENKUlvE_clEvENKUlvE1_clEvEUlS7_S7_E_S7_EEDaPvRmT3_T4_T5_mT6_P12ihipStream_tbENKUlT_T0_E_clISt17integral_constantIbLb0EESY_IbLb1EEEEDaSU_SV_EUlSU_E_NS1_11comp_targetILNS1_3genE2ELNS1_11target_archE906ELNS1_3gpuE6ELNS1_3repE0EEENS1_30default_config_static_selectorELNS0_4arch9wavefront6targetE1EEEvT1_.has_recursion, 0
	.set _ZN7rocprim17ROCPRIM_400000_NS6detail17trampoline_kernelINS0_14default_configENS1_20scan_config_selectorIN3c107complexIdEEEEZZNS1_9scan_implILNS1_25lookback_scan_determinismE0ELb0ELb0ES3_PKS7_PS7_S7_ZZZN2at6native31launch_logcumsumexp_cuda_kernelERKNSE_10TensorBaseESI_lENKUlvE_clEvENKUlvE1_clEvEUlS7_S7_E_S7_EEDaPvRmT3_T4_T5_mT6_P12ihipStream_tbENKUlT_T0_E_clISt17integral_constantIbLb0EESY_IbLb1EEEEDaSU_SV_EUlSU_E_NS1_11comp_targetILNS1_3genE2ELNS1_11target_archE906ELNS1_3gpuE6ELNS1_3repE0EEENS1_30default_config_static_selectorELNS0_4arch9wavefront6targetE1EEEvT1_.has_indirect_call, 0
	.section	.AMDGPU.csdata,"",@progbits
; Kernel info:
; codeLenInByte = 0
; TotalNumSgprs: 6
; NumVgprs: 0
; NumAgprs: 0
; TotalNumVgprs: 0
; ScratchSize: 0
; MemoryBound: 0
; FloatMode: 240
; IeeeMode: 1
; LDSByteSize: 0 bytes/workgroup (compile time only)
; SGPRBlocks: 0
; VGPRBlocks: 0
; NumSGPRsForWavesPerEU: 6
; NumVGPRsForWavesPerEU: 1
; AccumOffset: 4
; Occupancy: 8
; WaveLimiterHint : 0
; COMPUTE_PGM_RSRC2:SCRATCH_EN: 0
; COMPUTE_PGM_RSRC2:USER_SGPR: 2
; COMPUTE_PGM_RSRC2:TRAP_HANDLER: 0
; COMPUTE_PGM_RSRC2:TGID_X_EN: 1
; COMPUTE_PGM_RSRC2:TGID_Y_EN: 0
; COMPUTE_PGM_RSRC2:TGID_Z_EN: 0
; COMPUTE_PGM_RSRC2:TIDIG_COMP_CNT: 0
; COMPUTE_PGM_RSRC3_GFX90A:ACCUM_OFFSET: 0
; COMPUTE_PGM_RSRC3_GFX90A:TG_SPLIT: 0
	.section	.text._ZN7rocprim17ROCPRIM_400000_NS6detail17trampoline_kernelINS0_14default_configENS1_20scan_config_selectorIN3c107complexIdEEEEZZNS1_9scan_implILNS1_25lookback_scan_determinismE0ELb0ELb0ES3_PKS7_PS7_S7_ZZZN2at6native31launch_logcumsumexp_cuda_kernelERKNSE_10TensorBaseESI_lENKUlvE_clEvENKUlvE1_clEvEUlS7_S7_E_S7_EEDaPvRmT3_T4_T5_mT6_P12ihipStream_tbENKUlT_T0_E_clISt17integral_constantIbLb0EESY_IbLb1EEEEDaSU_SV_EUlSU_E_NS1_11comp_targetILNS1_3genE10ELNS1_11target_archE1201ELNS1_3gpuE5ELNS1_3repE0EEENS1_30default_config_static_selectorELNS0_4arch9wavefront6targetE1EEEvT1_,"axG",@progbits,_ZN7rocprim17ROCPRIM_400000_NS6detail17trampoline_kernelINS0_14default_configENS1_20scan_config_selectorIN3c107complexIdEEEEZZNS1_9scan_implILNS1_25lookback_scan_determinismE0ELb0ELb0ES3_PKS7_PS7_S7_ZZZN2at6native31launch_logcumsumexp_cuda_kernelERKNSE_10TensorBaseESI_lENKUlvE_clEvENKUlvE1_clEvEUlS7_S7_E_S7_EEDaPvRmT3_T4_T5_mT6_P12ihipStream_tbENKUlT_T0_E_clISt17integral_constantIbLb0EESY_IbLb1EEEEDaSU_SV_EUlSU_E_NS1_11comp_targetILNS1_3genE10ELNS1_11target_archE1201ELNS1_3gpuE5ELNS1_3repE0EEENS1_30default_config_static_selectorELNS0_4arch9wavefront6targetE1EEEvT1_,comdat
	.globl	_ZN7rocprim17ROCPRIM_400000_NS6detail17trampoline_kernelINS0_14default_configENS1_20scan_config_selectorIN3c107complexIdEEEEZZNS1_9scan_implILNS1_25lookback_scan_determinismE0ELb0ELb0ES3_PKS7_PS7_S7_ZZZN2at6native31launch_logcumsumexp_cuda_kernelERKNSE_10TensorBaseESI_lENKUlvE_clEvENKUlvE1_clEvEUlS7_S7_E_S7_EEDaPvRmT3_T4_T5_mT6_P12ihipStream_tbENKUlT_T0_E_clISt17integral_constantIbLb0EESY_IbLb1EEEEDaSU_SV_EUlSU_E_NS1_11comp_targetILNS1_3genE10ELNS1_11target_archE1201ELNS1_3gpuE5ELNS1_3repE0EEENS1_30default_config_static_selectorELNS0_4arch9wavefront6targetE1EEEvT1_ ; -- Begin function _ZN7rocprim17ROCPRIM_400000_NS6detail17trampoline_kernelINS0_14default_configENS1_20scan_config_selectorIN3c107complexIdEEEEZZNS1_9scan_implILNS1_25lookback_scan_determinismE0ELb0ELb0ES3_PKS7_PS7_S7_ZZZN2at6native31launch_logcumsumexp_cuda_kernelERKNSE_10TensorBaseESI_lENKUlvE_clEvENKUlvE1_clEvEUlS7_S7_E_S7_EEDaPvRmT3_T4_T5_mT6_P12ihipStream_tbENKUlT_T0_E_clISt17integral_constantIbLb0EESY_IbLb1EEEEDaSU_SV_EUlSU_E_NS1_11comp_targetILNS1_3genE10ELNS1_11target_archE1201ELNS1_3gpuE5ELNS1_3repE0EEENS1_30default_config_static_selectorELNS0_4arch9wavefront6targetE1EEEvT1_
	.p2align	8
	.type	_ZN7rocprim17ROCPRIM_400000_NS6detail17trampoline_kernelINS0_14default_configENS1_20scan_config_selectorIN3c107complexIdEEEEZZNS1_9scan_implILNS1_25lookback_scan_determinismE0ELb0ELb0ES3_PKS7_PS7_S7_ZZZN2at6native31launch_logcumsumexp_cuda_kernelERKNSE_10TensorBaseESI_lENKUlvE_clEvENKUlvE1_clEvEUlS7_S7_E_S7_EEDaPvRmT3_T4_T5_mT6_P12ihipStream_tbENKUlT_T0_E_clISt17integral_constantIbLb0EESY_IbLb1EEEEDaSU_SV_EUlSU_E_NS1_11comp_targetILNS1_3genE10ELNS1_11target_archE1201ELNS1_3gpuE5ELNS1_3repE0EEENS1_30default_config_static_selectorELNS0_4arch9wavefront6targetE1EEEvT1_,@function
_ZN7rocprim17ROCPRIM_400000_NS6detail17trampoline_kernelINS0_14default_configENS1_20scan_config_selectorIN3c107complexIdEEEEZZNS1_9scan_implILNS1_25lookback_scan_determinismE0ELb0ELb0ES3_PKS7_PS7_S7_ZZZN2at6native31launch_logcumsumexp_cuda_kernelERKNSE_10TensorBaseESI_lENKUlvE_clEvENKUlvE1_clEvEUlS7_S7_E_S7_EEDaPvRmT3_T4_T5_mT6_P12ihipStream_tbENKUlT_T0_E_clISt17integral_constantIbLb0EESY_IbLb1EEEEDaSU_SV_EUlSU_E_NS1_11comp_targetILNS1_3genE10ELNS1_11target_archE1201ELNS1_3gpuE5ELNS1_3repE0EEENS1_30default_config_static_selectorELNS0_4arch9wavefront6targetE1EEEvT1_: ; @_ZN7rocprim17ROCPRIM_400000_NS6detail17trampoline_kernelINS0_14default_configENS1_20scan_config_selectorIN3c107complexIdEEEEZZNS1_9scan_implILNS1_25lookback_scan_determinismE0ELb0ELb0ES3_PKS7_PS7_S7_ZZZN2at6native31launch_logcumsumexp_cuda_kernelERKNSE_10TensorBaseESI_lENKUlvE_clEvENKUlvE1_clEvEUlS7_S7_E_S7_EEDaPvRmT3_T4_T5_mT6_P12ihipStream_tbENKUlT_T0_E_clISt17integral_constantIbLb0EESY_IbLb1EEEEDaSU_SV_EUlSU_E_NS1_11comp_targetILNS1_3genE10ELNS1_11target_archE1201ELNS1_3gpuE5ELNS1_3repE0EEENS1_30default_config_static_selectorELNS0_4arch9wavefront6targetE1EEEvT1_
; %bb.0:
	.section	.rodata,"a",@progbits
	.p2align	6, 0x0
	.amdhsa_kernel _ZN7rocprim17ROCPRIM_400000_NS6detail17trampoline_kernelINS0_14default_configENS1_20scan_config_selectorIN3c107complexIdEEEEZZNS1_9scan_implILNS1_25lookback_scan_determinismE0ELb0ELb0ES3_PKS7_PS7_S7_ZZZN2at6native31launch_logcumsumexp_cuda_kernelERKNSE_10TensorBaseESI_lENKUlvE_clEvENKUlvE1_clEvEUlS7_S7_E_S7_EEDaPvRmT3_T4_T5_mT6_P12ihipStream_tbENKUlT_T0_E_clISt17integral_constantIbLb0EESY_IbLb1EEEEDaSU_SV_EUlSU_E_NS1_11comp_targetILNS1_3genE10ELNS1_11target_archE1201ELNS1_3gpuE5ELNS1_3repE0EEENS1_30default_config_static_selectorELNS0_4arch9wavefront6targetE1EEEvT1_
		.amdhsa_group_segment_fixed_size 0
		.amdhsa_private_segment_fixed_size 0
		.amdhsa_kernarg_size 128
		.amdhsa_user_sgpr_count 2
		.amdhsa_user_sgpr_dispatch_ptr 0
		.amdhsa_user_sgpr_queue_ptr 0
		.amdhsa_user_sgpr_kernarg_segment_ptr 1
		.amdhsa_user_sgpr_dispatch_id 0
		.amdhsa_user_sgpr_kernarg_preload_length 0
		.amdhsa_user_sgpr_kernarg_preload_offset 0
		.amdhsa_user_sgpr_private_segment_size 0
		.amdhsa_uses_dynamic_stack 0
		.amdhsa_enable_private_segment 0
		.amdhsa_system_sgpr_workgroup_id_x 1
		.amdhsa_system_sgpr_workgroup_id_y 0
		.amdhsa_system_sgpr_workgroup_id_z 0
		.amdhsa_system_sgpr_workgroup_info 0
		.amdhsa_system_vgpr_workitem_id 0
		.amdhsa_next_free_vgpr 1
		.amdhsa_next_free_sgpr 0
		.amdhsa_accum_offset 4
		.amdhsa_reserve_vcc 0
		.amdhsa_float_round_mode_32 0
		.amdhsa_float_round_mode_16_64 0
		.amdhsa_float_denorm_mode_32 3
		.amdhsa_float_denorm_mode_16_64 3
		.amdhsa_dx10_clamp 1
		.amdhsa_ieee_mode 1
		.amdhsa_fp16_overflow 0
		.amdhsa_tg_split 0
		.amdhsa_exception_fp_ieee_invalid_op 0
		.amdhsa_exception_fp_denorm_src 0
		.amdhsa_exception_fp_ieee_div_zero 0
		.amdhsa_exception_fp_ieee_overflow 0
		.amdhsa_exception_fp_ieee_underflow 0
		.amdhsa_exception_fp_ieee_inexact 0
		.amdhsa_exception_int_div_zero 0
	.end_amdhsa_kernel
	.section	.text._ZN7rocprim17ROCPRIM_400000_NS6detail17trampoline_kernelINS0_14default_configENS1_20scan_config_selectorIN3c107complexIdEEEEZZNS1_9scan_implILNS1_25lookback_scan_determinismE0ELb0ELb0ES3_PKS7_PS7_S7_ZZZN2at6native31launch_logcumsumexp_cuda_kernelERKNSE_10TensorBaseESI_lENKUlvE_clEvENKUlvE1_clEvEUlS7_S7_E_S7_EEDaPvRmT3_T4_T5_mT6_P12ihipStream_tbENKUlT_T0_E_clISt17integral_constantIbLb0EESY_IbLb1EEEEDaSU_SV_EUlSU_E_NS1_11comp_targetILNS1_3genE10ELNS1_11target_archE1201ELNS1_3gpuE5ELNS1_3repE0EEENS1_30default_config_static_selectorELNS0_4arch9wavefront6targetE1EEEvT1_,"axG",@progbits,_ZN7rocprim17ROCPRIM_400000_NS6detail17trampoline_kernelINS0_14default_configENS1_20scan_config_selectorIN3c107complexIdEEEEZZNS1_9scan_implILNS1_25lookback_scan_determinismE0ELb0ELb0ES3_PKS7_PS7_S7_ZZZN2at6native31launch_logcumsumexp_cuda_kernelERKNSE_10TensorBaseESI_lENKUlvE_clEvENKUlvE1_clEvEUlS7_S7_E_S7_EEDaPvRmT3_T4_T5_mT6_P12ihipStream_tbENKUlT_T0_E_clISt17integral_constantIbLb0EESY_IbLb1EEEEDaSU_SV_EUlSU_E_NS1_11comp_targetILNS1_3genE10ELNS1_11target_archE1201ELNS1_3gpuE5ELNS1_3repE0EEENS1_30default_config_static_selectorELNS0_4arch9wavefront6targetE1EEEvT1_,comdat
.Lfunc_end246:
	.size	_ZN7rocprim17ROCPRIM_400000_NS6detail17trampoline_kernelINS0_14default_configENS1_20scan_config_selectorIN3c107complexIdEEEEZZNS1_9scan_implILNS1_25lookback_scan_determinismE0ELb0ELb0ES3_PKS7_PS7_S7_ZZZN2at6native31launch_logcumsumexp_cuda_kernelERKNSE_10TensorBaseESI_lENKUlvE_clEvENKUlvE1_clEvEUlS7_S7_E_S7_EEDaPvRmT3_T4_T5_mT6_P12ihipStream_tbENKUlT_T0_E_clISt17integral_constantIbLb0EESY_IbLb1EEEEDaSU_SV_EUlSU_E_NS1_11comp_targetILNS1_3genE10ELNS1_11target_archE1201ELNS1_3gpuE5ELNS1_3repE0EEENS1_30default_config_static_selectorELNS0_4arch9wavefront6targetE1EEEvT1_, .Lfunc_end246-_ZN7rocprim17ROCPRIM_400000_NS6detail17trampoline_kernelINS0_14default_configENS1_20scan_config_selectorIN3c107complexIdEEEEZZNS1_9scan_implILNS1_25lookback_scan_determinismE0ELb0ELb0ES3_PKS7_PS7_S7_ZZZN2at6native31launch_logcumsumexp_cuda_kernelERKNSE_10TensorBaseESI_lENKUlvE_clEvENKUlvE1_clEvEUlS7_S7_E_S7_EEDaPvRmT3_T4_T5_mT6_P12ihipStream_tbENKUlT_T0_E_clISt17integral_constantIbLb0EESY_IbLb1EEEEDaSU_SV_EUlSU_E_NS1_11comp_targetILNS1_3genE10ELNS1_11target_archE1201ELNS1_3gpuE5ELNS1_3repE0EEENS1_30default_config_static_selectorELNS0_4arch9wavefront6targetE1EEEvT1_
                                        ; -- End function
	.set _ZN7rocprim17ROCPRIM_400000_NS6detail17trampoline_kernelINS0_14default_configENS1_20scan_config_selectorIN3c107complexIdEEEEZZNS1_9scan_implILNS1_25lookback_scan_determinismE0ELb0ELb0ES3_PKS7_PS7_S7_ZZZN2at6native31launch_logcumsumexp_cuda_kernelERKNSE_10TensorBaseESI_lENKUlvE_clEvENKUlvE1_clEvEUlS7_S7_E_S7_EEDaPvRmT3_T4_T5_mT6_P12ihipStream_tbENKUlT_T0_E_clISt17integral_constantIbLb0EESY_IbLb1EEEEDaSU_SV_EUlSU_E_NS1_11comp_targetILNS1_3genE10ELNS1_11target_archE1201ELNS1_3gpuE5ELNS1_3repE0EEENS1_30default_config_static_selectorELNS0_4arch9wavefront6targetE1EEEvT1_.num_vgpr, 0
	.set _ZN7rocprim17ROCPRIM_400000_NS6detail17trampoline_kernelINS0_14default_configENS1_20scan_config_selectorIN3c107complexIdEEEEZZNS1_9scan_implILNS1_25lookback_scan_determinismE0ELb0ELb0ES3_PKS7_PS7_S7_ZZZN2at6native31launch_logcumsumexp_cuda_kernelERKNSE_10TensorBaseESI_lENKUlvE_clEvENKUlvE1_clEvEUlS7_S7_E_S7_EEDaPvRmT3_T4_T5_mT6_P12ihipStream_tbENKUlT_T0_E_clISt17integral_constantIbLb0EESY_IbLb1EEEEDaSU_SV_EUlSU_E_NS1_11comp_targetILNS1_3genE10ELNS1_11target_archE1201ELNS1_3gpuE5ELNS1_3repE0EEENS1_30default_config_static_selectorELNS0_4arch9wavefront6targetE1EEEvT1_.num_agpr, 0
	.set _ZN7rocprim17ROCPRIM_400000_NS6detail17trampoline_kernelINS0_14default_configENS1_20scan_config_selectorIN3c107complexIdEEEEZZNS1_9scan_implILNS1_25lookback_scan_determinismE0ELb0ELb0ES3_PKS7_PS7_S7_ZZZN2at6native31launch_logcumsumexp_cuda_kernelERKNSE_10TensorBaseESI_lENKUlvE_clEvENKUlvE1_clEvEUlS7_S7_E_S7_EEDaPvRmT3_T4_T5_mT6_P12ihipStream_tbENKUlT_T0_E_clISt17integral_constantIbLb0EESY_IbLb1EEEEDaSU_SV_EUlSU_E_NS1_11comp_targetILNS1_3genE10ELNS1_11target_archE1201ELNS1_3gpuE5ELNS1_3repE0EEENS1_30default_config_static_selectorELNS0_4arch9wavefront6targetE1EEEvT1_.numbered_sgpr, 0
	.set _ZN7rocprim17ROCPRIM_400000_NS6detail17trampoline_kernelINS0_14default_configENS1_20scan_config_selectorIN3c107complexIdEEEEZZNS1_9scan_implILNS1_25lookback_scan_determinismE0ELb0ELb0ES3_PKS7_PS7_S7_ZZZN2at6native31launch_logcumsumexp_cuda_kernelERKNSE_10TensorBaseESI_lENKUlvE_clEvENKUlvE1_clEvEUlS7_S7_E_S7_EEDaPvRmT3_T4_T5_mT6_P12ihipStream_tbENKUlT_T0_E_clISt17integral_constantIbLb0EESY_IbLb1EEEEDaSU_SV_EUlSU_E_NS1_11comp_targetILNS1_3genE10ELNS1_11target_archE1201ELNS1_3gpuE5ELNS1_3repE0EEENS1_30default_config_static_selectorELNS0_4arch9wavefront6targetE1EEEvT1_.num_named_barrier, 0
	.set _ZN7rocprim17ROCPRIM_400000_NS6detail17trampoline_kernelINS0_14default_configENS1_20scan_config_selectorIN3c107complexIdEEEEZZNS1_9scan_implILNS1_25lookback_scan_determinismE0ELb0ELb0ES3_PKS7_PS7_S7_ZZZN2at6native31launch_logcumsumexp_cuda_kernelERKNSE_10TensorBaseESI_lENKUlvE_clEvENKUlvE1_clEvEUlS7_S7_E_S7_EEDaPvRmT3_T4_T5_mT6_P12ihipStream_tbENKUlT_T0_E_clISt17integral_constantIbLb0EESY_IbLb1EEEEDaSU_SV_EUlSU_E_NS1_11comp_targetILNS1_3genE10ELNS1_11target_archE1201ELNS1_3gpuE5ELNS1_3repE0EEENS1_30default_config_static_selectorELNS0_4arch9wavefront6targetE1EEEvT1_.private_seg_size, 0
	.set _ZN7rocprim17ROCPRIM_400000_NS6detail17trampoline_kernelINS0_14default_configENS1_20scan_config_selectorIN3c107complexIdEEEEZZNS1_9scan_implILNS1_25lookback_scan_determinismE0ELb0ELb0ES3_PKS7_PS7_S7_ZZZN2at6native31launch_logcumsumexp_cuda_kernelERKNSE_10TensorBaseESI_lENKUlvE_clEvENKUlvE1_clEvEUlS7_S7_E_S7_EEDaPvRmT3_T4_T5_mT6_P12ihipStream_tbENKUlT_T0_E_clISt17integral_constantIbLb0EESY_IbLb1EEEEDaSU_SV_EUlSU_E_NS1_11comp_targetILNS1_3genE10ELNS1_11target_archE1201ELNS1_3gpuE5ELNS1_3repE0EEENS1_30default_config_static_selectorELNS0_4arch9wavefront6targetE1EEEvT1_.uses_vcc, 0
	.set _ZN7rocprim17ROCPRIM_400000_NS6detail17trampoline_kernelINS0_14default_configENS1_20scan_config_selectorIN3c107complexIdEEEEZZNS1_9scan_implILNS1_25lookback_scan_determinismE0ELb0ELb0ES3_PKS7_PS7_S7_ZZZN2at6native31launch_logcumsumexp_cuda_kernelERKNSE_10TensorBaseESI_lENKUlvE_clEvENKUlvE1_clEvEUlS7_S7_E_S7_EEDaPvRmT3_T4_T5_mT6_P12ihipStream_tbENKUlT_T0_E_clISt17integral_constantIbLb0EESY_IbLb1EEEEDaSU_SV_EUlSU_E_NS1_11comp_targetILNS1_3genE10ELNS1_11target_archE1201ELNS1_3gpuE5ELNS1_3repE0EEENS1_30default_config_static_selectorELNS0_4arch9wavefront6targetE1EEEvT1_.uses_flat_scratch, 0
	.set _ZN7rocprim17ROCPRIM_400000_NS6detail17trampoline_kernelINS0_14default_configENS1_20scan_config_selectorIN3c107complexIdEEEEZZNS1_9scan_implILNS1_25lookback_scan_determinismE0ELb0ELb0ES3_PKS7_PS7_S7_ZZZN2at6native31launch_logcumsumexp_cuda_kernelERKNSE_10TensorBaseESI_lENKUlvE_clEvENKUlvE1_clEvEUlS7_S7_E_S7_EEDaPvRmT3_T4_T5_mT6_P12ihipStream_tbENKUlT_T0_E_clISt17integral_constantIbLb0EESY_IbLb1EEEEDaSU_SV_EUlSU_E_NS1_11comp_targetILNS1_3genE10ELNS1_11target_archE1201ELNS1_3gpuE5ELNS1_3repE0EEENS1_30default_config_static_selectorELNS0_4arch9wavefront6targetE1EEEvT1_.has_dyn_sized_stack, 0
	.set _ZN7rocprim17ROCPRIM_400000_NS6detail17trampoline_kernelINS0_14default_configENS1_20scan_config_selectorIN3c107complexIdEEEEZZNS1_9scan_implILNS1_25lookback_scan_determinismE0ELb0ELb0ES3_PKS7_PS7_S7_ZZZN2at6native31launch_logcumsumexp_cuda_kernelERKNSE_10TensorBaseESI_lENKUlvE_clEvENKUlvE1_clEvEUlS7_S7_E_S7_EEDaPvRmT3_T4_T5_mT6_P12ihipStream_tbENKUlT_T0_E_clISt17integral_constantIbLb0EESY_IbLb1EEEEDaSU_SV_EUlSU_E_NS1_11comp_targetILNS1_3genE10ELNS1_11target_archE1201ELNS1_3gpuE5ELNS1_3repE0EEENS1_30default_config_static_selectorELNS0_4arch9wavefront6targetE1EEEvT1_.has_recursion, 0
	.set _ZN7rocprim17ROCPRIM_400000_NS6detail17trampoline_kernelINS0_14default_configENS1_20scan_config_selectorIN3c107complexIdEEEEZZNS1_9scan_implILNS1_25lookback_scan_determinismE0ELb0ELb0ES3_PKS7_PS7_S7_ZZZN2at6native31launch_logcumsumexp_cuda_kernelERKNSE_10TensorBaseESI_lENKUlvE_clEvENKUlvE1_clEvEUlS7_S7_E_S7_EEDaPvRmT3_T4_T5_mT6_P12ihipStream_tbENKUlT_T0_E_clISt17integral_constantIbLb0EESY_IbLb1EEEEDaSU_SV_EUlSU_E_NS1_11comp_targetILNS1_3genE10ELNS1_11target_archE1201ELNS1_3gpuE5ELNS1_3repE0EEENS1_30default_config_static_selectorELNS0_4arch9wavefront6targetE1EEEvT1_.has_indirect_call, 0
	.section	.AMDGPU.csdata,"",@progbits
; Kernel info:
; codeLenInByte = 0
; TotalNumSgprs: 6
; NumVgprs: 0
; NumAgprs: 0
; TotalNumVgprs: 0
; ScratchSize: 0
; MemoryBound: 0
; FloatMode: 240
; IeeeMode: 1
; LDSByteSize: 0 bytes/workgroup (compile time only)
; SGPRBlocks: 0
; VGPRBlocks: 0
; NumSGPRsForWavesPerEU: 6
; NumVGPRsForWavesPerEU: 1
; AccumOffset: 4
; Occupancy: 8
; WaveLimiterHint : 0
; COMPUTE_PGM_RSRC2:SCRATCH_EN: 0
; COMPUTE_PGM_RSRC2:USER_SGPR: 2
; COMPUTE_PGM_RSRC2:TRAP_HANDLER: 0
; COMPUTE_PGM_RSRC2:TGID_X_EN: 1
; COMPUTE_PGM_RSRC2:TGID_Y_EN: 0
; COMPUTE_PGM_RSRC2:TGID_Z_EN: 0
; COMPUTE_PGM_RSRC2:TIDIG_COMP_CNT: 0
; COMPUTE_PGM_RSRC3_GFX90A:ACCUM_OFFSET: 0
; COMPUTE_PGM_RSRC3_GFX90A:TG_SPLIT: 0
	.section	.text._ZN7rocprim17ROCPRIM_400000_NS6detail17trampoline_kernelINS0_14default_configENS1_20scan_config_selectorIN3c107complexIdEEEEZZNS1_9scan_implILNS1_25lookback_scan_determinismE0ELb0ELb0ES3_PKS7_PS7_S7_ZZZN2at6native31launch_logcumsumexp_cuda_kernelERKNSE_10TensorBaseESI_lENKUlvE_clEvENKUlvE1_clEvEUlS7_S7_E_S7_EEDaPvRmT3_T4_T5_mT6_P12ihipStream_tbENKUlT_T0_E_clISt17integral_constantIbLb0EESY_IbLb1EEEEDaSU_SV_EUlSU_E_NS1_11comp_targetILNS1_3genE10ELNS1_11target_archE1200ELNS1_3gpuE4ELNS1_3repE0EEENS1_30default_config_static_selectorELNS0_4arch9wavefront6targetE1EEEvT1_,"axG",@progbits,_ZN7rocprim17ROCPRIM_400000_NS6detail17trampoline_kernelINS0_14default_configENS1_20scan_config_selectorIN3c107complexIdEEEEZZNS1_9scan_implILNS1_25lookback_scan_determinismE0ELb0ELb0ES3_PKS7_PS7_S7_ZZZN2at6native31launch_logcumsumexp_cuda_kernelERKNSE_10TensorBaseESI_lENKUlvE_clEvENKUlvE1_clEvEUlS7_S7_E_S7_EEDaPvRmT3_T4_T5_mT6_P12ihipStream_tbENKUlT_T0_E_clISt17integral_constantIbLb0EESY_IbLb1EEEEDaSU_SV_EUlSU_E_NS1_11comp_targetILNS1_3genE10ELNS1_11target_archE1200ELNS1_3gpuE4ELNS1_3repE0EEENS1_30default_config_static_selectorELNS0_4arch9wavefront6targetE1EEEvT1_,comdat
	.globl	_ZN7rocprim17ROCPRIM_400000_NS6detail17trampoline_kernelINS0_14default_configENS1_20scan_config_selectorIN3c107complexIdEEEEZZNS1_9scan_implILNS1_25lookback_scan_determinismE0ELb0ELb0ES3_PKS7_PS7_S7_ZZZN2at6native31launch_logcumsumexp_cuda_kernelERKNSE_10TensorBaseESI_lENKUlvE_clEvENKUlvE1_clEvEUlS7_S7_E_S7_EEDaPvRmT3_T4_T5_mT6_P12ihipStream_tbENKUlT_T0_E_clISt17integral_constantIbLb0EESY_IbLb1EEEEDaSU_SV_EUlSU_E_NS1_11comp_targetILNS1_3genE10ELNS1_11target_archE1200ELNS1_3gpuE4ELNS1_3repE0EEENS1_30default_config_static_selectorELNS0_4arch9wavefront6targetE1EEEvT1_ ; -- Begin function _ZN7rocprim17ROCPRIM_400000_NS6detail17trampoline_kernelINS0_14default_configENS1_20scan_config_selectorIN3c107complexIdEEEEZZNS1_9scan_implILNS1_25lookback_scan_determinismE0ELb0ELb0ES3_PKS7_PS7_S7_ZZZN2at6native31launch_logcumsumexp_cuda_kernelERKNSE_10TensorBaseESI_lENKUlvE_clEvENKUlvE1_clEvEUlS7_S7_E_S7_EEDaPvRmT3_T4_T5_mT6_P12ihipStream_tbENKUlT_T0_E_clISt17integral_constantIbLb0EESY_IbLb1EEEEDaSU_SV_EUlSU_E_NS1_11comp_targetILNS1_3genE10ELNS1_11target_archE1200ELNS1_3gpuE4ELNS1_3repE0EEENS1_30default_config_static_selectorELNS0_4arch9wavefront6targetE1EEEvT1_
	.p2align	8
	.type	_ZN7rocprim17ROCPRIM_400000_NS6detail17trampoline_kernelINS0_14default_configENS1_20scan_config_selectorIN3c107complexIdEEEEZZNS1_9scan_implILNS1_25lookback_scan_determinismE0ELb0ELb0ES3_PKS7_PS7_S7_ZZZN2at6native31launch_logcumsumexp_cuda_kernelERKNSE_10TensorBaseESI_lENKUlvE_clEvENKUlvE1_clEvEUlS7_S7_E_S7_EEDaPvRmT3_T4_T5_mT6_P12ihipStream_tbENKUlT_T0_E_clISt17integral_constantIbLb0EESY_IbLb1EEEEDaSU_SV_EUlSU_E_NS1_11comp_targetILNS1_3genE10ELNS1_11target_archE1200ELNS1_3gpuE4ELNS1_3repE0EEENS1_30default_config_static_selectorELNS0_4arch9wavefront6targetE1EEEvT1_,@function
_ZN7rocprim17ROCPRIM_400000_NS6detail17trampoline_kernelINS0_14default_configENS1_20scan_config_selectorIN3c107complexIdEEEEZZNS1_9scan_implILNS1_25lookback_scan_determinismE0ELb0ELb0ES3_PKS7_PS7_S7_ZZZN2at6native31launch_logcumsumexp_cuda_kernelERKNSE_10TensorBaseESI_lENKUlvE_clEvENKUlvE1_clEvEUlS7_S7_E_S7_EEDaPvRmT3_T4_T5_mT6_P12ihipStream_tbENKUlT_T0_E_clISt17integral_constantIbLb0EESY_IbLb1EEEEDaSU_SV_EUlSU_E_NS1_11comp_targetILNS1_3genE10ELNS1_11target_archE1200ELNS1_3gpuE4ELNS1_3repE0EEENS1_30default_config_static_selectorELNS0_4arch9wavefront6targetE1EEEvT1_: ; @_ZN7rocprim17ROCPRIM_400000_NS6detail17trampoline_kernelINS0_14default_configENS1_20scan_config_selectorIN3c107complexIdEEEEZZNS1_9scan_implILNS1_25lookback_scan_determinismE0ELb0ELb0ES3_PKS7_PS7_S7_ZZZN2at6native31launch_logcumsumexp_cuda_kernelERKNSE_10TensorBaseESI_lENKUlvE_clEvENKUlvE1_clEvEUlS7_S7_E_S7_EEDaPvRmT3_T4_T5_mT6_P12ihipStream_tbENKUlT_T0_E_clISt17integral_constantIbLb0EESY_IbLb1EEEEDaSU_SV_EUlSU_E_NS1_11comp_targetILNS1_3genE10ELNS1_11target_archE1200ELNS1_3gpuE4ELNS1_3repE0EEENS1_30default_config_static_selectorELNS0_4arch9wavefront6targetE1EEEvT1_
; %bb.0:
	.section	.rodata,"a",@progbits
	.p2align	6, 0x0
	.amdhsa_kernel _ZN7rocprim17ROCPRIM_400000_NS6detail17trampoline_kernelINS0_14default_configENS1_20scan_config_selectorIN3c107complexIdEEEEZZNS1_9scan_implILNS1_25lookback_scan_determinismE0ELb0ELb0ES3_PKS7_PS7_S7_ZZZN2at6native31launch_logcumsumexp_cuda_kernelERKNSE_10TensorBaseESI_lENKUlvE_clEvENKUlvE1_clEvEUlS7_S7_E_S7_EEDaPvRmT3_T4_T5_mT6_P12ihipStream_tbENKUlT_T0_E_clISt17integral_constantIbLb0EESY_IbLb1EEEEDaSU_SV_EUlSU_E_NS1_11comp_targetILNS1_3genE10ELNS1_11target_archE1200ELNS1_3gpuE4ELNS1_3repE0EEENS1_30default_config_static_selectorELNS0_4arch9wavefront6targetE1EEEvT1_
		.amdhsa_group_segment_fixed_size 0
		.amdhsa_private_segment_fixed_size 0
		.amdhsa_kernarg_size 128
		.amdhsa_user_sgpr_count 2
		.amdhsa_user_sgpr_dispatch_ptr 0
		.amdhsa_user_sgpr_queue_ptr 0
		.amdhsa_user_sgpr_kernarg_segment_ptr 1
		.amdhsa_user_sgpr_dispatch_id 0
		.amdhsa_user_sgpr_kernarg_preload_length 0
		.amdhsa_user_sgpr_kernarg_preload_offset 0
		.amdhsa_user_sgpr_private_segment_size 0
		.amdhsa_uses_dynamic_stack 0
		.amdhsa_enable_private_segment 0
		.amdhsa_system_sgpr_workgroup_id_x 1
		.amdhsa_system_sgpr_workgroup_id_y 0
		.amdhsa_system_sgpr_workgroup_id_z 0
		.amdhsa_system_sgpr_workgroup_info 0
		.amdhsa_system_vgpr_workitem_id 0
		.amdhsa_next_free_vgpr 1
		.amdhsa_next_free_sgpr 0
		.amdhsa_accum_offset 4
		.amdhsa_reserve_vcc 0
		.amdhsa_float_round_mode_32 0
		.amdhsa_float_round_mode_16_64 0
		.amdhsa_float_denorm_mode_32 3
		.amdhsa_float_denorm_mode_16_64 3
		.amdhsa_dx10_clamp 1
		.amdhsa_ieee_mode 1
		.amdhsa_fp16_overflow 0
		.amdhsa_tg_split 0
		.amdhsa_exception_fp_ieee_invalid_op 0
		.amdhsa_exception_fp_denorm_src 0
		.amdhsa_exception_fp_ieee_div_zero 0
		.amdhsa_exception_fp_ieee_overflow 0
		.amdhsa_exception_fp_ieee_underflow 0
		.amdhsa_exception_fp_ieee_inexact 0
		.amdhsa_exception_int_div_zero 0
	.end_amdhsa_kernel
	.section	.text._ZN7rocprim17ROCPRIM_400000_NS6detail17trampoline_kernelINS0_14default_configENS1_20scan_config_selectorIN3c107complexIdEEEEZZNS1_9scan_implILNS1_25lookback_scan_determinismE0ELb0ELb0ES3_PKS7_PS7_S7_ZZZN2at6native31launch_logcumsumexp_cuda_kernelERKNSE_10TensorBaseESI_lENKUlvE_clEvENKUlvE1_clEvEUlS7_S7_E_S7_EEDaPvRmT3_T4_T5_mT6_P12ihipStream_tbENKUlT_T0_E_clISt17integral_constantIbLb0EESY_IbLb1EEEEDaSU_SV_EUlSU_E_NS1_11comp_targetILNS1_3genE10ELNS1_11target_archE1200ELNS1_3gpuE4ELNS1_3repE0EEENS1_30default_config_static_selectorELNS0_4arch9wavefront6targetE1EEEvT1_,"axG",@progbits,_ZN7rocprim17ROCPRIM_400000_NS6detail17trampoline_kernelINS0_14default_configENS1_20scan_config_selectorIN3c107complexIdEEEEZZNS1_9scan_implILNS1_25lookback_scan_determinismE0ELb0ELb0ES3_PKS7_PS7_S7_ZZZN2at6native31launch_logcumsumexp_cuda_kernelERKNSE_10TensorBaseESI_lENKUlvE_clEvENKUlvE1_clEvEUlS7_S7_E_S7_EEDaPvRmT3_T4_T5_mT6_P12ihipStream_tbENKUlT_T0_E_clISt17integral_constantIbLb0EESY_IbLb1EEEEDaSU_SV_EUlSU_E_NS1_11comp_targetILNS1_3genE10ELNS1_11target_archE1200ELNS1_3gpuE4ELNS1_3repE0EEENS1_30default_config_static_selectorELNS0_4arch9wavefront6targetE1EEEvT1_,comdat
.Lfunc_end247:
	.size	_ZN7rocprim17ROCPRIM_400000_NS6detail17trampoline_kernelINS0_14default_configENS1_20scan_config_selectorIN3c107complexIdEEEEZZNS1_9scan_implILNS1_25lookback_scan_determinismE0ELb0ELb0ES3_PKS7_PS7_S7_ZZZN2at6native31launch_logcumsumexp_cuda_kernelERKNSE_10TensorBaseESI_lENKUlvE_clEvENKUlvE1_clEvEUlS7_S7_E_S7_EEDaPvRmT3_T4_T5_mT6_P12ihipStream_tbENKUlT_T0_E_clISt17integral_constantIbLb0EESY_IbLb1EEEEDaSU_SV_EUlSU_E_NS1_11comp_targetILNS1_3genE10ELNS1_11target_archE1200ELNS1_3gpuE4ELNS1_3repE0EEENS1_30default_config_static_selectorELNS0_4arch9wavefront6targetE1EEEvT1_, .Lfunc_end247-_ZN7rocprim17ROCPRIM_400000_NS6detail17trampoline_kernelINS0_14default_configENS1_20scan_config_selectorIN3c107complexIdEEEEZZNS1_9scan_implILNS1_25lookback_scan_determinismE0ELb0ELb0ES3_PKS7_PS7_S7_ZZZN2at6native31launch_logcumsumexp_cuda_kernelERKNSE_10TensorBaseESI_lENKUlvE_clEvENKUlvE1_clEvEUlS7_S7_E_S7_EEDaPvRmT3_T4_T5_mT6_P12ihipStream_tbENKUlT_T0_E_clISt17integral_constantIbLb0EESY_IbLb1EEEEDaSU_SV_EUlSU_E_NS1_11comp_targetILNS1_3genE10ELNS1_11target_archE1200ELNS1_3gpuE4ELNS1_3repE0EEENS1_30default_config_static_selectorELNS0_4arch9wavefront6targetE1EEEvT1_
                                        ; -- End function
	.set _ZN7rocprim17ROCPRIM_400000_NS6detail17trampoline_kernelINS0_14default_configENS1_20scan_config_selectorIN3c107complexIdEEEEZZNS1_9scan_implILNS1_25lookback_scan_determinismE0ELb0ELb0ES3_PKS7_PS7_S7_ZZZN2at6native31launch_logcumsumexp_cuda_kernelERKNSE_10TensorBaseESI_lENKUlvE_clEvENKUlvE1_clEvEUlS7_S7_E_S7_EEDaPvRmT3_T4_T5_mT6_P12ihipStream_tbENKUlT_T0_E_clISt17integral_constantIbLb0EESY_IbLb1EEEEDaSU_SV_EUlSU_E_NS1_11comp_targetILNS1_3genE10ELNS1_11target_archE1200ELNS1_3gpuE4ELNS1_3repE0EEENS1_30default_config_static_selectorELNS0_4arch9wavefront6targetE1EEEvT1_.num_vgpr, 0
	.set _ZN7rocprim17ROCPRIM_400000_NS6detail17trampoline_kernelINS0_14default_configENS1_20scan_config_selectorIN3c107complexIdEEEEZZNS1_9scan_implILNS1_25lookback_scan_determinismE0ELb0ELb0ES3_PKS7_PS7_S7_ZZZN2at6native31launch_logcumsumexp_cuda_kernelERKNSE_10TensorBaseESI_lENKUlvE_clEvENKUlvE1_clEvEUlS7_S7_E_S7_EEDaPvRmT3_T4_T5_mT6_P12ihipStream_tbENKUlT_T0_E_clISt17integral_constantIbLb0EESY_IbLb1EEEEDaSU_SV_EUlSU_E_NS1_11comp_targetILNS1_3genE10ELNS1_11target_archE1200ELNS1_3gpuE4ELNS1_3repE0EEENS1_30default_config_static_selectorELNS0_4arch9wavefront6targetE1EEEvT1_.num_agpr, 0
	.set _ZN7rocprim17ROCPRIM_400000_NS6detail17trampoline_kernelINS0_14default_configENS1_20scan_config_selectorIN3c107complexIdEEEEZZNS1_9scan_implILNS1_25lookback_scan_determinismE0ELb0ELb0ES3_PKS7_PS7_S7_ZZZN2at6native31launch_logcumsumexp_cuda_kernelERKNSE_10TensorBaseESI_lENKUlvE_clEvENKUlvE1_clEvEUlS7_S7_E_S7_EEDaPvRmT3_T4_T5_mT6_P12ihipStream_tbENKUlT_T0_E_clISt17integral_constantIbLb0EESY_IbLb1EEEEDaSU_SV_EUlSU_E_NS1_11comp_targetILNS1_3genE10ELNS1_11target_archE1200ELNS1_3gpuE4ELNS1_3repE0EEENS1_30default_config_static_selectorELNS0_4arch9wavefront6targetE1EEEvT1_.numbered_sgpr, 0
	.set _ZN7rocprim17ROCPRIM_400000_NS6detail17trampoline_kernelINS0_14default_configENS1_20scan_config_selectorIN3c107complexIdEEEEZZNS1_9scan_implILNS1_25lookback_scan_determinismE0ELb0ELb0ES3_PKS7_PS7_S7_ZZZN2at6native31launch_logcumsumexp_cuda_kernelERKNSE_10TensorBaseESI_lENKUlvE_clEvENKUlvE1_clEvEUlS7_S7_E_S7_EEDaPvRmT3_T4_T5_mT6_P12ihipStream_tbENKUlT_T0_E_clISt17integral_constantIbLb0EESY_IbLb1EEEEDaSU_SV_EUlSU_E_NS1_11comp_targetILNS1_3genE10ELNS1_11target_archE1200ELNS1_3gpuE4ELNS1_3repE0EEENS1_30default_config_static_selectorELNS0_4arch9wavefront6targetE1EEEvT1_.num_named_barrier, 0
	.set _ZN7rocprim17ROCPRIM_400000_NS6detail17trampoline_kernelINS0_14default_configENS1_20scan_config_selectorIN3c107complexIdEEEEZZNS1_9scan_implILNS1_25lookback_scan_determinismE0ELb0ELb0ES3_PKS7_PS7_S7_ZZZN2at6native31launch_logcumsumexp_cuda_kernelERKNSE_10TensorBaseESI_lENKUlvE_clEvENKUlvE1_clEvEUlS7_S7_E_S7_EEDaPvRmT3_T4_T5_mT6_P12ihipStream_tbENKUlT_T0_E_clISt17integral_constantIbLb0EESY_IbLb1EEEEDaSU_SV_EUlSU_E_NS1_11comp_targetILNS1_3genE10ELNS1_11target_archE1200ELNS1_3gpuE4ELNS1_3repE0EEENS1_30default_config_static_selectorELNS0_4arch9wavefront6targetE1EEEvT1_.private_seg_size, 0
	.set _ZN7rocprim17ROCPRIM_400000_NS6detail17trampoline_kernelINS0_14default_configENS1_20scan_config_selectorIN3c107complexIdEEEEZZNS1_9scan_implILNS1_25lookback_scan_determinismE0ELb0ELb0ES3_PKS7_PS7_S7_ZZZN2at6native31launch_logcumsumexp_cuda_kernelERKNSE_10TensorBaseESI_lENKUlvE_clEvENKUlvE1_clEvEUlS7_S7_E_S7_EEDaPvRmT3_T4_T5_mT6_P12ihipStream_tbENKUlT_T0_E_clISt17integral_constantIbLb0EESY_IbLb1EEEEDaSU_SV_EUlSU_E_NS1_11comp_targetILNS1_3genE10ELNS1_11target_archE1200ELNS1_3gpuE4ELNS1_3repE0EEENS1_30default_config_static_selectorELNS0_4arch9wavefront6targetE1EEEvT1_.uses_vcc, 0
	.set _ZN7rocprim17ROCPRIM_400000_NS6detail17trampoline_kernelINS0_14default_configENS1_20scan_config_selectorIN3c107complexIdEEEEZZNS1_9scan_implILNS1_25lookback_scan_determinismE0ELb0ELb0ES3_PKS7_PS7_S7_ZZZN2at6native31launch_logcumsumexp_cuda_kernelERKNSE_10TensorBaseESI_lENKUlvE_clEvENKUlvE1_clEvEUlS7_S7_E_S7_EEDaPvRmT3_T4_T5_mT6_P12ihipStream_tbENKUlT_T0_E_clISt17integral_constantIbLb0EESY_IbLb1EEEEDaSU_SV_EUlSU_E_NS1_11comp_targetILNS1_3genE10ELNS1_11target_archE1200ELNS1_3gpuE4ELNS1_3repE0EEENS1_30default_config_static_selectorELNS0_4arch9wavefront6targetE1EEEvT1_.uses_flat_scratch, 0
	.set _ZN7rocprim17ROCPRIM_400000_NS6detail17trampoline_kernelINS0_14default_configENS1_20scan_config_selectorIN3c107complexIdEEEEZZNS1_9scan_implILNS1_25lookback_scan_determinismE0ELb0ELb0ES3_PKS7_PS7_S7_ZZZN2at6native31launch_logcumsumexp_cuda_kernelERKNSE_10TensorBaseESI_lENKUlvE_clEvENKUlvE1_clEvEUlS7_S7_E_S7_EEDaPvRmT3_T4_T5_mT6_P12ihipStream_tbENKUlT_T0_E_clISt17integral_constantIbLb0EESY_IbLb1EEEEDaSU_SV_EUlSU_E_NS1_11comp_targetILNS1_3genE10ELNS1_11target_archE1200ELNS1_3gpuE4ELNS1_3repE0EEENS1_30default_config_static_selectorELNS0_4arch9wavefront6targetE1EEEvT1_.has_dyn_sized_stack, 0
	.set _ZN7rocprim17ROCPRIM_400000_NS6detail17trampoline_kernelINS0_14default_configENS1_20scan_config_selectorIN3c107complexIdEEEEZZNS1_9scan_implILNS1_25lookback_scan_determinismE0ELb0ELb0ES3_PKS7_PS7_S7_ZZZN2at6native31launch_logcumsumexp_cuda_kernelERKNSE_10TensorBaseESI_lENKUlvE_clEvENKUlvE1_clEvEUlS7_S7_E_S7_EEDaPvRmT3_T4_T5_mT6_P12ihipStream_tbENKUlT_T0_E_clISt17integral_constantIbLb0EESY_IbLb1EEEEDaSU_SV_EUlSU_E_NS1_11comp_targetILNS1_3genE10ELNS1_11target_archE1200ELNS1_3gpuE4ELNS1_3repE0EEENS1_30default_config_static_selectorELNS0_4arch9wavefront6targetE1EEEvT1_.has_recursion, 0
	.set _ZN7rocprim17ROCPRIM_400000_NS6detail17trampoline_kernelINS0_14default_configENS1_20scan_config_selectorIN3c107complexIdEEEEZZNS1_9scan_implILNS1_25lookback_scan_determinismE0ELb0ELb0ES3_PKS7_PS7_S7_ZZZN2at6native31launch_logcumsumexp_cuda_kernelERKNSE_10TensorBaseESI_lENKUlvE_clEvENKUlvE1_clEvEUlS7_S7_E_S7_EEDaPvRmT3_T4_T5_mT6_P12ihipStream_tbENKUlT_T0_E_clISt17integral_constantIbLb0EESY_IbLb1EEEEDaSU_SV_EUlSU_E_NS1_11comp_targetILNS1_3genE10ELNS1_11target_archE1200ELNS1_3gpuE4ELNS1_3repE0EEENS1_30default_config_static_selectorELNS0_4arch9wavefront6targetE1EEEvT1_.has_indirect_call, 0
	.section	.AMDGPU.csdata,"",@progbits
; Kernel info:
; codeLenInByte = 0
; TotalNumSgprs: 6
; NumVgprs: 0
; NumAgprs: 0
; TotalNumVgprs: 0
; ScratchSize: 0
; MemoryBound: 0
; FloatMode: 240
; IeeeMode: 1
; LDSByteSize: 0 bytes/workgroup (compile time only)
; SGPRBlocks: 0
; VGPRBlocks: 0
; NumSGPRsForWavesPerEU: 6
; NumVGPRsForWavesPerEU: 1
; AccumOffset: 4
; Occupancy: 8
; WaveLimiterHint : 0
; COMPUTE_PGM_RSRC2:SCRATCH_EN: 0
; COMPUTE_PGM_RSRC2:USER_SGPR: 2
; COMPUTE_PGM_RSRC2:TRAP_HANDLER: 0
; COMPUTE_PGM_RSRC2:TGID_X_EN: 1
; COMPUTE_PGM_RSRC2:TGID_Y_EN: 0
; COMPUTE_PGM_RSRC2:TGID_Z_EN: 0
; COMPUTE_PGM_RSRC2:TIDIG_COMP_CNT: 0
; COMPUTE_PGM_RSRC3_GFX90A:ACCUM_OFFSET: 0
; COMPUTE_PGM_RSRC3_GFX90A:TG_SPLIT: 0
	.section	.text._ZN7rocprim17ROCPRIM_400000_NS6detail17trampoline_kernelINS0_14default_configENS1_20scan_config_selectorIN3c107complexIdEEEEZZNS1_9scan_implILNS1_25lookback_scan_determinismE0ELb0ELb0ES3_PKS7_PS7_S7_ZZZN2at6native31launch_logcumsumexp_cuda_kernelERKNSE_10TensorBaseESI_lENKUlvE_clEvENKUlvE1_clEvEUlS7_S7_E_S7_EEDaPvRmT3_T4_T5_mT6_P12ihipStream_tbENKUlT_T0_E_clISt17integral_constantIbLb0EESY_IbLb1EEEEDaSU_SV_EUlSU_E_NS1_11comp_targetILNS1_3genE9ELNS1_11target_archE1100ELNS1_3gpuE3ELNS1_3repE0EEENS1_30default_config_static_selectorELNS0_4arch9wavefront6targetE1EEEvT1_,"axG",@progbits,_ZN7rocprim17ROCPRIM_400000_NS6detail17trampoline_kernelINS0_14default_configENS1_20scan_config_selectorIN3c107complexIdEEEEZZNS1_9scan_implILNS1_25lookback_scan_determinismE0ELb0ELb0ES3_PKS7_PS7_S7_ZZZN2at6native31launch_logcumsumexp_cuda_kernelERKNSE_10TensorBaseESI_lENKUlvE_clEvENKUlvE1_clEvEUlS7_S7_E_S7_EEDaPvRmT3_T4_T5_mT6_P12ihipStream_tbENKUlT_T0_E_clISt17integral_constantIbLb0EESY_IbLb1EEEEDaSU_SV_EUlSU_E_NS1_11comp_targetILNS1_3genE9ELNS1_11target_archE1100ELNS1_3gpuE3ELNS1_3repE0EEENS1_30default_config_static_selectorELNS0_4arch9wavefront6targetE1EEEvT1_,comdat
	.globl	_ZN7rocprim17ROCPRIM_400000_NS6detail17trampoline_kernelINS0_14default_configENS1_20scan_config_selectorIN3c107complexIdEEEEZZNS1_9scan_implILNS1_25lookback_scan_determinismE0ELb0ELb0ES3_PKS7_PS7_S7_ZZZN2at6native31launch_logcumsumexp_cuda_kernelERKNSE_10TensorBaseESI_lENKUlvE_clEvENKUlvE1_clEvEUlS7_S7_E_S7_EEDaPvRmT3_T4_T5_mT6_P12ihipStream_tbENKUlT_T0_E_clISt17integral_constantIbLb0EESY_IbLb1EEEEDaSU_SV_EUlSU_E_NS1_11comp_targetILNS1_3genE9ELNS1_11target_archE1100ELNS1_3gpuE3ELNS1_3repE0EEENS1_30default_config_static_selectorELNS0_4arch9wavefront6targetE1EEEvT1_ ; -- Begin function _ZN7rocprim17ROCPRIM_400000_NS6detail17trampoline_kernelINS0_14default_configENS1_20scan_config_selectorIN3c107complexIdEEEEZZNS1_9scan_implILNS1_25lookback_scan_determinismE0ELb0ELb0ES3_PKS7_PS7_S7_ZZZN2at6native31launch_logcumsumexp_cuda_kernelERKNSE_10TensorBaseESI_lENKUlvE_clEvENKUlvE1_clEvEUlS7_S7_E_S7_EEDaPvRmT3_T4_T5_mT6_P12ihipStream_tbENKUlT_T0_E_clISt17integral_constantIbLb0EESY_IbLb1EEEEDaSU_SV_EUlSU_E_NS1_11comp_targetILNS1_3genE9ELNS1_11target_archE1100ELNS1_3gpuE3ELNS1_3repE0EEENS1_30default_config_static_selectorELNS0_4arch9wavefront6targetE1EEEvT1_
	.p2align	8
	.type	_ZN7rocprim17ROCPRIM_400000_NS6detail17trampoline_kernelINS0_14default_configENS1_20scan_config_selectorIN3c107complexIdEEEEZZNS1_9scan_implILNS1_25lookback_scan_determinismE0ELb0ELb0ES3_PKS7_PS7_S7_ZZZN2at6native31launch_logcumsumexp_cuda_kernelERKNSE_10TensorBaseESI_lENKUlvE_clEvENKUlvE1_clEvEUlS7_S7_E_S7_EEDaPvRmT3_T4_T5_mT6_P12ihipStream_tbENKUlT_T0_E_clISt17integral_constantIbLb0EESY_IbLb1EEEEDaSU_SV_EUlSU_E_NS1_11comp_targetILNS1_3genE9ELNS1_11target_archE1100ELNS1_3gpuE3ELNS1_3repE0EEENS1_30default_config_static_selectorELNS0_4arch9wavefront6targetE1EEEvT1_,@function
_ZN7rocprim17ROCPRIM_400000_NS6detail17trampoline_kernelINS0_14default_configENS1_20scan_config_selectorIN3c107complexIdEEEEZZNS1_9scan_implILNS1_25lookback_scan_determinismE0ELb0ELb0ES3_PKS7_PS7_S7_ZZZN2at6native31launch_logcumsumexp_cuda_kernelERKNSE_10TensorBaseESI_lENKUlvE_clEvENKUlvE1_clEvEUlS7_S7_E_S7_EEDaPvRmT3_T4_T5_mT6_P12ihipStream_tbENKUlT_T0_E_clISt17integral_constantIbLb0EESY_IbLb1EEEEDaSU_SV_EUlSU_E_NS1_11comp_targetILNS1_3genE9ELNS1_11target_archE1100ELNS1_3gpuE3ELNS1_3repE0EEENS1_30default_config_static_selectorELNS0_4arch9wavefront6targetE1EEEvT1_: ; @_ZN7rocprim17ROCPRIM_400000_NS6detail17trampoline_kernelINS0_14default_configENS1_20scan_config_selectorIN3c107complexIdEEEEZZNS1_9scan_implILNS1_25lookback_scan_determinismE0ELb0ELb0ES3_PKS7_PS7_S7_ZZZN2at6native31launch_logcumsumexp_cuda_kernelERKNSE_10TensorBaseESI_lENKUlvE_clEvENKUlvE1_clEvEUlS7_S7_E_S7_EEDaPvRmT3_T4_T5_mT6_P12ihipStream_tbENKUlT_T0_E_clISt17integral_constantIbLb0EESY_IbLb1EEEEDaSU_SV_EUlSU_E_NS1_11comp_targetILNS1_3genE9ELNS1_11target_archE1100ELNS1_3gpuE3ELNS1_3repE0EEENS1_30default_config_static_selectorELNS0_4arch9wavefront6targetE1EEEvT1_
; %bb.0:
	.section	.rodata,"a",@progbits
	.p2align	6, 0x0
	.amdhsa_kernel _ZN7rocprim17ROCPRIM_400000_NS6detail17trampoline_kernelINS0_14default_configENS1_20scan_config_selectorIN3c107complexIdEEEEZZNS1_9scan_implILNS1_25lookback_scan_determinismE0ELb0ELb0ES3_PKS7_PS7_S7_ZZZN2at6native31launch_logcumsumexp_cuda_kernelERKNSE_10TensorBaseESI_lENKUlvE_clEvENKUlvE1_clEvEUlS7_S7_E_S7_EEDaPvRmT3_T4_T5_mT6_P12ihipStream_tbENKUlT_T0_E_clISt17integral_constantIbLb0EESY_IbLb1EEEEDaSU_SV_EUlSU_E_NS1_11comp_targetILNS1_3genE9ELNS1_11target_archE1100ELNS1_3gpuE3ELNS1_3repE0EEENS1_30default_config_static_selectorELNS0_4arch9wavefront6targetE1EEEvT1_
		.amdhsa_group_segment_fixed_size 0
		.amdhsa_private_segment_fixed_size 0
		.amdhsa_kernarg_size 128
		.amdhsa_user_sgpr_count 2
		.amdhsa_user_sgpr_dispatch_ptr 0
		.amdhsa_user_sgpr_queue_ptr 0
		.amdhsa_user_sgpr_kernarg_segment_ptr 1
		.amdhsa_user_sgpr_dispatch_id 0
		.amdhsa_user_sgpr_kernarg_preload_length 0
		.amdhsa_user_sgpr_kernarg_preload_offset 0
		.amdhsa_user_sgpr_private_segment_size 0
		.amdhsa_uses_dynamic_stack 0
		.amdhsa_enable_private_segment 0
		.amdhsa_system_sgpr_workgroup_id_x 1
		.amdhsa_system_sgpr_workgroup_id_y 0
		.amdhsa_system_sgpr_workgroup_id_z 0
		.amdhsa_system_sgpr_workgroup_info 0
		.amdhsa_system_vgpr_workitem_id 0
		.amdhsa_next_free_vgpr 1
		.amdhsa_next_free_sgpr 0
		.amdhsa_accum_offset 4
		.amdhsa_reserve_vcc 0
		.amdhsa_float_round_mode_32 0
		.amdhsa_float_round_mode_16_64 0
		.amdhsa_float_denorm_mode_32 3
		.amdhsa_float_denorm_mode_16_64 3
		.amdhsa_dx10_clamp 1
		.amdhsa_ieee_mode 1
		.amdhsa_fp16_overflow 0
		.amdhsa_tg_split 0
		.amdhsa_exception_fp_ieee_invalid_op 0
		.amdhsa_exception_fp_denorm_src 0
		.amdhsa_exception_fp_ieee_div_zero 0
		.amdhsa_exception_fp_ieee_overflow 0
		.amdhsa_exception_fp_ieee_underflow 0
		.amdhsa_exception_fp_ieee_inexact 0
		.amdhsa_exception_int_div_zero 0
	.end_amdhsa_kernel
	.section	.text._ZN7rocprim17ROCPRIM_400000_NS6detail17trampoline_kernelINS0_14default_configENS1_20scan_config_selectorIN3c107complexIdEEEEZZNS1_9scan_implILNS1_25lookback_scan_determinismE0ELb0ELb0ES3_PKS7_PS7_S7_ZZZN2at6native31launch_logcumsumexp_cuda_kernelERKNSE_10TensorBaseESI_lENKUlvE_clEvENKUlvE1_clEvEUlS7_S7_E_S7_EEDaPvRmT3_T4_T5_mT6_P12ihipStream_tbENKUlT_T0_E_clISt17integral_constantIbLb0EESY_IbLb1EEEEDaSU_SV_EUlSU_E_NS1_11comp_targetILNS1_3genE9ELNS1_11target_archE1100ELNS1_3gpuE3ELNS1_3repE0EEENS1_30default_config_static_selectorELNS0_4arch9wavefront6targetE1EEEvT1_,"axG",@progbits,_ZN7rocprim17ROCPRIM_400000_NS6detail17trampoline_kernelINS0_14default_configENS1_20scan_config_selectorIN3c107complexIdEEEEZZNS1_9scan_implILNS1_25lookback_scan_determinismE0ELb0ELb0ES3_PKS7_PS7_S7_ZZZN2at6native31launch_logcumsumexp_cuda_kernelERKNSE_10TensorBaseESI_lENKUlvE_clEvENKUlvE1_clEvEUlS7_S7_E_S7_EEDaPvRmT3_T4_T5_mT6_P12ihipStream_tbENKUlT_T0_E_clISt17integral_constantIbLb0EESY_IbLb1EEEEDaSU_SV_EUlSU_E_NS1_11comp_targetILNS1_3genE9ELNS1_11target_archE1100ELNS1_3gpuE3ELNS1_3repE0EEENS1_30default_config_static_selectorELNS0_4arch9wavefront6targetE1EEEvT1_,comdat
.Lfunc_end248:
	.size	_ZN7rocprim17ROCPRIM_400000_NS6detail17trampoline_kernelINS0_14default_configENS1_20scan_config_selectorIN3c107complexIdEEEEZZNS1_9scan_implILNS1_25lookback_scan_determinismE0ELb0ELb0ES3_PKS7_PS7_S7_ZZZN2at6native31launch_logcumsumexp_cuda_kernelERKNSE_10TensorBaseESI_lENKUlvE_clEvENKUlvE1_clEvEUlS7_S7_E_S7_EEDaPvRmT3_T4_T5_mT6_P12ihipStream_tbENKUlT_T0_E_clISt17integral_constantIbLb0EESY_IbLb1EEEEDaSU_SV_EUlSU_E_NS1_11comp_targetILNS1_3genE9ELNS1_11target_archE1100ELNS1_3gpuE3ELNS1_3repE0EEENS1_30default_config_static_selectorELNS0_4arch9wavefront6targetE1EEEvT1_, .Lfunc_end248-_ZN7rocprim17ROCPRIM_400000_NS6detail17trampoline_kernelINS0_14default_configENS1_20scan_config_selectorIN3c107complexIdEEEEZZNS1_9scan_implILNS1_25lookback_scan_determinismE0ELb0ELb0ES3_PKS7_PS7_S7_ZZZN2at6native31launch_logcumsumexp_cuda_kernelERKNSE_10TensorBaseESI_lENKUlvE_clEvENKUlvE1_clEvEUlS7_S7_E_S7_EEDaPvRmT3_T4_T5_mT6_P12ihipStream_tbENKUlT_T0_E_clISt17integral_constantIbLb0EESY_IbLb1EEEEDaSU_SV_EUlSU_E_NS1_11comp_targetILNS1_3genE9ELNS1_11target_archE1100ELNS1_3gpuE3ELNS1_3repE0EEENS1_30default_config_static_selectorELNS0_4arch9wavefront6targetE1EEEvT1_
                                        ; -- End function
	.set _ZN7rocprim17ROCPRIM_400000_NS6detail17trampoline_kernelINS0_14default_configENS1_20scan_config_selectorIN3c107complexIdEEEEZZNS1_9scan_implILNS1_25lookback_scan_determinismE0ELb0ELb0ES3_PKS7_PS7_S7_ZZZN2at6native31launch_logcumsumexp_cuda_kernelERKNSE_10TensorBaseESI_lENKUlvE_clEvENKUlvE1_clEvEUlS7_S7_E_S7_EEDaPvRmT3_T4_T5_mT6_P12ihipStream_tbENKUlT_T0_E_clISt17integral_constantIbLb0EESY_IbLb1EEEEDaSU_SV_EUlSU_E_NS1_11comp_targetILNS1_3genE9ELNS1_11target_archE1100ELNS1_3gpuE3ELNS1_3repE0EEENS1_30default_config_static_selectorELNS0_4arch9wavefront6targetE1EEEvT1_.num_vgpr, 0
	.set _ZN7rocprim17ROCPRIM_400000_NS6detail17trampoline_kernelINS0_14default_configENS1_20scan_config_selectorIN3c107complexIdEEEEZZNS1_9scan_implILNS1_25lookback_scan_determinismE0ELb0ELb0ES3_PKS7_PS7_S7_ZZZN2at6native31launch_logcumsumexp_cuda_kernelERKNSE_10TensorBaseESI_lENKUlvE_clEvENKUlvE1_clEvEUlS7_S7_E_S7_EEDaPvRmT3_T4_T5_mT6_P12ihipStream_tbENKUlT_T0_E_clISt17integral_constantIbLb0EESY_IbLb1EEEEDaSU_SV_EUlSU_E_NS1_11comp_targetILNS1_3genE9ELNS1_11target_archE1100ELNS1_3gpuE3ELNS1_3repE0EEENS1_30default_config_static_selectorELNS0_4arch9wavefront6targetE1EEEvT1_.num_agpr, 0
	.set _ZN7rocprim17ROCPRIM_400000_NS6detail17trampoline_kernelINS0_14default_configENS1_20scan_config_selectorIN3c107complexIdEEEEZZNS1_9scan_implILNS1_25lookback_scan_determinismE0ELb0ELb0ES3_PKS7_PS7_S7_ZZZN2at6native31launch_logcumsumexp_cuda_kernelERKNSE_10TensorBaseESI_lENKUlvE_clEvENKUlvE1_clEvEUlS7_S7_E_S7_EEDaPvRmT3_T4_T5_mT6_P12ihipStream_tbENKUlT_T0_E_clISt17integral_constantIbLb0EESY_IbLb1EEEEDaSU_SV_EUlSU_E_NS1_11comp_targetILNS1_3genE9ELNS1_11target_archE1100ELNS1_3gpuE3ELNS1_3repE0EEENS1_30default_config_static_selectorELNS0_4arch9wavefront6targetE1EEEvT1_.numbered_sgpr, 0
	.set _ZN7rocprim17ROCPRIM_400000_NS6detail17trampoline_kernelINS0_14default_configENS1_20scan_config_selectorIN3c107complexIdEEEEZZNS1_9scan_implILNS1_25lookback_scan_determinismE0ELb0ELb0ES3_PKS7_PS7_S7_ZZZN2at6native31launch_logcumsumexp_cuda_kernelERKNSE_10TensorBaseESI_lENKUlvE_clEvENKUlvE1_clEvEUlS7_S7_E_S7_EEDaPvRmT3_T4_T5_mT6_P12ihipStream_tbENKUlT_T0_E_clISt17integral_constantIbLb0EESY_IbLb1EEEEDaSU_SV_EUlSU_E_NS1_11comp_targetILNS1_3genE9ELNS1_11target_archE1100ELNS1_3gpuE3ELNS1_3repE0EEENS1_30default_config_static_selectorELNS0_4arch9wavefront6targetE1EEEvT1_.num_named_barrier, 0
	.set _ZN7rocprim17ROCPRIM_400000_NS6detail17trampoline_kernelINS0_14default_configENS1_20scan_config_selectorIN3c107complexIdEEEEZZNS1_9scan_implILNS1_25lookback_scan_determinismE0ELb0ELb0ES3_PKS7_PS7_S7_ZZZN2at6native31launch_logcumsumexp_cuda_kernelERKNSE_10TensorBaseESI_lENKUlvE_clEvENKUlvE1_clEvEUlS7_S7_E_S7_EEDaPvRmT3_T4_T5_mT6_P12ihipStream_tbENKUlT_T0_E_clISt17integral_constantIbLb0EESY_IbLb1EEEEDaSU_SV_EUlSU_E_NS1_11comp_targetILNS1_3genE9ELNS1_11target_archE1100ELNS1_3gpuE3ELNS1_3repE0EEENS1_30default_config_static_selectorELNS0_4arch9wavefront6targetE1EEEvT1_.private_seg_size, 0
	.set _ZN7rocprim17ROCPRIM_400000_NS6detail17trampoline_kernelINS0_14default_configENS1_20scan_config_selectorIN3c107complexIdEEEEZZNS1_9scan_implILNS1_25lookback_scan_determinismE0ELb0ELb0ES3_PKS7_PS7_S7_ZZZN2at6native31launch_logcumsumexp_cuda_kernelERKNSE_10TensorBaseESI_lENKUlvE_clEvENKUlvE1_clEvEUlS7_S7_E_S7_EEDaPvRmT3_T4_T5_mT6_P12ihipStream_tbENKUlT_T0_E_clISt17integral_constantIbLb0EESY_IbLb1EEEEDaSU_SV_EUlSU_E_NS1_11comp_targetILNS1_3genE9ELNS1_11target_archE1100ELNS1_3gpuE3ELNS1_3repE0EEENS1_30default_config_static_selectorELNS0_4arch9wavefront6targetE1EEEvT1_.uses_vcc, 0
	.set _ZN7rocprim17ROCPRIM_400000_NS6detail17trampoline_kernelINS0_14default_configENS1_20scan_config_selectorIN3c107complexIdEEEEZZNS1_9scan_implILNS1_25lookback_scan_determinismE0ELb0ELb0ES3_PKS7_PS7_S7_ZZZN2at6native31launch_logcumsumexp_cuda_kernelERKNSE_10TensorBaseESI_lENKUlvE_clEvENKUlvE1_clEvEUlS7_S7_E_S7_EEDaPvRmT3_T4_T5_mT6_P12ihipStream_tbENKUlT_T0_E_clISt17integral_constantIbLb0EESY_IbLb1EEEEDaSU_SV_EUlSU_E_NS1_11comp_targetILNS1_3genE9ELNS1_11target_archE1100ELNS1_3gpuE3ELNS1_3repE0EEENS1_30default_config_static_selectorELNS0_4arch9wavefront6targetE1EEEvT1_.uses_flat_scratch, 0
	.set _ZN7rocprim17ROCPRIM_400000_NS6detail17trampoline_kernelINS0_14default_configENS1_20scan_config_selectorIN3c107complexIdEEEEZZNS1_9scan_implILNS1_25lookback_scan_determinismE0ELb0ELb0ES3_PKS7_PS7_S7_ZZZN2at6native31launch_logcumsumexp_cuda_kernelERKNSE_10TensorBaseESI_lENKUlvE_clEvENKUlvE1_clEvEUlS7_S7_E_S7_EEDaPvRmT3_T4_T5_mT6_P12ihipStream_tbENKUlT_T0_E_clISt17integral_constantIbLb0EESY_IbLb1EEEEDaSU_SV_EUlSU_E_NS1_11comp_targetILNS1_3genE9ELNS1_11target_archE1100ELNS1_3gpuE3ELNS1_3repE0EEENS1_30default_config_static_selectorELNS0_4arch9wavefront6targetE1EEEvT1_.has_dyn_sized_stack, 0
	.set _ZN7rocprim17ROCPRIM_400000_NS6detail17trampoline_kernelINS0_14default_configENS1_20scan_config_selectorIN3c107complexIdEEEEZZNS1_9scan_implILNS1_25lookback_scan_determinismE0ELb0ELb0ES3_PKS7_PS7_S7_ZZZN2at6native31launch_logcumsumexp_cuda_kernelERKNSE_10TensorBaseESI_lENKUlvE_clEvENKUlvE1_clEvEUlS7_S7_E_S7_EEDaPvRmT3_T4_T5_mT6_P12ihipStream_tbENKUlT_T0_E_clISt17integral_constantIbLb0EESY_IbLb1EEEEDaSU_SV_EUlSU_E_NS1_11comp_targetILNS1_3genE9ELNS1_11target_archE1100ELNS1_3gpuE3ELNS1_3repE0EEENS1_30default_config_static_selectorELNS0_4arch9wavefront6targetE1EEEvT1_.has_recursion, 0
	.set _ZN7rocprim17ROCPRIM_400000_NS6detail17trampoline_kernelINS0_14default_configENS1_20scan_config_selectorIN3c107complexIdEEEEZZNS1_9scan_implILNS1_25lookback_scan_determinismE0ELb0ELb0ES3_PKS7_PS7_S7_ZZZN2at6native31launch_logcumsumexp_cuda_kernelERKNSE_10TensorBaseESI_lENKUlvE_clEvENKUlvE1_clEvEUlS7_S7_E_S7_EEDaPvRmT3_T4_T5_mT6_P12ihipStream_tbENKUlT_T0_E_clISt17integral_constantIbLb0EESY_IbLb1EEEEDaSU_SV_EUlSU_E_NS1_11comp_targetILNS1_3genE9ELNS1_11target_archE1100ELNS1_3gpuE3ELNS1_3repE0EEENS1_30default_config_static_selectorELNS0_4arch9wavefront6targetE1EEEvT1_.has_indirect_call, 0
	.section	.AMDGPU.csdata,"",@progbits
; Kernel info:
; codeLenInByte = 0
; TotalNumSgprs: 6
; NumVgprs: 0
; NumAgprs: 0
; TotalNumVgprs: 0
; ScratchSize: 0
; MemoryBound: 0
; FloatMode: 240
; IeeeMode: 1
; LDSByteSize: 0 bytes/workgroup (compile time only)
; SGPRBlocks: 0
; VGPRBlocks: 0
; NumSGPRsForWavesPerEU: 6
; NumVGPRsForWavesPerEU: 1
; AccumOffset: 4
; Occupancy: 8
; WaveLimiterHint : 0
; COMPUTE_PGM_RSRC2:SCRATCH_EN: 0
; COMPUTE_PGM_RSRC2:USER_SGPR: 2
; COMPUTE_PGM_RSRC2:TRAP_HANDLER: 0
; COMPUTE_PGM_RSRC2:TGID_X_EN: 1
; COMPUTE_PGM_RSRC2:TGID_Y_EN: 0
; COMPUTE_PGM_RSRC2:TGID_Z_EN: 0
; COMPUTE_PGM_RSRC2:TIDIG_COMP_CNT: 0
; COMPUTE_PGM_RSRC3_GFX90A:ACCUM_OFFSET: 0
; COMPUTE_PGM_RSRC3_GFX90A:TG_SPLIT: 0
	.section	.text._ZN7rocprim17ROCPRIM_400000_NS6detail17trampoline_kernelINS0_14default_configENS1_20scan_config_selectorIN3c107complexIdEEEEZZNS1_9scan_implILNS1_25lookback_scan_determinismE0ELb0ELb0ES3_PKS7_PS7_S7_ZZZN2at6native31launch_logcumsumexp_cuda_kernelERKNSE_10TensorBaseESI_lENKUlvE_clEvENKUlvE1_clEvEUlS7_S7_E_S7_EEDaPvRmT3_T4_T5_mT6_P12ihipStream_tbENKUlT_T0_E_clISt17integral_constantIbLb0EESY_IbLb1EEEEDaSU_SV_EUlSU_E_NS1_11comp_targetILNS1_3genE8ELNS1_11target_archE1030ELNS1_3gpuE2ELNS1_3repE0EEENS1_30default_config_static_selectorELNS0_4arch9wavefront6targetE1EEEvT1_,"axG",@progbits,_ZN7rocprim17ROCPRIM_400000_NS6detail17trampoline_kernelINS0_14default_configENS1_20scan_config_selectorIN3c107complexIdEEEEZZNS1_9scan_implILNS1_25lookback_scan_determinismE0ELb0ELb0ES3_PKS7_PS7_S7_ZZZN2at6native31launch_logcumsumexp_cuda_kernelERKNSE_10TensorBaseESI_lENKUlvE_clEvENKUlvE1_clEvEUlS7_S7_E_S7_EEDaPvRmT3_T4_T5_mT6_P12ihipStream_tbENKUlT_T0_E_clISt17integral_constantIbLb0EESY_IbLb1EEEEDaSU_SV_EUlSU_E_NS1_11comp_targetILNS1_3genE8ELNS1_11target_archE1030ELNS1_3gpuE2ELNS1_3repE0EEENS1_30default_config_static_selectorELNS0_4arch9wavefront6targetE1EEEvT1_,comdat
	.globl	_ZN7rocprim17ROCPRIM_400000_NS6detail17trampoline_kernelINS0_14default_configENS1_20scan_config_selectorIN3c107complexIdEEEEZZNS1_9scan_implILNS1_25lookback_scan_determinismE0ELb0ELb0ES3_PKS7_PS7_S7_ZZZN2at6native31launch_logcumsumexp_cuda_kernelERKNSE_10TensorBaseESI_lENKUlvE_clEvENKUlvE1_clEvEUlS7_S7_E_S7_EEDaPvRmT3_T4_T5_mT6_P12ihipStream_tbENKUlT_T0_E_clISt17integral_constantIbLb0EESY_IbLb1EEEEDaSU_SV_EUlSU_E_NS1_11comp_targetILNS1_3genE8ELNS1_11target_archE1030ELNS1_3gpuE2ELNS1_3repE0EEENS1_30default_config_static_selectorELNS0_4arch9wavefront6targetE1EEEvT1_ ; -- Begin function _ZN7rocprim17ROCPRIM_400000_NS6detail17trampoline_kernelINS0_14default_configENS1_20scan_config_selectorIN3c107complexIdEEEEZZNS1_9scan_implILNS1_25lookback_scan_determinismE0ELb0ELb0ES3_PKS7_PS7_S7_ZZZN2at6native31launch_logcumsumexp_cuda_kernelERKNSE_10TensorBaseESI_lENKUlvE_clEvENKUlvE1_clEvEUlS7_S7_E_S7_EEDaPvRmT3_T4_T5_mT6_P12ihipStream_tbENKUlT_T0_E_clISt17integral_constantIbLb0EESY_IbLb1EEEEDaSU_SV_EUlSU_E_NS1_11comp_targetILNS1_3genE8ELNS1_11target_archE1030ELNS1_3gpuE2ELNS1_3repE0EEENS1_30default_config_static_selectorELNS0_4arch9wavefront6targetE1EEEvT1_
	.p2align	8
	.type	_ZN7rocprim17ROCPRIM_400000_NS6detail17trampoline_kernelINS0_14default_configENS1_20scan_config_selectorIN3c107complexIdEEEEZZNS1_9scan_implILNS1_25lookback_scan_determinismE0ELb0ELb0ES3_PKS7_PS7_S7_ZZZN2at6native31launch_logcumsumexp_cuda_kernelERKNSE_10TensorBaseESI_lENKUlvE_clEvENKUlvE1_clEvEUlS7_S7_E_S7_EEDaPvRmT3_T4_T5_mT6_P12ihipStream_tbENKUlT_T0_E_clISt17integral_constantIbLb0EESY_IbLb1EEEEDaSU_SV_EUlSU_E_NS1_11comp_targetILNS1_3genE8ELNS1_11target_archE1030ELNS1_3gpuE2ELNS1_3repE0EEENS1_30default_config_static_selectorELNS0_4arch9wavefront6targetE1EEEvT1_,@function
_ZN7rocprim17ROCPRIM_400000_NS6detail17trampoline_kernelINS0_14default_configENS1_20scan_config_selectorIN3c107complexIdEEEEZZNS1_9scan_implILNS1_25lookback_scan_determinismE0ELb0ELb0ES3_PKS7_PS7_S7_ZZZN2at6native31launch_logcumsumexp_cuda_kernelERKNSE_10TensorBaseESI_lENKUlvE_clEvENKUlvE1_clEvEUlS7_S7_E_S7_EEDaPvRmT3_T4_T5_mT6_P12ihipStream_tbENKUlT_T0_E_clISt17integral_constantIbLb0EESY_IbLb1EEEEDaSU_SV_EUlSU_E_NS1_11comp_targetILNS1_3genE8ELNS1_11target_archE1030ELNS1_3gpuE2ELNS1_3repE0EEENS1_30default_config_static_selectorELNS0_4arch9wavefront6targetE1EEEvT1_: ; @_ZN7rocprim17ROCPRIM_400000_NS6detail17trampoline_kernelINS0_14default_configENS1_20scan_config_selectorIN3c107complexIdEEEEZZNS1_9scan_implILNS1_25lookback_scan_determinismE0ELb0ELb0ES3_PKS7_PS7_S7_ZZZN2at6native31launch_logcumsumexp_cuda_kernelERKNSE_10TensorBaseESI_lENKUlvE_clEvENKUlvE1_clEvEUlS7_S7_E_S7_EEDaPvRmT3_T4_T5_mT6_P12ihipStream_tbENKUlT_T0_E_clISt17integral_constantIbLb0EESY_IbLb1EEEEDaSU_SV_EUlSU_E_NS1_11comp_targetILNS1_3genE8ELNS1_11target_archE1030ELNS1_3gpuE2ELNS1_3repE0EEENS1_30default_config_static_selectorELNS0_4arch9wavefront6targetE1EEEvT1_
; %bb.0:
	.section	.rodata,"a",@progbits
	.p2align	6, 0x0
	.amdhsa_kernel _ZN7rocprim17ROCPRIM_400000_NS6detail17trampoline_kernelINS0_14default_configENS1_20scan_config_selectorIN3c107complexIdEEEEZZNS1_9scan_implILNS1_25lookback_scan_determinismE0ELb0ELb0ES3_PKS7_PS7_S7_ZZZN2at6native31launch_logcumsumexp_cuda_kernelERKNSE_10TensorBaseESI_lENKUlvE_clEvENKUlvE1_clEvEUlS7_S7_E_S7_EEDaPvRmT3_T4_T5_mT6_P12ihipStream_tbENKUlT_T0_E_clISt17integral_constantIbLb0EESY_IbLb1EEEEDaSU_SV_EUlSU_E_NS1_11comp_targetILNS1_3genE8ELNS1_11target_archE1030ELNS1_3gpuE2ELNS1_3repE0EEENS1_30default_config_static_selectorELNS0_4arch9wavefront6targetE1EEEvT1_
		.amdhsa_group_segment_fixed_size 0
		.amdhsa_private_segment_fixed_size 0
		.amdhsa_kernarg_size 128
		.amdhsa_user_sgpr_count 2
		.amdhsa_user_sgpr_dispatch_ptr 0
		.amdhsa_user_sgpr_queue_ptr 0
		.amdhsa_user_sgpr_kernarg_segment_ptr 1
		.amdhsa_user_sgpr_dispatch_id 0
		.amdhsa_user_sgpr_kernarg_preload_length 0
		.amdhsa_user_sgpr_kernarg_preload_offset 0
		.amdhsa_user_sgpr_private_segment_size 0
		.amdhsa_uses_dynamic_stack 0
		.amdhsa_enable_private_segment 0
		.amdhsa_system_sgpr_workgroup_id_x 1
		.amdhsa_system_sgpr_workgroup_id_y 0
		.amdhsa_system_sgpr_workgroup_id_z 0
		.amdhsa_system_sgpr_workgroup_info 0
		.amdhsa_system_vgpr_workitem_id 0
		.amdhsa_next_free_vgpr 1
		.amdhsa_next_free_sgpr 0
		.amdhsa_accum_offset 4
		.amdhsa_reserve_vcc 0
		.amdhsa_float_round_mode_32 0
		.amdhsa_float_round_mode_16_64 0
		.amdhsa_float_denorm_mode_32 3
		.amdhsa_float_denorm_mode_16_64 3
		.amdhsa_dx10_clamp 1
		.amdhsa_ieee_mode 1
		.amdhsa_fp16_overflow 0
		.amdhsa_tg_split 0
		.amdhsa_exception_fp_ieee_invalid_op 0
		.amdhsa_exception_fp_denorm_src 0
		.amdhsa_exception_fp_ieee_div_zero 0
		.amdhsa_exception_fp_ieee_overflow 0
		.amdhsa_exception_fp_ieee_underflow 0
		.amdhsa_exception_fp_ieee_inexact 0
		.amdhsa_exception_int_div_zero 0
	.end_amdhsa_kernel
	.section	.text._ZN7rocprim17ROCPRIM_400000_NS6detail17trampoline_kernelINS0_14default_configENS1_20scan_config_selectorIN3c107complexIdEEEEZZNS1_9scan_implILNS1_25lookback_scan_determinismE0ELb0ELb0ES3_PKS7_PS7_S7_ZZZN2at6native31launch_logcumsumexp_cuda_kernelERKNSE_10TensorBaseESI_lENKUlvE_clEvENKUlvE1_clEvEUlS7_S7_E_S7_EEDaPvRmT3_T4_T5_mT6_P12ihipStream_tbENKUlT_T0_E_clISt17integral_constantIbLb0EESY_IbLb1EEEEDaSU_SV_EUlSU_E_NS1_11comp_targetILNS1_3genE8ELNS1_11target_archE1030ELNS1_3gpuE2ELNS1_3repE0EEENS1_30default_config_static_selectorELNS0_4arch9wavefront6targetE1EEEvT1_,"axG",@progbits,_ZN7rocprim17ROCPRIM_400000_NS6detail17trampoline_kernelINS0_14default_configENS1_20scan_config_selectorIN3c107complexIdEEEEZZNS1_9scan_implILNS1_25lookback_scan_determinismE0ELb0ELb0ES3_PKS7_PS7_S7_ZZZN2at6native31launch_logcumsumexp_cuda_kernelERKNSE_10TensorBaseESI_lENKUlvE_clEvENKUlvE1_clEvEUlS7_S7_E_S7_EEDaPvRmT3_T4_T5_mT6_P12ihipStream_tbENKUlT_T0_E_clISt17integral_constantIbLb0EESY_IbLb1EEEEDaSU_SV_EUlSU_E_NS1_11comp_targetILNS1_3genE8ELNS1_11target_archE1030ELNS1_3gpuE2ELNS1_3repE0EEENS1_30default_config_static_selectorELNS0_4arch9wavefront6targetE1EEEvT1_,comdat
.Lfunc_end249:
	.size	_ZN7rocprim17ROCPRIM_400000_NS6detail17trampoline_kernelINS0_14default_configENS1_20scan_config_selectorIN3c107complexIdEEEEZZNS1_9scan_implILNS1_25lookback_scan_determinismE0ELb0ELb0ES3_PKS7_PS7_S7_ZZZN2at6native31launch_logcumsumexp_cuda_kernelERKNSE_10TensorBaseESI_lENKUlvE_clEvENKUlvE1_clEvEUlS7_S7_E_S7_EEDaPvRmT3_T4_T5_mT6_P12ihipStream_tbENKUlT_T0_E_clISt17integral_constantIbLb0EESY_IbLb1EEEEDaSU_SV_EUlSU_E_NS1_11comp_targetILNS1_3genE8ELNS1_11target_archE1030ELNS1_3gpuE2ELNS1_3repE0EEENS1_30default_config_static_selectorELNS0_4arch9wavefront6targetE1EEEvT1_, .Lfunc_end249-_ZN7rocprim17ROCPRIM_400000_NS6detail17trampoline_kernelINS0_14default_configENS1_20scan_config_selectorIN3c107complexIdEEEEZZNS1_9scan_implILNS1_25lookback_scan_determinismE0ELb0ELb0ES3_PKS7_PS7_S7_ZZZN2at6native31launch_logcumsumexp_cuda_kernelERKNSE_10TensorBaseESI_lENKUlvE_clEvENKUlvE1_clEvEUlS7_S7_E_S7_EEDaPvRmT3_T4_T5_mT6_P12ihipStream_tbENKUlT_T0_E_clISt17integral_constantIbLb0EESY_IbLb1EEEEDaSU_SV_EUlSU_E_NS1_11comp_targetILNS1_3genE8ELNS1_11target_archE1030ELNS1_3gpuE2ELNS1_3repE0EEENS1_30default_config_static_selectorELNS0_4arch9wavefront6targetE1EEEvT1_
                                        ; -- End function
	.set _ZN7rocprim17ROCPRIM_400000_NS6detail17trampoline_kernelINS0_14default_configENS1_20scan_config_selectorIN3c107complexIdEEEEZZNS1_9scan_implILNS1_25lookback_scan_determinismE0ELb0ELb0ES3_PKS7_PS7_S7_ZZZN2at6native31launch_logcumsumexp_cuda_kernelERKNSE_10TensorBaseESI_lENKUlvE_clEvENKUlvE1_clEvEUlS7_S7_E_S7_EEDaPvRmT3_T4_T5_mT6_P12ihipStream_tbENKUlT_T0_E_clISt17integral_constantIbLb0EESY_IbLb1EEEEDaSU_SV_EUlSU_E_NS1_11comp_targetILNS1_3genE8ELNS1_11target_archE1030ELNS1_3gpuE2ELNS1_3repE0EEENS1_30default_config_static_selectorELNS0_4arch9wavefront6targetE1EEEvT1_.num_vgpr, 0
	.set _ZN7rocprim17ROCPRIM_400000_NS6detail17trampoline_kernelINS0_14default_configENS1_20scan_config_selectorIN3c107complexIdEEEEZZNS1_9scan_implILNS1_25lookback_scan_determinismE0ELb0ELb0ES3_PKS7_PS7_S7_ZZZN2at6native31launch_logcumsumexp_cuda_kernelERKNSE_10TensorBaseESI_lENKUlvE_clEvENKUlvE1_clEvEUlS7_S7_E_S7_EEDaPvRmT3_T4_T5_mT6_P12ihipStream_tbENKUlT_T0_E_clISt17integral_constantIbLb0EESY_IbLb1EEEEDaSU_SV_EUlSU_E_NS1_11comp_targetILNS1_3genE8ELNS1_11target_archE1030ELNS1_3gpuE2ELNS1_3repE0EEENS1_30default_config_static_selectorELNS0_4arch9wavefront6targetE1EEEvT1_.num_agpr, 0
	.set _ZN7rocprim17ROCPRIM_400000_NS6detail17trampoline_kernelINS0_14default_configENS1_20scan_config_selectorIN3c107complexIdEEEEZZNS1_9scan_implILNS1_25lookback_scan_determinismE0ELb0ELb0ES3_PKS7_PS7_S7_ZZZN2at6native31launch_logcumsumexp_cuda_kernelERKNSE_10TensorBaseESI_lENKUlvE_clEvENKUlvE1_clEvEUlS7_S7_E_S7_EEDaPvRmT3_T4_T5_mT6_P12ihipStream_tbENKUlT_T0_E_clISt17integral_constantIbLb0EESY_IbLb1EEEEDaSU_SV_EUlSU_E_NS1_11comp_targetILNS1_3genE8ELNS1_11target_archE1030ELNS1_3gpuE2ELNS1_3repE0EEENS1_30default_config_static_selectorELNS0_4arch9wavefront6targetE1EEEvT1_.numbered_sgpr, 0
	.set _ZN7rocprim17ROCPRIM_400000_NS6detail17trampoline_kernelINS0_14default_configENS1_20scan_config_selectorIN3c107complexIdEEEEZZNS1_9scan_implILNS1_25lookback_scan_determinismE0ELb0ELb0ES3_PKS7_PS7_S7_ZZZN2at6native31launch_logcumsumexp_cuda_kernelERKNSE_10TensorBaseESI_lENKUlvE_clEvENKUlvE1_clEvEUlS7_S7_E_S7_EEDaPvRmT3_T4_T5_mT6_P12ihipStream_tbENKUlT_T0_E_clISt17integral_constantIbLb0EESY_IbLb1EEEEDaSU_SV_EUlSU_E_NS1_11comp_targetILNS1_3genE8ELNS1_11target_archE1030ELNS1_3gpuE2ELNS1_3repE0EEENS1_30default_config_static_selectorELNS0_4arch9wavefront6targetE1EEEvT1_.num_named_barrier, 0
	.set _ZN7rocprim17ROCPRIM_400000_NS6detail17trampoline_kernelINS0_14default_configENS1_20scan_config_selectorIN3c107complexIdEEEEZZNS1_9scan_implILNS1_25lookback_scan_determinismE0ELb0ELb0ES3_PKS7_PS7_S7_ZZZN2at6native31launch_logcumsumexp_cuda_kernelERKNSE_10TensorBaseESI_lENKUlvE_clEvENKUlvE1_clEvEUlS7_S7_E_S7_EEDaPvRmT3_T4_T5_mT6_P12ihipStream_tbENKUlT_T0_E_clISt17integral_constantIbLb0EESY_IbLb1EEEEDaSU_SV_EUlSU_E_NS1_11comp_targetILNS1_3genE8ELNS1_11target_archE1030ELNS1_3gpuE2ELNS1_3repE0EEENS1_30default_config_static_selectorELNS0_4arch9wavefront6targetE1EEEvT1_.private_seg_size, 0
	.set _ZN7rocprim17ROCPRIM_400000_NS6detail17trampoline_kernelINS0_14default_configENS1_20scan_config_selectorIN3c107complexIdEEEEZZNS1_9scan_implILNS1_25lookback_scan_determinismE0ELb0ELb0ES3_PKS7_PS7_S7_ZZZN2at6native31launch_logcumsumexp_cuda_kernelERKNSE_10TensorBaseESI_lENKUlvE_clEvENKUlvE1_clEvEUlS7_S7_E_S7_EEDaPvRmT3_T4_T5_mT6_P12ihipStream_tbENKUlT_T0_E_clISt17integral_constantIbLb0EESY_IbLb1EEEEDaSU_SV_EUlSU_E_NS1_11comp_targetILNS1_3genE8ELNS1_11target_archE1030ELNS1_3gpuE2ELNS1_3repE0EEENS1_30default_config_static_selectorELNS0_4arch9wavefront6targetE1EEEvT1_.uses_vcc, 0
	.set _ZN7rocprim17ROCPRIM_400000_NS6detail17trampoline_kernelINS0_14default_configENS1_20scan_config_selectorIN3c107complexIdEEEEZZNS1_9scan_implILNS1_25lookback_scan_determinismE0ELb0ELb0ES3_PKS7_PS7_S7_ZZZN2at6native31launch_logcumsumexp_cuda_kernelERKNSE_10TensorBaseESI_lENKUlvE_clEvENKUlvE1_clEvEUlS7_S7_E_S7_EEDaPvRmT3_T4_T5_mT6_P12ihipStream_tbENKUlT_T0_E_clISt17integral_constantIbLb0EESY_IbLb1EEEEDaSU_SV_EUlSU_E_NS1_11comp_targetILNS1_3genE8ELNS1_11target_archE1030ELNS1_3gpuE2ELNS1_3repE0EEENS1_30default_config_static_selectorELNS0_4arch9wavefront6targetE1EEEvT1_.uses_flat_scratch, 0
	.set _ZN7rocprim17ROCPRIM_400000_NS6detail17trampoline_kernelINS0_14default_configENS1_20scan_config_selectorIN3c107complexIdEEEEZZNS1_9scan_implILNS1_25lookback_scan_determinismE0ELb0ELb0ES3_PKS7_PS7_S7_ZZZN2at6native31launch_logcumsumexp_cuda_kernelERKNSE_10TensorBaseESI_lENKUlvE_clEvENKUlvE1_clEvEUlS7_S7_E_S7_EEDaPvRmT3_T4_T5_mT6_P12ihipStream_tbENKUlT_T0_E_clISt17integral_constantIbLb0EESY_IbLb1EEEEDaSU_SV_EUlSU_E_NS1_11comp_targetILNS1_3genE8ELNS1_11target_archE1030ELNS1_3gpuE2ELNS1_3repE0EEENS1_30default_config_static_selectorELNS0_4arch9wavefront6targetE1EEEvT1_.has_dyn_sized_stack, 0
	.set _ZN7rocprim17ROCPRIM_400000_NS6detail17trampoline_kernelINS0_14default_configENS1_20scan_config_selectorIN3c107complexIdEEEEZZNS1_9scan_implILNS1_25lookback_scan_determinismE0ELb0ELb0ES3_PKS7_PS7_S7_ZZZN2at6native31launch_logcumsumexp_cuda_kernelERKNSE_10TensorBaseESI_lENKUlvE_clEvENKUlvE1_clEvEUlS7_S7_E_S7_EEDaPvRmT3_T4_T5_mT6_P12ihipStream_tbENKUlT_T0_E_clISt17integral_constantIbLb0EESY_IbLb1EEEEDaSU_SV_EUlSU_E_NS1_11comp_targetILNS1_3genE8ELNS1_11target_archE1030ELNS1_3gpuE2ELNS1_3repE0EEENS1_30default_config_static_selectorELNS0_4arch9wavefront6targetE1EEEvT1_.has_recursion, 0
	.set _ZN7rocprim17ROCPRIM_400000_NS6detail17trampoline_kernelINS0_14default_configENS1_20scan_config_selectorIN3c107complexIdEEEEZZNS1_9scan_implILNS1_25lookback_scan_determinismE0ELb0ELb0ES3_PKS7_PS7_S7_ZZZN2at6native31launch_logcumsumexp_cuda_kernelERKNSE_10TensorBaseESI_lENKUlvE_clEvENKUlvE1_clEvEUlS7_S7_E_S7_EEDaPvRmT3_T4_T5_mT6_P12ihipStream_tbENKUlT_T0_E_clISt17integral_constantIbLb0EESY_IbLb1EEEEDaSU_SV_EUlSU_E_NS1_11comp_targetILNS1_3genE8ELNS1_11target_archE1030ELNS1_3gpuE2ELNS1_3repE0EEENS1_30default_config_static_selectorELNS0_4arch9wavefront6targetE1EEEvT1_.has_indirect_call, 0
	.section	.AMDGPU.csdata,"",@progbits
; Kernel info:
; codeLenInByte = 0
; TotalNumSgprs: 6
; NumVgprs: 0
; NumAgprs: 0
; TotalNumVgprs: 0
; ScratchSize: 0
; MemoryBound: 0
; FloatMode: 240
; IeeeMode: 1
; LDSByteSize: 0 bytes/workgroup (compile time only)
; SGPRBlocks: 0
; VGPRBlocks: 0
; NumSGPRsForWavesPerEU: 6
; NumVGPRsForWavesPerEU: 1
; AccumOffset: 4
; Occupancy: 8
; WaveLimiterHint : 0
; COMPUTE_PGM_RSRC2:SCRATCH_EN: 0
; COMPUTE_PGM_RSRC2:USER_SGPR: 2
; COMPUTE_PGM_RSRC2:TRAP_HANDLER: 0
; COMPUTE_PGM_RSRC2:TGID_X_EN: 1
; COMPUTE_PGM_RSRC2:TGID_Y_EN: 0
; COMPUTE_PGM_RSRC2:TGID_Z_EN: 0
; COMPUTE_PGM_RSRC2:TIDIG_COMP_CNT: 0
; COMPUTE_PGM_RSRC3_GFX90A:ACCUM_OFFSET: 0
; COMPUTE_PGM_RSRC3_GFX90A:TG_SPLIT: 0
	.section	.text._ZN7rocprim17ROCPRIM_400000_NS6detail17trampoline_kernelINS0_14default_configENS1_20scan_config_selectorIN3c107complexIdEEEEZZNS1_9scan_implILNS1_25lookback_scan_determinismE0ELb0ELb0ES3_PKS7_PS7_S7_ZZZN2at6native31launch_logcumsumexp_cuda_kernelERKNSE_10TensorBaseESI_lENKUlvE_clEvENKUlvE1_clEvEUlS7_S7_E_S7_EEDaPvRmT3_T4_T5_mT6_P12ihipStream_tbENKUlT_T0_E_clISt17integral_constantIbLb0EESY_IbLb1EEEEDaSU_SV_EUlSU_E0_NS1_11comp_targetILNS1_3genE0ELNS1_11target_archE4294967295ELNS1_3gpuE0ELNS1_3repE0EEENS1_30default_config_static_selectorELNS0_4arch9wavefront6targetE1EEEvT1_,"axG",@progbits,_ZN7rocprim17ROCPRIM_400000_NS6detail17trampoline_kernelINS0_14default_configENS1_20scan_config_selectorIN3c107complexIdEEEEZZNS1_9scan_implILNS1_25lookback_scan_determinismE0ELb0ELb0ES3_PKS7_PS7_S7_ZZZN2at6native31launch_logcumsumexp_cuda_kernelERKNSE_10TensorBaseESI_lENKUlvE_clEvENKUlvE1_clEvEUlS7_S7_E_S7_EEDaPvRmT3_T4_T5_mT6_P12ihipStream_tbENKUlT_T0_E_clISt17integral_constantIbLb0EESY_IbLb1EEEEDaSU_SV_EUlSU_E0_NS1_11comp_targetILNS1_3genE0ELNS1_11target_archE4294967295ELNS1_3gpuE0ELNS1_3repE0EEENS1_30default_config_static_selectorELNS0_4arch9wavefront6targetE1EEEvT1_,comdat
	.globl	_ZN7rocprim17ROCPRIM_400000_NS6detail17trampoline_kernelINS0_14default_configENS1_20scan_config_selectorIN3c107complexIdEEEEZZNS1_9scan_implILNS1_25lookback_scan_determinismE0ELb0ELb0ES3_PKS7_PS7_S7_ZZZN2at6native31launch_logcumsumexp_cuda_kernelERKNSE_10TensorBaseESI_lENKUlvE_clEvENKUlvE1_clEvEUlS7_S7_E_S7_EEDaPvRmT3_T4_T5_mT6_P12ihipStream_tbENKUlT_T0_E_clISt17integral_constantIbLb0EESY_IbLb1EEEEDaSU_SV_EUlSU_E0_NS1_11comp_targetILNS1_3genE0ELNS1_11target_archE4294967295ELNS1_3gpuE0ELNS1_3repE0EEENS1_30default_config_static_selectorELNS0_4arch9wavefront6targetE1EEEvT1_ ; -- Begin function _ZN7rocprim17ROCPRIM_400000_NS6detail17trampoline_kernelINS0_14default_configENS1_20scan_config_selectorIN3c107complexIdEEEEZZNS1_9scan_implILNS1_25lookback_scan_determinismE0ELb0ELb0ES3_PKS7_PS7_S7_ZZZN2at6native31launch_logcumsumexp_cuda_kernelERKNSE_10TensorBaseESI_lENKUlvE_clEvENKUlvE1_clEvEUlS7_S7_E_S7_EEDaPvRmT3_T4_T5_mT6_P12ihipStream_tbENKUlT_T0_E_clISt17integral_constantIbLb0EESY_IbLb1EEEEDaSU_SV_EUlSU_E0_NS1_11comp_targetILNS1_3genE0ELNS1_11target_archE4294967295ELNS1_3gpuE0ELNS1_3repE0EEENS1_30default_config_static_selectorELNS0_4arch9wavefront6targetE1EEEvT1_
	.p2align	8
	.type	_ZN7rocprim17ROCPRIM_400000_NS6detail17trampoline_kernelINS0_14default_configENS1_20scan_config_selectorIN3c107complexIdEEEEZZNS1_9scan_implILNS1_25lookback_scan_determinismE0ELb0ELb0ES3_PKS7_PS7_S7_ZZZN2at6native31launch_logcumsumexp_cuda_kernelERKNSE_10TensorBaseESI_lENKUlvE_clEvENKUlvE1_clEvEUlS7_S7_E_S7_EEDaPvRmT3_T4_T5_mT6_P12ihipStream_tbENKUlT_T0_E_clISt17integral_constantIbLb0EESY_IbLb1EEEEDaSU_SV_EUlSU_E0_NS1_11comp_targetILNS1_3genE0ELNS1_11target_archE4294967295ELNS1_3gpuE0ELNS1_3repE0EEENS1_30default_config_static_selectorELNS0_4arch9wavefront6targetE1EEEvT1_,@function
_ZN7rocprim17ROCPRIM_400000_NS6detail17trampoline_kernelINS0_14default_configENS1_20scan_config_selectorIN3c107complexIdEEEEZZNS1_9scan_implILNS1_25lookback_scan_determinismE0ELb0ELb0ES3_PKS7_PS7_S7_ZZZN2at6native31launch_logcumsumexp_cuda_kernelERKNSE_10TensorBaseESI_lENKUlvE_clEvENKUlvE1_clEvEUlS7_S7_E_S7_EEDaPvRmT3_T4_T5_mT6_P12ihipStream_tbENKUlT_T0_E_clISt17integral_constantIbLb0EESY_IbLb1EEEEDaSU_SV_EUlSU_E0_NS1_11comp_targetILNS1_3genE0ELNS1_11target_archE4294967295ELNS1_3gpuE0ELNS1_3repE0EEENS1_30default_config_static_selectorELNS0_4arch9wavefront6targetE1EEEvT1_: ; @_ZN7rocprim17ROCPRIM_400000_NS6detail17trampoline_kernelINS0_14default_configENS1_20scan_config_selectorIN3c107complexIdEEEEZZNS1_9scan_implILNS1_25lookback_scan_determinismE0ELb0ELb0ES3_PKS7_PS7_S7_ZZZN2at6native31launch_logcumsumexp_cuda_kernelERKNSE_10TensorBaseESI_lENKUlvE_clEvENKUlvE1_clEvEUlS7_S7_E_S7_EEDaPvRmT3_T4_T5_mT6_P12ihipStream_tbENKUlT_T0_E_clISt17integral_constantIbLb0EESY_IbLb1EEEEDaSU_SV_EUlSU_E0_NS1_11comp_targetILNS1_3genE0ELNS1_11target_archE4294967295ELNS1_3gpuE0ELNS1_3repE0EEENS1_30default_config_static_selectorELNS0_4arch9wavefront6targetE1EEEvT1_
; %bb.0:
	s_mov_b64 s[56:57], s[0:1]
	s_load_dwordx4 s[0:3], s[0:1], 0x0
	v_mov_b32_e32 v56, v0
	v_lshlrev_b32_e32 v130, 4, v56
	s_mov_b32 s32, 0
	s_waitcnt lgkmcnt(0)
	s_load_dwordx4 s[4:7], s[0:1], 0x0
	v_cmp_gt_u32_e64 s[34:35], s2, v56
	s_waitcnt lgkmcnt(0)
	v_mov_b64_e32 v[4:5], s[6:7]
	v_mov_b64_e32 v[2:3], s[4:5]
	s_and_saveexec_b64 s[8:9], s[34:35]
	s_cbranch_execz .LBB250_2
; %bb.1:
	global_load_dwordx4 v[2:5], v130, s[0:1]
.LBB250_2:
	s_or_b64 exec, exec, s[8:9]
	v_or_b32_e32 v0, 0x80, v56
	v_cmp_gt_u32_e64 s[36:37], s2, v0
	v_mov_b64_e32 v[8:9], s[6:7]
	v_mov_b64_e32 v[6:7], s[4:5]
	s_and_saveexec_b64 s[8:9], s[36:37]
	s_cbranch_execz .LBB250_4
; %bb.3:
	global_load_dwordx4 v[6:9], v130, s[0:1] offset:2048
.LBB250_4:
	s_or_b64 exec, exec, s[8:9]
	v_or_b32_e32 v0, 0x100, v56
	v_cmp_gt_u32_e64 s[38:39], s2, v0
	v_mov_b64_e32 v[12:13], s[6:7]
	v_mov_b64_e32 v[10:11], s[4:5]
	s_and_saveexec_b64 s[8:9], s[38:39]
	s_cbranch_execz .LBB250_6
; %bb.5:
	v_lshlrev_b32_e32 v0, 4, v0
	global_load_dwordx4 v[10:13], v0, s[0:1]
.LBB250_6:
	s_or_b64 exec, exec, s[8:9]
	v_or_b32_e32 v0, 0x180, v56
	v_cmp_gt_u32_e64 s[42:43], s2, v0
	v_mov_b64_e32 v[16:17], s[6:7]
	v_mov_b64_e32 v[14:15], s[4:5]
	s_and_saveexec_b64 s[8:9], s[42:43]
	s_cbranch_execz .LBB250_8
; %bb.7:
	v_lshlrev_b32_e32 v0, 4, v0
	global_load_dwordx4 v[14:17], v0, s[0:1]
.LBB250_8:
	;; [unrolled: 11-line block ×8, first 2 shown]
	s_or_b64 exec, exec, s[2:3]
	s_movk_i32 s0, 0x90
	v_mad_u32_u24 v0, v56, s0, v130
	s_waitcnt vmcnt(0)
	ds_write_b128 v130, v[2:5]
	ds_write_b128 v130, v[6:9] offset:2048
	ds_write_b128 v130, v[10:13] offset:4096
	;; [unrolled: 1-line block ×9, first 2 shown]
	s_waitcnt lgkmcnt(0)
	s_barrier
	ds_read_b128 v[58:61], v0
	ds_read_b128 v[110:113], v0 offset:16
	ds_read_b128 v[106:109], v0 offset:32
	;; [unrolled: 1-line block ×9, first 2 shown]
	s_getpc_b64 s[58:59]
	s_add_u32 s58, s58, _ZZZZN2at6native31launch_logcumsumexp_cuda_kernelERKNS_10TensorBaseES3_lENKUlvE_clEvENKUlvE1_clEvENKUlN3c107complexIdEES8_E_clES8_S8_@rel32@lo+4
	s_addc_u32 s59, s59, _ZZZZN2at6native31launch_logcumsumexp_cuda_kernelERKNS_10TensorBaseES3_lENKUlvE_clEvENKUlvE1_clEvENKUlN3c107complexIdEES8_E_clES8_S8_@rel32@hi+12
	s_waitcnt lgkmcnt(9)
	v_mov_b32_e32 v0, v58
	v_mov_b32_e32 v1, v59
	;; [unrolled: 1-line block ×4, first 2 shown]
	s_waitcnt lgkmcnt(8)
	v_mov_b32_e32 v4, v110
	v_mov_b32_e32 v5, v111
	;; [unrolled: 1-line block ×4, first 2 shown]
	s_waitcnt lgkmcnt(0)
	s_barrier
	s_swappc_b64 s[30:31], s[58:59]
	v_mov_b32_e32 v4, v106
	v_mov_b32_e32 v5, v107
	v_mov_b32_e32 v6, v108
	v_mov_b32_e32 v7, v109
	v_mov_b32_e32 v66, v0
	v_mov_b32_e32 v67, v1
	v_mov_b32_e32 v68, v2
	v_mov_b32_e32 v69, v3
	s_swappc_b64 s[30:31], s[58:59]
	v_mov_b32_e32 v4, v98
	v_mov_b32_e32 v5, v99
	v_mov_b32_e32 v6, v100
	v_mov_b32_e32 v7, v101
	v_mov_b32_e32 v78, v0
	v_mov_b32_e32 v79, v1
	v_mov_b32_e32 v80, v2
	v_mov_b32_e32 v81, v3
	;; [unrolled: 9-line block ×8, first 2 shown]
	s_swappc_b64 s[30:31], s[58:59]
	v_mov_b32_e32 v40, v0
	v_mbcnt_lo_u32_b32 v0, -1, 0
	v_mbcnt_hi_u32_b32 v57, -1, v0
	v_mov_b32_e32 v41, v1
	v_mov_b32_e32 v42, v2
	v_mov_b32_e32 v43, v3
	v_and_b32_e32 v52, 15, v57
	v_mov_b32_dpp v4, v40 row_shr:1 row_mask:0xf bank_mask:0xf
	v_mov_b32_dpp v5, v41 row_shr:1 row_mask:0xf bank_mask:0xf
	;; [unrolled: 1-line block ×4, first 2 shown]
	v_cmp_ne_u32_e32 vcc, 0, v52
	v_mov_b64_e32 v[46:47], v[42:43]
	v_mov_b64_e32 v[44:45], v[40:41]
	v_mov_b32_e32 v0, v40
	s_and_saveexec_b64 s[60:61], vcc
	s_cbranch_execz .LBB250_22
; %bb.21:
	v_mov_b32_e32 v0, v4
	v_mov_b32_e32 v1, v5
	;; [unrolled: 1-line block ×8, first 2 shown]
	s_swappc_b64 s[30:31], s[58:59]
	v_mov_b32_e32 v44, v0
	v_mov_b32_e32 v45, v1
	;; [unrolled: 1-line block ×4, first 2 shown]
.LBB250_22:
	s_or_b64 exec, exec, s[60:61]
	v_mov_b32_dpp v4, v0 row_shr:2 row_mask:0xf bank_mask:0xf
	v_mov_b32_dpp v5, v1 row_shr:2 row_mask:0xf bank_mask:0xf
	v_mov_b32_dpp v6, v2 row_shr:2 row_mask:0xf bank_mask:0xf
	v_mov_b32_dpp v7, v3 row_shr:2 row_mask:0xf bank_mask:0xf
	v_cmp_lt_u32_e32 vcc, 1, v52
	s_and_saveexec_b64 s[58:59], vcc
	s_cbranch_execz .LBB250_24
; %bb.23:
	s_getpc_b64 s[0:1]
	s_add_u32 s0, s0, _ZZZZN2at6native31launch_logcumsumexp_cuda_kernelERKNS_10TensorBaseES3_lENKUlvE_clEvENKUlvE1_clEvENKUlN3c107complexIdEES8_E_clES8_S8_@rel32@lo+4
	s_addc_u32 s1, s1, _ZZZZN2at6native31launch_logcumsumexp_cuda_kernelERKNS_10TensorBaseES3_lENKUlvE_clEvENKUlvE1_clEvENKUlN3c107complexIdEES8_E_clES8_S8_@rel32@hi+12
	v_mov_b32_e32 v0, v4
	v_mov_b32_e32 v1, v5
	v_mov_b32_e32 v2, v6
	v_mov_b32_e32 v3, v7
	v_mov_b32_e32 v4, v44
	v_mov_b32_e32 v5, v45
	v_mov_b32_e32 v6, v46
	v_mov_b32_e32 v7, v47
	s_swappc_b64 s[30:31], s[0:1]
	v_mov_b64_e32 v[46:47], v[2:3]
	v_mov_b64_e32 v[44:45], v[0:1]
.LBB250_24:
	s_or_b64 exec, exec, s[58:59]
	v_mov_b32_dpp v4, v0 row_shr:4 row_mask:0xf bank_mask:0xf
	v_mov_b32_dpp v5, v1 row_shr:4 row_mask:0xf bank_mask:0xf
	v_mov_b32_dpp v6, v2 row_shr:4 row_mask:0xf bank_mask:0xf
	v_mov_b32_dpp v7, v3 row_shr:4 row_mask:0xf bank_mask:0xf
	v_cmp_lt_u32_e32 vcc, 3, v52
	s_and_saveexec_b64 s[58:59], vcc
	s_cbranch_execz .LBB250_26
; %bb.25:
	s_getpc_b64 s[0:1]
	s_add_u32 s0, s0, _ZZZZN2at6native31launch_logcumsumexp_cuda_kernelERKNS_10TensorBaseES3_lENKUlvE_clEvENKUlvE1_clEvENKUlN3c107complexIdEES8_E_clES8_S8_@rel32@lo+4
	s_addc_u32 s1, s1, _ZZZZN2at6native31launch_logcumsumexp_cuda_kernelERKNS_10TensorBaseES3_lENKUlvE_clEvENKUlvE1_clEvENKUlN3c107complexIdEES8_E_clES8_S8_@rel32@hi+12
	v_mov_b32_e32 v0, v4
	v_mov_b32_e32 v1, v5
	v_mov_b32_e32 v2, v6
	v_mov_b32_e32 v3, v7
	v_mov_b32_e32 v4, v44
	v_mov_b32_e32 v5, v45
	v_mov_b32_e32 v6, v46
	v_mov_b32_e32 v7, v47
	s_swappc_b64 s[30:31], s[0:1]
	v_mov_b64_e32 v[46:47], v[2:3]
	v_mov_b64_e32 v[44:45], v[0:1]
.LBB250_26:
	;; [unrolled: 24-line block ×3, first 2 shown]
	s_or_b64 exec, exec, s[58:59]
	v_and_b32_e32 v8, 16, v57
	v_mov_b32_dpp v4, v0 row_bcast:15 row_mask:0xf bank_mask:0xf
	v_mov_b32_dpp v5, v1 row_bcast:15 row_mask:0xf bank_mask:0xf
	;; [unrolled: 1-line block ×4, first 2 shown]
	v_cmp_ne_u32_e32 vcc, 0, v8
	s_and_saveexec_b64 s[58:59], vcc
	s_cbranch_execz .LBB250_30
; %bb.29:
	s_getpc_b64 s[0:1]
	s_add_u32 s0, s0, _ZZZZN2at6native31launch_logcumsumexp_cuda_kernelERKNS_10TensorBaseES3_lENKUlvE_clEvENKUlvE1_clEvENKUlN3c107complexIdEES8_E_clES8_S8_@rel32@lo+4
	s_addc_u32 s1, s1, _ZZZZN2at6native31launch_logcumsumexp_cuda_kernelERKNS_10TensorBaseES3_lENKUlvE_clEvENKUlvE1_clEvENKUlN3c107complexIdEES8_E_clES8_S8_@rel32@hi+12
	v_mov_b32_e32 v0, v4
	v_mov_b32_e32 v1, v5
	;; [unrolled: 1-line block ×8, first 2 shown]
	s_swappc_b64 s[30:31], s[0:1]
	v_mov_b32_e32 v44, v0
	v_mov_b32_e32 v45, v1
	;; [unrolled: 1-line block ×4, first 2 shown]
.LBB250_30:
	s_or_b64 exec, exec, s[58:59]
	v_mov_b32_dpp v0, v0 row_bcast:31 row_mask:0xf bank_mask:0xf
	v_mov_b32_dpp v1, v1 row_bcast:31 row_mask:0xf bank_mask:0xf
	;; [unrolled: 1-line block ×4, first 2 shown]
	v_cmp_lt_u32_e32 vcc, 31, v57
	s_and_saveexec_b64 s[58:59], vcc
	s_cbranch_execz .LBB250_32
; %bb.31:
	s_getpc_b64 s[0:1]
	s_add_u32 s0, s0, _ZZZZN2at6native31launch_logcumsumexp_cuda_kernelERKNS_10TensorBaseES3_lENKUlvE_clEvENKUlvE1_clEvENKUlN3c107complexIdEES8_E_clES8_S8_@rel32@lo+4
	s_addc_u32 s1, s1, _ZZZZN2at6native31launch_logcumsumexp_cuda_kernelERKNS_10TensorBaseES3_lENKUlvE_clEvENKUlvE1_clEvENKUlN3c107complexIdEES8_E_clES8_S8_@rel32@hi+12
	v_mov_b32_e32 v4, v44
	v_mov_b32_e32 v5, v45
	;; [unrolled: 1-line block ×4, first 2 shown]
	s_swappc_b64 s[30:31], s[0:1]
	v_mov_b32_e32 v44, v0
	v_mov_b32_e32 v45, v1
	;; [unrolled: 1-line block ×4, first 2 shown]
.LBB250_32:
	s_or_b64 exec, exec, s[58:59]
	v_or_b32_e32 v0, 63, v56
	v_lshrrev_b32_e32 v132, 6, v56
	v_cmp_eq_u32_e32 vcc, v56, v0
	s_and_saveexec_b64 s[0:1], vcc
; %bb.33:
	v_lshlrev_b32_e32 v0, 4, v132
	ds_write_b128 v0, v[44:47]
; %bb.34:
	s_or_b64 exec, exec, s[0:1]
	v_cmp_gt_u32_e32 vcc, 2, v56
	s_waitcnt lgkmcnt(0)
	s_barrier
	s_and_saveexec_b64 s[58:59], vcc
	s_cbranch_execz .LBB250_38
; %bb.35:
	ds_read_b128 v[4:7], v130
	v_and_b32_e32 v8, 1, v57
	v_cmp_eq_u32_e32 vcc, 1, v8
	s_waitcnt lgkmcnt(0)
	v_mov_b32_dpp v0, v4 row_shr:1 row_mask:0xf bank_mask:0xf
	v_mov_b32_dpp v1, v5 row_shr:1 row_mask:0xf bank_mask:0xf
	;; [unrolled: 1-line block ×4, first 2 shown]
	s_and_saveexec_b64 s[60:61], vcc
	s_cbranch_execz .LBB250_37
; %bb.36:
	s_getpc_b64 s[0:1]
	s_add_u32 s0, s0, _ZZZZN2at6native31launch_logcumsumexp_cuda_kernelERKNS_10TensorBaseES3_lENKUlvE_clEvENKUlvE1_clEvENKUlN3c107complexIdEES8_E_clES8_S8_@rel32@lo+4
	s_addc_u32 s1, s1, _ZZZZN2at6native31launch_logcumsumexp_cuda_kernelERKNS_10TensorBaseES3_lENKUlvE_clEvENKUlvE1_clEvENKUlN3c107complexIdEES8_E_clES8_S8_@rel32@hi+12
	s_swappc_b64 s[30:31], s[0:1]
	v_mov_b32_e32 v4, v0
	v_mov_b32_e32 v5, v1
	;; [unrolled: 1-line block ×4, first 2 shown]
.LBB250_37:
	s_or_b64 exec, exec, s[60:61]
	ds_write_b128 v130, v[4:7]
.LBB250_38:
	s_or_b64 exec, exec, s[58:59]
	s_load_dwordx2 s[56:57], s[56:57], 0x28
	v_mul_u32_u24_e32 v131, 0x90, v56
	v_cmp_lt_u32_e32 vcc, 63, v56
	v_mov_b64_e32 v[54:55], 0
	v_mov_b64_e32 v[52:53], 0
	s_waitcnt lgkmcnt(0)
	s_barrier
	s_and_saveexec_b64 s[58:59], vcc
	s_cbranch_execz .LBB250_40
; %bb.39:
	v_lshl_add_u32 v0, v132, 4, -16
	ds_read_b128 v[52:55], v0
	s_getpc_b64 s[0:1]
	s_add_u32 s0, s0, _ZZZZN2at6native31launch_logcumsumexp_cuda_kernelERKNS_10TensorBaseES3_lENKUlvE_clEvENKUlvE1_clEvENKUlN3c107complexIdEES8_E_clES8_S8_@rel32@lo+4
	s_addc_u32 s1, s1, _ZZZZN2at6native31launch_logcumsumexp_cuda_kernelERKNS_10TensorBaseES3_lENKUlvE_clEvENKUlvE1_clEvENKUlN3c107complexIdEES8_E_clES8_S8_@rel32@hi+12
	v_mov_b32_e32 v4, v44
	v_mov_b32_e32 v5, v45
	;; [unrolled: 1-line block ×3, first 2 shown]
	s_waitcnt lgkmcnt(0)
	v_mov_b32_e32 v0, v52
	v_mov_b32_e32 v1, v53
	;; [unrolled: 1-line block ×5, first 2 shown]
	s_swappc_b64 s[30:31], s[0:1]
	v_mov_b32_e32 v44, v0
	v_mov_b32_e32 v45, v1
	;; [unrolled: 1-line block ×4, first 2 shown]
.LBB250_40:
	s_or_b64 exec, exec, s[58:59]
	v_add_u32_e32 v0, -1, v57
	v_and_b32_e32 v1, 64, v57
	v_cmp_lt_i32_e32 vcc, v0, v1
	s_nop 1
	v_cndmask_b32_e32 v0, v0, v57, vcc
	v_lshlrev_b32_e32 v3, 2, v0
	ds_bpermute_b32 v0, v3, v44
	ds_bpermute_b32 v1, v3, v45
	;; [unrolled: 1-line block ×4, first 2 shown]
	v_cmp_ne_u32_e32 vcc, 0, v56
	s_and_saveexec_b64 s[58:59], vcc
	s_cbranch_execz .LBB250_42
; %bb.41:
	v_cmp_eq_u32_e32 vcc, 0, v57
	s_getpc_b64 s[60:61]
	s_add_u32 s60, s60, _ZZZZN2at6native31launch_logcumsumexp_cuda_kernelERKNS_10TensorBaseES3_lENKUlvE_clEvENKUlvE1_clEvENKUlN3c107complexIdEES8_E_clES8_S8_@rel32@lo+4
	s_addc_u32 s61, s61, _ZZZZN2at6native31launch_logcumsumexp_cuda_kernelERKNS_10TensorBaseES3_lENKUlvE_clEvENKUlvE1_clEvENKUlN3c107complexIdEES8_E_clES8_S8_@rel32@hi+12
	s_waitcnt lgkmcnt(3)
	v_cndmask_b32_e32 v0, v0, v52, vcc
	s_waitcnt lgkmcnt(2)
	v_cndmask_b32_e32 v1, v1, v53, vcc
	;; [unrolled: 2-line block ×4, first 2 shown]
	v_mov_b32_e32 v4, v58
	v_mov_b32_e32 v5, v59
	;; [unrolled: 1-line block ×4, first 2 shown]
	s_swappc_b64 s[30:31], s[60:61]
	v_mov_b32_e32 v4, v110
	v_mov_b32_e32 v5, v111
	;; [unrolled: 1-line block ×8, first 2 shown]
	;;#ASMSTART
	;;#ASMEND
	s_swappc_b64 s[30:31], s[60:61]
	v_mov_b32_e32 v4, v106
	v_mov_b32_e32 v5, v107
	v_mov_b32_e32 v6, v108
	v_mov_b32_e32 v7, v109
	v_mov_b32_e32 v66, v0
	v_mov_b32_e32 v67, v1
	v_mov_b32_e32 v68, v2
	v_mov_b32_e32 v69, v3
	s_swappc_b64 s[30:31], s[60:61]
	v_mov_b32_e32 v4, v98
	v_mov_b32_e32 v5, v99
	v_mov_b32_e32 v6, v100
	v_mov_b32_e32 v7, v101
	v_mov_b32_e32 v78, v0
	v_mov_b32_e32 v79, v1
	v_mov_b32_e32 v80, v2
	v_mov_b32_e32 v81, v3
	;; [unrolled: 9-line block ×8, first 2 shown]
	s_swappc_b64 s[30:31], s[60:61]
	v_mov_b32_e32 v40, v0
	v_mov_b32_e32 v41, v1
	;; [unrolled: 1-line block ×4, first 2 shown]
.LBB250_42:
	s_or_b64 exec, exec, s[58:59]
	s_waitcnt lgkmcnt(3)
	v_add_u32_e32 v0, v130, v131
	s_waitcnt lgkmcnt(0)
	s_barrier
	ds_write_b128 v0, v[58:61]
	ds_write_b128 v0, v[66:69] offset:16
	ds_write_b128 v0, v[78:81] offset:32
	;; [unrolled: 1-line block ×9, first 2 shown]
	s_waitcnt lgkmcnt(0)
	s_barrier
	ds_read_b128 v[32:35], v130 offset:2048
	ds_read_b128 v[28:31], v130 offset:4096
	;; [unrolled: 1-line block ×9, first 2 shown]
	v_mov_b32_e32 v131, 0
	v_lshl_add_u64 v[36:37], s[56:57], 0, v[130:131]
	s_and_saveexec_b64 s[0:1], s[34:35]
	s_cbranch_execnz .LBB250_53
; %bb.43:
	s_or_b64 exec, exec, s[0:1]
	s_and_saveexec_b64 s[0:1], s[36:37]
	s_cbranch_execnz .LBB250_54
.LBB250_44:
	s_or_b64 exec, exec, s[0:1]
	s_and_saveexec_b64 s[0:1], s[38:39]
	s_cbranch_execnz .LBB250_55
.LBB250_45:
	s_or_b64 exec, exec, s[0:1]
	s_and_saveexec_b64 s[0:1], s[42:43]
	s_cbranch_execnz .LBB250_56
.LBB250_46:
	s_or_b64 exec, exec, s[0:1]
	s_and_saveexec_b64 s[0:1], s[44:45]
	s_cbranch_execnz .LBB250_57
.LBB250_47:
	s_or_b64 exec, exec, s[0:1]
	s_and_saveexec_b64 s[0:1], s[46:47]
	s_cbranch_execnz .LBB250_58
.LBB250_48:
	s_or_b64 exec, exec, s[0:1]
	s_and_saveexec_b64 s[0:1], s[48:49]
	s_cbranch_execnz .LBB250_59
.LBB250_49:
	s_or_b64 exec, exec, s[0:1]
	s_and_saveexec_b64 s[0:1], s[50:51]
	s_cbranch_execnz .LBB250_60
.LBB250_50:
	s_or_b64 exec, exec, s[0:1]
	s_and_saveexec_b64 s[0:1], s[52:53]
	s_cbranch_execnz .LBB250_61
.LBB250_51:
	s_or_b64 exec, exec, s[0:1]
	s_and_saveexec_b64 s[0:1], s[54:55]
	s_cbranch_execnz .LBB250_62
.LBB250_52:
	s_endpgm
.LBB250_53:
	ds_read_b128 v[38:41], v130
	s_waitcnt lgkmcnt(0)
	global_store_dwordx4 v[36:37], v[38:41], off
	s_or_b64 exec, exec, s[0:1]
	s_and_saveexec_b64 s[0:1], s[36:37]
	s_cbranch_execz .LBB250_44
.LBB250_54:
	s_waitcnt lgkmcnt(8)
	global_store_dwordx4 v[36:37], v[32:35], off offset:2048
	s_or_b64 exec, exec, s[0:1]
	s_and_saveexec_b64 s[0:1], s[38:39]
	s_cbranch_execz .LBB250_45
.LBB250_55:
	s_waitcnt lgkmcnt(8)
	v_add_co_u32_e32 v32, vcc, 0x1000, v36
	s_nop 1
	v_addc_co_u32_e32 v33, vcc, 0, v37, vcc
	s_waitcnt lgkmcnt(7)
	global_store_dwordx4 v[32:33], v[28:31], off
	s_or_b64 exec, exec, s[0:1]
	s_and_saveexec_b64 s[0:1], s[42:43]
	s_cbranch_execz .LBB250_46
.LBB250_56:
	s_waitcnt lgkmcnt(7)
	v_add_co_u32_e32 v28, vcc, 0x1000, v36
	s_nop 1
	v_addc_co_u32_e32 v29, vcc, 0, v37, vcc
	s_waitcnt lgkmcnt(6)
	global_store_dwordx4 v[28:29], v[24:27], off offset:2048
	s_or_b64 exec, exec, s[0:1]
	s_and_saveexec_b64 s[0:1], s[44:45]
	s_cbranch_execz .LBB250_47
.LBB250_57:
	s_waitcnt lgkmcnt(6)
	v_add_co_u32_e32 v24, vcc, 0x2000, v36
	s_nop 1
	v_addc_co_u32_e32 v25, vcc, 0, v37, vcc
	s_waitcnt lgkmcnt(5)
	global_store_dwordx4 v[24:25], v[20:23], off
	s_or_b64 exec, exec, s[0:1]
	s_and_saveexec_b64 s[0:1], s[46:47]
	s_cbranch_execz .LBB250_48
.LBB250_58:
	s_waitcnt lgkmcnt(5)
	v_add_co_u32_e32 v20, vcc, 0x2000, v36
	s_nop 1
	v_addc_co_u32_e32 v21, vcc, 0, v37, vcc
	s_waitcnt lgkmcnt(4)
	global_store_dwordx4 v[20:21], v[16:19], off offset:2048
	s_or_b64 exec, exec, s[0:1]
	s_and_saveexec_b64 s[0:1], s[48:49]
	s_cbranch_execz .LBB250_49
.LBB250_59:
	s_waitcnt lgkmcnt(4)
	v_add_co_u32_e32 v16, vcc, 0x3000, v36
	s_nop 1
	v_addc_co_u32_e32 v17, vcc, 0, v37, vcc
	s_waitcnt lgkmcnt(3)
	global_store_dwordx4 v[16:17], v[12:15], off
	s_or_b64 exec, exec, s[0:1]
	s_and_saveexec_b64 s[0:1], s[50:51]
	s_cbranch_execz .LBB250_50
.LBB250_60:
	s_waitcnt lgkmcnt(3)
	v_add_co_u32_e32 v12, vcc, 0x3000, v36
	s_nop 1
	v_addc_co_u32_e32 v13, vcc, 0, v37, vcc
	s_waitcnt lgkmcnt(2)
	global_store_dwordx4 v[12:13], v[8:11], off offset:2048
	s_or_b64 exec, exec, s[0:1]
	s_and_saveexec_b64 s[0:1], s[52:53]
	s_cbranch_execz .LBB250_51
.LBB250_61:
	s_waitcnt lgkmcnt(2)
	v_add_co_u32_e32 v8, vcc, 0x4000, v36
	s_nop 1
	v_addc_co_u32_e32 v9, vcc, 0, v37, vcc
	s_waitcnt lgkmcnt(1)
	global_store_dwordx4 v[8:9], v[4:7], off
	s_or_b64 exec, exec, s[0:1]
	s_and_saveexec_b64 s[0:1], s[54:55]
	s_cbranch_execz .LBB250_52
.LBB250_62:
	s_waitcnt lgkmcnt(1)
	v_add_co_u32_e32 v4, vcc, 0x4000, v36
	s_nop 1
	v_addc_co_u32_e32 v5, vcc, 0, v37, vcc
	s_waitcnt lgkmcnt(0)
	global_store_dwordx4 v[4:5], v[0:3], off offset:2048
	s_endpgm
	.section	.rodata,"a",@progbits
	.p2align	6, 0x0
	.amdhsa_kernel _ZN7rocprim17ROCPRIM_400000_NS6detail17trampoline_kernelINS0_14default_configENS1_20scan_config_selectorIN3c107complexIdEEEEZZNS1_9scan_implILNS1_25lookback_scan_determinismE0ELb0ELb0ES3_PKS7_PS7_S7_ZZZN2at6native31launch_logcumsumexp_cuda_kernelERKNSE_10TensorBaseESI_lENKUlvE_clEvENKUlvE1_clEvEUlS7_S7_E_S7_EEDaPvRmT3_T4_T5_mT6_P12ihipStream_tbENKUlT_T0_E_clISt17integral_constantIbLb0EESY_IbLb1EEEEDaSU_SV_EUlSU_E0_NS1_11comp_targetILNS1_3genE0ELNS1_11target_archE4294967295ELNS1_3gpuE0ELNS1_3repE0EEENS1_30default_config_static_selectorELNS0_4arch9wavefront6targetE1EEEvT1_
		.amdhsa_group_segment_fixed_size 20480
		.amdhsa_private_segment_fixed_size 0
		.amdhsa_kernarg_size 48
		.amdhsa_user_sgpr_count 2
		.amdhsa_user_sgpr_dispatch_ptr 0
		.amdhsa_user_sgpr_queue_ptr 0
		.amdhsa_user_sgpr_kernarg_segment_ptr 1
		.amdhsa_user_sgpr_dispatch_id 0
		.amdhsa_user_sgpr_kernarg_preload_length 0
		.amdhsa_user_sgpr_kernarg_preload_offset 0
		.amdhsa_user_sgpr_private_segment_size 0
		.amdhsa_uses_dynamic_stack 0
		.amdhsa_enable_private_segment 0
		.amdhsa_system_sgpr_workgroup_id_x 1
		.amdhsa_system_sgpr_workgroup_id_y 0
		.amdhsa_system_sgpr_workgroup_id_z 0
		.amdhsa_system_sgpr_workgroup_info 0
		.amdhsa_system_vgpr_workitem_id 0
		.amdhsa_next_free_vgpr 133
		.amdhsa_next_free_sgpr 96
		.amdhsa_accum_offset 136
		.amdhsa_reserve_vcc 1
		.amdhsa_float_round_mode_32 0
		.amdhsa_float_round_mode_16_64 0
		.amdhsa_float_denorm_mode_32 3
		.amdhsa_float_denorm_mode_16_64 3
		.amdhsa_dx10_clamp 1
		.amdhsa_ieee_mode 1
		.amdhsa_fp16_overflow 0
		.amdhsa_tg_split 0
		.amdhsa_exception_fp_ieee_invalid_op 0
		.amdhsa_exception_fp_denorm_src 0
		.amdhsa_exception_fp_ieee_div_zero 0
		.amdhsa_exception_fp_ieee_overflow 0
		.amdhsa_exception_fp_ieee_underflow 0
		.amdhsa_exception_fp_ieee_inexact 0
		.amdhsa_exception_int_div_zero 0
	.end_amdhsa_kernel
	.section	.text._ZN7rocprim17ROCPRIM_400000_NS6detail17trampoline_kernelINS0_14default_configENS1_20scan_config_selectorIN3c107complexIdEEEEZZNS1_9scan_implILNS1_25lookback_scan_determinismE0ELb0ELb0ES3_PKS7_PS7_S7_ZZZN2at6native31launch_logcumsumexp_cuda_kernelERKNSE_10TensorBaseESI_lENKUlvE_clEvENKUlvE1_clEvEUlS7_S7_E_S7_EEDaPvRmT3_T4_T5_mT6_P12ihipStream_tbENKUlT_T0_E_clISt17integral_constantIbLb0EESY_IbLb1EEEEDaSU_SV_EUlSU_E0_NS1_11comp_targetILNS1_3genE0ELNS1_11target_archE4294967295ELNS1_3gpuE0ELNS1_3repE0EEENS1_30default_config_static_selectorELNS0_4arch9wavefront6targetE1EEEvT1_,"axG",@progbits,_ZN7rocprim17ROCPRIM_400000_NS6detail17trampoline_kernelINS0_14default_configENS1_20scan_config_selectorIN3c107complexIdEEEEZZNS1_9scan_implILNS1_25lookback_scan_determinismE0ELb0ELb0ES3_PKS7_PS7_S7_ZZZN2at6native31launch_logcumsumexp_cuda_kernelERKNSE_10TensorBaseESI_lENKUlvE_clEvENKUlvE1_clEvEUlS7_S7_E_S7_EEDaPvRmT3_T4_T5_mT6_P12ihipStream_tbENKUlT_T0_E_clISt17integral_constantIbLb0EESY_IbLb1EEEEDaSU_SV_EUlSU_E0_NS1_11comp_targetILNS1_3genE0ELNS1_11target_archE4294967295ELNS1_3gpuE0ELNS1_3repE0EEENS1_30default_config_static_selectorELNS0_4arch9wavefront6targetE1EEEvT1_,comdat
.Lfunc_end250:
	.size	_ZN7rocprim17ROCPRIM_400000_NS6detail17trampoline_kernelINS0_14default_configENS1_20scan_config_selectorIN3c107complexIdEEEEZZNS1_9scan_implILNS1_25lookback_scan_determinismE0ELb0ELb0ES3_PKS7_PS7_S7_ZZZN2at6native31launch_logcumsumexp_cuda_kernelERKNSE_10TensorBaseESI_lENKUlvE_clEvENKUlvE1_clEvEUlS7_S7_E_S7_EEDaPvRmT3_T4_T5_mT6_P12ihipStream_tbENKUlT_T0_E_clISt17integral_constantIbLb0EESY_IbLb1EEEEDaSU_SV_EUlSU_E0_NS1_11comp_targetILNS1_3genE0ELNS1_11target_archE4294967295ELNS1_3gpuE0ELNS1_3repE0EEENS1_30default_config_static_selectorELNS0_4arch9wavefront6targetE1EEEvT1_, .Lfunc_end250-_ZN7rocprim17ROCPRIM_400000_NS6detail17trampoline_kernelINS0_14default_configENS1_20scan_config_selectorIN3c107complexIdEEEEZZNS1_9scan_implILNS1_25lookback_scan_determinismE0ELb0ELb0ES3_PKS7_PS7_S7_ZZZN2at6native31launch_logcumsumexp_cuda_kernelERKNSE_10TensorBaseESI_lENKUlvE_clEvENKUlvE1_clEvEUlS7_S7_E_S7_EEDaPvRmT3_T4_T5_mT6_P12ihipStream_tbENKUlT_T0_E_clISt17integral_constantIbLb0EESY_IbLb1EEEEDaSU_SV_EUlSU_E0_NS1_11comp_targetILNS1_3genE0ELNS1_11target_archE4294967295ELNS1_3gpuE0ELNS1_3repE0EEENS1_30default_config_static_selectorELNS0_4arch9wavefront6targetE1EEEvT1_
                                        ; -- End function
	.set _ZN7rocprim17ROCPRIM_400000_NS6detail17trampoline_kernelINS0_14default_configENS1_20scan_config_selectorIN3c107complexIdEEEEZZNS1_9scan_implILNS1_25lookback_scan_determinismE0ELb0ELb0ES3_PKS7_PS7_S7_ZZZN2at6native31launch_logcumsumexp_cuda_kernelERKNSE_10TensorBaseESI_lENKUlvE_clEvENKUlvE1_clEvEUlS7_S7_E_S7_EEDaPvRmT3_T4_T5_mT6_P12ihipStream_tbENKUlT_T0_E_clISt17integral_constantIbLb0EESY_IbLb1EEEEDaSU_SV_EUlSU_E0_NS1_11comp_targetILNS1_3genE0ELNS1_11target_archE4294967295ELNS1_3gpuE0ELNS1_3repE0EEENS1_30default_config_static_selectorELNS0_4arch9wavefront6targetE1EEEvT1_.num_vgpr, max(133, .L_ZZZZN2at6native31launch_logcumsumexp_cuda_kernelERKNS_10TensorBaseES3_lENKUlvE_clEvENKUlvE1_clEvENKUlN3c107complexIdEES8_E_clES8_S8_.num_vgpr)
	.set _ZN7rocprim17ROCPRIM_400000_NS6detail17trampoline_kernelINS0_14default_configENS1_20scan_config_selectorIN3c107complexIdEEEEZZNS1_9scan_implILNS1_25lookback_scan_determinismE0ELb0ELb0ES3_PKS7_PS7_S7_ZZZN2at6native31launch_logcumsumexp_cuda_kernelERKNSE_10TensorBaseESI_lENKUlvE_clEvENKUlvE1_clEvEUlS7_S7_E_S7_EEDaPvRmT3_T4_T5_mT6_P12ihipStream_tbENKUlT_T0_E_clISt17integral_constantIbLb0EESY_IbLb1EEEEDaSU_SV_EUlSU_E0_NS1_11comp_targetILNS1_3genE0ELNS1_11target_archE4294967295ELNS1_3gpuE0ELNS1_3repE0EEENS1_30default_config_static_selectorELNS0_4arch9wavefront6targetE1EEEvT1_.num_agpr, max(0, .L_ZZZZN2at6native31launch_logcumsumexp_cuda_kernelERKNS_10TensorBaseES3_lENKUlvE_clEvENKUlvE1_clEvENKUlN3c107complexIdEES8_E_clES8_S8_.num_agpr)
	.set _ZN7rocprim17ROCPRIM_400000_NS6detail17trampoline_kernelINS0_14default_configENS1_20scan_config_selectorIN3c107complexIdEEEEZZNS1_9scan_implILNS1_25lookback_scan_determinismE0ELb0ELb0ES3_PKS7_PS7_S7_ZZZN2at6native31launch_logcumsumexp_cuda_kernelERKNSE_10TensorBaseESI_lENKUlvE_clEvENKUlvE1_clEvEUlS7_S7_E_S7_EEDaPvRmT3_T4_T5_mT6_P12ihipStream_tbENKUlT_T0_E_clISt17integral_constantIbLb0EESY_IbLb1EEEEDaSU_SV_EUlSU_E0_NS1_11comp_targetILNS1_3genE0ELNS1_11target_archE4294967295ELNS1_3gpuE0ELNS1_3repE0EEENS1_30default_config_static_selectorELNS0_4arch9wavefront6targetE1EEEvT1_.numbered_sgpr, max(62, .L_ZZZZN2at6native31launch_logcumsumexp_cuda_kernelERKNS_10TensorBaseES3_lENKUlvE_clEvENKUlvE1_clEvENKUlN3c107complexIdEES8_E_clES8_S8_.numbered_sgpr)
	.set _ZN7rocprim17ROCPRIM_400000_NS6detail17trampoline_kernelINS0_14default_configENS1_20scan_config_selectorIN3c107complexIdEEEEZZNS1_9scan_implILNS1_25lookback_scan_determinismE0ELb0ELb0ES3_PKS7_PS7_S7_ZZZN2at6native31launch_logcumsumexp_cuda_kernelERKNSE_10TensorBaseESI_lENKUlvE_clEvENKUlvE1_clEvEUlS7_S7_E_S7_EEDaPvRmT3_T4_T5_mT6_P12ihipStream_tbENKUlT_T0_E_clISt17integral_constantIbLb0EESY_IbLb1EEEEDaSU_SV_EUlSU_E0_NS1_11comp_targetILNS1_3genE0ELNS1_11target_archE4294967295ELNS1_3gpuE0ELNS1_3repE0EEENS1_30default_config_static_selectorELNS0_4arch9wavefront6targetE1EEEvT1_.num_named_barrier, max(0, .L_ZZZZN2at6native31launch_logcumsumexp_cuda_kernelERKNS_10TensorBaseES3_lENKUlvE_clEvENKUlvE1_clEvENKUlN3c107complexIdEES8_E_clES8_S8_.num_named_barrier)
	.set _ZN7rocprim17ROCPRIM_400000_NS6detail17trampoline_kernelINS0_14default_configENS1_20scan_config_selectorIN3c107complexIdEEEEZZNS1_9scan_implILNS1_25lookback_scan_determinismE0ELb0ELb0ES3_PKS7_PS7_S7_ZZZN2at6native31launch_logcumsumexp_cuda_kernelERKNSE_10TensorBaseESI_lENKUlvE_clEvENKUlvE1_clEvEUlS7_S7_E_S7_EEDaPvRmT3_T4_T5_mT6_P12ihipStream_tbENKUlT_T0_E_clISt17integral_constantIbLb0EESY_IbLb1EEEEDaSU_SV_EUlSU_E0_NS1_11comp_targetILNS1_3genE0ELNS1_11target_archE4294967295ELNS1_3gpuE0ELNS1_3repE0EEENS1_30default_config_static_selectorELNS0_4arch9wavefront6targetE1EEEvT1_.private_seg_size, 0+max(.L_ZZZZN2at6native31launch_logcumsumexp_cuda_kernelERKNS_10TensorBaseES3_lENKUlvE_clEvENKUlvE1_clEvENKUlN3c107complexIdEES8_E_clES8_S8_.private_seg_size)
	.set _ZN7rocprim17ROCPRIM_400000_NS6detail17trampoline_kernelINS0_14default_configENS1_20scan_config_selectorIN3c107complexIdEEEEZZNS1_9scan_implILNS1_25lookback_scan_determinismE0ELb0ELb0ES3_PKS7_PS7_S7_ZZZN2at6native31launch_logcumsumexp_cuda_kernelERKNSE_10TensorBaseESI_lENKUlvE_clEvENKUlvE1_clEvEUlS7_S7_E_S7_EEDaPvRmT3_T4_T5_mT6_P12ihipStream_tbENKUlT_T0_E_clISt17integral_constantIbLb0EESY_IbLb1EEEEDaSU_SV_EUlSU_E0_NS1_11comp_targetILNS1_3genE0ELNS1_11target_archE4294967295ELNS1_3gpuE0ELNS1_3repE0EEENS1_30default_config_static_selectorELNS0_4arch9wavefront6targetE1EEEvT1_.uses_vcc, or(1, .L_ZZZZN2at6native31launch_logcumsumexp_cuda_kernelERKNS_10TensorBaseES3_lENKUlvE_clEvENKUlvE1_clEvENKUlN3c107complexIdEES8_E_clES8_S8_.uses_vcc)
	.set _ZN7rocprim17ROCPRIM_400000_NS6detail17trampoline_kernelINS0_14default_configENS1_20scan_config_selectorIN3c107complexIdEEEEZZNS1_9scan_implILNS1_25lookback_scan_determinismE0ELb0ELb0ES3_PKS7_PS7_S7_ZZZN2at6native31launch_logcumsumexp_cuda_kernelERKNSE_10TensorBaseESI_lENKUlvE_clEvENKUlvE1_clEvEUlS7_S7_E_S7_EEDaPvRmT3_T4_T5_mT6_P12ihipStream_tbENKUlT_T0_E_clISt17integral_constantIbLb0EESY_IbLb1EEEEDaSU_SV_EUlSU_E0_NS1_11comp_targetILNS1_3genE0ELNS1_11target_archE4294967295ELNS1_3gpuE0ELNS1_3repE0EEENS1_30default_config_static_selectorELNS0_4arch9wavefront6targetE1EEEvT1_.uses_flat_scratch, or(0, .L_ZZZZN2at6native31launch_logcumsumexp_cuda_kernelERKNS_10TensorBaseES3_lENKUlvE_clEvENKUlvE1_clEvENKUlN3c107complexIdEES8_E_clES8_S8_.uses_flat_scratch)
	.set _ZN7rocprim17ROCPRIM_400000_NS6detail17trampoline_kernelINS0_14default_configENS1_20scan_config_selectorIN3c107complexIdEEEEZZNS1_9scan_implILNS1_25lookback_scan_determinismE0ELb0ELb0ES3_PKS7_PS7_S7_ZZZN2at6native31launch_logcumsumexp_cuda_kernelERKNSE_10TensorBaseESI_lENKUlvE_clEvENKUlvE1_clEvEUlS7_S7_E_S7_EEDaPvRmT3_T4_T5_mT6_P12ihipStream_tbENKUlT_T0_E_clISt17integral_constantIbLb0EESY_IbLb1EEEEDaSU_SV_EUlSU_E0_NS1_11comp_targetILNS1_3genE0ELNS1_11target_archE4294967295ELNS1_3gpuE0ELNS1_3repE0EEENS1_30default_config_static_selectorELNS0_4arch9wavefront6targetE1EEEvT1_.has_dyn_sized_stack, or(0, .L_ZZZZN2at6native31launch_logcumsumexp_cuda_kernelERKNS_10TensorBaseES3_lENKUlvE_clEvENKUlvE1_clEvENKUlN3c107complexIdEES8_E_clES8_S8_.has_dyn_sized_stack)
	.set _ZN7rocprim17ROCPRIM_400000_NS6detail17trampoline_kernelINS0_14default_configENS1_20scan_config_selectorIN3c107complexIdEEEEZZNS1_9scan_implILNS1_25lookback_scan_determinismE0ELb0ELb0ES3_PKS7_PS7_S7_ZZZN2at6native31launch_logcumsumexp_cuda_kernelERKNSE_10TensorBaseESI_lENKUlvE_clEvENKUlvE1_clEvEUlS7_S7_E_S7_EEDaPvRmT3_T4_T5_mT6_P12ihipStream_tbENKUlT_T0_E_clISt17integral_constantIbLb0EESY_IbLb1EEEEDaSU_SV_EUlSU_E0_NS1_11comp_targetILNS1_3genE0ELNS1_11target_archE4294967295ELNS1_3gpuE0ELNS1_3repE0EEENS1_30default_config_static_selectorELNS0_4arch9wavefront6targetE1EEEvT1_.has_recursion, or(0, .L_ZZZZN2at6native31launch_logcumsumexp_cuda_kernelERKNS_10TensorBaseES3_lENKUlvE_clEvENKUlvE1_clEvENKUlN3c107complexIdEES8_E_clES8_S8_.has_recursion)
	.set _ZN7rocprim17ROCPRIM_400000_NS6detail17trampoline_kernelINS0_14default_configENS1_20scan_config_selectorIN3c107complexIdEEEEZZNS1_9scan_implILNS1_25lookback_scan_determinismE0ELb0ELb0ES3_PKS7_PS7_S7_ZZZN2at6native31launch_logcumsumexp_cuda_kernelERKNSE_10TensorBaseESI_lENKUlvE_clEvENKUlvE1_clEvEUlS7_S7_E_S7_EEDaPvRmT3_T4_T5_mT6_P12ihipStream_tbENKUlT_T0_E_clISt17integral_constantIbLb0EESY_IbLb1EEEEDaSU_SV_EUlSU_E0_NS1_11comp_targetILNS1_3genE0ELNS1_11target_archE4294967295ELNS1_3gpuE0ELNS1_3repE0EEENS1_30default_config_static_selectorELNS0_4arch9wavefront6targetE1EEEvT1_.has_indirect_call, or(0, .L_ZZZZN2at6native31launch_logcumsumexp_cuda_kernelERKNS_10TensorBaseES3_lENKUlvE_clEvENKUlvE1_clEvENKUlN3c107complexIdEES8_E_clES8_S8_.has_indirect_call)
	.section	.AMDGPU.csdata,"",@progbits
; Kernel info:
; codeLenInByte = 3264
; TotalNumSgprs: 68
; NumVgprs: 133
; NumAgprs: 0
; TotalNumVgprs: 133
; ScratchSize: 0
; MemoryBound: 1
; FloatMode: 240
; IeeeMode: 1
; LDSByteSize: 20480 bytes/workgroup (compile time only)
; SGPRBlocks: 12
; VGPRBlocks: 16
; NumSGPRsForWavesPerEU: 102
; NumVGPRsForWavesPerEU: 133
; AccumOffset: 136
; Occupancy: 3
; WaveLimiterHint : 0
; COMPUTE_PGM_RSRC2:SCRATCH_EN: 0
; COMPUTE_PGM_RSRC2:USER_SGPR: 2
; COMPUTE_PGM_RSRC2:TRAP_HANDLER: 0
; COMPUTE_PGM_RSRC2:TGID_X_EN: 1
; COMPUTE_PGM_RSRC2:TGID_Y_EN: 0
; COMPUTE_PGM_RSRC2:TGID_Z_EN: 0
; COMPUTE_PGM_RSRC2:TIDIG_COMP_CNT: 0
; COMPUTE_PGM_RSRC3_GFX90A:ACCUM_OFFSET: 33
; COMPUTE_PGM_RSRC3_GFX90A:TG_SPLIT: 0
	.section	.text._ZN7rocprim17ROCPRIM_400000_NS6detail17trampoline_kernelINS0_14default_configENS1_20scan_config_selectorIN3c107complexIdEEEEZZNS1_9scan_implILNS1_25lookback_scan_determinismE0ELb0ELb0ES3_PKS7_PS7_S7_ZZZN2at6native31launch_logcumsumexp_cuda_kernelERKNSE_10TensorBaseESI_lENKUlvE_clEvENKUlvE1_clEvEUlS7_S7_E_S7_EEDaPvRmT3_T4_T5_mT6_P12ihipStream_tbENKUlT_T0_E_clISt17integral_constantIbLb0EESY_IbLb1EEEEDaSU_SV_EUlSU_E0_NS1_11comp_targetILNS1_3genE5ELNS1_11target_archE942ELNS1_3gpuE9ELNS1_3repE0EEENS1_30default_config_static_selectorELNS0_4arch9wavefront6targetE1EEEvT1_,"axG",@progbits,_ZN7rocprim17ROCPRIM_400000_NS6detail17trampoline_kernelINS0_14default_configENS1_20scan_config_selectorIN3c107complexIdEEEEZZNS1_9scan_implILNS1_25lookback_scan_determinismE0ELb0ELb0ES3_PKS7_PS7_S7_ZZZN2at6native31launch_logcumsumexp_cuda_kernelERKNSE_10TensorBaseESI_lENKUlvE_clEvENKUlvE1_clEvEUlS7_S7_E_S7_EEDaPvRmT3_T4_T5_mT6_P12ihipStream_tbENKUlT_T0_E_clISt17integral_constantIbLb0EESY_IbLb1EEEEDaSU_SV_EUlSU_E0_NS1_11comp_targetILNS1_3genE5ELNS1_11target_archE942ELNS1_3gpuE9ELNS1_3repE0EEENS1_30default_config_static_selectorELNS0_4arch9wavefront6targetE1EEEvT1_,comdat
	.globl	_ZN7rocprim17ROCPRIM_400000_NS6detail17trampoline_kernelINS0_14default_configENS1_20scan_config_selectorIN3c107complexIdEEEEZZNS1_9scan_implILNS1_25lookback_scan_determinismE0ELb0ELb0ES3_PKS7_PS7_S7_ZZZN2at6native31launch_logcumsumexp_cuda_kernelERKNSE_10TensorBaseESI_lENKUlvE_clEvENKUlvE1_clEvEUlS7_S7_E_S7_EEDaPvRmT3_T4_T5_mT6_P12ihipStream_tbENKUlT_T0_E_clISt17integral_constantIbLb0EESY_IbLb1EEEEDaSU_SV_EUlSU_E0_NS1_11comp_targetILNS1_3genE5ELNS1_11target_archE942ELNS1_3gpuE9ELNS1_3repE0EEENS1_30default_config_static_selectorELNS0_4arch9wavefront6targetE1EEEvT1_ ; -- Begin function _ZN7rocprim17ROCPRIM_400000_NS6detail17trampoline_kernelINS0_14default_configENS1_20scan_config_selectorIN3c107complexIdEEEEZZNS1_9scan_implILNS1_25lookback_scan_determinismE0ELb0ELb0ES3_PKS7_PS7_S7_ZZZN2at6native31launch_logcumsumexp_cuda_kernelERKNSE_10TensorBaseESI_lENKUlvE_clEvENKUlvE1_clEvEUlS7_S7_E_S7_EEDaPvRmT3_T4_T5_mT6_P12ihipStream_tbENKUlT_T0_E_clISt17integral_constantIbLb0EESY_IbLb1EEEEDaSU_SV_EUlSU_E0_NS1_11comp_targetILNS1_3genE5ELNS1_11target_archE942ELNS1_3gpuE9ELNS1_3repE0EEENS1_30default_config_static_selectorELNS0_4arch9wavefront6targetE1EEEvT1_
	.p2align	8
	.type	_ZN7rocprim17ROCPRIM_400000_NS6detail17trampoline_kernelINS0_14default_configENS1_20scan_config_selectorIN3c107complexIdEEEEZZNS1_9scan_implILNS1_25lookback_scan_determinismE0ELb0ELb0ES3_PKS7_PS7_S7_ZZZN2at6native31launch_logcumsumexp_cuda_kernelERKNSE_10TensorBaseESI_lENKUlvE_clEvENKUlvE1_clEvEUlS7_S7_E_S7_EEDaPvRmT3_T4_T5_mT6_P12ihipStream_tbENKUlT_T0_E_clISt17integral_constantIbLb0EESY_IbLb1EEEEDaSU_SV_EUlSU_E0_NS1_11comp_targetILNS1_3genE5ELNS1_11target_archE942ELNS1_3gpuE9ELNS1_3repE0EEENS1_30default_config_static_selectorELNS0_4arch9wavefront6targetE1EEEvT1_,@function
_ZN7rocprim17ROCPRIM_400000_NS6detail17trampoline_kernelINS0_14default_configENS1_20scan_config_selectorIN3c107complexIdEEEEZZNS1_9scan_implILNS1_25lookback_scan_determinismE0ELb0ELb0ES3_PKS7_PS7_S7_ZZZN2at6native31launch_logcumsumexp_cuda_kernelERKNSE_10TensorBaseESI_lENKUlvE_clEvENKUlvE1_clEvEUlS7_S7_E_S7_EEDaPvRmT3_T4_T5_mT6_P12ihipStream_tbENKUlT_T0_E_clISt17integral_constantIbLb0EESY_IbLb1EEEEDaSU_SV_EUlSU_E0_NS1_11comp_targetILNS1_3genE5ELNS1_11target_archE942ELNS1_3gpuE9ELNS1_3repE0EEENS1_30default_config_static_selectorELNS0_4arch9wavefront6targetE1EEEvT1_: ; @_ZN7rocprim17ROCPRIM_400000_NS6detail17trampoline_kernelINS0_14default_configENS1_20scan_config_selectorIN3c107complexIdEEEEZZNS1_9scan_implILNS1_25lookback_scan_determinismE0ELb0ELb0ES3_PKS7_PS7_S7_ZZZN2at6native31launch_logcumsumexp_cuda_kernelERKNSE_10TensorBaseESI_lENKUlvE_clEvENKUlvE1_clEvEUlS7_S7_E_S7_EEDaPvRmT3_T4_T5_mT6_P12ihipStream_tbENKUlT_T0_E_clISt17integral_constantIbLb0EESY_IbLb1EEEEDaSU_SV_EUlSU_E0_NS1_11comp_targetILNS1_3genE5ELNS1_11target_archE942ELNS1_3gpuE9ELNS1_3repE0EEENS1_30default_config_static_selectorELNS0_4arch9wavefront6targetE1EEEvT1_
; %bb.0:
	.section	.rodata,"a",@progbits
	.p2align	6, 0x0
	.amdhsa_kernel _ZN7rocprim17ROCPRIM_400000_NS6detail17trampoline_kernelINS0_14default_configENS1_20scan_config_selectorIN3c107complexIdEEEEZZNS1_9scan_implILNS1_25lookback_scan_determinismE0ELb0ELb0ES3_PKS7_PS7_S7_ZZZN2at6native31launch_logcumsumexp_cuda_kernelERKNSE_10TensorBaseESI_lENKUlvE_clEvENKUlvE1_clEvEUlS7_S7_E_S7_EEDaPvRmT3_T4_T5_mT6_P12ihipStream_tbENKUlT_T0_E_clISt17integral_constantIbLb0EESY_IbLb1EEEEDaSU_SV_EUlSU_E0_NS1_11comp_targetILNS1_3genE5ELNS1_11target_archE942ELNS1_3gpuE9ELNS1_3repE0EEENS1_30default_config_static_selectorELNS0_4arch9wavefront6targetE1EEEvT1_
		.amdhsa_group_segment_fixed_size 0
		.amdhsa_private_segment_fixed_size 0
		.amdhsa_kernarg_size 48
		.amdhsa_user_sgpr_count 2
		.amdhsa_user_sgpr_dispatch_ptr 0
		.amdhsa_user_sgpr_queue_ptr 0
		.amdhsa_user_sgpr_kernarg_segment_ptr 1
		.amdhsa_user_sgpr_dispatch_id 0
		.amdhsa_user_sgpr_kernarg_preload_length 0
		.amdhsa_user_sgpr_kernarg_preload_offset 0
		.amdhsa_user_sgpr_private_segment_size 0
		.amdhsa_uses_dynamic_stack 0
		.amdhsa_enable_private_segment 0
		.amdhsa_system_sgpr_workgroup_id_x 1
		.amdhsa_system_sgpr_workgroup_id_y 0
		.amdhsa_system_sgpr_workgroup_id_z 0
		.amdhsa_system_sgpr_workgroup_info 0
		.amdhsa_system_vgpr_workitem_id 0
		.amdhsa_next_free_vgpr 1
		.amdhsa_next_free_sgpr 0
		.amdhsa_accum_offset 4
		.amdhsa_reserve_vcc 0
		.amdhsa_float_round_mode_32 0
		.amdhsa_float_round_mode_16_64 0
		.amdhsa_float_denorm_mode_32 3
		.amdhsa_float_denorm_mode_16_64 3
		.amdhsa_dx10_clamp 1
		.amdhsa_ieee_mode 1
		.amdhsa_fp16_overflow 0
		.amdhsa_tg_split 0
		.amdhsa_exception_fp_ieee_invalid_op 0
		.amdhsa_exception_fp_denorm_src 0
		.amdhsa_exception_fp_ieee_div_zero 0
		.amdhsa_exception_fp_ieee_overflow 0
		.amdhsa_exception_fp_ieee_underflow 0
		.amdhsa_exception_fp_ieee_inexact 0
		.amdhsa_exception_int_div_zero 0
	.end_amdhsa_kernel
	.section	.text._ZN7rocprim17ROCPRIM_400000_NS6detail17trampoline_kernelINS0_14default_configENS1_20scan_config_selectorIN3c107complexIdEEEEZZNS1_9scan_implILNS1_25lookback_scan_determinismE0ELb0ELb0ES3_PKS7_PS7_S7_ZZZN2at6native31launch_logcumsumexp_cuda_kernelERKNSE_10TensorBaseESI_lENKUlvE_clEvENKUlvE1_clEvEUlS7_S7_E_S7_EEDaPvRmT3_T4_T5_mT6_P12ihipStream_tbENKUlT_T0_E_clISt17integral_constantIbLb0EESY_IbLb1EEEEDaSU_SV_EUlSU_E0_NS1_11comp_targetILNS1_3genE5ELNS1_11target_archE942ELNS1_3gpuE9ELNS1_3repE0EEENS1_30default_config_static_selectorELNS0_4arch9wavefront6targetE1EEEvT1_,"axG",@progbits,_ZN7rocprim17ROCPRIM_400000_NS6detail17trampoline_kernelINS0_14default_configENS1_20scan_config_selectorIN3c107complexIdEEEEZZNS1_9scan_implILNS1_25lookback_scan_determinismE0ELb0ELb0ES3_PKS7_PS7_S7_ZZZN2at6native31launch_logcumsumexp_cuda_kernelERKNSE_10TensorBaseESI_lENKUlvE_clEvENKUlvE1_clEvEUlS7_S7_E_S7_EEDaPvRmT3_T4_T5_mT6_P12ihipStream_tbENKUlT_T0_E_clISt17integral_constantIbLb0EESY_IbLb1EEEEDaSU_SV_EUlSU_E0_NS1_11comp_targetILNS1_3genE5ELNS1_11target_archE942ELNS1_3gpuE9ELNS1_3repE0EEENS1_30default_config_static_selectorELNS0_4arch9wavefront6targetE1EEEvT1_,comdat
.Lfunc_end251:
	.size	_ZN7rocprim17ROCPRIM_400000_NS6detail17trampoline_kernelINS0_14default_configENS1_20scan_config_selectorIN3c107complexIdEEEEZZNS1_9scan_implILNS1_25lookback_scan_determinismE0ELb0ELb0ES3_PKS7_PS7_S7_ZZZN2at6native31launch_logcumsumexp_cuda_kernelERKNSE_10TensorBaseESI_lENKUlvE_clEvENKUlvE1_clEvEUlS7_S7_E_S7_EEDaPvRmT3_T4_T5_mT6_P12ihipStream_tbENKUlT_T0_E_clISt17integral_constantIbLb0EESY_IbLb1EEEEDaSU_SV_EUlSU_E0_NS1_11comp_targetILNS1_3genE5ELNS1_11target_archE942ELNS1_3gpuE9ELNS1_3repE0EEENS1_30default_config_static_selectorELNS0_4arch9wavefront6targetE1EEEvT1_, .Lfunc_end251-_ZN7rocprim17ROCPRIM_400000_NS6detail17trampoline_kernelINS0_14default_configENS1_20scan_config_selectorIN3c107complexIdEEEEZZNS1_9scan_implILNS1_25lookback_scan_determinismE0ELb0ELb0ES3_PKS7_PS7_S7_ZZZN2at6native31launch_logcumsumexp_cuda_kernelERKNSE_10TensorBaseESI_lENKUlvE_clEvENKUlvE1_clEvEUlS7_S7_E_S7_EEDaPvRmT3_T4_T5_mT6_P12ihipStream_tbENKUlT_T0_E_clISt17integral_constantIbLb0EESY_IbLb1EEEEDaSU_SV_EUlSU_E0_NS1_11comp_targetILNS1_3genE5ELNS1_11target_archE942ELNS1_3gpuE9ELNS1_3repE0EEENS1_30default_config_static_selectorELNS0_4arch9wavefront6targetE1EEEvT1_
                                        ; -- End function
	.set _ZN7rocprim17ROCPRIM_400000_NS6detail17trampoline_kernelINS0_14default_configENS1_20scan_config_selectorIN3c107complexIdEEEEZZNS1_9scan_implILNS1_25lookback_scan_determinismE0ELb0ELb0ES3_PKS7_PS7_S7_ZZZN2at6native31launch_logcumsumexp_cuda_kernelERKNSE_10TensorBaseESI_lENKUlvE_clEvENKUlvE1_clEvEUlS7_S7_E_S7_EEDaPvRmT3_T4_T5_mT6_P12ihipStream_tbENKUlT_T0_E_clISt17integral_constantIbLb0EESY_IbLb1EEEEDaSU_SV_EUlSU_E0_NS1_11comp_targetILNS1_3genE5ELNS1_11target_archE942ELNS1_3gpuE9ELNS1_3repE0EEENS1_30default_config_static_selectorELNS0_4arch9wavefront6targetE1EEEvT1_.num_vgpr, 0
	.set _ZN7rocprim17ROCPRIM_400000_NS6detail17trampoline_kernelINS0_14default_configENS1_20scan_config_selectorIN3c107complexIdEEEEZZNS1_9scan_implILNS1_25lookback_scan_determinismE0ELb0ELb0ES3_PKS7_PS7_S7_ZZZN2at6native31launch_logcumsumexp_cuda_kernelERKNSE_10TensorBaseESI_lENKUlvE_clEvENKUlvE1_clEvEUlS7_S7_E_S7_EEDaPvRmT3_T4_T5_mT6_P12ihipStream_tbENKUlT_T0_E_clISt17integral_constantIbLb0EESY_IbLb1EEEEDaSU_SV_EUlSU_E0_NS1_11comp_targetILNS1_3genE5ELNS1_11target_archE942ELNS1_3gpuE9ELNS1_3repE0EEENS1_30default_config_static_selectorELNS0_4arch9wavefront6targetE1EEEvT1_.num_agpr, 0
	.set _ZN7rocprim17ROCPRIM_400000_NS6detail17trampoline_kernelINS0_14default_configENS1_20scan_config_selectorIN3c107complexIdEEEEZZNS1_9scan_implILNS1_25lookback_scan_determinismE0ELb0ELb0ES3_PKS7_PS7_S7_ZZZN2at6native31launch_logcumsumexp_cuda_kernelERKNSE_10TensorBaseESI_lENKUlvE_clEvENKUlvE1_clEvEUlS7_S7_E_S7_EEDaPvRmT3_T4_T5_mT6_P12ihipStream_tbENKUlT_T0_E_clISt17integral_constantIbLb0EESY_IbLb1EEEEDaSU_SV_EUlSU_E0_NS1_11comp_targetILNS1_3genE5ELNS1_11target_archE942ELNS1_3gpuE9ELNS1_3repE0EEENS1_30default_config_static_selectorELNS0_4arch9wavefront6targetE1EEEvT1_.numbered_sgpr, 0
	.set _ZN7rocprim17ROCPRIM_400000_NS6detail17trampoline_kernelINS0_14default_configENS1_20scan_config_selectorIN3c107complexIdEEEEZZNS1_9scan_implILNS1_25lookback_scan_determinismE0ELb0ELb0ES3_PKS7_PS7_S7_ZZZN2at6native31launch_logcumsumexp_cuda_kernelERKNSE_10TensorBaseESI_lENKUlvE_clEvENKUlvE1_clEvEUlS7_S7_E_S7_EEDaPvRmT3_T4_T5_mT6_P12ihipStream_tbENKUlT_T0_E_clISt17integral_constantIbLb0EESY_IbLb1EEEEDaSU_SV_EUlSU_E0_NS1_11comp_targetILNS1_3genE5ELNS1_11target_archE942ELNS1_3gpuE9ELNS1_3repE0EEENS1_30default_config_static_selectorELNS0_4arch9wavefront6targetE1EEEvT1_.num_named_barrier, 0
	.set _ZN7rocprim17ROCPRIM_400000_NS6detail17trampoline_kernelINS0_14default_configENS1_20scan_config_selectorIN3c107complexIdEEEEZZNS1_9scan_implILNS1_25lookback_scan_determinismE0ELb0ELb0ES3_PKS7_PS7_S7_ZZZN2at6native31launch_logcumsumexp_cuda_kernelERKNSE_10TensorBaseESI_lENKUlvE_clEvENKUlvE1_clEvEUlS7_S7_E_S7_EEDaPvRmT3_T4_T5_mT6_P12ihipStream_tbENKUlT_T0_E_clISt17integral_constantIbLb0EESY_IbLb1EEEEDaSU_SV_EUlSU_E0_NS1_11comp_targetILNS1_3genE5ELNS1_11target_archE942ELNS1_3gpuE9ELNS1_3repE0EEENS1_30default_config_static_selectorELNS0_4arch9wavefront6targetE1EEEvT1_.private_seg_size, 0
	.set _ZN7rocprim17ROCPRIM_400000_NS6detail17trampoline_kernelINS0_14default_configENS1_20scan_config_selectorIN3c107complexIdEEEEZZNS1_9scan_implILNS1_25lookback_scan_determinismE0ELb0ELb0ES3_PKS7_PS7_S7_ZZZN2at6native31launch_logcumsumexp_cuda_kernelERKNSE_10TensorBaseESI_lENKUlvE_clEvENKUlvE1_clEvEUlS7_S7_E_S7_EEDaPvRmT3_T4_T5_mT6_P12ihipStream_tbENKUlT_T0_E_clISt17integral_constantIbLb0EESY_IbLb1EEEEDaSU_SV_EUlSU_E0_NS1_11comp_targetILNS1_3genE5ELNS1_11target_archE942ELNS1_3gpuE9ELNS1_3repE0EEENS1_30default_config_static_selectorELNS0_4arch9wavefront6targetE1EEEvT1_.uses_vcc, 0
	.set _ZN7rocprim17ROCPRIM_400000_NS6detail17trampoline_kernelINS0_14default_configENS1_20scan_config_selectorIN3c107complexIdEEEEZZNS1_9scan_implILNS1_25lookback_scan_determinismE0ELb0ELb0ES3_PKS7_PS7_S7_ZZZN2at6native31launch_logcumsumexp_cuda_kernelERKNSE_10TensorBaseESI_lENKUlvE_clEvENKUlvE1_clEvEUlS7_S7_E_S7_EEDaPvRmT3_T4_T5_mT6_P12ihipStream_tbENKUlT_T0_E_clISt17integral_constantIbLb0EESY_IbLb1EEEEDaSU_SV_EUlSU_E0_NS1_11comp_targetILNS1_3genE5ELNS1_11target_archE942ELNS1_3gpuE9ELNS1_3repE0EEENS1_30default_config_static_selectorELNS0_4arch9wavefront6targetE1EEEvT1_.uses_flat_scratch, 0
	.set _ZN7rocprim17ROCPRIM_400000_NS6detail17trampoline_kernelINS0_14default_configENS1_20scan_config_selectorIN3c107complexIdEEEEZZNS1_9scan_implILNS1_25lookback_scan_determinismE0ELb0ELb0ES3_PKS7_PS7_S7_ZZZN2at6native31launch_logcumsumexp_cuda_kernelERKNSE_10TensorBaseESI_lENKUlvE_clEvENKUlvE1_clEvEUlS7_S7_E_S7_EEDaPvRmT3_T4_T5_mT6_P12ihipStream_tbENKUlT_T0_E_clISt17integral_constantIbLb0EESY_IbLb1EEEEDaSU_SV_EUlSU_E0_NS1_11comp_targetILNS1_3genE5ELNS1_11target_archE942ELNS1_3gpuE9ELNS1_3repE0EEENS1_30default_config_static_selectorELNS0_4arch9wavefront6targetE1EEEvT1_.has_dyn_sized_stack, 0
	.set _ZN7rocprim17ROCPRIM_400000_NS6detail17trampoline_kernelINS0_14default_configENS1_20scan_config_selectorIN3c107complexIdEEEEZZNS1_9scan_implILNS1_25lookback_scan_determinismE0ELb0ELb0ES3_PKS7_PS7_S7_ZZZN2at6native31launch_logcumsumexp_cuda_kernelERKNSE_10TensorBaseESI_lENKUlvE_clEvENKUlvE1_clEvEUlS7_S7_E_S7_EEDaPvRmT3_T4_T5_mT6_P12ihipStream_tbENKUlT_T0_E_clISt17integral_constantIbLb0EESY_IbLb1EEEEDaSU_SV_EUlSU_E0_NS1_11comp_targetILNS1_3genE5ELNS1_11target_archE942ELNS1_3gpuE9ELNS1_3repE0EEENS1_30default_config_static_selectorELNS0_4arch9wavefront6targetE1EEEvT1_.has_recursion, 0
	.set _ZN7rocprim17ROCPRIM_400000_NS6detail17trampoline_kernelINS0_14default_configENS1_20scan_config_selectorIN3c107complexIdEEEEZZNS1_9scan_implILNS1_25lookback_scan_determinismE0ELb0ELb0ES3_PKS7_PS7_S7_ZZZN2at6native31launch_logcumsumexp_cuda_kernelERKNSE_10TensorBaseESI_lENKUlvE_clEvENKUlvE1_clEvEUlS7_S7_E_S7_EEDaPvRmT3_T4_T5_mT6_P12ihipStream_tbENKUlT_T0_E_clISt17integral_constantIbLb0EESY_IbLb1EEEEDaSU_SV_EUlSU_E0_NS1_11comp_targetILNS1_3genE5ELNS1_11target_archE942ELNS1_3gpuE9ELNS1_3repE0EEENS1_30default_config_static_selectorELNS0_4arch9wavefront6targetE1EEEvT1_.has_indirect_call, 0
	.section	.AMDGPU.csdata,"",@progbits
; Kernel info:
; codeLenInByte = 0
; TotalNumSgprs: 6
; NumVgprs: 0
; NumAgprs: 0
; TotalNumVgprs: 0
; ScratchSize: 0
; MemoryBound: 0
; FloatMode: 240
; IeeeMode: 1
; LDSByteSize: 0 bytes/workgroup (compile time only)
; SGPRBlocks: 0
; VGPRBlocks: 0
; NumSGPRsForWavesPerEU: 6
; NumVGPRsForWavesPerEU: 1
; AccumOffset: 4
; Occupancy: 8
; WaveLimiterHint : 0
; COMPUTE_PGM_RSRC2:SCRATCH_EN: 0
; COMPUTE_PGM_RSRC2:USER_SGPR: 2
; COMPUTE_PGM_RSRC2:TRAP_HANDLER: 0
; COMPUTE_PGM_RSRC2:TGID_X_EN: 1
; COMPUTE_PGM_RSRC2:TGID_Y_EN: 0
; COMPUTE_PGM_RSRC2:TGID_Z_EN: 0
; COMPUTE_PGM_RSRC2:TIDIG_COMP_CNT: 0
; COMPUTE_PGM_RSRC3_GFX90A:ACCUM_OFFSET: 0
; COMPUTE_PGM_RSRC3_GFX90A:TG_SPLIT: 0
	.section	.text._ZN7rocprim17ROCPRIM_400000_NS6detail17trampoline_kernelINS0_14default_configENS1_20scan_config_selectorIN3c107complexIdEEEEZZNS1_9scan_implILNS1_25lookback_scan_determinismE0ELb0ELb0ES3_PKS7_PS7_S7_ZZZN2at6native31launch_logcumsumexp_cuda_kernelERKNSE_10TensorBaseESI_lENKUlvE_clEvENKUlvE1_clEvEUlS7_S7_E_S7_EEDaPvRmT3_T4_T5_mT6_P12ihipStream_tbENKUlT_T0_E_clISt17integral_constantIbLb0EESY_IbLb1EEEEDaSU_SV_EUlSU_E0_NS1_11comp_targetILNS1_3genE4ELNS1_11target_archE910ELNS1_3gpuE8ELNS1_3repE0EEENS1_30default_config_static_selectorELNS0_4arch9wavefront6targetE1EEEvT1_,"axG",@progbits,_ZN7rocprim17ROCPRIM_400000_NS6detail17trampoline_kernelINS0_14default_configENS1_20scan_config_selectorIN3c107complexIdEEEEZZNS1_9scan_implILNS1_25lookback_scan_determinismE0ELb0ELb0ES3_PKS7_PS7_S7_ZZZN2at6native31launch_logcumsumexp_cuda_kernelERKNSE_10TensorBaseESI_lENKUlvE_clEvENKUlvE1_clEvEUlS7_S7_E_S7_EEDaPvRmT3_T4_T5_mT6_P12ihipStream_tbENKUlT_T0_E_clISt17integral_constantIbLb0EESY_IbLb1EEEEDaSU_SV_EUlSU_E0_NS1_11comp_targetILNS1_3genE4ELNS1_11target_archE910ELNS1_3gpuE8ELNS1_3repE0EEENS1_30default_config_static_selectorELNS0_4arch9wavefront6targetE1EEEvT1_,comdat
	.globl	_ZN7rocprim17ROCPRIM_400000_NS6detail17trampoline_kernelINS0_14default_configENS1_20scan_config_selectorIN3c107complexIdEEEEZZNS1_9scan_implILNS1_25lookback_scan_determinismE0ELb0ELb0ES3_PKS7_PS7_S7_ZZZN2at6native31launch_logcumsumexp_cuda_kernelERKNSE_10TensorBaseESI_lENKUlvE_clEvENKUlvE1_clEvEUlS7_S7_E_S7_EEDaPvRmT3_T4_T5_mT6_P12ihipStream_tbENKUlT_T0_E_clISt17integral_constantIbLb0EESY_IbLb1EEEEDaSU_SV_EUlSU_E0_NS1_11comp_targetILNS1_3genE4ELNS1_11target_archE910ELNS1_3gpuE8ELNS1_3repE0EEENS1_30default_config_static_selectorELNS0_4arch9wavefront6targetE1EEEvT1_ ; -- Begin function _ZN7rocprim17ROCPRIM_400000_NS6detail17trampoline_kernelINS0_14default_configENS1_20scan_config_selectorIN3c107complexIdEEEEZZNS1_9scan_implILNS1_25lookback_scan_determinismE0ELb0ELb0ES3_PKS7_PS7_S7_ZZZN2at6native31launch_logcumsumexp_cuda_kernelERKNSE_10TensorBaseESI_lENKUlvE_clEvENKUlvE1_clEvEUlS7_S7_E_S7_EEDaPvRmT3_T4_T5_mT6_P12ihipStream_tbENKUlT_T0_E_clISt17integral_constantIbLb0EESY_IbLb1EEEEDaSU_SV_EUlSU_E0_NS1_11comp_targetILNS1_3genE4ELNS1_11target_archE910ELNS1_3gpuE8ELNS1_3repE0EEENS1_30default_config_static_selectorELNS0_4arch9wavefront6targetE1EEEvT1_
	.p2align	8
	.type	_ZN7rocprim17ROCPRIM_400000_NS6detail17trampoline_kernelINS0_14default_configENS1_20scan_config_selectorIN3c107complexIdEEEEZZNS1_9scan_implILNS1_25lookback_scan_determinismE0ELb0ELb0ES3_PKS7_PS7_S7_ZZZN2at6native31launch_logcumsumexp_cuda_kernelERKNSE_10TensorBaseESI_lENKUlvE_clEvENKUlvE1_clEvEUlS7_S7_E_S7_EEDaPvRmT3_T4_T5_mT6_P12ihipStream_tbENKUlT_T0_E_clISt17integral_constantIbLb0EESY_IbLb1EEEEDaSU_SV_EUlSU_E0_NS1_11comp_targetILNS1_3genE4ELNS1_11target_archE910ELNS1_3gpuE8ELNS1_3repE0EEENS1_30default_config_static_selectorELNS0_4arch9wavefront6targetE1EEEvT1_,@function
_ZN7rocprim17ROCPRIM_400000_NS6detail17trampoline_kernelINS0_14default_configENS1_20scan_config_selectorIN3c107complexIdEEEEZZNS1_9scan_implILNS1_25lookback_scan_determinismE0ELb0ELb0ES3_PKS7_PS7_S7_ZZZN2at6native31launch_logcumsumexp_cuda_kernelERKNSE_10TensorBaseESI_lENKUlvE_clEvENKUlvE1_clEvEUlS7_S7_E_S7_EEDaPvRmT3_T4_T5_mT6_P12ihipStream_tbENKUlT_T0_E_clISt17integral_constantIbLb0EESY_IbLb1EEEEDaSU_SV_EUlSU_E0_NS1_11comp_targetILNS1_3genE4ELNS1_11target_archE910ELNS1_3gpuE8ELNS1_3repE0EEENS1_30default_config_static_selectorELNS0_4arch9wavefront6targetE1EEEvT1_: ; @_ZN7rocprim17ROCPRIM_400000_NS6detail17trampoline_kernelINS0_14default_configENS1_20scan_config_selectorIN3c107complexIdEEEEZZNS1_9scan_implILNS1_25lookback_scan_determinismE0ELb0ELb0ES3_PKS7_PS7_S7_ZZZN2at6native31launch_logcumsumexp_cuda_kernelERKNSE_10TensorBaseESI_lENKUlvE_clEvENKUlvE1_clEvEUlS7_S7_E_S7_EEDaPvRmT3_T4_T5_mT6_P12ihipStream_tbENKUlT_T0_E_clISt17integral_constantIbLb0EESY_IbLb1EEEEDaSU_SV_EUlSU_E0_NS1_11comp_targetILNS1_3genE4ELNS1_11target_archE910ELNS1_3gpuE8ELNS1_3repE0EEENS1_30default_config_static_selectorELNS0_4arch9wavefront6targetE1EEEvT1_
; %bb.0:
	.section	.rodata,"a",@progbits
	.p2align	6, 0x0
	.amdhsa_kernel _ZN7rocprim17ROCPRIM_400000_NS6detail17trampoline_kernelINS0_14default_configENS1_20scan_config_selectorIN3c107complexIdEEEEZZNS1_9scan_implILNS1_25lookback_scan_determinismE0ELb0ELb0ES3_PKS7_PS7_S7_ZZZN2at6native31launch_logcumsumexp_cuda_kernelERKNSE_10TensorBaseESI_lENKUlvE_clEvENKUlvE1_clEvEUlS7_S7_E_S7_EEDaPvRmT3_T4_T5_mT6_P12ihipStream_tbENKUlT_T0_E_clISt17integral_constantIbLb0EESY_IbLb1EEEEDaSU_SV_EUlSU_E0_NS1_11comp_targetILNS1_3genE4ELNS1_11target_archE910ELNS1_3gpuE8ELNS1_3repE0EEENS1_30default_config_static_selectorELNS0_4arch9wavefront6targetE1EEEvT1_
		.amdhsa_group_segment_fixed_size 0
		.amdhsa_private_segment_fixed_size 0
		.amdhsa_kernarg_size 48
		.amdhsa_user_sgpr_count 2
		.amdhsa_user_sgpr_dispatch_ptr 0
		.amdhsa_user_sgpr_queue_ptr 0
		.amdhsa_user_sgpr_kernarg_segment_ptr 1
		.amdhsa_user_sgpr_dispatch_id 0
		.amdhsa_user_sgpr_kernarg_preload_length 0
		.amdhsa_user_sgpr_kernarg_preload_offset 0
		.amdhsa_user_sgpr_private_segment_size 0
		.amdhsa_uses_dynamic_stack 0
		.amdhsa_enable_private_segment 0
		.amdhsa_system_sgpr_workgroup_id_x 1
		.amdhsa_system_sgpr_workgroup_id_y 0
		.amdhsa_system_sgpr_workgroup_id_z 0
		.amdhsa_system_sgpr_workgroup_info 0
		.amdhsa_system_vgpr_workitem_id 0
		.amdhsa_next_free_vgpr 1
		.amdhsa_next_free_sgpr 0
		.amdhsa_accum_offset 4
		.amdhsa_reserve_vcc 0
		.amdhsa_float_round_mode_32 0
		.amdhsa_float_round_mode_16_64 0
		.amdhsa_float_denorm_mode_32 3
		.amdhsa_float_denorm_mode_16_64 3
		.amdhsa_dx10_clamp 1
		.amdhsa_ieee_mode 1
		.amdhsa_fp16_overflow 0
		.amdhsa_tg_split 0
		.amdhsa_exception_fp_ieee_invalid_op 0
		.amdhsa_exception_fp_denorm_src 0
		.amdhsa_exception_fp_ieee_div_zero 0
		.amdhsa_exception_fp_ieee_overflow 0
		.amdhsa_exception_fp_ieee_underflow 0
		.amdhsa_exception_fp_ieee_inexact 0
		.amdhsa_exception_int_div_zero 0
	.end_amdhsa_kernel
	.section	.text._ZN7rocprim17ROCPRIM_400000_NS6detail17trampoline_kernelINS0_14default_configENS1_20scan_config_selectorIN3c107complexIdEEEEZZNS1_9scan_implILNS1_25lookback_scan_determinismE0ELb0ELb0ES3_PKS7_PS7_S7_ZZZN2at6native31launch_logcumsumexp_cuda_kernelERKNSE_10TensorBaseESI_lENKUlvE_clEvENKUlvE1_clEvEUlS7_S7_E_S7_EEDaPvRmT3_T4_T5_mT6_P12ihipStream_tbENKUlT_T0_E_clISt17integral_constantIbLb0EESY_IbLb1EEEEDaSU_SV_EUlSU_E0_NS1_11comp_targetILNS1_3genE4ELNS1_11target_archE910ELNS1_3gpuE8ELNS1_3repE0EEENS1_30default_config_static_selectorELNS0_4arch9wavefront6targetE1EEEvT1_,"axG",@progbits,_ZN7rocprim17ROCPRIM_400000_NS6detail17trampoline_kernelINS0_14default_configENS1_20scan_config_selectorIN3c107complexIdEEEEZZNS1_9scan_implILNS1_25lookback_scan_determinismE0ELb0ELb0ES3_PKS7_PS7_S7_ZZZN2at6native31launch_logcumsumexp_cuda_kernelERKNSE_10TensorBaseESI_lENKUlvE_clEvENKUlvE1_clEvEUlS7_S7_E_S7_EEDaPvRmT3_T4_T5_mT6_P12ihipStream_tbENKUlT_T0_E_clISt17integral_constantIbLb0EESY_IbLb1EEEEDaSU_SV_EUlSU_E0_NS1_11comp_targetILNS1_3genE4ELNS1_11target_archE910ELNS1_3gpuE8ELNS1_3repE0EEENS1_30default_config_static_selectorELNS0_4arch9wavefront6targetE1EEEvT1_,comdat
.Lfunc_end252:
	.size	_ZN7rocprim17ROCPRIM_400000_NS6detail17trampoline_kernelINS0_14default_configENS1_20scan_config_selectorIN3c107complexIdEEEEZZNS1_9scan_implILNS1_25lookback_scan_determinismE0ELb0ELb0ES3_PKS7_PS7_S7_ZZZN2at6native31launch_logcumsumexp_cuda_kernelERKNSE_10TensorBaseESI_lENKUlvE_clEvENKUlvE1_clEvEUlS7_S7_E_S7_EEDaPvRmT3_T4_T5_mT6_P12ihipStream_tbENKUlT_T0_E_clISt17integral_constantIbLb0EESY_IbLb1EEEEDaSU_SV_EUlSU_E0_NS1_11comp_targetILNS1_3genE4ELNS1_11target_archE910ELNS1_3gpuE8ELNS1_3repE0EEENS1_30default_config_static_selectorELNS0_4arch9wavefront6targetE1EEEvT1_, .Lfunc_end252-_ZN7rocprim17ROCPRIM_400000_NS6detail17trampoline_kernelINS0_14default_configENS1_20scan_config_selectorIN3c107complexIdEEEEZZNS1_9scan_implILNS1_25lookback_scan_determinismE0ELb0ELb0ES3_PKS7_PS7_S7_ZZZN2at6native31launch_logcumsumexp_cuda_kernelERKNSE_10TensorBaseESI_lENKUlvE_clEvENKUlvE1_clEvEUlS7_S7_E_S7_EEDaPvRmT3_T4_T5_mT6_P12ihipStream_tbENKUlT_T0_E_clISt17integral_constantIbLb0EESY_IbLb1EEEEDaSU_SV_EUlSU_E0_NS1_11comp_targetILNS1_3genE4ELNS1_11target_archE910ELNS1_3gpuE8ELNS1_3repE0EEENS1_30default_config_static_selectorELNS0_4arch9wavefront6targetE1EEEvT1_
                                        ; -- End function
	.set _ZN7rocprim17ROCPRIM_400000_NS6detail17trampoline_kernelINS0_14default_configENS1_20scan_config_selectorIN3c107complexIdEEEEZZNS1_9scan_implILNS1_25lookback_scan_determinismE0ELb0ELb0ES3_PKS7_PS7_S7_ZZZN2at6native31launch_logcumsumexp_cuda_kernelERKNSE_10TensorBaseESI_lENKUlvE_clEvENKUlvE1_clEvEUlS7_S7_E_S7_EEDaPvRmT3_T4_T5_mT6_P12ihipStream_tbENKUlT_T0_E_clISt17integral_constantIbLb0EESY_IbLb1EEEEDaSU_SV_EUlSU_E0_NS1_11comp_targetILNS1_3genE4ELNS1_11target_archE910ELNS1_3gpuE8ELNS1_3repE0EEENS1_30default_config_static_selectorELNS0_4arch9wavefront6targetE1EEEvT1_.num_vgpr, 0
	.set _ZN7rocprim17ROCPRIM_400000_NS6detail17trampoline_kernelINS0_14default_configENS1_20scan_config_selectorIN3c107complexIdEEEEZZNS1_9scan_implILNS1_25lookback_scan_determinismE0ELb0ELb0ES3_PKS7_PS7_S7_ZZZN2at6native31launch_logcumsumexp_cuda_kernelERKNSE_10TensorBaseESI_lENKUlvE_clEvENKUlvE1_clEvEUlS7_S7_E_S7_EEDaPvRmT3_T4_T5_mT6_P12ihipStream_tbENKUlT_T0_E_clISt17integral_constantIbLb0EESY_IbLb1EEEEDaSU_SV_EUlSU_E0_NS1_11comp_targetILNS1_3genE4ELNS1_11target_archE910ELNS1_3gpuE8ELNS1_3repE0EEENS1_30default_config_static_selectorELNS0_4arch9wavefront6targetE1EEEvT1_.num_agpr, 0
	.set _ZN7rocprim17ROCPRIM_400000_NS6detail17trampoline_kernelINS0_14default_configENS1_20scan_config_selectorIN3c107complexIdEEEEZZNS1_9scan_implILNS1_25lookback_scan_determinismE0ELb0ELb0ES3_PKS7_PS7_S7_ZZZN2at6native31launch_logcumsumexp_cuda_kernelERKNSE_10TensorBaseESI_lENKUlvE_clEvENKUlvE1_clEvEUlS7_S7_E_S7_EEDaPvRmT3_T4_T5_mT6_P12ihipStream_tbENKUlT_T0_E_clISt17integral_constantIbLb0EESY_IbLb1EEEEDaSU_SV_EUlSU_E0_NS1_11comp_targetILNS1_3genE4ELNS1_11target_archE910ELNS1_3gpuE8ELNS1_3repE0EEENS1_30default_config_static_selectorELNS0_4arch9wavefront6targetE1EEEvT1_.numbered_sgpr, 0
	.set _ZN7rocprim17ROCPRIM_400000_NS6detail17trampoline_kernelINS0_14default_configENS1_20scan_config_selectorIN3c107complexIdEEEEZZNS1_9scan_implILNS1_25lookback_scan_determinismE0ELb0ELb0ES3_PKS7_PS7_S7_ZZZN2at6native31launch_logcumsumexp_cuda_kernelERKNSE_10TensorBaseESI_lENKUlvE_clEvENKUlvE1_clEvEUlS7_S7_E_S7_EEDaPvRmT3_T4_T5_mT6_P12ihipStream_tbENKUlT_T0_E_clISt17integral_constantIbLb0EESY_IbLb1EEEEDaSU_SV_EUlSU_E0_NS1_11comp_targetILNS1_3genE4ELNS1_11target_archE910ELNS1_3gpuE8ELNS1_3repE0EEENS1_30default_config_static_selectorELNS0_4arch9wavefront6targetE1EEEvT1_.num_named_barrier, 0
	.set _ZN7rocprim17ROCPRIM_400000_NS6detail17trampoline_kernelINS0_14default_configENS1_20scan_config_selectorIN3c107complexIdEEEEZZNS1_9scan_implILNS1_25lookback_scan_determinismE0ELb0ELb0ES3_PKS7_PS7_S7_ZZZN2at6native31launch_logcumsumexp_cuda_kernelERKNSE_10TensorBaseESI_lENKUlvE_clEvENKUlvE1_clEvEUlS7_S7_E_S7_EEDaPvRmT3_T4_T5_mT6_P12ihipStream_tbENKUlT_T0_E_clISt17integral_constantIbLb0EESY_IbLb1EEEEDaSU_SV_EUlSU_E0_NS1_11comp_targetILNS1_3genE4ELNS1_11target_archE910ELNS1_3gpuE8ELNS1_3repE0EEENS1_30default_config_static_selectorELNS0_4arch9wavefront6targetE1EEEvT1_.private_seg_size, 0
	.set _ZN7rocprim17ROCPRIM_400000_NS6detail17trampoline_kernelINS0_14default_configENS1_20scan_config_selectorIN3c107complexIdEEEEZZNS1_9scan_implILNS1_25lookback_scan_determinismE0ELb0ELb0ES3_PKS7_PS7_S7_ZZZN2at6native31launch_logcumsumexp_cuda_kernelERKNSE_10TensorBaseESI_lENKUlvE_clEvENKUlvE1_clEvEUlS7_S7_E_S7_EEDaPvRmT3_T4_T5_mT6_P12ihipStream_tbENKUlT_T0_E_clISt17integral_constantIbLb0EESY_IbLb1EEEEDaSU_SV_EUlSU_E0_NS1_11comp_targetILNS1_3genE4ELNS1_11target_archE910ELNS1_3gpuE8ELNS1_3repE0EEENS1_30default_config_static_selectorELNS0_4arch9wavefront6targetE1EEEvT1_.uses_vcc, 0
	.set _ZN7rocprim17ROCPRIM_400000_NS6detail17trampoline_kernelINS0_14default_configENS1_20scan_config_selectorIN3c107complexIdEEEEZZNS1_9scan_implILNS1_25lookback_scan_determinismE0ELb0ELb0ES3_PKS7_PS7_S7_ZZZN2at6native31launch_logcumsumexp_cuda_kernelERKNSE_10TensorBaseESI_lENKUlvE_clEvENKUlvE1_clEvEUlS7_S7_E_S7_EEDaPvRmT3_T4_T5_mT6_P12ihipStream_tbENKUlT_T0_E_clISt17integral_constantIbLb0EESY_IbLb1EEEEDaSU_SV_EUlSU_E0_NS1_11comp_targetILNS1_3genE4ELNS1_11target_archE910ELNS1_3gpuE8ELNS1_3repE0EEENS1_30default_config_static_selectorELNS0_4arch9wavefront6targetE1EEEvT1_.uses_flat_scratch, 0
	.set _ZN7rocprim17ROCPRIM_400000_NS6detail17trampoline_kernelINS0_14default_configENS1_20scan_config_selectorIN3c107complexIdEEEEZZNS1_9scan_implILNS1_25lookback_scan_determinismE0ELb0ELb0ES3_PKS7_PS7_S7_ZZZN2at6native31launch_logcumsumexp_cuda_kernelERKNSE_10TensorBaseESI_lENKUlvE_clEvENKUlvE1_clEvEUlS7_S7_E_S7_EEDaPvRmT3_T4_T5_mT6_P12ihipStream_tbENKUlT_T0_E_clISt17integral_constantIbLb0EESY_IbLb1EEEEDaSU_SV_EUlSU_E0_NS1_11comp_targetILNS1_3genE4ELNS1_11target_archE910ELNS1_3gpuE8ELNS1_3repE0EEENS1_30default_config_static_selectorELNS0_4arch9wavefront6targetE1EEEvT1_.has_dyn_sized_stack, 0
	.set _ZN7rocprim17ROCPRIM_400000_NS6detail17trampoline_kernelINS0_14default_configENS1_20scan_config_selectorIN3c107complexIdEEEEZZNS1_9scan_implILNS1_25lookback_scan_determinismE0ELb0ELb0ES3_PKS7_PS7_S7_ZZZN2at6native31launch_logcumsumexp_cuda_kernelERKNSE_10TensorBaseESI_lENKUlvE_clEvENKUlvE1_clEvEUlS7_S7_E_S7_EEDaPvRmT3_T4_T5_mT6_P12ihipStream_tbENKUlT_T0_E_clISt17integral_constantIbLb0EESY_IbLb1EEEEDaSU_SV_EUlSU_E0_NS1_11comp_targetILNS1_3genE4ELNS1_11target_archE910ELNS1_3gpuE8ELNS1_3repE0EEENS1_30default_config_static_selectorELNS0_4arch9wavefront6targetE1EEEvT1_.has_recursion, 0
	.set _ZN7rocprim17ROCPRIM_400000_NS6detail17trampoline_kernelINS0_14default_configENS1_20scan_config_selectorIN3c107complexIdEEEEZZNS1_9scan_implILNS1_25lookback_scan_determinismE0ELb0ELb0ES3_PKS7_PS7_S7_ZZZN2at6native31launch_logcumsumexp_cuda_kernelERKNSE_10TensorBaseESI_lENKUlvE_clEvENKUlvE1_clEvEUlS7_S7_E_S7_EEDaPvRmT3_T4_T5_mT6_P12ihipStream_tbENKUlT_T0_E_clISt17integral_constantIbLb0EESY_IbLb1EEEEDaSU_SV_EUlSU_E0_NS1_11comp_targetILNS1_3genE4ELNS1_11target_archE910ELNS1_3gpuE8ELNS1_3repE0EEENS1_30default_config_static_selectorELNS0_4arch9wavefront6targetE1EEEvT1_.has_indirect_call, 0
	.section	.AMDGPU.csdata,"",@progbits
; Kernel info:
; codeLenInByte = 0
; TotalNumSgprs: 6
; NumVgprs: 0
; NumAgprs: 0
; TotalNumVgprs: 0
; ScratchSize: 0
; MemoryBound: 0
; FloatMode: 240
; IeeeMode: 1
; LDSByteSize: 0 bytes/workgroup (compile time only)
; SGPRBlocks: 0
; VGPRBlocks: 0
; NumSGPRsForWavesPerEU: 6
; NumVGPRsForWavesPerEU: 1
; AccumOffset: 4
; Occupancy: 8
; WaveLimiterHint : 0
; COMPUTE_PGM_RSRC2:SCRATCH_EN: 0
; COMPUTE_PGM_RSRC2:USER_SGPR: 2
; COMPUTE_PGM_RSRC2:TRAP_HANDLER: 0
; COMPUTE_PGM_RSRC2:TGID_X_EN: 1
; COMPUTE_PGM_RSRC2:TGID_Y_EN: 0
; COMPUTE_PGM_RSRC2:TGID_Z_EN: 0
; COMPUTE_PGM_RSRC2:TIDIG_COMP_CNT: 0
; COMPUTE_PGM_RSRC3_GFX90A:ACCUM_OFFSET: 0
; COMPUTE_PGM_RSRC3_GFX90A:TG_SPLIT: 0
	.section	.text._ZN7rocprim17ROCPRIM_400000_NS6detail17trampoline_kernelINS0_14default_configENS1_20scan_config_selectorIN3c107complexIdEEEEZZNS1_9scan_implILNS1_25lookback_scan_determinismE0ELb0ELb0ES3_PKS7_PS7_S7_ZZZN2at6native31launch_logcumsumexp_cuda_kernelERKNSE_10TensorBaseESI_lENKUlvE_clEvENKUlvE1_clEvEUlS7_S7_E_S7_EEDaPvRmT3_T4_T5_mT6_P12ihipStream_tbENKUlT_T0_E_clISt17integral_constantIbLb0EESY_IbLb1EEEEDaSU_SV_EUlSU_E0_NS1_11comp_targetILNS1_3genE3ELNS1_11target_archE908ELNS1_3gpuE7ELNS1_3repE0EEENS1_30default_config_static_selectorELNS0_4arch9wavefront6targetE1EEEvT1_,"axG",@progbits,_ZN7rocprim17ROCPRIM_400000_NS6detail17trampoline_kernelINS0_14default_configENS1_20scan_config_selectorIN3c107complexIdEEEEZZNS1_9scan_implILNS1_25lookback_scan_determinismE0ELb0ELb0ES3_PKS7_PS7_S7_ZZZN2at6native31launch_logcumsumexp_cuda_kernelERKNSE_10TensorBaseESI_lENKUlvE_clEvENKUlvE1_clEvEUlS7_S7_E_S7_EEDaPvRmT3_T4_T5_mT6_P12ihipStream_tbENKUlT_T0_E_clISt17integral_constantIbLb0EESY_IbLb1EEEEDaSU_SV_EUlSU_E0_NS1_11comp_targetILNS1_3genE3ELNS1_11target_archE908ELNS1_3gpuE7ELNS1_3repE0EEENS1_30default_config_static_selectorELNS0_4arch9wavefront6targetE1EEEvT1_,comdat
	.globl	_ZN7rocprim17ROCPRIM_400000_NS6detail17trampoline_kernelINS0_14default_configENS1_20scan_config_selectorIN3c107complexIdEEEEZZNS1_9scan_implILNS1_25lookback_scan_determinismE0ELb0ELb0ES3_PKS7_PS7_S7_ZZZN2at6native31launch_logcumsumexp_cuda_kernelERKNSE_10TensorBaseESI_lENKUlvE_clEvENKUlvE1_clEvEUlS7_S7_E_S7_EEDaPvRmT3_T4_T5_mT6_P12ihipStream_tbENKUlT_T0_E_clISt17integral_constantIbLb0EESY_IbLb1EEEEDaSU_SV_EUlSU_E0_NS1_11comp_targetILNS1_3genE3ELNS1_11target_archE908ELNS1_3gpuE7ELNS1_3repE0EEENS1_30default_config_static_selectorELNS0_4arch9wavefront6targetE1EEEvT1_ ; -- Begin function _ZN7rocprim17ROCPRIM_400000_NS6detail17trampoline_kernelINS0_14default_configENS1_20scan_config_selectorIN3c107complexIdEEEEZZNS1_9scan_implILNS1_25lookback_scan_determinismE0ELb0ELb0ES3_PKS7_PS7_S7_ZZZN2at6native31launch_logcumsumexp_cuda_kernelERKNSE_10TensorBaseESI_lENKUlvE_clEvENKUlvE1_clEvEUlS7_S7_E_S7_EEDaPvRmT3_T4_T5_mT6_P12ihipStream_tbENKUlT_T0_E_clISt17integral_constantIbLb0EESY_IbLb1EEEEDaSU_SV_EUlSU_E0_NS1_11comp_targetILNS1_3genE3ELNS1_11target_archE908ELNS1_3gpuE7ELNS1_3repE0EEENS1_30default_config_static_selectorELNS0_4arch9wavefront6targetE1EEEvT1_
	.p2align	8
	.type	_ZN7rocprim17ROCPRIM_400000_NS6detail17trampoline_kernelINS0_14default_configENS1_20scan_config_selectorIN3c107complexIdEEEEZZNS1_9scan_implILNS1_25lookback_scan_determinismE0ELb0ELb0ES3_PKS7_PS7_S7_ZZZN2at6native31launch_logcumsumexp_cuda_kernelERKNSE_10TensorBaseESI_lENKUlvE_clEvENKUlvE1_clEvEUlS7_S7_E_S7_EEDaPvRmT3_T4_T5_mT6_P12ihipStream_tbENKUlT_T0_E_clISt17integral_constantIbLb0EESY_IbLb1EEEEDaSU_SV_EUlSU_E0_NS1_11comp_targetILNS1_3genE3ELNS1_11target_archE908ELNS1_3gpuE7ELNS1_3repE0EEENS1_30default_config_static_selectorELNS0_4arch9wavefront6targetE1EEEvT1_,@function
_ZN7rocprim17ROCPRIM_400000_NS6detail17trampoline_kernelINS0_14default_configENS1_20scan_config_selectorIN3c107complexIdEEEEZZNS1_9scan_implILNS1_25lookback_scan_determinismE0ELb0ELb0ES3_PKS7_PS7_S7_ZZZN2at6native31launch_logcumsumexp_cuda_kernelERKNSE_10TensorBaseESI_lENKUlvE_clEvENKUlvE1_clEvEUlS7_S7_E_S7_EEDaPvRmT3_T4_T5_mT6_P12ihipStream_tbENKUlT_T0_E_clISt17integral_constantIbLb0EESY_IbLb1EEEEDaSU_SV_EUlSU_E0_NS1_11comp_targetILNS1_3genE3ELNS1_11target_archE908ELNS1_3gpuE7ELNS1_3repE0EEENS1_30default_config_static_selectorELNS0_4arch9wavefront6targetE1EEEvT1_: ; @_ZN7rocprim17ROCPRIM_400000_NS6detail17trampoline_kernelINS0_14default_configENS1_20scan_config_selectorIN3c107complexIdEEEEZZNS1_9scan_implILNS1_25lookback_scan_determinismE0ELb0ELb0ES3_PKS7_PS7_S7_ZZZN2at6native31launch_logcumsumexp_cuda_kernelERKNSE_10TensorBaseESI_lENKUlvE_clEvENKUlvE1_clEvEUlS7_S7_E_S7_EEDaPvRmT3_T4_T5_mT6_P12ihipStream_tbENKUlT_T0_E_clISt17integral_constantIbLb0EESY_IbLb1EEEEDaSU_SV_EUlSU_E0_NS1_11comp_targetILNS1_3genE3ELNS1_11target_archE908ELNS1_3gpuE7ELNS1_3repE0EEENS1_30default_config_static_selectorELNS0_4arch9wavefront6targetE1EEEvT1_
; %bb.0:
	.section	.rodata,"a",@progbits
	.p2align	6, 0x0
	.amdhsa_kernel _ZN7rocprim17ROCPRIM_400000_NS6detail17trampoline_kernelINS0_14default_configENS1_20scan_config_selectorIN3c107complexIdEEEEZZNS1_9scan_implILNS1_25lookback_scan_determinismE0ELb0ELb0ES3_PKS7_PS7_S7_ZZZN2at6native31launch_logcumsumexp_cuda_kernelERKNSE_10TensorBaseESI_lENKUlvE_clEvENKUlvE1_clEvEUlS7_S7_E_S7_EEDaPvRmT3_T4_T5_mT6_P12ihipStream_tbENKUlT_T0_E_clISt17integral_constantIbLb0EESY_IbLb1EEEEDaSU_SV_EUlSU_E0_NS1_11comp_targetILNS1_3genE3ELNS1_11target_archE908ELNS1_3gpuE7ELNS1_3repE0EEENS1_30default_config_static_selectorELNS0_4arch9wavefront6targetE1EEEvT1_
		.amdhsa_group_segment_fixed_size 0
		.amdhsa_private_segment_fixed_size 0
		.amdhsa_kernarg_size 48
		.amdhsa_user_sgpr_count 2
		.amdhsa_user_sgpr_dispatch_ptr 0
		.amdhsa_user_sgpr_queue_ptr 0
		.amdhsa_user_sgpr_kernarg_segment_ptr 1
		.amdhsa_user_sgpr_dispatch_id 0
		.amdhsa_user_sgpr_kernarg_preload_length 0
		.amdhsa_user_sgpr_kernarg_preload_offset 0
		.amdhsa_user_sgpr_private_segment_size 0
		.amdhsa_uses_dynamic_stack 0
		.amdhsa_enable_private_segment 0
		.amdhsa_system_sgpr_workgroup_id_x 1
		.amdhsa_system_sgpr_workgroup_id_y 0
		.amdhsa_system_sgpr_workgroup_id_z 0
		.amdhsa_system_sgpr_workgroup_info 0
		.amdhsa_system_vgpr_workitem_id 0
		.amdhsa_next_free_vgpr 1
		.amdhsa_next_free_sgpr 0
		.amdhsa_accum_offset 4
		.amdhsa_reserve_vcc 0
		.amdhsa_float_round_mode_32 0
		.amdhsa_float_round_mode_16_64 0
		.amdhsa_float_denorm_mode_32 3
		.amdhsa_float_denorm_mode_16_64 3
		.amdhsa_dx10_clamp 1
		.amdhsa_ieee_mode 1
		.amdhsa_fp16_overflow 0
		.amdhsa_tg_split 0
		.amdhsa_exception_fp_ieee_invalid_op 0
		.amdhsa_exception_fp_denorm_src 0
		.amdhsa_exception_fp_ieee_div_zero 0
		.amdhsa_exception_fp_ieee_overflow 0
		.amdhsa_exception_fp_ieee_underflow 0
		.amdhsa_exception_fp_ieee_inexact 0
		.amdhsa_exception_int_div_zero 0
	.end_amdhsa_kernel
	.section	.text._ZN7rocprim17ROCPRIM_400000_NS6detail17trampoline_kernelINS0_14default_configENS1_20scan_config_selectorIN3c107complexIdEEEEZZNS1_9scan_implILNS1_25lookback_scan_determinismE0ELb0ELb0ES3_PKS7_PS7_S7_ZZZN2at6native31launch_logcumsumexp_cuda_kernelERKNSE_10TensorBaseESI_lENKUlvE_clEvENKUlvE1_clEvEUlS7_S7_E_S7_EEDaPvRmT3_T4_T5_mT6_P12ihipStream_tbENKUlT_T0_E_clISt17integral_constantIbLb0EESY_IbLb1EEEEDaSU_SV_EUlSU_E0_NS1_11comp_targetILNS1_3genE3ELNS1_11target_archE908ELNS1_3gpuE7ELNS1_3repE0EEENS1_30default_config_static_selectorELNS0_4arch9wavefront6targetE1EEEvT1_,"axG",@progbits,_ZN7rocprim17ROCPRIM_400000_NS6detail17trampoline_kernelINS0_14default_configENS1_20scan_config_selectorIN3c107complexIdEEEEZZNS1_9scan_implILNS1_25lookback_scan_determinismE0ELb0ELb0ES3_PKS7_PS7_S7_ZZZN2at6native31launch_logcumsumexp_cuda_kernelERKNSE_10TensorBaseESI_lENKUlvE_clEvENKUlvE1_clEvEUlS7_S7_E_S7_EEDaPvRmT3_T4_T5_mT6_P12ihipStream_tbENKUlT_T0_E_clISt17integral_constantIbLb0EESY_IbLb1EEEEDaSU_SV_EUlSU_E0_NS1_11comp_targetILNS1_3genE3ELNS1_11target_archE908ELNS1_3gpuE7ELNS1_3repE0EEENS1_30default_config_static_selectorELNS0_4arch9wavefront6targetE1EEEvT1_,comdat
.Lfunc_end253:
	.size	_ZN7rocprim17ROCPRIM_400000_NS6detail17trampoline_kernelINS0_14default_configENS1_20scan_config_selectorIN3c107complexIdEEEEZZNS1_9scan_implILNS1_25lookback_scan_determinismE0ELb0ELb0ES3_PKS7_PS7_S7_ZZZN2at6native31launch_logcumsumexp_cuda_kernelERKNSE_10TensorBaseESI_lENKUlvE_clEvENKUlvE1_clEvEUlS7_S7_E_S7_EEDaPvRmT3_T4_T5_mT6_P12ihipStream_tbENKUlT_T0_E_clISt17integral_constantIbLb0EESY_IbLb1EEEEDaSU_SV_EUlSU_E0_NS1_11comp_targetILNS1_3genE3ELNS1_11target_archE908ELNS1_3gpuE7ELNS1_3repE0EEENS1_30default_config_static_selectorELNS0_4arch9wavefront6targetE1EEEvT1_, .Lfunc_end253-_ZN7rocprim17ROCPRIM_400000_NS6detail17trampoline_kernelINS0_14default_configENS1_20scan_config_selectorIN3c107complexIdEEEEZZNS1_9scan_implILNS1_25lookback_scan_determinismE0ELb0ELb0ES3_PKS7_PS7_S7_ZZZN2at6native31launch_logcumsumexp_cuda_kernelERKNSE_10TensorBaseESI_lENKUlvE_clEvENKUlvE1_clEvEUlS7_S7_E_S7_EEDaPvRmT3_T4_T5_mT6_P12ihipStream_tbENKUlT_T0_E_clISt17integral_constantIbLb0EESY_IbLb1EEEEDaSU_SV_EUlSU_E0_NS1_11comp_targetILNS1_3genE3ELNS1_11target_archE908ELNS1_3gpuE7ELNS1_3repE0EEENS1_30default_config_static_selectorELNS0_4arch9wavefront6targetE1EEEvT1_
                                        ; -- End function
	.set _ZN7rocprim17ROCPRIM_400000_NS6detail17trampoline_kernelINS0_14default_configENS1_20scan_config_selectorIN3c107complexIdEEEEZZNS1_9scan_implILNS1_25lookback_scan_determinismE0ELb0ELb0ES3_PKS7_PS7_S7_ZZZN2at6native31launch_logcumsumexp_cuda_kernelERKNSE_10TensorBaseESI_lENKUlvE_clEvENKUlvE1_clEvEUlS7_S7_E_S7_EEDaPvRmT3_T4_T5_mT6_P12ihipStream_tbENKUlT_T0_E_clISt17integral_constantIbLb0EESY_IbLb1EEEEDaSU_SV_EUlSU_E0_NS1_11comp_targetILNS1_3genE3ELNS1_11target_archE908ELNS1_3gpuE7ELNS1_3repE0EEENS1_30default_config_static_selectorELNS0_4arch9wavefront6targetE1EEEvT1_.num_vgpr, 0
	.set _ZN7rocprim17ROCPRIM_400000_NS6detail17trampoline_kernelINS0_14default_configENS1_20scan_config_selectorIN3c107complexIdEEEEZZNS1_9scan_implILNS1_25lookback_scan_determinismE0ELb0ELb0ES3_PKS7_PS7_S7_ZZZN2at6native31launch_logcumsumexp_cuda_kernelERKNSE_10TensorBaseESI_lENKUlvE_clEvENKUlvE1_clEvEUlS7_S7_E_S7_EEDaPvRmT3_T4_T5_mT6_P12ihipStream_tbENKUlT_T0_E_clISt17integral_constantIbLb0EESY_IbLb1EEEEDaSU_SV_EUlSU_E0_NS1_11comp_targetILNS1_3genE3ELNS1_11target_archE908ELNS1_3gpuE7ELNS1_3repE0EEENS1_30default_config_static_selectorELNS0_4arch9wavefront6targetE1EEEvT1_.num_agpr, 0
	.set _ZN7rocprim17ROCPRIM_400000_NS6detail17trampoline_kernelINS0_14default_configENS1_20scan_config_selectorIN3c107complexIdEEEEZZNS1_9scan_implILNS1_25lookback_scan_determinismE0ELb0ELb0ES3_PKS7_PS7_S7_ZZZN2at6native31launch_logcumsumexp_cuda_kernelERKNSE_10TensorBaseESI_lENKUlvE_clEvENKUlvE1_clEvEUlS7_S7_E_S7_EEDaPvRmT3_T4_T5_mT6_P12ihipStream_tbENKUlT_T0_E_clISt17integral_constantIbLb0EESY_IbLb1EEEEDaSU_SV_EUlSU_E0_NS1_11comp_targetILNS1_3genE3ELNS1_11target_archE908ELNS1_3gpuE7ELNS1_3repE0EEENS1_30default_config_static_selectorELNS0_4arch9wavefront6targetE1EEEvT1_.numbered_sgpr, 0
	.set _ZN7rocprim17ROCPRIM_400000_NS6detail17trampoline_kernelINS0_14default_configENS1_20scan_config_selectorIN3c107complexIdEEEEZZNS1_9scan_implILNS1_25lookback_scan_determinismE0ELb0ELb0ES3_PKS7_PS7_S7_ZZZN2at6native31launch_logcumsumexp_cuda_kernelERKNSE_10TensorBaseESI_lENKUlvE_clEvENKUlvE1_clEvEUlS7_S7_E_S7_EEDaPvRmT3_T4_T5_mT6_P12ihipStream_tbENKUlT_T0_E_clISt17integral_constantIbLb0EESY_IbLb1EEEEDaSU_SV_EUlSU_E0_NS1_11comp_targetILNS1_3genE3ELNS1_11target_archE908ELNS1_3gpuE7ELNS1_3repE0EEENS1_30default_config_static_selectorELNS0_4arch9wavefront6targetE1EEEvT1_.num_named_barrier, 0
	.set _ZN7rocprim17ROCPRIM_400000_NS6detail17trampoline_kernelINS0_14default_configENS1_20scan_config_selectorIN3c107complexIdEEEEZZNS1_9scan_implILNS1_25lookback_scan_determinismE0ELb0ELb0ES3_PKS7_PS7_S7_ZZZN2at6native31launch_logcumsumexp_cuda_kernelERKNSE_10TensorBaseESI_lENKUlvE_clEvENKUlvE1_clEvEUlS7_S7_E_S7_EEDaPvRmT3_T4_T5_mT6_P12ihipStream_tbENKUlT_T0_E_clISt17integral_constantIbLb0EESY_IbLb1EEEEDaSU_SV_EUlSU_E0_NS1_11comp_targetILNS1_3genE3ELNS1_11target_archE908ELNS1_3gpuE7ELNS1_3repE0EEENS1_30default_config_static_selectorELNS0_4arch9wavefront6targetE1EEEvT1_.private_seg_size, 0
	.set _ZN7rocprim17ROCPRIM_400000_NS6detail17trampoline_kernelINS0_14default_configENS1_20scan_config_selectorIN3c107complexIdEEEEZZNS1_9scan_implILNS1_25lookback_scan_determinismE0ELb0ELb0ES3_PKS7_PS7_S7_ZZZN2at6native31launch_logcumsumexp_cuda_kernelERKNSE_10TensorBaseESI_lENKUlvE_clEvENKUlvE1_clEvEUlS7_S7_E_S7_EEDaPvRmT3_T4_T5_mT6_P12ihipStream_tbENKUlT_T0_E_clISt17integral_constantIbLb0EESY_IbLb1EEEEDaSU_SV_EUlSU_E0_NS1_11comp_targetILNS1_3genE3ELNS1_11target_archE908ELNS1_3gpuE7ELNS1_3repE0EEENS1_30default_config_static_selectorELNS0_4arch9wavefront6targetE1EEEvT1_.uses_vcc, 0
	.set _ZN7rocprim17ROCPRIM_400000_NS6detail17trampoline_kernelINS0_14default_configENS1_20scan_config_selectorIN3c107complexIdEEEEZZNS1_9scan_implILNS1_25lookback_scan_determinismE0ELb0ELb0ES3_PKS7_PS7_S7_ZZZN2at6native31launch_logcumsumexp_cuda_kernelERKNSE_10TensorBaseESI_lENKUlvE_clEvENKUlvE1_clEvEUlS7_S7_E_S7_EEDaPvRmT3_T4_T5_mT6_P12ihipStream_tbENKUlT_T0_E_clISt17integral_constantIbLb0EESY_IbLb1EEEEDaSU_SV_EUlSU_E0_NS1_11comp_targetILNS1_3genE3ELNS1_11target_archE908ELNS1_3gpuE7ELNS1_3repE0EEENS1_30default_config_static_selectorELNS0_4arch9wavefront6targetE1EEEvT1_.uses_flat_scratch, 0
	.set _ZN7rocprim17ROCPRIM_400000_NS6detail17trampoline_kernelINS0_14default_configENS1_20scan_config_selectorIN3c107complexIdEEEEZZNS1_9scan_implILNS1_25lookback_scan_determinismE0ELb0ELb0ES3_PKS7_PS7_S7_ZZZN2at6native31launch_logcumsumexp_cuda_kernelERKNSE_10TensorBaseESI_lENKUlvE_clEvENKUlvE1_clEvEUlS7_S7_E_S7_EEDaPvRmT3_T4_T5_mT6_P12ihipStream_tbENKUlT_T0_E_clISt17integral_constantIbLb0EESY_IbLb1EEEEDaSU_SV_EUlSU_E0_NS1_11comp_targetILNS1_3genE3ELNS1_11target_archE908ELNS1_3gpuE7ELNS1_3repE0EEENS1_30default_config_static_selectorELNS0_4arch9wavefront6targetE1EEEvT1_.has_dyn_sized_stack, 0
	.set _ZN7rocprim17ROCPRIM_400000_NS6detail17trampoline_kernelINS0_14default_configENS1_20scan_config_selectorIN3c107complexIdEEEEZZNS1_9scan_implILNS1_25lookback_scan_determinismE0ELb0ELb0ES3_PKS7_PS7_S7_ZZZN2at6native31launch_logcumsumexp_cuda_kernelERKNSE_10TensorBaseESI_lENKUlvE_clEvENKUlvE1_clEvEUlS7_S7_E_S7_EEDaPvRmT3_T4_T5_mT6_P12ihipStream_tbENKUlT_T0_E_clISt17integral_constantIbLb0EESY_IbLb1EEEEDaSU_SV_EUlSU_E0_NS1_11comp_targetILNS1_3genE3ELNS1_11target_archE908ELNS1_3gpuE7ELNS1_3repE0EEENS1_30default_config_static_selectorELNS0_4arch9wavefront6targetE1EEEvT1_.has_recursion, 0
	.set _ZN7rocprim17ROCPRIM_400000_NS6detail17trampoline_kernelINS0_14default_configENS1_20scan_config_selectorIN3c107complexIdEEEEZZNS1_9scan_implILNS1_25lookback_scan_determinismE0ELb0ELb0ES3_PKS7_PS7_S7_ZZZN2at6native31launch_logcumsumexp_cuda_kernelERKNSE_10TensorBaseESI_lENKUlvE_clEvENKUlvE1_clEvEUlS7_S7_E_S7_EEDaPvRmT3_T4_T5_mT6_P12ihipStream_tbENKUlT_T0_E_clISt17integral_constantIbLb0EESY_IbLb1EEEEDaSU_SV_EUlSU_E0_NS1_11comp_targetILNS1_3genE3ELNS1_11target_archE908ELNS1_3gpuE7ELNS1_3repE0EEENS1_30default_config_static_selectorELNS0_4arch9wavefront6targetE1EEEvT1_.has_indirect_call, 0
	.section	.AMDGPU.csdata,"",@progbits
; Kernel info:
; codeLenInByte = 0
; TotalNumSgprs: 6
; NumVgprs: 0
; NumAgprs: 0
; TotalNumVgprs: 0
; ScratchSize: 0
; MemoryBound: 0
; FloatMode: 240
; IeeeMode: 1
; LDSByteSize: 0 bytes/workgroup (compile time only)
; SGPRBlocks: 0
; VGPRBlocks: 0
; NumSGPRsForWavesPerEU: 6
; NumVGPRsForWavesPerEU: 1
; AccumOffset: 4
; Occupancy: 8
; WaveLimiterHint : 0
; COMPUTE_PGM_RSRC2:SCRATCH_EN: 0
; COMPUTE_PGM_RSRC2:USER_SGPR: 2
; COMPUTE_PGM_RSRC2:TRAP_HANDLER: 0
; COMPUTE_PGM_RSRC2:TGID_X_EN: 1
; COMPUTE_PGM_RSRC2:TGID_Y_EN: 0
; COMPUTE_PGM_RSRC2:TGID_Z_EN: 0
; COMPUTE_PGM_RSRC2:TIDIG_COMP_CNT: 0
; COMPUTE_PGM_RSRC3_GFX90A:ACCUM_OFFSET: 0
; COMPUTE_PGM_RSRC3_GFX90A:TG_SPLIT: 0
	.section	.text._ZN7rocprim17ROCPRIM_400000_NS6detail17trampoline_kernelINS0_14default_configENS1_20scan_config_selectorIN3c107complexIdEEEEZZNS1_9scan_implILNS1_25lookback_scan_determinismE0ELb0ELb0ES3_PKS7_PS7_S7_ZZZN2at6native31launch_logcumsumexp_cuda_kernelERKNSE_10TensorBaseESI_lENKUlvE_clEvENKUlvE1_clEvEUlS7_S7_E_S7_EEDaPvRmT3_T4_T5_mT6_P12ihipStream_tbENKUlT_T0_E_clISt17integral_constantIbLb0EESY_IbLb1EEEEDaSU_SV_EUlSU_E0_NS1_11comp_targetILNS1_3genE2ELNS1_11target_archE906ELNS1_3gpuE6ELNS1_3repE0EEENS1_30default_config_static_selectorELNS0_4arch9wavefront6targetE1EEEvT1_,"axG",@progbits,_ZN7rocprim17ROCPRIM_400000_NS6detail17trampoline_kernelINS0_14default_configENS1_20scan_config_selectorIN3c107complexIdEEEEZZNS1_9scan_implILNS1_25lookback_scan_determinismE0ELb0ELb0ES3_PKS7_PS7_S7_ZZZN2at6native31launch_logcumsumexp_cuda_kernelERKNSE_10TensorBaseESI_lENKUlvE_clEvENKUlvE1_clEvEUlS7_S7_E_S7_EEDaPvRmT3_T4_T5_mT6_P12ihipStream_tbENKUlT_T0_E_clISt17integral_constantIbLb0EESY_IbLb1EEEEDaSU_SV_EUlSU_E0_NS1_11comp_targetILNS1_3genE2ELNS1_11target_archE906ELNS1_3gpuE6ELNS1_3repE0EEENS1_30default_config_static_selectorELNS0_4arch9wavefront6targetE1EEEvT1_,comdat
	.globl	_ZN7rocprim17ROCPRIM_400000_NS6detail17trampoline_kernelINS0_14default_configENS1_20scan_config_selectorIN3c107complexIdEEEEZZNS1_9scan_implILNS1_25lookback_scan_determinismE0ELb0ELb0ES3_PKS7_PS7_S7_ZZZN2at6native31launch_logcumsumexp_cuda_kernelERKNSE_10TensorBaseESI_lENKUlvE_clEvENKUlvE1_clEvEUlS7_S7_E_S7_EEDaPvRmT3_T4_T5_mT6_P12ihipStream_tbENKUlT_T0_E_clISt17integral_constantIbLb0EESY_IbLb1EEEEDaSU_SV_EUlSU_E0_NS1_11comp_targetILNS1_3genE2ELNS1_11target_archE906ELNS1_3gpuE6ELNS1_3repE0EEENS1_30default_config_static_selectorELNS0_4arch9wavefront6targetE1EEEvT1_ ; -- Begin function _ZN7rocprim17ROCPRIM_400000_NS6detail17trampoline_kernelINS0_14default_configENS1_20scan_config_selectorIN3c107complexIdEEEEZZNS1_9scan_implILNS1_25lookback_scan_determinismE0ELb0ELb0ES3_PKS7_PS7_S7_ZZZN2at6native31launch_logcumsumexp_cuda_kernelERKNSE_10TensorBaseESI_lENKUlvE_clEvENKUlvE1_clEvEUlS7_S7_E_S7_EEDaPvRmT3_T4_T5_mT6_P12ihipStream_tbENKUlT_T0_E_clISt17integral_constantIbLb0EESY_IbLb1EEEEDaSU_SV_EUlSU_E0_NS1_11comp_targetILNS1_3genE2ELNS1_11target_archE906ELNS1_3gpuE6ELNS1_3repE0EEENS1_30default_config_static_selectorELNS0_4arch9wavefront6targetE1EEEvT1_
	.p2align	8
	.type	_ZN7rocprim17ROCPRIM_400000_NS6detail17trampoline_kernelINS0_14default_configENS1_20scan_config_selectorIN3c107complexIdEEEEZZNS1_9scan_implILNS1_25lookback_scan_determinismE0ELb0ELb0ES3_PKS7_PS7_S7_ZZZN2at6native31launch_logcumsumexp_cuda_kernelERKNSE_10TensorBaseESI_lENKUlvE_clEvENKUlvE1_clEvEUlS7_S7_E_S7_EEDaPvRmT3_T4_T5_mT6_P12ihipStream_tbENKUlT_T0_E_clISt17integral_constantIbLb0EESY_IbLb1EEEEDaSU_SV_EUlSU_E0_NS1_11comp_targetILNS1_3genE2ELNS1_11target_archE906ELNS1_3gpuE6ELNS1_3repE0EEENS1_30default_config_static_selectorELNS0_4arch9wavefront6targetE1EEEvT1_,@function
_ZN7rocprim17ROCPRIM_400000_NS6detail17trampoline_kernelINS0_14default_configENS1_20scan_config_selectorIN3c107complexIdEEEEZZNS1_9scan_implILNS1_25lookback_scan_determinismE0ELb0ELb0ES3_PKS7_PS7_S7_ZZZN2at6native31launch_logcumsumexp_cuda_kernelERKNSE_10TensorBaseESI_lENKUlvE_clEvENKUlvE1_clEvEUlS7_S7_E_S7_EEDaPvRmT3_T4_T5_mT6_P12ihipStream_tbENKUlT_T0_E_clISt17integral_constantIbLb0EESY_IbLb1EEEEDaSU_SV_EUlSU_E0_NS1_11comp_targetILNS1_3genE2ELNS1_11target_archE906ELNS1_3gpuE6ELNS1_3repE0EEENS1_30default_config_static_selectorELNS0_4arch9wavefront6targetE1EEEvT1_: ; @_ZN7rocprim17ROCPRIM_400000_NS6detail17trampoline_kernelINS0_14default_configENS1_20scan_config_selectorIN3c107complexIdEEEEZZNS1_9scan_implILNS1_25lookback_scan_determinismE0ELb0ELb0ES3_PKS7_PS7_S7_ZZZN2at6native31launch_logcumsumexp_cuda_kernelERKNSE_10TensorBaseESI_lENKUlvE_clEvENKUlvE1_clEvEUlS7_S7_E_S7_EEDaPvRmT3_T4_T5_mT6_P12ihipStream_tbENKUlT_T0_E_clISt17integral_constantIbLb0EESY_IbLb1EEEEDaSU_SV_EUlSU_E0_NS1_11comp_targetILNS1_3genE2ELNS1_11target_archE906ELNS1_3gpuE6ELNS1_3repE0EEENS1_30default_config_static_selectorELNS0_4arch9wavefront6targetE1EEEvT1_
; %bb.0:
	.section	.rodata,"a",@progbits
	.p2align	6, 0x0
	.amdhsa_kernel _ZN7rocprim17ROCPRIM_400000_NS6detail17trampoline_kernelINS0_14default_configENS1_20scan_config_selectorIN3c107complexIdEEEEZZNS1_9scan_implILNS1_25lookback_scan_determinismE0ELb0ELb0ES3_PKS7_PS7_S7_ZZZN2at6native31launch_logcumsumexp_cuda_kernelERKNSE_10TensorBaseESI_lENKUlvE_clEvENKUlvE1_clEvEUlS7_S7_E_S7_EEDaPvRmT3_T4_T5_mT6_P12ihipStream_tbENKUlT_T0_E_clISt17integral_constantIbLb0EESY_IbLb1EEEEDaSU_SV_EUlSU_E0_NS1_11comp_targetILNS1_3genE2ELNS1_11target_archE906ELNS1_3gpuE6ELNS1_3repE0EEENS1_30default_config_static_selectorELNS0_4arch9wavefront6targetE1EEEvT1_
		.amdhsa_group_segment_fixed_size 0
		.amdhsa_private_segment_fixed_size 0
		.amdhsa_kernarg_size 48
		.amdhsa_user_sgpr_count 2
		.amdhsa_user_sgpr_dispatch_ptr 0
		.amdhsa_user_sgpr_queue_ptr 0
		.amdhsa_user_sgpr_kernarg_segment_ptr 1
		.amdhsa_user_sgpr_dispatch_id 0
		.amdhsa_user_sgpr_kernarg_preload_length 0
		.amdhsa_user_sgpr_kernarg_preload_offset 0
		.amdhsa_user_sgpr_private_segment_size 0
		.amdhsa_uses_dynamic_stack 0
		.amdhsa_enable_private_segment 0
		.amdhsa_system_sgpr_workgroup_id_x 1
		.amdhsa_system_sgpr_workgroup_id_y 0
		.amdhsa_system_sgpr_workgroup_id_z 0
		.amdhsa_system_sgpr_workgroup_info 0
		.amdhsa_system_vgpr_workitem_id 0
		.amdhsa_next_free_vgpr 1
		.amdhsa_next_free_sgpr 0
		.amdhsa_accum_offset 4
		.amdhsa_reserve_vcc 0
		.amdhsa_float_round_mode_32 0
		.amdhsa_float_round_mode_16_64 0
		.amdhsa_float_denorm_mode_32 3
		.amdhsa_float_denorm_mode_16_64 3
		.amdhsa_dx10_clamp 1
		.amdhsa_ieee_mode 1
		.amdhsa_fp16_overflow 0
		.amdhsa_tg_split 0
		.amdhsa_exception_fp_ieee_invalid_op 0
		.amdhsa_exception_fp_denorm_src 0
		.amdhsa_exception_fp_ieee_div_zero 0
		.amdhsa_exception_fp_ieee_overflow 0
		.amdhsa_exception_fp_ieee_underflow 0
		.amdhsa_exception_fp_ieee_inexact 0
		.amdhsa_exception_int_div_zero 0
	.end_amdhsa_kernel
	.section	.text._ZN7rocprim17ROCPRIM_400000_NS6detail17trampoline_kernelINS0_14default_configENS1_20scan_config_selectorIN3c107complexIdEEEEZZNS1_9scan_implILNS1_25lookback_scan_determinismE0ELb0ELb0ES3_PKS7_PS7_S7_ZZZN2at6native31launch_logcumsumexp_cuda_kernelERKNSE_10TensorBaseESI_lENKUlvE_clEvENKUlvE1_clEvEUlS7_S7_E_S7_EEDaPvRmT3_T4_T5_mT6_P12ihipStream_tbENKUlT_T0_E_clISt17integral_constantIbLb0EESY_IbLb1EEEEDaSU_SV_EUlSU_E0_NS1_11comp_targetILNS1_3genE2ELNS1_11target_archE906ELNS1_3gpuE6ELNS1_3repE0EEENS1_30default_config_static_selectorELNS0_4arch9wavefront6targetE1EEEvT1_,"axG",@progbits,_ZN7rocprim17ROCPRIM_400000_NS6detail17trampoline_kernelINS0_14default_configENS1_20scan_config_selectorIN3c107complexIdEEEEZZNS1_9scan_implILNS1_25lookback_scan_determinismE0ELb0ELb0ES3_PKS7_PS7_S7_ZZZN2at6native31launch_logcumsumexp_cuda_kernelERKNSE_10TensorBaseESI_lENKUlvE_clEvENKUlvE1_clEvEUlS7_S7_E_S7_EEDaPvRmT3_T4_T5_mT6_P12ihipStream_tbENKUlT_T0_E_clISt17integral_constantIbLb0EESY_IbLb1EEEEDaSU_SV_EUlSU_E0_NS1_11comp_targetILNS1_3genE2ELNS1_11target_archE906ELNS1_3gpuE6ELNS1_3repE0EEENS1_30default_config_static_selectorELNS0_4arch9wavefront6targetE1EEEvT1_,comdat
.Lfunc_end254:
	.size	_ZN7rocprim17ROCPRIM_400000_NS6detail17trampoline_kernelINS0_14default_configENS1_20scan_config_selectorIN3c107complexIdEEEEZZNS1_9scan_implILNS1_25lookback_scan_determinismE0ELb0ELb0ES3_PKS7_PS7_S7_ZZZN2at6native31launch_logcumsumexp_cuda_kernelERKNSE_10TensorBaseESI_lENKUlvE_clEvENKUlvE1_clEvEUlS7_S7_E_S7_EEDaPvRmT3_T4_T5_mT6_P12ihipStream_tbENKUlT_T0_E_clISt17integral_constantIbLb0EESY_IbLb1EEEEDaSU_SV_EUlSU_E0_NS1_11comp_targetILNS1_3genE2ELNS1_11target_archE906ELNS1_3gpuE6ELNS1_3repE0EEENS1_30default_config_static_selectorELNS0_4arch9wavefront6targetE1EEEvT1_, .Lfunc_end254-_ZN7rocprim17ROCPRIM_400000_NS6detail17trampoline_kernelINS0_14default_configENS1_20scan_config_selectorIN3c107complexIdEEEEZZNS1_9scan_implILNS1_25lookback_scan_determinismE0ELb0ELb0ES3_PKS7_PS7_S7_ZZZN2at6native31launch_logcumsumexp_cuda_kernelERKNSE_10TensorBaseESI_lENKUlvE_clEvENKUlvE1_clEvEUlS7_S7_E_S7_EEDaPvRmT3_T4_T5_mT6_P12ihipStream_tbENKUlT_T0_E_clISt17integral_constantIbLb0EESY_IbLb1EEEEDaSU_SV_EUlSU_E0_NS1_11comp_targetILNS1_3genE2ELNS1_11target_archE906ELNS1_3gpuE6ELNS1_3repE0EEENS1_30default_config_static_selectorELNS0_4arch9wavefront6targetE1EEEvT1_
                                        ; -- End function
	.set _ZN7rocprim17ROCPRIM_400000_NS6detail17trampoline_kernelINS0_14default_configENS1_20scan_config_selectorIN3c107complexIdEEEEZZNS1_9scan_implILNS1_25lookback_scan_determinismE0ELb0ELb0ES3_PKS7_PS7_S7_ZZZN2at6native31launch_logcumsumexp_cuda_kernelERKNSE_10TensorBaseESI_lENKUlvE_clEvENKUlvE1_clEvEUlS7_S7_E_S7_EEDaPvRmT3_T4_T5_mT6_P12ihipStream_tbENKUlT_T0_E_clISt17integral_constantIbLb0EESY_IbLb1EEEEDaSU_SV_EUlSU_E0_NS1_11comp_targetILNS1_3genE2ELNS1_11target_archE906ELNS1_3gpuE6ELNS1_3repE0EEENS1_30default_config_static_selectorELNS0_4arch9wavefront6targetE1EEEvT1_.num_vgpr, 0
	.set _ZN7rocprim17ROCPRIM_400000_NS6detail17trampoline_kernelINS0_14default_configENS1_20scan_config_selectorIN3c107complexIdEEEEZZNS1_9scan_implILNS1_25lookback_scan_determinismE0ELb0ELb0ES3_PKS7_PS7_S7_ZZZN2at6native31launch_logcumsumexp_cuda_kernelERKNSE_10TensorBaseESI_lENKUlvE_clEvENKUlvE1_clEvEUlS7_S7_E_S7_EEDaPvRmT3_T4_T5_mT6_P12ihipStream_tbENKUlT_T0_E_clISt17integral_constantIbLb0EESY_IbLb1EEEEDaSU_SV_EUlSU_E0_NS1_11comp_targetILNS1_3genE2ELNS1_11target_archE906ELNS1_3gpuE6ELNS1_3repE0EEENS1_30default_config_static_selectorELNS0_4arch9wavefront6targetE1EEEvT1_.num_agpr, 0
	.set _ZN7rocprim17ROCPRIM_400000_NS6detail17trampoline_kernelINS0_14default_configENS1_20scan_config_selectorIN3c107complexIdEEEEZZNS1_9scan_implILNS1_25lookback_scan_determinismE0ELb0ELb0ES3_PKS7_PS7_S7_ZZZN2at6native31launch_logcumsumexp_cuda_kernelERKNSE_10TensorBaseESI_lENKUlvE_clEvENKUlvE1_clEvEUlS7_S7_E_S7_EEDaPvRmT3_T4_T5_mT6_P12ihipStream_tbENKUlT_T0_E_clISt17integral_constantIbLb0EESY_IbLb1EEEEDaSU_SV_EUlSU_E0_NS1_11comp_targetILNS1_3genE2ELNS1_11target_archE906ELNS1_3gpuE6ELNS1_3repE0EEENS1_30default_config_static_selectorELNS0_4arch9wavefront6targetE1EEEvT1_.numbered_sgpr, 0
	.set _ZN7rocprim17ROCPRIM_400000_NS6detail17trampoline_kernelINS0_14default_configENS1_20scan_config_selectorIN3c107complexIdEEEEZZNS1_9scan_implILNS1_25lookback_scan_determinismE0ELb0ELb0ES3_PKS7_PS7_S7_ZZZN2at6native31launch_logcumsumexp_cuda_kernelERKNSE_10TensorBaseESI_lENKUlvE_clEvENKUlvE1_clEvEUlS7_S7_E_S7_EEDaPvRmT3_T4_T5_mT6_P12ihipStream_tbENKUlT_T0_E_clISt17integral_constantIbLb0EESY_IbLb1EEEEDaSU_SV_EUlSU_E0_NS1_11comp_targetILNS1_3genE2ELNS1_11target_archE906ELNS1_3gpuE6ELNS1_3repE0EEENS1_30default_config_static_selectorELNS0_4arch9wavefront6targetE1EEEvT1_.num_named_barrier, 0
	.set _ZN7rocprim17ROCPRIM_400000_NS6detail17trampoline_kernelINS0_14default_configENS1_20scan_config_selectorIN3c107complexIdEEEEZZNS1_9scan_implILNS1_25lookback_scan_determinismE0ELb0ELb0ES3_PKS7_PS7_S7_ZZZN2at6native31launch_logcumsumexp_cuda_kernelERKNSE_10TensorBaseESI_lENKUlvE_clEvENKUlvE1_clEvEUlS7_S7_E_S7_EEDaPvRmT3_T4_T5_mT6_P12ihipStream_tbENKUlT_T0_E_clISt17integral_constantIbLb0EESY_IbLb1EEEEDaSU_SV_EUlSU_E0_NS1_11comp_targetILNS1_3genE2ELNS1_11target_archE906ELNS1_3gpuE6ELNS1_3repE0EEENS1_30default_config_static_selectorELNS0_4arch9wavefront6targetE1EEEvT1_.private_seg_size, 0
	.set _ZN7rocprim17ROCPRIM_400000_NS6detail17trampoline_kernelINS0_14default_configENS1_20scan_config_selectorIN3c107complexIdEEEEZZNS1_9scan_implILNS1_25lookback_scan_determinismE0ELb0ELb0ES3_PKS7_PS7_S7_ZZZN2at6native31launch_logcumsumexp_cuda_kernelERKNSE_10TensorBaseESI_lENKUlvE_clEvENKUlvE1_clEvEUlS7_S7_E_S7_EEDaPvRmT3_T4_T5_mT6_P12ihipStream_tbENKUlT_T0_E_clISt17integral_constantIbLb0EESY_IbLb1EEEEDaSU_SV_EUlSU_E0_NS1_11comp_targetILNS1_3genE2ELNS1_11target_archE906ELNS1_3gpuE6ELNS1_3repE0EEENS1_30default_config_static_selectorELNS0_4arch9wavefront6targetE1EEEvT1_.uses_vcc, 0
	.set _ZN7rocprim17ROCPRIM_400000_NS6detail17trampoline_kernelINS0_14default_configENS1_20scan_config_selectorIN3c107complexIdEEEEZZNS1_9scan_implILNS1_25lookback_scan_determinismE0ELb0ELb0ES3_PKS7_PS7_S7_ZZZN2at6native31launch_logcumsumexp_cuda_kernelERKNSE_10TensorBaseESI_lENKUlvE_clEvENKUlvE1_clEvEUlS7_S7_E_S7_EEDaPvRmT3_T4_T5_mT6_P12ihipStream_tbENKUlT_T0_E_clISt17integral_constantIbLb0EESY_IbLb1EEEEDaSU_SV_EUlSU_E0_NS1_11comp_targetILNS1_3genE2ELNS1_11target_archE906ELNS1_3gpuE6ELNS1_3repE0EEENS1_30default_config_static_selectorELNS0_4arch9wavefront6targetE1EEEvT1_.uses_flat_scratch, 0
	.set _ZN7rocprim17ROCPRIM_400000_NS6detail17trampoline_kernelINS0_14default_configENS1_20scan_config_selectorIN3c107complexIdEEEEZZNS1_9scan_implILNS1_25lookback_scan_determinismE0ELb0ELb0ES3_PKS7_PS7_S7_ZZZN2at6native31launch_logcumsumexp_cuda_kernelERKNSE_10TensorBaseESI_lENKUlvE_clEvENKUlvE1_clEvEUlS7_S7_E_S7_EEDaPvRmT3_T4_T5_mT6_P12ihipStream_tbENKUlT_T0_E_clISt17integral_constantIbLb0EESY_IbLb1EEEEDaSU_SV_EUlSU_E0_NS1_11comp_targetILNS1_3genE2ELNS1_11target_archE906ELNS1_3gpuE6ELNS1_3repE0EEENS1_30default_config_static_selectorELNS0_4arch9wavefront6targetE1EEEvT1_.has_dyn_sized_stack, 0
	.set _ZN7rocprim17ROCPRIM_400000_NS6detail17trampoline_kernelINS0_14default_configENS1_20scan_config_selectorIN3c107complexIdEEEEZZNS1_9scan_implILNS1_25lookback_scan_determinismE0ELb0ELb0ES3_PKS7_PS7_S7_ZZZN2at6native31launch_logcumsumexp_cuda_kernelERKNSE_10TensorBaseESI_lENKUlvE_clEvENKUlvE1_clEvEUlS7_S7_E_S7_EEDaPvRmT3_T4_T5_mT6_P12ihipStream_tbENKUlT_T0_E_clISt17integral_constantIbLb0EESY_IbLb1EEEEDaSU_SV_EUlSU_E0_NS1_11comp_targetILNS1_3genE2ELNS1_11target_archE906ELNS1_3gpuE6ELNS1_3repE0EEENS1_30default_config_static_selectorELNS0_4arch9wavefront6targetE1EEEvT1_.has_recursion, 0
	.set _ZN7rocprim17ROCPRIM_400000_NS6detail17trampoline_kernelINS0_14default_configENS1_20scan_config_selectorIN3c107complexIdEEEEZZNS1_9scan_implILNS1_25lookback_scan_determinismE0ELb0ELb0ES3_PKS7_PS7_S7_ZZZN2at6native31launch_logcumsumexp_cuda_kernelERKNSE_10TensorBaseESI_lENKUlvE_clEvENKUlvE1_clEvEUlS7_S7_E_S7_EEDaPvRmT3_T4_T5_mT6_P12ihipStream_tbENKUlT_T0_E_clISt17integral_constantIbLb0EESY_IbLb1EEEEDaSU_SV_EUlSU_E0_NS1_11comp_targetILNS1_3genE2ELNS1_11target_archE906ELNS1_3gpuE6ELNS1_3repE0EEENS1_30default_config_static_selectorELNS0_4arch9wavefront6targetE1EEEvT1_.has_indirect_call, 0
	.section	.AMDGPU.csdata,"",@progbits
; Kernel info:
; codeLenInByte = 0
; TotalNumSgprs: 6
; NumVgprs: 0
; NumAgprs: 0
; TotalNumVgprs: 0
; ScratchSize: 0
; MemoryBound: 0
; FloatMode: 240
; IeeeMode: 1
; LDSByteSize: 0 bytes/workgroup (compile time only)
; SGPRBlocks: 0
; VGPRBlocks: 0
; NumSGPRsForWavesPerEU: 6
; NumVGPRsForWavesPerEU: 1
; AccumOffset: 4
; Occupancy: 8
; WaveLimiterHint : 0
; COMPUTE_PGM_RSRC2:SCRATCH_EN: 0
; COMPUTE_PGM_RSRC2:USER_SGPR: 2
; COMPUTE_PGM_RSRC2:TRAP_HANDLER: 0
; COMPUTE_PGM_RSRC2:TGID_X_EN: 1
; COMPUTE_PGM_RSRC2:TGID_Y_EN: 0
; COMPUTE_PGM_RSRC2:TGID_Z_EN: 0
; COMPUTE_PGM_RSRC2:TIDIG_COMP_CNT: 0
; COMPUTE_PGM_RSRC3_GFX90A:ACCUM_OFFSET: 0
; COMPUTE_PGM_RSRC3_GFX90A:TG_SPLIT: 0
	.section	.text._ZN7rocprim17ROCPRIM_400000_NS6detail17trampoline_kernelINS0_14default_configENS1_20scan_config_selectorIN3c107complexIdEEEEZZNS1_9scan_implILNS1_25lookback_scan_determinismE0ELb0ELb0ES3_PKS7_PS7_S7_ZZZN2at6native31launch_logcumsumexp_cuda_kernelERKNSE_10TensorBaseESI_lENKUlvE_clEvENKUlvE1_clEvEUlS7_S7_E_S7_EEDaPvRmT3_T4_T5_mT6_P12ihipStream_tbENKUlT_T0_E_clISt17integral_constantIbLb0EESY_IbLb1EEEEDaSU_SV_EUlSU_E0_NS1_11comp_targetILNS1_3genE10ELNS1_11target_archE1201ELNS1_3gpuE5ELNS1_3repE0EEENS1_30default_config_static_selectorELNS0_4arch9wavefront6targetE1EEEvT1_,"axG",@progbits,_ZN7rocprim17ROCPRIM_400000_NS6detail17trampoline_kernelINS0_14default_configENS1_20scan_config_selectorIN3c107complexIdEEEEZZNS1_9scan_implILNS1_25lookback_scan_determinismE0ELb0ELb0ES3_PKS7_PS7_S7_ZZZN2at6native31launch_logcumsumexp_cuda_kernelERKNSE_10TensorBaseESI_lENKUlvE_clEvENKUlvE1_clEvEUlS7_S7_E_S7_EEDaPvRmT3_T4_T5_mT6_P12ihipStream_tbENKUlT_T0_E_clISt17integral_constantIbLb0EESY_IbLb1EEEEDaSU_SV_EUlSU_E0_NS1_11comp_targetILNS1_3genE10ELNS1_11target_archE1201ELNS1_3gpuE5ELNS1_3repE0EEENS1_30default_config_static_selectorELNS0_4arch9wavefront6targetE1EEEvT1_,comdat
	.globl	_ZN7rocprim17ROCPRIM_400000_NS6detail17trampoline_kernelINS0_14default_configENS1_20scan_config_selectorIN3c107complexIdEEEEZZNS1_9scan_implILNS1_25lookback_scan_determinismE0ELb0ELb0ES3_PKS7_PS7_S7_ZZZN2at6native31launch_logcumsumexp_cuda_kernelERKNSE_10TensorBaseESI_lENKUlvE_clEvENKUlvE1_clEvEUlS7_S7_E_S7_EEDaPvRmT3_T4_T5_mT6_P12ihipStream_tbENKUlT_T0_E_clISt17integral_constantIbLb0EESY_IbLb1EEEEDaSU_SV_EUlSU_E0_NS1_11comp_targetILNS1_3genE10ELNS1_11target_archE1201ELNS1_3gpuE5ELNS1_3repE0EEENS1_30default_config_static_selectorELNS0_4arch9wavefront6targetE1EEEvT1_ ; -- Begin function _ZN7rocprim17ROCPRIM_400000_NS6detail17trampoline_kernelINS0_14default_configENS1_20scan_config_selectorIN3c107complexIdEEEEZZNS1_9scan_implILNS1_25lookback_scan_determinismE0ELb0ELb0ES3_PKS7_PS7_S7_ZZZN2at6native31launch_logcumsumexp_cuda_kernelERKNSE_10TensorBaseESI_lENKUlvE_clEvENKUlvE1_clEvEUlS7_S7_E_S7_EEDaPvRmT3_T4_T5_mT6_P12ihipStream_tbENKUlT_T0_E_clISt17integral_constantIbLb0EESY_IbLb1EEEEDaSU_SV_EUlSU_E0_NS1_11comp_targetILNS1_3genE10ELNS1_11target_archE1201ELNS1_3gpuE5ELNS1_3repE0EEENS1_30default_config_static_selectorELNS0_4arch9wavefront6targetE1EEEvT1_
	.p2align	8
	.type	_ZN7rocprim17ROCPRIM_400000_NS6detail17trampoline_kernelINS0_14default_configENS1_20scan_config_selectorIN3c107complexIdEEEEZZNS1_9scan_implILNS1_25lookback_scan_determinismE0ELb0ELb0ES3_PKS7_PS7_S7_ZZZN2at6native31launch_logcumsumexp_cuda_kernelERKNSE_10TensorBaseESI_lENKUlvE_clEvENKUlvE1_clEvEUlS7_S7_E_S7_EEDaPvRmT3_T4_T5_mT6_P12ihipStream_tbENKUlT_T0_E_clISt17integral_constantIbLb0EESY_IbLb1EEEEDaSU_SV_EUlSU_E0_NS1_11comp_targetILNS1_3genE10ELNS1_11target_archE1201ELNS1_3gpuE5ELNS1_3repE0EEENS1_30default_config_static_selectorELNS0_4arch9wavefront6targetE1EEEvT1_,@function
_ZN7rocprim17ROCPRIM_400000_NS6detail17trampoline_kernelINS0_14default_configENS1_20scan_config_selectorIN3c107complexIdEEEEZZNS1_9scan_implILNS1_25lookback_scan_determinismE0ELb0ELb0ES3_PKS7_PS7_S7_ZZZN2at6native31launch_logcumsumexp_cuda_kernelERKNSE_10TensorBaseESI_lENKUlvE_clEvENKUlvE1_clEvEUlS7_S7_E_S7_EEDaPvRmT3_T4_T5_mT6_P12ihipStream_tbENKUlT_T0_E_clISt17integral_constantIbLb0EESY_IbLb1EEEEDaSU_SV_EUlSU_E0_NS1_11comp_targetILNS1_3genE10ELNS1_11target_archE1201ELNS1_3gpuE5ELNS1_3repE0EEENS1_30default_config_static_selectorELNS0_4arch9wavefront6targetE1EEEvT1_: ; @_ZN7rocprim17ROCPRIM_400000_NS6detail17trampoline_kernelINS0_14default_configENS1_20scan_config_selectorIN3c107complexIdEEEEZZNS1_9scan_implILNS1_25lookback_scan_determinismE0ELb0ELb0ES3_PKS7_PS7_S7_ZZZN2at6native31launch_logcumsumexp_cuda_kernelERKNSE_10TensorBaseESI_lENKUlvE_clEvENKUlvE1_clEvEUlS7_S7_E_S7_EEDaPvRmT3_T4_T5_mT6_P12ihipStream_tbENKUlT_T0_E_clISt17integral_constantIbLb0EESY_IbLb1EEEEDaSU_SV_EUlSU_E0_NS1_11comp_targetILNS1_3genE10ELNS1_11target_archE1201ELNS1_3gpuE5ELNS1_3repE0EEENS1_30default_config_static_selectorELNS0_4arch9wavefront6targetE1EEEvT1_
; %bb.0:
	.section	.rodata,"a",@progbits
	.p2align	6, 0x0
	.amdhsa_kernel _ZN7rocprim17ROCPRIM_400000_NS6detail17trampoline_kernelINS0_14default_configENS1_20scan_config_selectorIN3c107complexIdEEEEZZNS1_9scan_implILNS1_25lookback_scan_determinismE0ELb0ELb0ES3_PKS7_PS7_S7_ZZZN2at6native31launch_logcumsumexp_cuda_kernelERKNSE_10TensorBaseESI_lENKUlvE_clEvENKUlvE1_clEvEUlS7_S7_E_S7_EEDaPvRmT3_T4_T5_mT6_P12ihipStream_tbENKUlT_T0_E_clISt17integral_constantIbLb0EESY_IbLb1EEEEDaSU_SV_EUlSU_E0_NS1_11comp_targetILNS1_3genE10ELNS1_11target_archE1201ELNS1_3gpuE5ELNS1_3repE0EEENS1_30default_config_static_selectorELNS0_4arch9wavefront6targetE1EEEvT1_
		.amdhsa_group_segment_fixed_size 0
		.amdhsa_private_segment_fixed_size 0
		.amdhsa_kernarg_size 48
		.amdhsa_user_sgpr_count 2
		.amdhsa_user_sgpr_dispatch_ptr 0
		.amdhsa_user_sgpr_queue_ptr 0
		.amdhsa_user_sgpr_kernarg_segment_ptr 1
		.amdhsa_user_sgpr_dispatch_id 0
		.amdhsa_user_sgpr_kernarg_preload_length 0
		.amdhsa_user_sgpr_kernarg_preload_offset 0
		.amdhsa_user_sgpr_private_segment_size 0
		.amdhsa_uses_dynamic_stack 0
		.amdhsa_enable_private_segment 0
		.amdhsa_system_sgpr_workgroup_id_x 1
		.amdhsa_system_sgpr_workgroup_id_y 0
		.amdhsa_system_sgpr_workgroup_id_z 0
		.amdhsa_system_sgpr_workgroup_info 0
		.amdhsa_system_vgpr_workitem_id 0
		.amdhsa_next_free_vgpr 1
		.amdhsa_next_free_sgpr 0
		.amdhsa_accum_offset 4
		.amdhsa_reserve_vcc 0
		.amdhsa_float_round_mode_32 0
		.amdhsa_float_round_mode_16_64 0
		.amdhsa_float_denorm_mode_32 3
		.amdhsa_float_denorm_mode_16_64 3
		.amdhsa_dx10_clamp 1
		.amdhsa_ieee_mode 1
		.amdhsa_fp16_overflow 0
		.amdhsa_tg_split 0
		.amdhsa_exception_fp_ieee_invalid_op 0
		.amdhsa_exception_fp_denorm_src 0
		.amdhsa_exception_fp_ieee_div_zero 0
		.amdhsa_exception_fp_ieee_overflow 0
		.amdhsa_exception_fp_ieee_underflow 0
		.amdhsa_exception_fp_ieee_inexact 0
		.amdhsa_exception_int_div_zero 0
	.end_amdhsa_kernel
	.section	.text._ZN7rocprim17ROCPRIM_400000_NS6detail17trampoline_kernelINS0_14default_configENS1_20scan_config_selectorIN3c107complexIdEEEEZZNS1_9scan_implILNS1_25lookback_scan_determinismE0ELb0ELb0ES3_PKS7_PS7_S7_ZZZN2at6native31launch_logcumsumexp_cuda_kernelERKNSE_10TensorBaseESI_lENKUlvE_clEvENKUlvE1_clEvEUlS7_S7_E_S7_EEDaPvRmT3_T4_T5_mT6_P12ihipStream_tbENKUlT_T0_E_clISt17integral_constantIbLb0EESY_IbLb1EEEEDaSU_SV_EUlSU_E0_NS1_11comp_targetILNS1_3genE10ELNS1_11target_archE1201ELNS1_3gpuE5ELNS1_3repE0EEENS1_30default_config_static_selectorELNS0_4arch9wavefront6targetE1EEEvT1_,"axG",@progbits,_ZN7rocprim17ROCPRIM_400000_NS6detail17trampoline_kernelINS0_14default_configENS1_20scan_config_selectorIN3c107complexIdEEEEZZNS1_9scan_implILNS1_25lookback_scan_determinismE0ELb0ELb0ES3_PKS7_PS7_S7_ZZZN2at6native31launch_logcumsumexp_cuda_kernelERKNSE_10TensorBaseESI_lENKUlvE_clEvENKUlvE1_clEvEUlS7_S7_E_S7_EEDaPvRmT3_T4_T5_mT6_P12ihipStream_tbENKUlT_T0_E_clISt17integral_constantIbLb0EESY_IbLb1EEEEDaSU_SV_EUlSU_E0_NS1_11comp_targetILNS1_3genE10ELNS1_11target_archE1201ELNS1_3gpuE5ELNS1_3repE0EEENS1_30default_config_static_selectorELNS0_4arch9wavefront6targetE1EEEvT1_,comdat
.Lfunc_end255:
	.size	_ZN7rocprim17ROCPRIM_400000_NS6detail17trampoline_kernelINS0_14default_configENS1_20scan_config_selectorIN3c107complexIdEEEEZZNS1_9scan_implILNS1_25lookback_scan_determinismE0ELb0ELb0ES3_PKS7_PS7_S7_ZZZN2at6native31launch_logcumsumexp_cuda_kernelERKNSE_10TensorBaseESI_lENKUlvE_clEvENKUlvE1_clEvEUlS7_S7_E_S7_EEDaPvRmT3_T4_T5_mT6_P12ihipStream_tbENKUlT_T0_E_clISt17integral_constantIbLb0EESY_IbLb1EEEEDaSU_SV_EUlSU_E0_NS1_11comp_targetILNS1_3genE10ELNS1_11target_archE1201ELNS1_3gpuE5ELNS1_3repE0EEENS1_30default_config_static_selectorELNS0_4arch9wavefront6targetE1EEEvT1_, .Lfunc_end255-_ZN7rocprim17ROCPRIM_400000_NS6detail17trampoline_kernelINS0_14default_configENS1_20scan_config_selectorIN3c107complexIdEEEEZZNS1_9scan_implILNS1_25lookback_scan_determinismE0ELb0ELb0ES3_PKS7_PS7_S7_ZZZN2at6native31launch_logcumsumexp_cuda_kernelERKNSE_10TensorBaseESI_lENKUlvE_clEvENKUlvE1_clEvEUlS7_S7_E_S7_EEDaPvRmT3_T4_T5_mT6_P12ihipStream_tbENKUlT_T0_E_clISt17integral_constantIbLb0EESY_IbLb1EEEEDaSU_SV_EUlSU_E0_NS1_11comp_targetILNS1_3genE10ELNS1_11target_archE1201ELNS1_3gpuE5ELNS1_3repE0EEENS1_30default_config_static_selectorELNS0_4arch9wavefront6targetE1EEEvT1_
                                        ; -- End function
	.set _ZN7rocprim17ROCPRIM_400000_NS6detail17trampoline_kernelINS0_14default_configENS1_20scan_config_selectorIN3c107complexIdEEEEZZNS1_9scan_implILNS1_25lookback_scan_determinismE0ELb0ELb0ES3_PKS7_PS7_S7_ZZZN2at6native31launch_logcumsumexp_cuda_kernelERKNSE_10TensorBaseESI_lENKUlvE_clEvENKUlvE1_clEvEUlS7_S7_E_S7_EEDaPvRmT3_T4_T5_mT6_P12ihipStream_tbENKUlT_T0_E_clISt17integral_constantIbLb0EESY_IbLb1EEEEDaSU_SV_EUlSU_E0_NS1_11comp_targetILNS1_3genE10ELNS1_11target_archE1201ELNS1_3gpuE5ELNS1_3repE0EEENS1_30default_config_static_selectorELNS0_4arch9wavefront6targetE1EEEvT1_.num_vgpr, 0
	.set _ZN7rocprim17ROCPRIM_400000_NS6detail17trampoline_kernelINS0_14default_configENS1_20scan_config_selectorIN3c107complexIdEEEEZZNS1_9scan_implILNS1_25lookback_scan_determinismE0ELb0ELb0ES3_PKS7_PS7_S7_ZZZN2at6native31launch_logcumsumexp_cuda_kernelERKNSE_10TensorBaseESI_lENKUlvE_clEvENKUlvE1_clEvEUlS7_S7_E_S7_EEDaPvRmT3_T4_T5_mT6_P12ihipStream_tbENKUlT_T0_E_clISt17integral_constantIbLb0EESY_IbLb1EEEEDaSU_SV_EUlSU_E0_NS1_11comp_targetILNS1_3genE10ELNS1_11target_archE1201ELNS1_3gpuE5ELNS1_3repE0EEENS1_30default_config_static_selectorELNS0_4arch9wavefront6targetE1EEEvT1_.num_agpr, 0
	.set _ZN7rocprim17ROCPRIM_400000_NS6detail17trampoline_kernelINS0_14default_configENS1_20scan_config_selectorIN3c107complexIdEEEEZZNS1_9scan_implILNS1_25lookback_scan_determinismE0ELb0ELb0ES3_PKS7_PS7_S7_ZZZN2at6native31launch_logcumsumexp_cuda_kernelERKNSE_10TensorBaseESI_lENKUlvE_clEvENKUlvE1_clEvEUlS7_S7_E_S7_EEDaPvRmT3_T4_T5_mT6_P12ihipStream_tbENKUlT_T0_E_clISt17integral_constantIbLb0EESY_IbLb1EEEEDaSU_SV_EUlSU_E0_NS1_11comp_targetILNS1_3genE10ELNS1_11target_archE1201ELNS1_3gpuE5ELNS1_3repE0EEENS1_30default_config_static_selectorELNS0_4arch9wavefront6targetE1EEEvT1_.numbered_sgpr, 0
	.set _ZN7rocprim17ROCPRIM_400000_NS6detail17trampoline_kernelINS0_14default_configENS1_20scan_config_selectorIN3c107complexIdEEEEZZNS1_9scan_implILNS1_25lookback_scan_determinismE0ELb0ELb0ES3_PKS7_PS7_S7_ZZZN2at6native31launch_logcumsumexp_cuda_kernelERKNSE_10TensorBaseESI_lENKUlvE_clEvENKUlvE1_clEvEUlS7_S7_E_S7_EEDaPvRmT3_T4_T5_mT6_P12ihipStream_tbENKUlT_T0_E_clISt17integral_constantIbLb0EESY_IbLb1EEEEDaSU_SV_EUlSU_E0_NS1_11comp_targetILNS1_3genE10ELNS1_11target_archE1201ELNS1_3gpuE5ELNS1_3repE0EEENS1_30default_config_static_selectorELNS0_4arch9wavefront6targetE1EEEvT1_.num_named_barrier, 0
	.set _ZN7rocprim17ROCPRIM_400000_NS6detail17trampoline_kernelINS0_14default_configENS1_20scan_config_selectorIN3c107complexIdEEEEZZNS1_9scan_implILNS1_25lookback_scan_determinismE0ELb0ELb0ES3_PKS7_PS7_S7_ZZZN2at6native31launch_logcumsumexp_cuda_kernelERKNSE_10TensorBaseESI_lENKUlvE_clEvENKUlvE1_clEvEUlS7_S7_E_S7_EEDaPvRmT3_T4_T5_mT6_P12ihipStream_tbENKUlT_T0_E_clISt17integral_constantIbLb0EESY_IbLb1EEEEDaSU_SV_EUlSU_E0_NS1_11comp_targetILNS1_3genE10ELNS1_11target_archE1201ELNS1_3gpuE5ELNS1_3repE0EEENS1_30default_config_static_selectorELNS0_4arch9wavefront6targetE1EEEvT1_.private_seg_size, 0
	.set _ZN7rocprim17ROCPRIM_400000_NS6detail17trampoline_kernelINS0_14default_configENS1_20scan_config_selectorIN3c107complexIdEEEEZZNS1_9scan_implILNS1_25lookback_scan_determinismE0ELb0ELb0ES3_PKS7_PS7_S7_ZZZN2at6native31launch_logcumsumexp_cuda_kernelERKNSE_10TensorBaseESI_lENKUlvE_clEvENKUlvE1_clEvEUlS7_S7_E_S7_EEDaPvRmT3_T4_T5_mT6_P12ihipStream_tbENKUlT_T0_E_clISt17integral_constantIbLb0EESY_IbLb1EEEEDaSU_SV_EUlSU_E0_NS1_11comp_targetILNS1_3genE10ELNS1_11target_archE1201ELNS1_3gpuE5ELNS1_3repE0EEENS1_30default_config_static_selectorELNS0_4arch9wavefront6targetE1EEEvT1_.uses_vcc, 0
	.set _ZN7rocprim17ROCPRIM_400000_NS6detail17trampoline_kernelINS0_14default_configENS1_20scan_config_selectorIN3c107complexIdEEEEZZNS1_9scan_implILNS1_25lookback_scan_determinismE0ELb0ELb0ES3_PKS7_PS7_S7_ZZZN2at6native31launch_logcumsumexp_cuda_kernelERKNSE_10TensorBaseESI_lENKUlvE_clEvENKUlvE1_clEvEUlS7_S7_E_S7_EEDaPvRmT3_T4_T5_mT6_P12ihipStream_tbENKUlT_T0_E_clISt17integral_constantIbLb0EESY_IbLb1EEEEDaSU_SV_EUlSU_E0_NS1_11comp_targetILNS1_3genE10ELNS1_11target_archE1201ELNS1_3gpuE5ELNS1_3repE0EEENS1_30default_config_static_selectorELNS0_4arch9wavefront6targetE1EEEvT1_.uses_flat_scratch, 0
	.set _ZN7rocprim17ROCPRIM_400000_NS6detail17trampoline_kernelINS0_14default_configENS1_20scan_config_selectorIN3c107complexIdEEEEZZNS1_9scan_implILNS1_25lookback_scan_determinismE0ELb0ELb0ES3_PKS7_PS7_S7_ZZZN2at6native31launch_logcumsumexp_cuda_kernelERKNSE_10TensorBaseESI_lENKUlvE_clEvENKUlvE1_clEvEUlS7_S7_E_S7_EEDaPvRmT3_T4_T5_mT6_P12ihipStream_tbENKUlT_T0_E_clISt17integral_constantIbLb0EESY_IbLb1EEEEDaSU_SV_EUlSU_E0_NS1_11comp_targetILNS1_3genE10ELNS1_11target_archE1201ELNS1_3gpuE5ELNS1_3repE0EEENS1_30default_config_static_selectorELNS0_4arch9wavefront6targetE1EEEvT1_.has_dyn_sized_stack, 0
	.set _ZN7rocprim17ROCPRIM_400000_NS6detail17trampoline_kernelINS0_14default_configENS1_20scan_config_selectorIN3c107complexIdEEEEZZNS1_9scan_implILNS1_25lookback_scan_determinismE0ELb0ELb0ES3_PKS7_PS7_S7_ZZZN2at6native31launch_logcumsumexp_cuda_kernelERKNSE_10TensorBaseESI_lENKUlvE_clEvENKUlvE1_clEvEUlS7_S7_E_S7_EEDaPvRmT3_T4_T5_mT6_P12ihipStream_tbENKUlT_T0_E_clISt17integral_constantIbLb0EESY_IbLb1EEEEDaSU_SV_EUlSU_E0_NS1_11comp_targetILNS1_3genE10ELNS1_11target_archE1201ELNS1_3gpuE5ELNS1_3repE0EEENS1_30default_config_static_selectorELNS0_4arch9wavefront6targetE1EEEvT1_.has_recursion, 0
	.set _ZN7rocprim17ROCPRIM_400000_NS6detail17trampoline_kernelINS0_14default_configENS1_20scan_config_selectorIN3c107complexIdEEEEZZNS1_9scan_implILNS1_25lookback_scan_determinismE0ELb0ELb0ES3_PKS7_PS7_S7_ZZZN2at6native31launch_logcumsumexp_cuda_kernelERKNSE_10TensorBaseESI_lENKUlvE_clEvENKUlvE1_clEvEUlS7_S7_E_S7_EEDaPvRmT3_T4_T5_mT6_P12ihipStream_tbENKUlT_T0_E_clISt17integral_constantIbLb0EESY_IbLb1EEEEDaSU_SV_EUlSU_E0_NS1_11comp_targetILNS1_3genE10ELNS1_11target_archE1201ELNS1_3gpuE5ELNS1_3repE0EEENS1_30default_config_static_selectorELNS0_4arch9wavefront6targetE1EEEvT1_.has_indirect_call, 0
	.section	.AMDGPU.csdata,"",@progbits
; Kernel info:
; codeLenInByte = 0
; TotalNumSgprs: 6
; NumVgprs: 0
; NumAgprs: 0
; TotalNumVgprs: 0
; ScratchSize: 0
; MemoryBound: 0
; FloatMode: 240
; IeeeMode: 1
; LDSByteSize: 0 bytes/workgroup (compile time only)
; SGPRBlocks: 0
; VGPRBlocks: 0
; NumSGPRsForWavesPerEU: 6
; NumVGPRsForWavesPerEU: 1
; AccumOffset: 4
; Occupancy: 8
; WaveLimiterHint : 0
; COMPUTE_PGM_RSRC2:SCRATCH_EN: 0
; COMPUTE_PGM_RSRC2:USER_SGPR: 2
; COMPUTE_PGM_RSRC2:TRAP_HANDLER: 0
; COMPUTE_PGM_RSRC2:TGID_X_EN: 1
; COMPUTE_PGM_RSRC2:TGID_Y_EN: 0
; COMPUTE_PGM_RSRC2:TGID_Z_EN: 0
; COMPUTE_PGM_RSRC2:TIDIG_COMP_CNT: 0
; COMPUTE_PGM_RSRC3_GFX90A:ACCUM_OFFSET: 0
; COMPUTE_PGM_RSRC3_GFX90A:TG_SPLIT: 0
	.section	.text._ZN7rocprim17ROCPRIM_400000_NS6detail17trampoline_kernelINS0_14default_configENS1_20scan_config_selectorIN3c107complexIdEEEEZZNS1_9scan_implILNS1_25lookback_scan_determinismE0ELb0ELb0ES3_PKS7_PS7_S7_ZZZN2at6native31launch_logcumsumexp_cuda_kernelERKNSE_10TensorBaseESI_lENKUlvE_clEvENKUlvE1_clEvEUlS7_S7_E_S7_EEDaPvRmT3_T4_T5_mT6_P12ihipStream_tbENKUlT_T0_E_clISt17integral_constantIbLb0EESY_IbLb1EEEEDaSU_SV_EUlSU_E0_NS1_11comp_targetILNS1_3genE10ELNS1_11target_archE1200ELNS1_3gpuE4ELNS1_3repE0EEENS1_30default_config_static_selectorELNS0_4arch9wavefront6targetE1EEEvT1_,"axG",@progbits,_ZN7rocprim17ROCPRIM_400000_NS6detail17trampoline_kernelINS0_14default_configENS1_20scan_config_selectorIN3c107complexIdEEEEZZNS1_9scan_implILNS1_25lookback_scan_determinismE0ELb0ELb0ES3_PKS7_PS7_S7_ZZZN2at6native31launch_logcumsumexp_cuda_kernelERKNSE_10TensorBaseESI_lENKUlvE_clEvENKUlvE1_clEvEUlS7_S7_E_S7_EEDaPvRmT3_T4_T5_mT6_P12ihipStream_tbENKUlT_T0_E_clISt17integral_constantIbLb0EESY_IbLb1EEEEDaSU_SV_EUlSU_E0_NS1_11comp_targetILNS1_3genE10ELNS1_11target_archE1200ELNS1_3gpuE4ELNS1_3repE0EEENS1_30default_config_static_selectorELNS0_4arch9wavefront6targetE1EEEvT1_,comdat
	.globl	_ZN7rocprim17ROCPRIM_400000_NS6detail17trampoline_kernelINS0_14default_configENS1_20scan_config_selectorIN3c107complexIdEEEEZZNS1_9scan_implILNS1_25lookback_scan_determinismE0ELb0ELb0ES3_PKS7_PS7_S7_ZZZN2at6native31launch_logcumsumexp_cuda_kernelERKNSE_10TensorBaseESI_lENKUlvE_clEvENKUlvE1_clEvEUlS7_S7_E_S7_EEDaPvRmT3_T4_T5_mT6_P12ihipStream_tbENKUlT_T0_E_clISt17integral_constantIbLb0EESY_IbLb1EEEEDaSU_SV_EUlSU_E0_NS1_11comp_targetILNS1_3genE10ELNS1_11target_archE1200ELNS1_3gpuE4ELNS1_3repE0EEENS1_30default_config_static_selectorELNS0_4arch9wavefront6targetE1EEEvT1_ ; -- Begin function _ZN7rocprim17ROCPRIM_400000_NS6detail17trampoline_kernelINS0_14default_configENS1_20scan_config_selectorIN3c107complexIdEEEEZZNS1_9scan_implILNS1_25lookback_scan_determinismE0ELb0ELb0ES3_PKS7_PS7_S7_ZZZN2at6native31launch_logcumsumexp_cuda_kernelERKNSE_10TensorBaseESI_lENKUlvE_clEvENKUlvE1_clEvEUlS7_S7_E_S7_EEDaPvRmT3_T4_T5_mT6_P12ihipStream_tbENKUlT_T0_E_clISt17integral_constantIbLb0EESY_IbLb1EEEEDaSU_SV_EUlSU_E0_NS1_11comp_targetILNS1_3genE10ELNS1_11target_archE1200ELNS1_3gpuE4ELNS1_3repE0EEENS1_30default_config_static_selectorELNS0_4arch9wavefront6targetE1EEEvT1_
	.p2align	8
	.type	_ZN7rocprim17ROCPRIM_400000_NS6detail17trampoline_kernelINS0_14default_configENS1_20scan_config_selectorIN3c107complexIdEEEEZZNS1_9scan_implILNS1_25lookback_scan_determinismE0ELb0ELb0ES3_PKS7_PS7_S7_ZZZN2at6native31launch_logcumsumexp_cuda_kernelERKNSE_10TensorBaseESI_lENKUlvE_clEvENKUlvE1_clEvEUlS7_S7_E_S7_EEDaPvRmT3_T4_T5_mT6_P12ihipStream_tbENKUlT_T0_E_clISt17integral_constantIbLb0EESY_IbLb1EEEEDaSU_SV_EUlSU_E0_NS1_11comp_targetILNS1_3genE10ELNS1_11target_archE1200ELNS1_3gpuE4ELNS1_3repE0EEENS1_30default_config_static_selectorELNS0_4arch9wavefront6targetE1EEEvT1_,@function
_ZN7rocprim17ROCPRIM_400000_NS6detail17trampoline_kernelINS0_14default_configENS1_20scan_config_selectorIN3c107complexIdEEEEZZNS1_9scan_implILNS1_25lookback_scan_determinismE0ELb0ELb0ES3_PKS7_PS7_S7_ZZZN2at6native31launch_logcumsumexp_cuda_kernelERKNSE_10TensorBaseESI_lENKUlvE_clEvENKUlvE1_clEvEUlS7_S7_E_S7_EEDaPvRmT3_T4_T5_mT6_P12ihipStream_tbENKUlT_T0_E_clISt17integral_constantIbLb0EESY_IbLb1EEEEDaSU_SV_EUlSU_E0_NS1_11comp_targetILNS1_3genE10ELNS1_11target_archE1200ELNS1_3gpuE4ELNS1_3repE0EEENS1_30default_config_static_selectorELNS0_4arch9wavefront6targetE1EEEvT1_: ; @_ZN7rocprim17ROCPRIM_400000_NS6detail17trampoline_kernelINS0_14default_configENS1_20scan_config_selectorIN3c107complexIdEEEEZZNS1_9scan_implILNS1_25lookback_scan_determinismE0ELb0ELb0ES3_PKS7_PS7_S7_ZZZN2at6native31launch_logcumsumexp_cuda_kernelERKNSE_10TensorBaseESI_lENKUlvE_clEvENKUlvE1_clEvEUlS7_S7_E_S7_EEDaPvRmT3_T4_T5_mT6_P12ihipStream_tbENKUlT_T0_E_clISt17integral_constantIbLb0EESY_IbLb1EEEEDaSU_SV_EUlSU_E0_NS1_11comp_targetILNS1_3genE10ELNS1_11target_archE1200ELNS1_3gpuE4ELNS1_3repE0EEENS1_30default_config_static_selectorELNS0_4arch9wavefront6targetE1EEEvT1_
; %bb.0:
	.section	.rodata,"a",@progbits
	.p2align	6, 0x0
	.amdhsa_kernel _ZN7rocprim17ROCPRIM_400000_NS6detail17trampoline_kernelINS0_14default_configENS1_20scan_config_selectorIN3c107complexIdEEEEZZNS1_9scan_implILNS1_25lookback_scan_determinismE0ELb0ELb0ES3_PKS7_PS7_S7_ZZZN2at6native31launch_logcumsumexp_cuda_kernelERKNSE_10TensorBaseESI_lENKUlvE_clEvENKUlvE1_clEvEUlS7_S7_E_S7_EEDaPvRmT3_T4_T5_mT6_P12ihipStream_tbENKUlT_T0_E_clISt17integral_constantIbLb0EESY_IbLb1EEEEDaSU_SV_EUlSU_E0_NS1_11comp_targetILNS1_3genE10ELNS1_11target_archE1200ELNS1_3gpuE4ELNS1_3repE0EEENS1_30default_config_static_selectorELNS0_4arch9wavefront6targetE1EEEvT1_
		.amdhsa_group_segment_fixed_size 0
		.amdhsa_private_segment_fixed_size 0
		.amdhsa_kernarg_size 48
		.amdhsa_user_sgpr_count 2
		.amdhsa_user_sgpr_dispatch_ptr 0
		.amdhsa_user_sgpr_queue_ptr 0
		.amdhsa_user_sgpr_kernarg_segment_ptr 1
		.amdhsa_user_sgpr_dispatch_id 0
		.amdhsa_user_sgpr_kernarg_preload_length 0
		.amdhsa_user_sgpr_kernarg_preload_offset 0
		.amdhsa_user_sgpr_private_segment_size 0
		.amdhsa_uses_dynamic_stack 0
		.amdhsa_enable_private_segment 0
		.amdhsa_system_sgpr_workgroup_id_x 1
		.amdhsa_system_sgpr_workgroup_id_y 0
		.amdhsa_system_sgpr_workgroup_id_z 0
		.amdhsa_system_sgpr_workgroup_info 0
		.amdhsa_system_vgpr_workitem_id 0
		.amdhsa_next_free_vgpr 1
		.amdhsa_next_free_sgpr 0
		.amdhsa_accum_offset 4
		.amdhsa_reserve_vcc 0
		.amdhsa_float_round_mode_32 0
		.amdhsa_float_round_mode_16_64 0
		.amdhsa_float_denorm_mode_32 3
		.amdhsa_float_denorm_mode_16_64 3
		.amdhsa_dx10_clamp 1
		.amdhsa_ieee_mode 1
		.amdhsa_fp16_overflow 0
		.amdhsa_tg_split 0
		.amdhsa_exception_fp_ieee_invalid_op 0
		.amdhsa_exception_fp_denorm_src 0
		.amdhsa_exception_fp_ieee_div_zero 0
		.amdhsa_exception_fp_ieee_overflow 0
		.amdhsa_exception_fp_ieee_underflow 0
		.amdhsa_exception_fp_ieee_inexact 0
		.amdhsa_exception_int_div_zero 0
	.end_amdhsa_kernel
	.section	.text._ZN7rocprim17ROCPRIM_400000_NS6detail17trampoline_kernelINS0_14default_configENS1_20scan_config_selectorIN3c107complexIdEEEEZZNS1_9scan_implILNS1_25lookback_scan_determinismE0ELb0ELb0ES3_PKS7_PS7_S7_ZZZN2at6native31launch_logcumsumexp_cuda_kernelERKNSE_10TensorBaseESI_lENKUlvE_clEvENKUlvE1_clEvEUlS7_S7_E_S7_EEDaPvRmT3_T4_T5_mT6_P12ihipStream_tbENKUlT_T0_E_clISt17integral_constantIbLb0EESY_IbLb1EEEEDaSU_SV_EUlSU_E0_NS1_11comp_targetILNS1_3genE10ELNS1_11target_archE1200ELNS1_3gpuE4ELNS1_3repE0EEENS1_30default_config_static_selectorELNS0_4arch9wavefront6targetE1EEEvT1_,"axG",@progbits,_ZN7rocprim17ROCPRIM_400000_NS6detail17trampoline_kernelINS0_14default_configENS1_20scan_config_selectorIN3c107complexIdEEEEZZNS1_9scan_implILNS1_25lookback_scan_determinismE0ELb0ELb0ES3_PKS7_PS7_S7_ZZZN2at6native31launch_logcumsumexp_cuda_kernelERKNSE_10TensorBaseESI_lENKUlvE_clEvENKUlvE1_clEvEUlS7_S7_E_S7_EEDaPvRmT3_T4_T5_mT6_P12ihipStream_tbENKUlT_T0_E_clISt17integral_constantIbLb0EESY_IbLb1EEEEDaSU_SV_EUlSU_E0_NS1_11comp_targetILNS1_3genE10ELNS1_11target_archE1200ELNS1_3gpuE4ELNS1_3repE0EEENS1_30default_config_static_selectorELNS0_4arch9wavefront6targetE1EEEvT1_,comdat
.Lfunc_end256:
	.size	_ZN7rocprim17ROCPRIM_400000_NS6detail17trampoline_kernelINS0_14default_configENS1_20scan_config_selectorIN3c107complexIdEEEEZZNS1_9scan_implILNS1_25lookback_scan_determinismE0ELb0ELb0ES3_PKS7_PS7_S7_ZZZN2at6native31launch_logcumsumexp_cuda_kernelERKNSE_10TensorBaseESI_lENKUlvE_clEvENKUlvE1_clEvEUlS7_S7_E_S7_EEDaPvRmT3_T4_T5_mT6_P12ihipStream_tbENKUlT_T0_E_clISt17integral_constantIbLb0EESY_IbLb1EEEEDaSU_SV_EUlSU_E0_NS1_11comp_targetILNS1_3genE10ELNS1_11target_archE1200ELNS1_3gpuE4ELNS1_3repE0EEENS1_30default_config_static_selectorELNS0_4arch9wavefront6targetE1EEEvT1_, .Lfunc_end256-_ZN7rocprim17ROCPRIM_400000_NS6detail17trampoline_kernelINS0_14default_configENS1_20scan_config_selectorIN3c107complexIdEEEEZZNS1_9scan_implILNS1_25lookback_scan_determinismE0ELb0ELb0ES3_PKS7_PS7_S7_ZZZN2at6native31launch_logcumsumexp_cuda_kernelERKNSE_10TensorBaseESI_lENKUlvE_clEvENKUlvE1_clEvEUlS7_S7_E_S7_EEDaPvRmT3_T4_T5_mT6_P12ihipStream_tbENKUlT_T0_E_clISt17integral_constantIbLb0EESY_IbLb1EEEEDaSU_SV_EUlSU_E0_NS1_11comp_targetILNS1_3genE10ELNS1_11target_archE1200ELNS1_3gpuE4ELNS1_3repE0EEENS1_30default_config_static_selectorELNS0_4arch9wavefront6targetE1EEEvT1_
                                        ; -- End function
	.set _ZN7rocprim17ROCPRIM_400000_NS6detail17trampoline_kernelINS0_14default_configENS1_20scan_config_selectorIN3c107complexIdEEEEZZNS1_9scan_implILNS1_25lookback_scan_determinismE0ELb0ELb0ES3_PKS7_PS7_S7_ZZZN2at6native31launch_logcumsumexp_cuda_kernelERKNSE_10TensorBaseESI_lENKUlvE_clEvENKUlvE1_clEvEUlS7_S7_E_S7_EEDaPvRmT3_T4_T5_mT6_P12ihipStream_tbENKUlT_T0_E_clISt17integral_constantIbLb0EESY_IbLb1EEEEDaSU_SV_EUlSU_E0_NS1_11comp_targetILNS1_3genE10ELNS1_11target_archE1200ELNS1_3gpuE4ELNS1_3repE0EEENS1_30default_config_static_selectorELNS0_4arch9wavefront6targetE1EEEvT1_.num_vgpr, 0
	.set _ZN7rocprim17ROCPRIM_400000_NS6detail17trampoline_kernelINS0_14default_configENS1_20scan_config_selectorIN3c107complexIdEEEEZZNS1_9scan_implILNS1_25lookback_scan_determinismE0ELb0ELb0ES3_PKS7_PS7_S7_ZZZN2at6native31launch_logcumsumexp_cuda_kernelERKNSE_10TensorBaseESI_lENKUlvE_clEvENKUlvE1_clEvEUlS7_S7_E_S7_EEDaPvRmT3_T4_T5_mT6_P12ihipStream_tbENKUlT_T0_E_clISt17integral_constantIbLb0EESY_IbLb1EEEEDaSU_SV_EUlSU_E0_NS1_11comp_targetILNS1_3genE10ELNS1_11target_archE1200ELNS1_3gpuE4ELNS1_3repE0EEENS1_30default_config_static_selectorELNS0_4arch9wavefront6targetE1EEEvT1_.num_agpr, 0
	.set _ZN7rocprim17ROCPRIM_400000_NS6detail17trampoline_kernelINS0_14default_configENS1_20scan_config_selectorIN3c107complexIdEEEEZZNS1_9scan_implILNS1_25lookback_scan_determinismE0ELb0ELb0ES3_PKS7_PS7_S7_ZZZN2at6native31launch_logcumsumexp_cuda_kernelERKNSE_10TensorBaseESI_lENKUlvE_clEvENKUlvE1_clEvEUlS7_S7_E_S7_EEDaPvRmT3_T4_T5_mT6_P12ihipStream_tbENKUlT_T0_E_clISt17integral_constantIbLb0EESY_IbLb1EEEEDaSU_SV_EUlSU_E0_NS1_11comp_targetILNS1_3genE10ELNS1_11target_archE1200ELNS1_3gpuE4ELNS1_3repE0EEENS1_30default_config_static_selectorELNS0_4arch9wavefront6targetE1EEEvT1_.numbered_sgpr, 0
	.set _ZN7rocprim17ROCPRIM_400000_NS6detail17trampoline_kernelINS0_14default_configENS1_20scan_config_selectorIN3c107complexIdEEEEZZNS1_9scan_implILNS1_25lookback_scan_determinismE0ELb0ELb0ES3_PKS7_PS7_S7_ZZZN2at6native31launch_logcumsumexp_cuda_kernelERKNSE_10TensorBaseESI_lENKUlvE_clEvENKUlvE1_clEvEUlS7_S7_E_S7_EEDaPvRmT3_T4_T5_mT6_P12ihipStream_tbENKUlT_T0_E_clISt17integral_constantIbLb0EESY_IbLb1EEEEDaSU_SV_EUlSU_E0_NS1_11comp_targetILNS1_3genE10ELNS1_11target_archE1200ELNS1_3gpuE4ELNS1_3repE0EEENS1_30default_config_static_selectorELNS0_4arch9wavefront6targetE1EEEvT1_.num_named_barrier, 0
	.set _ZN7rocprim17ROCPRIM_400000_NS6detail17trampoline_kernelINS0_14default_configENS1_20scan_config_selectorIN3c107complexIdEEEEZZNS1_9scan_implILNS1_25lookback_scan_determinismE0ELb0ELb0ES3_PKS7_PS7_S7_ZZZN2at6native31launch_logcumsumexp_cuda_kernelERKNSE_10TensorBaseESI_lENKUlvE_clEvENKUlvE1_clEvEUlS7_S7_E_S7_EEDaPvRmT3_T4_T5_mT6_P12ihipStream_tbENKUlT_T0_E_clISt17integral_constantIbLb0EESY_IbLb1EEEEDaSU_SV_EUlSU_E0_NS1_11comp_targetILNS1_3genE10ELNS1_11target_archE1200ELNS1_3gpuE4ELNS1_3repE0EEENS1_30default_config_static_selectorELNS0_4arch9wavefront6targetE1EEEvT1_.private_seg_size, 0
	.set _ZN7rocprim17ROCPRIM_400000_NS6detail17trampoline_kernelINS0_14default_configENS1_20scan_config_selectorIN3c107complexIdEEEEZZNS1_9scan_implILNS1_25lookback_scan_determinismE0ELb0ELb0ES3_PKS7_PS7_S7_ZZZN2at6native31launch_logcumsumexp_cuda_kernelERKNSE_10TensorBaseESI_lENKUlvE_clEvENKUlvE1_clEvEUlS7_S7_E_S7_EEDaPvRmT3_T4_T5_mT6_P12ihipStream_tbENKUlT_T0_E_clISt17integral_constantIbLb0EESY_IbLb1EEEEDaSU_SV_EUlSU_E0_NS1_11comp_targetILNS1_3genE10ELNS1_11target_archE1200ELNS1_3gpuE4ELNS1_3repE0EEENS1_30default_config_static_selectorELNS0_4arch9wavefront6targetE1EEEvT1_.uses_vcc, 0
	.set _ZN7rocprim17ROCPRIM_400000_NS6detail17trampoline_kernelINS0_14default_configENS1_20scan_config_selectorIN3c107complexIdEEEEZZNS1_9scan_implILNS1_25lookback_scan_determinismE0ELb0ELb0ES3_PKS7_PS7_S7_ZZZN2at6native31launch_logcumsumexp_cuda_kernelERKNSE_10TensorBaseESI_lENKUlvE_clEvENKUlvE1_clEvEUlS7_S7_E_S7_EEDaPvRmT3_T4_T5_mT6_P12ihipStream_tbENKUlT_T0_E_clISt17integral_constantIbLb0EESY_IbLb1EEEEDaSU_SV_EUlSU_E0_NS1_11comp_targetILNS1_3genE10ELNS1_11target_archE1200ELNS1_3gpuE4ELNS1_3repE0EEENS1_30default_config_static_selectorELNS0_4arch9wavefront6targetE1EEEvT1_.uses_flat_scratch, 0
	.set _ZN7rocprim17ROCPRIM_400000_NS6detail17trampoline_kernelINS0_14default_configENS1_20scan_config_selectorIN3c107complexIdEEEEZZNS1_9scan_implILNS1_25lookback_scan_determinismE0ELb0ELb0ES3_PKS7_PS7_S7_ZZZN2at6native31launch_logcumsumexp_cuda_kernelERKNSE_10TensorBaseESI_lENKUlvE_clEvENKUlvE1_clEvEUlS7_S7_E_S7_EEDaPvRmT3_T4_T5_mT6_P12ihipStream_tbENKUlT_T0_E_clISt17integral_constantIbLb0EESY_IbLb1EEEEDaSU_SV_EUlSU_E0_NS1_11comp_targetILNS1_3genE10ELNS1_11target_archE1200ELNS1_3gpuE4ELNS1_3repE0EEENS1_30default_config_static_selectorELNS0_4arch9wavefront6targetE1EEEvT1_.has_dyn_sized_stack, 0
	.set _ZN7rocprim17ROCPRIM_400000_NS6detail17trampoline_kernelINS0_14default_configENS1_20scan_config_selectorIN3c107complexIdEEEEZZNS1_9scan_implILNS1_25lookback_scan_determinismE0ELb0ELb0ES3_PKS7_PS7_S7_ZZZN2at6native31launch_logcumsumexp_cuda_kernelERKNSE_10TensorBaseESI_lENKUlvE_clEvENKUlvE1_clEvEUlS7_S7_E_S7_EEDaPvRmT3_T4_T5_mT6_P12ihipStream_tbENKUlT_T0_E_clISt17integral_constantIbLb0EESY_IbLb1EEEEDaSU_SV_EUlSU_E0_NS1_11comp_targetILNS1_3genE10ELNS1_11target_archE1200ELNS1_3gpuE4ELNS1_3repE0EEENS1_30default_config_static_selectorELNS0_4arch9wavefront6targetE1EEEvT1_.has_recursion, 0
	.set _ZN7rocprim17ROCPRIM_400000_NS6detail17trampoline_kernelINS0_14default_configENS1_20scan_config_selectorIN3c107complexIdEEEEZZNS1_9scan_implILNS1_25lookback_scan_determinismE0ELb0ELb0ES3_PKS7_PS7_S7_ZZZN2at6native31launch_logcumsumexp_cuda_kernelERKNSE_10TensorBaseESI_lENKUlvE_clEvENKUlvE1_clEvEUlS7_S7_E_S7_EEDaPvRmT3_T4_T5_mT6_P12ihipStream_tbENKUlT_T0_E_clISt17integral_constantIbLb0EESY_IbLb1EEEEDaSU_SV_EUlSU_E0_NS1_11comp_targetILNS1_3genE10ELNS1_11target_archE1200ELNS1_3gpuE4ELNS1_3repE0EEENS1_30default_config_static_selectorELNS0_4arch9wavefront6targetE1EEEvT1_.has_indirect_call, 0
	.section	.AMDGPU.csdata,"",@progbits
; Kernel info:
; codeLenInByte = 0
; TotalNumSgprs: 6
; NumVgprs: 0
; NumAgprs: 0
; TotalNumVgprs: 0
; ScratchSize: 0
; MemoryBound: 0
; FloatMode: 240
; IeeeMode: 1
; LDSByteSize: 0 bytes/workgroup (compile time only)
; SGPRBlocks: 0
; VGPRBlocks: 0
; NumSGPRsForWavesPerEU: 6
; NumVGPRsForWavesPerEU: 1
; AccumOffset: 4
; Occupancy: 8
; WaveLimiterHint : 0
; COMPUTE_PGM_RSRC2:SCRATCH_EN: 0
; COMPUTE_PGM_RSRC2:USER_SGPR: 2
; COMPUTE_PGM_RSRC2:TRAP_HANDLER: 0
; COMPUTE_PGM_RSRC2:TGID_X_EN: 1
; COMPUTE_PGM_RSRC2:TGID_Y_EN: 0
; COMPUTE_PGM_RSRC2:TGID_Z_EN: 0
; COMPUTE_PGM_RSRC2:TIDIG_COMP_CNT: 0
; COMPUTE_PGM_RSRC3_GFX90A:ACCUM_OFFSET: 0
; COMPUTE_PGM_RSRC3_GFX90A:TG_SPLIT: 0
	.section	.text._ZN7rocprim17ROCPRIM_400000_NS6detail17trampoline_kernelINS0_14default_configENS1_20scan_config_selectorIN3c107complexIdEEEEZZNS1_9scan_implILNS1_25lookback_scan_determinismE0ELb0ELb0ES3_PKS7_PS7_S7_ZZZN2at6native31launch_logcumsumexp_cuda_kernelERKNSE_10TensorBaseESI_lENKUlvE_clEvENKUlvE1_clEvEUlS7_S7_E_S7_EEDaPvRmT3_T4_T5_mT6_P12ihipStream_tbENKUlT_T0_E_clISt17integral_constantIbLb0EESY_IbLb1EEEEDaSU_SV_EUlSU_E0_NS1_11comp_targetILNS1_3genE9ELNS1_11target_archE1100ELNS1_3gpuE3ELNS1_3repE0EEENS1_30default_config_static_selectorELNS0_4arch9wavefront6targetE1EEEvT1_,"axG",@progbits,_ZN7rocprim17ROCPRIM_400000_NS6detail17trampoline_kernelINS0_14default_configENS1_20scan_config_selectorIN3c107complexIdEEEEZZNS1_9scan_implILNS1_25lookback_scan_determinismE0ELb0ELb0ES3_PKS7_PS7_S7_ZZZN2at6native31launch_logcumsumexp_cuda_kernelERKNSE_10TensorBaseESI_lENKUlvE_clEvENKUlvE1_clEvEUlS7_S7_E_S7_EEDaPvRmT3_T4_T5_mT6_P12ihipStream_tbENKUlT_T0_E_clISt17integral_constantIbLb0EESY_IbLb1EEEEDaSU_SV_EUlSU_E0_NS1_11comp_targetILNS1_3genE9ELNS1_11target_archE1100ELNS1_3gpuE3ELNS1_3repE0EEENS1_30default_config_static_selectorELNS0_4arch9wavefront6targetE1EEEvT1_,comdat
	.globl	_ZN7rocprim17ROCPRIM_400000_NS6detail17trampoline_kernelINS0_14default_configENS1_20scan_config_selectorIN3c107complexIdEEEEZZNS1_9scan_implILNS1_25lookback_scan_determinismE0ELb0ELb0ES3_PKS7_PS7_S7_ZZZN2at6native31launch_logcumsumexp_cuda_kernelERKNSE_10TensorBaseESI_lENKUlvE_clEvENKUlvE1_clEvEUlS7_S7_E_S7_EEDaPvRmT3_T4_T5_mT6_P12ihipStream_tbENKUlT_T0_E_clISt17integral_constantIbLb0EESY_IbLb1EEEEDaSU_SV_EUlSU_E0_NS1_11comp_targetILNS1_3genE9ELNS1_11target_archE1100ELNS1_3gpuE3ELNS1_3repE0EEENS1_30default_config_static_selectorELNS0_4arch9wavefront6targetE1EEEvT1_ ; -- Begin function _ZN7rocprim17ROCPRIM_400000_NS6detail17trampoline_kernelINS0_14default_configENS1_20scan_config_selectorIN3c107complexIdEEEEZZNS1_9scan_implILNS1_25lookback_scan_determinismE0ELb0ELb0ES3_PKS7_PS7_S7_ZZZN2at6native31launch_logcumsumexp_cuda_kernelERKNSE_10TensorBaseESI_lENKUlvE_clEvENKUlvE1_clEvEUlS7_S7_E_S7_EEDaPvRmT3_T4_T5_mT6_P12ihipStream_tbENKUlT_T0_E_clISt17integral_constantIbLb0EESY_IbLb1EEEEDaSU_SV_EUlSU_E0_NS1_11comp_targetILNS1_3genE9ELNS1_11target_archE1100ELNS1_3gpuE3ELNS1_3repE0EEENS1_30default_config_static_selectorELNS0_4arch9wavefront6targetE1EEEvT1_
	.p2align	8
	.type	_ZN7rocprim17ROCPRIM_400000_NS6detail17trampoline_kernelINS0_14default_configENS1_20scan_config_selectorIN3c107complexIdEEEEZZNS1_9scan_implILNS1_25lookback_scan_determinismE0ELb0ELb0ES3_PKS7_PS7_S7_ZZZN2at6native31launch_logcumsumexp_cuda_kernelERKNSE_10TensorBaseESI_lENKUlvE_clEvENKUlvE1_clEvEUlS7_S7_E_S7_EEDaPvRmT3_T4_T5_mT6_P12ihipStream_tbENKUlT_T0_E_clISt17integral_constantIbLb0EESY_IbLb1EEEEDaSU_SV_EUlSU_E0_NS1_11comp_targetILNS1_3genE9ELNS1_11target_archE1100ELNS1_3gpuE3ELNS1_3repE0EEENS1_30default_config_static_selectorELNS0_4arch9wavefront6targetE1EEEvT1_,@function
_ZN7rocprim17ROCPRIM_400000_NS6detail17trampoline_kernelINS0_14default_configENS1_20scan_config_selectorIN3c107complexIdEEEEZZNS1_9scan_implILNS1_25lookback_scan_determinismE0ELb0ELb0ES3_PKS7_PS7_S7_ZZZN2at6native31launch_logcumsumexp_cuda_kernelERKNSE_10TensorBaseESI_lENKUlvE_clEvENKUlvE1_clEvEUlS7_S7_E_S7_EEDaPvRmT3_T4_T5_mT6_P12ihipStream_tbENKUlT_T0_E_clISt17integral_constantIbLb0EESY_IbLb1EEEEDaSU_SV_EUlSU_E0_NS1_11comp_targetILNS1_3genE9ELNS1_11target_archE1100ELNS1_3gpuE3ELNS1_3repE0EEENS1_30default_config_static_selectorELNS0_4arch9wavefront6targetE1EEEvT1_: ; @_ZN7rocprim17ROCPRIM_400000_NS6detail17trampoline_kernelINS0_14default_configENS1_20scan_config_selectorIN3c107complexIdEEEEZZNS1_9scan_implILNS1_25lookback_scan_determinismE0ELb0ELb0ES3_PKS7_PS7_S7_ZZZN2at6native31launch_logcumsumexp_cuda_kernelERKNSE_10TensorBaseESI_lENKUlvE_clEvENKUlvE1_clEvEUlS7_S7_E_S7_EEDaPvRmT3_T4_T5_mT6_P12ihipStream_tbENKUlT_T0_E_clISt17integral_constantIbLb0EESY_IbLb1EEEEDaSU_SV_EUlSU_E0_NS1_11comp_targetILNS1_3genE9ELNS1_11target_archE1100ELNS1_3gpuE3ELNS1_3repE0EEENS1_30default_config_static_selectorELNS0_4arch9wavefront6targetE1EEEvT1_
; %bb.0:
	.section	.rodata,"a",@progbits
	.p2align	6, 0x0
	.amdhsa_kernel _ZN7rocprim17ROCPRIM_400000_NS6detail17trampoline_kernelINS0_14default_configENS1_20scan_config_selectorIN3c107complexIdEEEEZZNS1_9scan_implILNS1_25lookback_scan_determinismE0ELb0ELb0ES3_PKS7_PS7_S7_ZZZN2at6native31launch_logcumsumexp_cuda_kernelERKNSE_10TensorBaseESI_lENKUlvE_clEvENKUlvE1_clEvEUlS7_S7_E_S7_EEDaPvRmT3_T4_T5_mT6_P12ihipStream_tbENKUlT_T0_E_clISt17integral_constantIbLb0EESY_IbLb1EEEEDaSU_SV_EUlSU_E0_NS1_11comp_targetILNS1_3genE9ELNS1_11target_archE1100ELNS1_3gpuE3ELNS1_3repE0EEENS1_30default_config_static_selectorELNS0_4arch9wavefront6targetE1EEEvT1_
		.amdhsa_group_segment_fixed_size 0
		.amdhsa_private_segment_fixed_size 0
		.amdhsa_kernarg_size 48
		.amdhsa_user_sgpr_count 2
		.amdhsa_user_sgpr_dispatch_ptr 0
		.amdhsa_user_sgpr_queue_ptr 0
		.amdhsa_user_sgpr_kernarg_segment_ptr 1
		.amdhsa_user_sgpr_dispatch_id 0
		.amdhsa_user_sgpr_kernarg_preload_length 0
		.amdhsa_user_sgpr_kernarg_preload_offset 0
		.amdhsa_user_sgpr_private_segment_size 0
		.amdhsa_uses_dynamic_stack 0
		.amdhsa_enable_private_segment 0
		.amdhsa_system_sgpr_workgroup_id_x 1
		.amdhsa_system_sgpr_workgroup_id_y 0
		.amdhsa_system_sgpr_workgroup_id_z 0
		.amdhsa_system_sgpr_workgroup_info 0
		.amdhsa_system_vgpr_workitem_id 0
		.amdhsa_next_free_vgpr 1
		.amdhsa_next_free_sgpr 0
		.amdhsa_accum_offset 4
		.amdhsa_reserve_vcc 0
		.amdhsa_float_round_mode_32 0
		.amdhsa_float_round_mode_16_64 0
		.amdhsa_float_denorm_mode_32 3
		.amdhsa_float_denorm_mode_16_64 3
		.amdhsa_dx10_clamp 1
		.amdhsa_ieee_mode 1
		.amdhsa_fp16_overflow 0
		.amdhsa_tg_split 0
		.amdhsa_exception_fp_ieee_invalid_op 0
		.amdhsa_exception_fp_denorm_src 0
		.amdhsa_exception_fp_ieee_div_zero 0
		.amdhsa_exception_fp_ieee_overflow 0
		.amdhsa_exception_fp_ieee_underflow 0
		.amdhsa_exception_fp_ieee_inexact 0
		.amdhsa_exception_int_div_zero 0
	.end_amdhsa_kernel
	.section	.text._ZN7rocprim17ROCPRIM_400000_NS6detail17trampoline_kernelINS0_14default_configENS1_20scan_config_selectorIN3c107complexIdEEEEZZNS1_9scan_implILNS1_25lookback_scan_determinismE0ELb0ELb0ES3_PKS7_PS7_S7_ZZZN2at6native31launch_logcumsumexp_cuda_kernelERKNSE_10TensorBaseESI_lENKUlvE_clEvENKUlvE1_clEvEUlS7_S7_E_S7_EEDaPvRmT3_T4_T5_mT6_P12ihipStream_tbENKUlT_T0_E_clISt17integral_constantIbLb0EESY_IbLb1EEEEDaSU_SV_EUlSU_E0_NS1_11comp_targetILNS1_3genE9ELNS1_11target_archE1100ELNS1_3gpuE3ELNS1_3repE0EEENS1_30default_config_static_selectorELNS0_4arch9wavefront6targetE1EEEvT1_,"axG",@progbits,_ZN7rocprim17ROCPRIM_400000_NS6detail17trampoline_kernelINS0_14default_configENS1_20scan_config_selectorIN3c107complexIdEEEEZZNS1_9scan_implILNS1_25lookback_scan_determinismE0ELb0ELb0ES3_PKS7_PS7_S7_ZZZN2at6native31launch_logcumsumexp_cuda_kernelERKNSE_10TensorBaseESI_lENKUlvE_clEvENKUlvE1_clEvEUlS7_S7_E_S7_EEDaPvRmT3_T4_T5_mT6_P12ihipStream_tbENKUlT_T0_E_clISt17integral_constantIbLb0EESY_IbLb1EEEEDaSU_SV_EUlSU_E0_NS1_11comp_targetILNS1_3genE9ELNS1_11target_archE1100ELNS1_3gpuE3ELNS1_3repE0EEENS1_30default_config_static_selectorELNS0_4arch9wavefront6targetE1EEEvT1_,comdat
.Lfunc_end257:
	.size	_ZN7rocprim17ROCPRIM_400000_NS6detail17trampoline_kernelINS0_14default_configENS1_20scan_config_selectorIN3c107complexIdEEEEZZNS1_9scan_implILNS1_25lookback_scan_determinismE0ELb0ELb0ES3_PKS7_PS7_S7_ZZZN2at6native31launch_logcumsumexp_cuda_kernelERKNSE_10TensorBaseESI_lENKUlvE_clEvENKUlvE1_clEvEUlS7_S7_E_S7_EEDaPvRmT3_T4_T5_mT6_P12ihipStream_tbENKUlT_T0_E_clISt17integral_constantIbLb0EESY_IbLb1EEEEDaSU_SV_EUlSU_E0_NS1_11comp_targetILNS1_3genE9ELNS1_11target_archE1100ELNS1_3gpuE3ELNS1_3repE0EEENS1_30default_config_static_selectorELNS0_4arch9wavefront6targetE1EEEvT1_, .Lfunc_end257-_ZN7rocprim17ROCPRIM_400000_NS6detail17trampoline_kernelINS0_14default_configENS1_20scan_config_selectorIN3c107complexIdEEEEZZNS1_9scan_implILNS1_25lookback_scan_determinismE0ELb0ELb0ES3_PKS7_PS7_S7_ZZZN2at6native31launch_logcumsumexp_cuda_kernelERKNSE_10TensorBaseESI_lENKUlvE_clEvENKUlvE1_clEvEUlS7_S7_E_S7_EEDaPvRmT3_T4_T5_mT6_P12ihipStream_tbENKUlT_T0_E_clISt17integral_constantIbLb0EESY_IbLb1EEEEDaSU_SV_EUlSU_E0_NS1_11comp_targetILNS1_3genE9ELNS1_11target_archE1100ELNS1_3gpuE3ELNS1_3repE0EEENS1_30default_config_static_selectorELNS0_4arch9wavefront6targetE1EEEvT1_
                                        ; -- End function
	.set _ZN7rocprim17ROCPRIM_400000_NS6detail17trampoline_kernelINS0_14default_configENS1_20scan_config_selectorIN3c107complexIdEEEEZZNS1_9scan_implILNS1_25lookback_scan_determinismE0ELb0ELb0ES3_PKS7_PS7_S7_ZZZN2at6native31launch_logcumsumexp_cuda_kernelERKNSE_10TensorBaseESI_lENKUlvE_clEvENKUlvE1_clEvEUlS7_S7_E_S7_EEDaPvRmT3_T4_T5_mT6_P12ihipStream_tbENKUlT_T0_E_clISt17integral_constantIbLb0EESY_IbLb1EEEEDaSU_SV_EUlSU_E0_NS1_11comp_targetILNS1_3genE9ELNS1_11target_archE1100ELNS1_3gpuE3ELNS1_3repE0EEENS1_30default_config_static_selectorELNS0_4arch9wavefront6targetE1EEEvT1_.num_vgpr, 0
	.set _ZN7rocprim17ROCPRIM_400000_NS6detail17trampoline_kernelINS0_14default_configENS1_20scan_config_selectorIN3c107complexIdEEEEZZNS1_9scan_implILNS1_25lookback_scan_determinismE0ELb0ELb0ES3_PKS7_PS7_S7_ZZZN2at6native31launch_logcumsumexp_cuda_kernelERKNSE_10TensorBaseESI_lENKUlvE_clEvENKUlvE1_clEvEUlS7_S7_E_S7_EEDaPvRmT3_T4_T5_mT6_P12ihipStream_tbENKUlT_T0_E_clISt17integral_constantIbLb0EESY_IbLb1EEEEDaSU_SV_EUlSU_E0_NS1_11comp_targetILNS1_3genE9ELNS1_11target_archE1100ELNS1_3gpuE3ELNS1_3repE0EEENS1_30default_config_static_selectorELNS0_4arch9wavefront6targetE1EEEvT1_.num_agpr, 0
	.set _ZN7rocprim17ROCPRIM_400000_NS6detail17trampoline_kernelINS0_14default_configENS1_20scan_config_selectorIN3c107complexIdEEEEZZNS1_9scan_implILNS1_25lookback_scan_determinismE0ELb0ELb0ES3_PKS7_PS7_S7_ZZZN2at6native31launch_logcumsumexp_cuda_kernelERKNSE_10TensorBaseESI_lENKUlvE_clEvENKUlvE1_clEvEUlS7_S7_E_S7_EEDaPvRmT3_T4_T5_mT6_P12ihipStream_tbENKUlT_T0_E_clISt17integral_constantIbLb0EESY_IbLb1EEEEDaSU_SV_EUlSU_E0_NS1_11comp_targetILNS1_3genE9ELNS1_11target_archE1100ELNS1_3gpuE3ELNS1_3repE0EEENS1_30default_config_static_selectorELNS0_4arch9wavefront6targetE1EEEvT1_.numbered_sgpr, 0
	.set _ZN7rocprim17ROCPRIM_400000_NS6detail17trampoline_kernelINS0_14default_configENS1_20scan_config_selectorIN3c107complexIdEEEEZZNS1_9scan_implILNS1_25lookback_scan_determinismE0ELb0ELb0ES3_PKS7_PS7_S7_ZZZN2at6native31launch_logcumsumexp_cuda_kernelERKNSE_10TensorBaseESI_lENKUlvE_clEvENKUlvE1_clEvEUlS7_S7_E_S7_EEDaPvRmT3_T4_T5_mT6_P12ihipStream_tbENKUlT_T0_E_clISt17integral_constantIbLb0EESY_IbLb1EEEEDaSU_SV_EUlSU_E0_NS1_11comp_targetILNS1_3genE9ELNS1_11target_archE1100ELNS1_3gpuE3ELNS1_3repE0EEENS1_30default_config_static_selectorELNS0_4arch9wavefront6targetE1EEEvT1_.num_named_barrier, 0
	.set _ZN7rocprim17ROCPRIM_400000_NS6detail17trampoline_kernelINS0_14default_configENS1_20scan_config_selectorIN3c107complexIdEEEEZZNS1_9scan_implILNS1_25lookback_scan_determinismE0ELb0ELb0ES3_PKS7_PS7_S7_ZZZN2at6native31launch_logcumsumexp_cuda_kernelERKNSE_10TensorBaseESI_lENKUlvE_clEvENKUlvE1_clEvEUlS7_S7_E_S7_EEDaPvRmT3_T4_T5_mT6_P12ihipStream_tbENKUlT_T0_E_clISt17integral_constantIbLb0EESY_IbLb1EEEEDaSU_SV_EUlSU_E0_NS1_11comp_targetILNS1_3genE9ELNS1_11target_archE1100ELNS1_3gpuE3ELNS1_3repE0EEENS1_30default_config_static_selectorELNS0_4arch9wavefront6targetE1EEEvT1_.private_seg_size, 0
	.set _ZN7rocprim17ROCPRIM_400000_NS6detail17trampoline_kernelINS0_14default_configENS1_20scan_config_selectorIN3c107complexIdEEEEZZNS1_9scan_implILNS1_25lookback_scan_determinismE0ELb0ELb0ES3_PKS7_PS7_S7_ZZZN2at6native31launch_logcumsumexp_cuda_kernelERKNSE_10TensorBaseESI_lENKUlvE_clEvENKUlvE1_clEvEUlS7_S7_E_S7_EEDaPvRmT3_T4_T5_mT6_P12ihipStream_tbENKUlT_T0_E_clISt17integral_constantIbLb0EESY_IbLb1EEEEDaSU_SV_EUlSU_E0_NS1_11comp_targetILNS1_3genE9ELNS1_11target_archE1100ELNS1_3gpuE3ELNS1_3repE0EEENS1_30default_config_static_selectorELNS0_4arch9wavefront6targetE1EEEvT1_.uses_vcc, 0
	.set _ZN7rocprim17ROCPRIM_400000_NS6detail17trampoline_kernelINS0_14default_configENS1_20scan_config_selectorIN3c107complexIdEEEEZZNS1_9scan_implILNS1_25lookback_scan_determinismE0ELb0ELb0ES3_PKS7_PS7_S7_ZZZN2at6native31launch_logcumsumexp_cuda_kernelERKNSE_10TensorBaseESI_lENKUlvE_clEvENKUlvE1_clEvEUlS7_S7_E_S7_EEDaPvRmT3_T4_T5_mT6_P12ihipStream_tbENKUlT_T0_E_clISt17integral_constantIbLb0EESY_IbLb1EEEEDaSU_SV_EUlSU_E0_NS1_11comp_targetILNS1_3genE9ELNS1_11target_archE1100ELNS1_3gpuE3ELNS1_3repE0EEENS1_30default_config_static_selectorELNS0_4arch9wavefront6targetE1EEEvT1_.uses_flat_scratch, 0
	.set _ZN7rocprim17ROCPRIM_400000_NS6detail17trampoline_kernelINS0_14default_configENS1_20scan_config_selectorIN3c107complexIdEEEEZZNS1_9scan_implILNS1_25lookback_scan_determinismE0ELb0ELb0ES3_PKS7_PS7_S7_ZZZN2at6native31launch_logcumsumexp_cuda_kernelERKNSE_10TensorBaseESI_lENKUlvE_clEvENKUlvE1_clEvEUlS7_S7_E_S7_EEDaPvRmT3_T4_T5_mT6_P12ihipStream_tbENKUlT_T0_E_clISt17integral_constantIbLb0EESY_IbLb1EEEEDaSU_SV_EUlSU_E0_NS1_11comp_targetILNS1_3genE9ELNS1_11target_archE1100ELNS1_3gpuE3ELNS1_3repE0EEENS1_30default_config_static_selectorELNS0_4arch9wavefront6targetE1EEEvT1_.has_dyn_sized_stack, 0
	.set _ZN7rocprim17ROCPRIM_400000_NS6detail17trampoline_kernelINS0_14default_configENS1_20scan_config_selectorIN3c107complexIdEEEEZZNS1_9scan_implILNS1_25lookback_scan_determinismE0ELb0ELb0ES3_PKS7_PS7_S7_ZZZN2at6native31launch_logcumsumexp_cuda_kernelERKNSE_10TensorBaseESI_lENKUlvE_clEvENKUlvE1_clEvEUlS7_S7_E_S7_EEDaPvRmT3_T4_T5_mT6_P12ihipStream_tbENKUlT_T0_E_clISt17integral_constantIbLb0EESY_IbLb1EEEEDaSU_SV_EUlSU_E0_NS1_11comp_targetILNS1_3genE9ELNS1_11target_archE1100ELNS1_3gpuE3ELNS1_3repE0EEENS1_30default_config_static_selectorELNS0_4arch9wavefront6targetE1EEEvT1_.has_recursion, 0
	.set _ZN7rocprim17ROCPRIM_400000_NS6detail17trampoline_kernelINS0_14default_configENS1_20scan_config_selectorIN3c107complexIdEEEEZZNS1_9scan_implILNS1_25lookback_scan_determinismE0ELb0ELb0ES3_PKS7_PS7_S7_ZZZN2at6native31launch_logcumsumexp_cuda_kernelERKNSE_10TensorBaseESI_lENKUlvE_clEvENKUlvE1_clEvEUlS7_S7_E_S7_EEDaPvRmT3_T4_T5_mT6_P12ihipStream_tbENKUlT_T0_E_clISt17integral_constantIbLb0EESY_IbLb1EEEEDaSU_SV_EUlSU_E0_NS1_11comp_targetILNS1_3genE9ELNS1_11target_archE1100ELNS1_3gpuE3ELNS1_3repE0EEENS1_30default_config_static_selectorELNS0_4arch9wavefront6targetE1EEEvT1_.has_indirect_call, 0
	.section	.AMDGPU.csdata,"",@progbits
; Kernel info:
; codeLenInByte = 0
; TotalNumSgprs: 6
; NumVgprs: 0
; NumAgprs: 0
; TotalNumVgprs: 0
; ScratchSize: 0
; MemoryBound: 0
; FloatMode: 240
; IeeeMode: 1
; LDSByteSize: 0 bytes/workgroup (compile time only)
; SGPRBlocks: 0
; VGPRBlocks: 0
; NumSGPRsForWavesPerEU: 6
; NumVGPRsForWavesPerEU: 1
; AccumOffset: 4
; Occupancy: 8
; WaveLimiterHint : 0
; COMPUTE_PGM_RSRC2:SCRATCH_EN: 0
; COMPUTE_PGM_RSRC2:USER_SGPR: 2
; COMPUTE_PGM_RSRC2:TRAP_HANDLER: 0
; COMPUTE_PGM_RSRC2:TGID_X_EN: 1
; COMPUTE_PGM_RSRC2:TGID_Y_EN: 0
; COMPUTE_PGM_RSRC2:TGID_Z_EN: 0
; COMPUTE_PGM_RSRC2:TIDIG_COMP_CNT: 0
; COMPUTE_PGM_RSRC3_GFX90A:ACCUM_OFFSET: 0
; COMPUTE_PGM_RSRC3_GFX90A:TG_SPLIT: 0
	.section	.text._ZN7rocprim17ROCPRIM_400000_NS6detail17trampoline_kernelINS0_14default_configENS1_20scan_config_selectorIN3c107complexIdEEEEZZNS1_9scan_implILNS1_25lookback_scan_determinismE0ELb0ELb0ES3_PKS7_PS7_S7_ZZZN2at6native31launch_logcumsumexp_cuda_kernelERKNSE_10TensorBaseESI_lENKUlvE_clEvENKUlvE1_clEvEUlS7_S7_E_S7_EEDaPvRmT3_T4_T5_mT6_P12ihipStream_tbENKUlT_T0_E_clISt17integral_constantIbLb0EESY_IbLb1EEEEDaSU_SV_EUlSU_E0_NS1_11comp_targetILNS1_3genE8ELNS1_11target_archE1030ELNS1_3gpuE2ELNS1_3repE0EEENS1_30default_config_static_selectorELNS0_4arch9wavefront6targetE1EEEvT1_,"axG",@progbits,_ZN7rocprim17ROCPRIM_400000_NS6detail17trampoline_kernelINS0_14default_configENS1_20scan_config_selectorIN3c107complexIdEEEEZZNS1_9scan_implILNS1_25lookback_scan_determinismE0ELb0ELb0ES3_PKS7_PS7_S7_ZZZN2at6native31launch_logcumsumexp_cuda_kernelERKNSE_10TensorBaseESI_lENKUlvE_clEvENKUlvE1_clEvEUlS7_S7_E_S7_EEDaPvRmT3_T4_T5_mT6_P12ihipStream_tbENKUlT_T0_E_clISt17integral_constantIbLb0EESY_IbLb1EEEEDaSU_SV_EUlSU_E0_NS1_11comp_targetILNS1_3genE8ELNS1_11target_archE1030ELNS1_3gpuE2ELNS1_3repE0EEENS1_30default_config_static_selectorELNS0_4arch9wavefront6targetE1EEEvT1_,comdat
	.globl	_ZN7rocprim17ROCPRIM_400000_NS6detail17trampoline_kernelINS0_14default_configENS1_20scan_config_selectorIN3c107complexIdEEEEZZNS1_9scan_implILNS1_25lookback_scan_determinismE0ELb0ELb0ES3_PKS7_PS7_S7_ZZZN2at6native31launch_logcumsumexp_cuda_kernelERKNSE_10TensorBaseESI_lENKUlvE_clEvENKUlvE1_clEvEUlS7_S7_E_S7_EEDaPvRmT3_T4_T5_mT6_P12ihipStream_tbENKUlT_T0_E_clISt17integral_constantIbLb0EESY_IbLb1EEEEDaSU_SV_EUlSU_E0_NS1_11comp_targetILNS1_3genE8ELNS1_11target_archE1030ELNS1_3gpuE2ELNS1_3repE0EEENS1_30default_config_static_selectorELNS0_4arch9wavefront6targetE1EEEvT1_ ; -- Begin function _ZN7rocprim17ROCPRIM_400000_NS6detail17trampoline_kernelINS0_14default_configENS1_20scan_config_selectorIN3c107complexIdEEEEZZNS1_9scan_implILNS1_25lookback_scan_determinismE0ELb0ELb0ES3_PKS7_PS7_S7_ZZZN2at6native31launch_logcumsumexp_cuda_kernelERKNSE_10TensorBaseESI_lENKUlvE_clEvENKUlvE1_clEvEUlS7_S7_E_S7_EEDaPvRmT3_T4_T5_mT6_P12ihipStream_tbENKUlT_T0_E_clISt17integral_constantIbLb0EESY_IbLb1EEEEDaSU_SV_EUlSU_E0_NS1_11comp_targetILNS1_3genE8ELNS1_11target_archE1030ELNS1_3gpuE2ELNS1_3repE0EEENS1_30default_config_static_selectorELNS0_4arch9wavefront6targetE1EEEvT1_
	.p2align	8
	.type	_ZN7rocprim17ROCPRIM_400000_NS6detail17trampoline_kernelINS0_14default_configENS1_20scan_config_selectorIN3c107complexIdEEEEZZNS1_9scan_implILNS1_25lookback_scan_determinismE0ELb0ELb0ES3_PKS7_PS7_S7_ZZZN2at6native31launch_logcumsumexp_cuda_kernelERKNSE_10TensorBaseESI_lENKUlvE_clEvENKUlvE1_clEvEUlS7_S7_E_S7_EEDaPvRmT3_T4_T5_mT6_P12ihipStream_tbENKUlT_T0_E_clISt17integral_constantIbLb0EESY_IbLb1EEEEDaSU_SV_EUlSU_E0_NS1_11comp_targetILNS1_3genE8ELNS1_11target_archE1030ELNS1_3gpuE2ELNS1_3repE0EEENS1_30default_config_static_selectorELNS0_4arch9wavefront6targetE1EEEvT1_,@function
_ZN7rocprim17ROCPRIM_400000_NS6detail17trampoline_kernelINS0_14default_configENS1_20scan_config_selectorIN3c107complexIdEEEEZZNS1_9scan_implILNS1_25lookback_scan_determinismE0ELb0ELb0ES3_PKS7_PS7_S7_ZZZN2at6native31launch_logcumsumexp_cuda_kernelERKNSE_10TensorBaseESI_lENKUlvE_clEvENKUlvE1_clEvEUlS7_S7_E_S7_EEDaPvRmT3_T4_T5_mT6_P12ihipStream_tbENKUlT_T0_E_clISt17integral_constantIbLb0EESY_IbLb1EEEEDaSU_SV_EUlSU_E0_NS1_11comp_targetILNS1_3genE8ELNS1_11target_archE1030ELNS1_3gpuE2ELNS1_3repE0EEENS1_30default_config_static_selectorELNS0_4arch9wavefront6targetE1EEEvT1_: ; @_ZN7rocprim17ROCPRIM_400000_NS6detail17trampoline_kernelINS0_14default_configENS1_20scan_config_selectorIN3c107complexIdEEEEZZNS1_9scan_implILNS1_25lookback_scan_determinismE0ELb0ELb0ES3_PKS7_PS7_S7_ZZZN2at6native31launch_logcumsumexp_cuda_kernelERKNSE_10TensorBaseESI_lENKUlvE_clEvENKUlvE1_clEvEUlS7_S7_E_S7_EEDaPvRmT3_T4_T5_mT6_P12ihipStream_tbENKUlT_T0_E_clISt17integral_constantIbLb0EESY_IbLb1EEEEDaSU_SV_EUlSU_E0_NS1_11comp_targetILNS1_3genE8ELNS1_11target_archE1030ELNS1_3gpuE2ELNS1_3repE0EEENS1_30default_config_static_selectorELNS0_4arch9wavefront6targetE1EEEvT1_
; %bb.0:
	.section	.rodata,"a",@progbits
	.p2align	6, 0x0
	.amdhsa_kernel _ZN7rocprim17ROCPRIM_400000_NS6detail17trampoline_kernelINS0_14default_configENS1_20scan_config_selectorIN3c107complexIdEEEEZZNS1_9scan_implILNS1_25lookback_scan_determinismE0ELb0ELb0ES3_PKS7_PS7_S7_ZZZN2at6native31launch_logcumsumexp_cuda_kernelERKNSE_10TensorBaseESI_lENKUlvE_clEvENKUlvE1_clEvEUlS7_S7_E_S7_EEDaPvRmT3_T4_T5_mT6_P12ihipStream_tbENKUlT_T0_E_clISt17integral_constantIbLb0EESY_IbLb1EEEEDaSU_SV_EUlSU_E0_NS1_11comp_targetILNS1_3genE8ELNS1_11target_archE1030ELNS1_3gpuE2ELNS1_3repE0EEENS1_30default_config_static_selectorELNS0_4arch9wavefront6targetE1EEEvT1_
		.amdhsa_group_segment_fixed_size 0
		.amdhsa_private_segment_fixed_size 0
		.amdhsa_kernarg_size 48
		.amdhsa_user_sgpr_count 2
		.amdhsa_user_sgpr_dispatch_ptr 0
		.amdhsa_user_sgpr_queue_ptr 0
		.amdhsa_user_sgpr_kernarg_segment_ptr 1
		.amdhsa_user_sgpr_dispatch_id 0
		.amdhsa_user_sgpr_kernarg_preload_length 0
		.amdhsa_user_sgpr_kernarg_preload_offset 0
		.amdhsa_user_sgpr_private_segment_size 0
		.amdhsa_uses_dynamic_stack 0
		.amdhsa_enable_private_segment 0
		.amdhsa_system_sgpr_workgroup_id_x 1
		.amdhsa_system_sgpr_workgroup_id_y 0
		.amdhsa_system_sgpr_workgroup_id_z 0
		.amdhsa_system_sgpr_workgroup_info 0
		.amdhsa_system_vgpr_workitem_id 0
		.amdhsa_next_free_vgpr 1
		.amdhsa_next_free_sgpr 0
		.amdhsa_accum_offset 4
		.amdhsa_reserve_vcc 0
		.amdhsa_float_round_mode_32 0
		.amdhsa_float_round_mode_16_64 0
		.amdhsa_float_denorm_mode_32 3
		.amdhsa_float_denorm_mode_16_64 3
		.amdhsa_dx10_clamp 1
		.amdhsa_ieee_mode 1
		.amdhsa_fp16_overflow 0
		.amdhsa_tg_split 0
		.amdhsa_exception_fp_ieee_invalid_op 0
		.amdhsa_exception_fp_denorm_src 0
		.amdhsa_exception_fp_ieee_div_zero 0
		.amdhsa_exception_fp_ieee_overflow 0
		.amdhsa_exception_fp_ieee_underflow 0
		.amdhsa_exception_fp_ieee_inexact 0
		.amdhsa_exception_int_div_zero 0
	.end_amdhsa_kernel
	.section	.text._ZN7rocprim17ROCPRIM_400000_NS6detail17trampoline_kernelINS0_14default_configENS1_20scan_config_selectorIN3c107complexIdEEEEZZNS1_9scan_implILNS1_25lookback_scan_determinismE0ELb0ELb0ES3_PKS7_PS7_S7_ZZZN2at6native31launch_logcumsumexp_cuda_kernelERKNSE_10TensorBaseESI_lENKUlvE_clEvENKUlvE1_clEvEUlS7_S7_E_S7_EEDaPvRmT3_T4_T5_mT6_P12ihipStream_tbENKUlT_T0_E_clISt17integral_constantIbLb0EESY_IbLb1EEEEDaSU_SV_EUlSU_E0_NS1_11comp_targetILNS1_3genE8ELNS1_11target_archE1030ELNS1_3gpuE2ELNS1_3repE0EEENS1_30default_config_static_selectorELNS0_4arch9wavefront6targetE1EEEvT1_,"axG",@progbits,_ZN7rocprim17ROCPRIM_400000_NS6detail17trampoline_kernelINS0_14default_configENS1_20scan_config_selectorIN3c107complexIdEEEEZZNS1_9scan_implILNS1_25lookback_scan_determinismE0ELb0ELb0ES3_PKS7_PS7_S7_ZZZN2at6native31launch_logcumsumexp_cuda_kernelERKNSE_10TensorBaseESI_lENKUlvE_clEvENKUlvE1_clEvEUlS7_S7_E_S7_EEDaPvRmT3_T4_T5_mT6_P12ihipStream_tbENKUlT_T0_E_clISt17integral_constantIbLb0EESY_IbLb1EEEEDaSU_SV_EUlSU_E0_NS1_11comp_targetILNS1_3genE8ELNS1_11target_archE1030ELNS1_3gpuE2ELNS1_3repE0EEENS1_30default_config_static_selectorELNS0_4arch9wavefront6targetE1EEEvT1_,comdat
.Lfunc_end258:
	.size	_ZN7rocprim17ROCPRIM_400000_NS6detail17trampoline_kernelINS0_14default_configENS1_20scan_config_selectorIN3c107complexIdEEEEZZNS1_9scan_implILNS1_25lookback_scan_determinismE0ELb0ELb0ES3_PKS7_PS7_S7_ZZZN2at6native31launch_logcumsumexp_cuda_kernelERKNSE_10TensorBaseESI_lENKUlvE_clEvENKUlvE1_clEvEUlS7_S7_E_S7_EEDaPvRmT3_T4_T5_mT6_P12ihipStream_tbENKUlT_T0_E_clISt17integral_constantIbLb0EESY_IbLb1EEEEDaSU_SV_EUlSU_E0_NS1_11comp_targetILNS1_3genE8ELNS1_11target_archE1030ELNS1_3gpuE2ELNS1_3repE0EEENS1_30default_config_static_selectorELNS0_4arch9wavefront6targetE1EEEvT1_, .Lfunc_end258-_ZN7rocprim17ROCPRIM_400000_NS6detail17trampoline_kernelINS0_14default_configENS1_20scan_config_selectorIN3c107complexIdEEEEZZNS1_9scan_implILNS1_25lookback_scan_determinismE0ELb0ELb0ES3_PKS7_PS7_S7_ZZZN2at6native31launch_logcumsumexp_cuda_kernelERKNSE_10TensorBaseESI_lENKUlvE_clEvENKUlvE1_clEvEUlS7_S7_E_S7_EEDaPvRmT3_T4_T5_mT6_P12ihipStream_tbENKUlT_T0_E_clISt17integral_constantIbLb0EESY_IbLb1EEEEDaSU_SV_EUlSU_E0_NS1_11comp_targetILNS1_3genE8ELNS1_11target_archE1030ELNS1_3gpuE2ELNS1_3repE0EEENS1_30default_config_static_selectorELNS0_4arch9wavefront6targetE1EEEvT1_
                                        ; -- End function
	.set _ZN7rocprim17ROCPRIM_400000_NS6detail17trampoline_kernelINS0_14default_configENS1_20scan_config_selectorIN3c107complexIdEEEEZZNS1_9scan_implILNS1_25lookback_scan_determinismE0ELb0ELb0ES3_PKS7_PS7_S7_ZZZN2at6native31launch_logcumsumexp_cuda_kernelERKNSE_10TensorBaseESI_lENKUlvE_clEvENKUlvE1_clEvEUlS7_S7_E_S7_EEDaPvRmT3_T4_T5_mT6_P12ihipStream_tbENKUlT_T0_E_clISt17integral_constantIbLb0EESY_IbLb1EEEEDaSU_SV_EUlSU_E0_NS1_11comp_targetILNS1_3genE8ELNS1_11target_archE1030ELNS1_3gpuE2ELNS1_3repE0EEENS1_30default_config_static_selectorELNS0_4arch9wavefront6targetE1EEEvT1_.num_vgpr, 0
	.set _ZN7rocprim17ROCPRIM_400000_NS6detail17trampoline_kernelINS0_14default_configENS1_20scan_config_selectorIN3c107complexIdEEEEZZNS1_9scan_implILNS1_25lookback_scan_determinismE0ELb0ELb0ES3_PKS7_PS7_S7_ZZZN2at6native31launch_logcumsumexp_cuda_kernelERKNSE_10TensorBaseESI_lENKUlvE_clEvENKUlvE1_clEvEUlS7_S7_E_S7_EEDaPvRmT3_T4_T5_mT6_P12ihipStream_tbENKUlT_T0_E_clISt17integral_constantIbLb0EESY_IbLb1EEEEDaSU_SV_EUlSU_E0_NS1_11comp_targetILNS1_3genE8ELNS1_11target_archE1030ELNS1_3gpuE2ELNS1_3repE0EEENS1_30default_config_static_selectorELNS0_4arch9wavefront6targetE1EEEvT1_.num_agpr, 0
	.set _ZN7rocprim17ROCPRIM_400000_NS6detail17trampoline_kernelINS0_14default_configENS1_20scan_config_selectorIN3c107complexIdEEEEZZNS1_9scan_implILNS1_25lookback_scan_determinismE0ELb0ELb0ES3_PKS7_PS7_S7_ZZZN2at6native31launch_logcumsumexp_cuda_kernelERKNSE_10TensorBaseESI_lENKUlvE_clEvENKUlvE1_clEvEUlS7_S7_E_S7_EEDaPvRmT3_T4_T5_mT6_P12ihipStream_tbENKUlT_T0_E_clISt17integral_constantIbLb0EESY_IbLb1EEEEDaSU_SV_EUlSU_E0_NS1_11comp_targetILNS1_3genE8ELNS1_11target_archE1030ELNS1_3gpuE2ELNS1_3repE0EEENS1_30default_config_static_selectorELNS0_4arch9wavefront6targetE1EEEvT1_.numbered_sgpr, 0
	.set _ZN7rocprim17ROCPRIM_400000_NS6detail17trampoline_kernelINS0_14default_configENS1_20scan_config_selectorIN3c107complexIdEEEEZZNS1_9scan_implILNS1_25lookback_scan_determinismE0ELb0ELb0ES3_PKS7_PS7_S7_ZZZN2at6native31launch_logcumsumexp_cuda_kernelERKNSE_10TensorBaseESI_lENKUlvE_clEvENKUlvE1_clEvEUlS7_S7_E_S7_EEDaPvRmT3_T4_T5_mT6_P12ihipStream_tbENKUlT_T0_E_clISt17integral_constantIbLb0EESY_IbLb1EEEEDaSU_SV_EUlSU_E0_NS1_11comp_targetILNS1_3genE8ELNS1_11target_archE1030ELNS1_3gpuE2ELNS1_3repE0EEENS1_30default_config_static_selectorELNS0_4arch9wavefront6targetE1EEEvT1_.num_named_barrier, 0
	.set _ZN7rocprim17ROCPRIM_400000_NS6detail17trampoline_kernelINS0_14default_configENS1_20scan_config_selectorIN3c107complexIdEEEEZZNS1_9scan_implILNS1_25lookback_scan_determinismE0ELb0ELb0ES3_PKS7_PS7_S7_ZZZN2at6native31launch_logcumsumexp_cuda_kernelERKNSE_10TensorBaseESI_lENKUlvE_clEvENKUlvE1_clEvEUlS7_S7_E_S7_EEDaPvRmT3_T4_T5_mT6_P12ihipStream_tbENKUlT_T0_E_clISt17integral_constantIbLb0EESY_IbLb1EEEEDaSU_SV_EUlSU_E0_NS1_11comp_targetILNS1_3genE8ELNS1_11target_archE1030ELNS1_3gpuE2ELNS1_3repE0EEENS1_30default_config_static_selectorELNS0_4arch9wavefront6targetE1EEEvT1_.private_seg_size, 0
	.set _ZN7rocprim17ROCPRIM_400000_NS6detail17trampoline_kernelINS0_14default_configENS1_20scan_config_selectorIN3c107complexIdEEEEZZNS1_9scan_implILNS1_25lookback_scan_determinismE0ELb0ELb0ES3_PKS7_PS7_S7_ZZZN2at6native31launch_logcumsumexp_cuda_kernelERKNSE_10TensorBaseESI_lENKUlvE_clEvENKUlvE1_clEvEUlS7_S7_E_S7_EEDaPvRmT3_T4_T5_mT6_P12ihipStream_tbENKUlT_T0_E_clISt17integral_constantIbLb0EESY_IbLb1EEEEDaSU_SV_EUlSU_E0_NS1_11comp_targetILNS1_3genE8ELNS1_11target_archE1030ELNS1_3gpuE2ELNS1_3repE0EEENS1_30default_config_static_selectorELNS0_4arch9wavefront6targetE1EEEvT1_.uses_vcc, 0
	.set _ZN7rocprim17ROCPRIM_400000_NS6detail17trampoline_kernelINS0_14default_configENS1_20scan_config_selectorIN3c107complexIdEEEEZZNS1_9scan_implILNS1_25lookback_scan_determinismE0ELb0ELb0ES3_PKS7_PS7_S7_ZZZN2at6native31launch_logcumsumexp_cuda_kernelERKNSE_10TensorBaseESI_lENKUlvE_clEvENKUlvE1_clEvEUlS7_S7_E_S7_EEDaPvRmT3_T4_T5_mT6_P12ihipStream_tbENKUlT_T0_E_clISt17integral_constantIbLb0EESY_IbLb1EEEEDaSU_SV_EUlSU_E0_NS1_11comp_targetILNS1_3genE8ELNS1_11target_archE1030ELNS1_3gpuE2ELNS1_3repE0EEENS1_30default_config_static_selectorELNS0_4arch9wavefront6targetE1EEEvT1_.uses_flat_scratch, 0
	.set _ZN7rocprim17ROCPRIM_400000_NS6detail17trampoline_kernelINS0_14default_configENS1_20scan_config_selectorIN3c107complexIdEEEEZZNS1_9scan_implILNS1_25lookback_scan_determinismE0ELb0ELb0ES3_PKS7_PS7_S7_ZZZN2at6native31launch_logcumsumexp_cuda_kernelERKNSE_10TensorBaseESI_lENKUlvE_clEvENKUlvE1_clEvEUlS7_S7_E_S7_EEDaPvRmT3_T4_T5_mT6_P12ihipStream_tbENKUlT_T0_E_clISt17integral_constantIbLb0EESY_IbLb1EEEEDaSU_SV_EUlSU_E0_NS1_11comp_targetILNS1_3genE8ELNS1_11target_archE1030ELNS1_3gpuE2ELNS1_3repE0EEENS1_30default_config_static_selectorELNS0_4arch9wavefront6targetE1EEEvT1_.has_dyn_sized_stack, 0
	.set _ZN7rocprim17ROCPRIM_400000_NS6detail17trampoline_kernelINS0_14default_configENS1_20scan_config_selectorIN3c107complexIdEEEEZZNS1_9scan_implILNS1_25lookback_scan_determinismE0ELb0ELb0ES3_PKS7_PS7_S7_ZZZN2at6native31launch_logcumsumexp_cuda_kernelERKNSE_10TensorBaseESI_lENKUlvE_clEvENKUlvE1_clEvEUlS7_S7_E_S7_EEDaPvRmT3_T4_T5_mT6_P12ihipStream_tbENKUlT_T0_E_clISt17integral_constantIbLb0EESY_IbLb1EEEEDaSU_SV_EUlSU_E0_NS1_11comp_targetILNS1_3genE8ELNS1_11target_archE1030ELNS1_3gpuE2ELNS1_3repE0EEENS1_30default_config_static_selectorELNS0_4arch9wavefront6targetE1EEEvT1_.has_recursion, 0
	.set _ZN7rocprim17ROCPRIM_400000_NS6detail17trampoline_kernelINS0_14default_configENS1_20scan_config_selectorIN3c107complexIdEEEEZZNS1_9scan_implILNS1_25lookback_scan_determinismE0ELb0ELb0ES3_PKS7_PS7_S7_ZZZN2at6native31launch_logcumsumexp_cuda_kernelERKNSE_10TensorBaseESI_lENKUlvE_clEvENKUlvE1_clEvEUlS7_S7_E_S7_EEDaPvRmT3_T4_T5_mT6_P12ihipStream_tbENKUlT_T0_E_clISt17integral_constantIbLb0EESY_IbLb1EEEEDaSU_SV_EUlSU_E0_NS1_11comp_targetILNS1_3genE8ELNS1_11target_archE1030ELNS1_3gpuE2ELNS1_3repE0EEENS1_30default_config_static_selectorELNS0_4arch9wavefront6targetE1EEEvT1_.has_indirect_call, 0
	.section	.AMDGPU.csdata,"",@progbits
; Kernel info:
; codeLenInByte = 0
; TotalNumSgprs: 6
; NumVgprs: 0
; NumAgprs: 0
; TotalNumVgprs: 0
; ScratchSize: 0
; MemoryBound: 0
; FloatMode: 240
; IeeeMode: 1
; LDSByteSize: 0 bytes/workgroup (compile time only)
; SGPRBlocks: 0
; VGPRBlocks: 0
; NumSGPRsForWavesPerEU: 6
; NumVGPRsForWavesPerEU: 1
; AccumOffset: 4
; Occupancy: 8
; WaveLimiterHint : 0
; COMPUTE_PGM_RSRC2:SCRATCH_EN: 0
; COMPUTE_PGM_RSRC2:USER_SGPR: 2
; COMPUTE_PGM_RSRC2:TRAP_HANDLER: 0
; COMPUTE_PGM_RSRC2:TGID_X_EN: 1
; COMPUTE_PGM_RSRC2:TGID_Y_EN: 0
; COMPUTE_PGM_RSRC2:TGID_Z_EN: 0
; COMPUTE_PGM_RSRC2:TIDIG_COMP_CNT: 0
; COMPUTE_PGM_RSRC3_GFX90A:ACCUM_OFFSET: 0
; COMPUTE_PGM_RSRC3_GFX90A:TG_SPLIT: 0
	.section	.text._ZN2at6native32tensor_kernel_scan_innermost_dimIN3c107complexIdEEZZZNS0_31launch_logcumsumexp_cuda_kernelERKNS_10TensorBaseES7_lENKUlvE_clEvENKUlvE1_clEvEUlS4_S4_E_EEvPT_PKSB_jjjSB_T0_,"axG",@progbits,_ZN2at6native32tensor_kernel_scan_innermost_dimIN3c107complexIdEEZZZNS0_31launch_logcumsumexp_cuda_kernelERKNS_10TensorBaseES7_lENKUlvE_clEvENKUlvE1_clEvEUlS4_S4_E_EEvPT_PKSB_jjjSB_T0_,comdat
	.globl	_ZN2at6native32tensor_kernel_scan_innermost_dimIN3c107complexIdEEZZZNS0_31launch_logcumsumexp_cuda_kernelERKNS_10TensorBaseES7_lENKUlvE_clEvENKUlvE1_clEvEUlS4_S4_E_EEvPT_PKSB_jjjSB_T0_ ; -- Begin function _ZN2at6native32tensor_kernel_scan_innermost_dimIN3c107complexIdEEZZZNS0_31launch_logcumsumexp_cuda_kernelERKNS_10TensorBaseES7_lENKUlvE_clEvENKUlvE1_clEvEUlS4_S4_E_EEvPT_PKSB_jjjSB_T0_
	.p2align	8
	.type	_ZN2at6native32tensor_kernel_scan_innermost_dimIN3c107complexIdEEZZZNS0_31launch_logcumsumexp_cuda_kernelERKNS_10TensorBaseES7_lENKUlvE_clEvENKUlvE1_clEvEUlS4_S4_E_EEvPT_PKSB_jjjSB_T0_,@function
_ZN2at6native32tensor_kernel_scan_innermost_dimIN3c107complexIdEEZZZNS0_31launch_logcumsumexp_cuda_kernelERKNS_10TensorBaseES7_lENKUlvE_clEvENKUlvE1_clEvEUlS4_S4_E_EEvPT_PKSB_jjjSB_T0_: ; @_ZN2at6native32tensor_kernel_scan_innermost_dimIN3c107complexIdEEZZZNS0_31launch_logcumsumexp_cuda_kernelERKNS_10TensorBaseES7_lENKUlvE_clEvENKUlvE1_clEvEUlS4_S4_E_EEvPT_PKSB_jjjSB_T0_
; %bb.0:
	s_load_dwordx8 s[48:55], s[0:1], 0x0
	s_load_dwordx4 s[56:59], s[0:1], 0x20
	v_mov_b32_e32 v40, v0
	v_bfe_u32 v42, v40, 10, 10
	s_mov_b64 s[34:35], s[0:1]
	s_waitcnt lgkmcnt(0)
	s_lshl_b32 s55, 2, s54
	v_mul_lo_u32 v0, s55, v42
	s_mul_hi_u32 s0, s52, s53
	s_mov_b32 s33, s2
	v_lshl_add_u32 v56, v0, 4, 0
	s_cmp_lg_u32 s0, 0
	s_mov_b64 s[0:1], -1
	s_mov_b32 s32, 0
	s_cbranch_scc1 .LBB259_30
; %bb.1:
	s_load_dword s2, s[34:35], 0x44
	s_add_u32 s0, s34, 56
	s_addc_u32 s1, s35, 0
	s_waitcnt lgkmcnt(0)
	s_lshr_b32 s2, s2, 16
	s_mul_i32 s62, s33, s2
	s_cmp_ge_u32 s62, s52
	s_cbranch_scc1 .LBB259_29
; %bb.2:
	s_load_dword s64, s[0:1], 0x0
	s_lshl_b32 s63, 1, s54
	s_cmp_lg_u32 s53, 0
	s_cselect_b64 s[4:5], -1, 0
	v_and_b32_e32 v41, 0x3ff, v40
	v_lshl_add_u32 v43, v41, 4, v56
	s_lshl_b32 s0, s55, 4
	v_cndmask_b32_e64 v0, 0, 1, s[4:5]
	v_lshl_add_u32 v57, s63, 4, v43
	v_cmp_eq_u32_e64 s[36:37], 0, v41
	v_add3_u32 v58, v56, s0, -16
	s_waitcnt lgkmcnt(0)
	s_mul_i32 s64, s64, s2
	s_add_i32 s65, s54, 1
	v_cmp_ne_u32_e64 s[38:39], 1, v0
	v_mov_b32_e32 v45, 0
	s_branch .LBB259_4
.LBB259_3:                              ;   in Loop: Header=BB259_4 Depth=1
	s_add_i32 s62, s62, s64
	s_cmp_ge_u32 s62, s52
	s_cbranch_scc1 .LBB259_29
.LBB259_4:                              ; =>This Loop Header: Depth=1
                                        ;     Child Loop BB259_7 Depth 2
                                        ;       Child Loop BB259_18 Depth 3
	s_and_b64 vcc, exec, s[38:39]
	s_cbranch_vccnz .LBB259_3
; %bb.5:                                ;   in Loop: Header=BB259_4 Depth=1
	v_add_u32_e32 v2, s62, v42
	v_mul_lo_u32 v44, v2, s53
	v_lshlrev_b64 v[0:1], 4, v[44:45]
	v_lshl_add_u64 v[46:47], s[50:51], 0, v[0:1]
	v_lshl_add_u64 v[52:53], s[48:49], 0, v[0:1]
	v_cmp_gt_u32_e64 s[42:43], s52, v2
	v_cmp_le_u32_e64 s[44:45], s52, v2
	s_mov_b32 s66, 0
	v_mov_b64_e32 v[6:7], s[58:59]
	v_mov_b64_e32 v[4:5], s[56:57]
	s_branch .LBB259_7
.LBB259_6:                              ;   in Loop: Header=BB259_7 Depth=2
	s_or_b64 exec, exec, s[0:1]
	ds_read_b128 v[4:7], v58
	s_add_i32 s66, s66, s55
	s_cmp_ge_u32 s66, s53
	s_waitcnt lgkmcnt(0)
	s_barrier
	s_cbranch_scc1 .LBB259_3
.LBB259_7:                              ;   Parent Loop BB259_4 Depth=1
                                        ; =>  This Loop Header: Depth=2
                                        ;       Child Loop BB259_18 Depth 3
	v_add_u32_e32 v44, s66, v41
	v_add_u32_e32 v54, s63, v44
	s_and_saveexec_b64 s[46:47], s[42:43]
	s_cbranch_execz .LBB259_16
; %bb.8:                                ;   in Loop: Header=BB259_7 Depth=2
	v_cmp_le_u32_e32 vcc, s53, v44
	s_and_saveexec_b64 s[0:1], vcc
	s_xor_b64 s[0:1], exec, s[0:1]
; %bb.9:                                ;   in Loop: Header=BB259_7 Depth=2
	v_mov_b32_e32 v0, s56
	v_mov_b32_e32 v1, s57
	;; [unrolled: 1-line block ×4, first 2 shown]
	ds_write_b128 v43, v[0:3]
; %bb.10:                               ;   in Loop: Header=BB259_7 Depth=2
	s_andn2_saveexec_b64 s[0:1], s[0:1]
	s_cbranch_execz .LBB259_12
; %bb.11:                               ;   in Loop: Header=BB259_7 Depth=2
	v_lshl_add_u64 v[0:1], v[44:45], 4, v[46:47]
	global_load_dwordx4 v[0:3], v[0:1], off
	s_waitcnt vmcnt(0)
	ds_write_b128 v43, v[0:3]
.LBB259_12:                             ;   in Loop: Header=BB259_7 Depth=2
	s_or_b64 exec, exec, s[0:1]
	v_cmp_le_u32_e32 vcc, s53, v54
	s_and_saveexec_b64 s[0:1], vcc
	s_xor_b64 s[0:1], exec, s[0:1]
	s_cbranch_execnz .LBB259_27
; %bb.13:                               ;   in Loop: Header=BB259_7 Depth=2
	s_andn2_saveexec_b64 s[0:1], s[0:1]
	s_cbranch_execnz .LBB259_28
.LBB259_14:                             ;   in Loop: Header=BB259_7 Depth=2
	s_or_b64 exec, exec, s[0:1]
	s_and_b64 exec, exec, s[36:37]
	s_cbranch_execz .LBB259_16
.LBB259_15:                             ;   in Loop: Header=BB259_7 Depth=2
	ds_read_b128 v[0:3], v56
	s_getpc_b64 s[0:1]
	s_add_u32 s0, s0, _ZZZZN2at6native31launch_logcumsumexp_cuda_kernelERKNS_10TensorBaseES3_lENKUlvE_clEvENKUlvE1_clEvENKUlN3c107complexIdEES8_E_clES8_S8_@rel32@lo+4
	s_addc_u32 s1, s1, _ZZZZN2at6native31launch_logcumsumexp_cuda_kernelERKNS_10TensorBaseES3_lENKUlvE_clEvENKUlvE1_clEvENKUlN3c107complexIdEES8_E_clES8_S8_@rel32@hi+12
	s_swappc_b64 s[30:31], s[0:1]
	ds_write_b128 v56, v[0:3]
.LBB259_16:                             ;   in Loop: Header=BB259_7 Depth=2
	s_or_b64 exec, exec, s[46:47]
	v_mov_b32_e32 v0, 0
	s_mov_b64 s[46:47], 0
	s_waitcnt lgkmcnt(0)
	s_barrier
	s_branch .LBB259_18
.LBB259_17:                             ;   in Loop: Header=BB259_18 Depth=3
	s_or_b64 exec, exec, s[60:61]
	v_cmp_eq_u32_e32 vcc, s65, v0
	s_or_b64 s[46:47], vcc, s[46:47]
	s_waitcnt lgkmcnt(0)
	s_barrier
	s_andn2_b64 exec, exec, s[46:47]
	s_cbranch_execz .LBB259_22
.LBB259_18:                             ;   Parent Loop BB259_4 Depth=1
                                        ;     Parent Loop BB259_7 Depth=2
                                        ; =>    This Inner Loop Header: Depth=3
	v_add_u32_e32 v55, 1, v0
	s_and_saveexec_b64 s[0:1], s[44:45]
	s_xor_b64 s[0:1], exec, s[0:1]
; %bb.19:                               ;   in Loop: Header=BB259_18 Depth=3
	v_add_u32_e32 v0, 1, v0
                                        ; implicit-def: $vgpr55
; %bb.20:                               ;   in Loop: Header=BB259_18 Depth=3
	s_andn2_saveexec_b64 s[60:61], s[0:1]
	s_cbranch_execz .LBB259_17
; %bb.21:                               ;   in Loop: Header=BB259_18 Depth=3
	v_lshlrev_b32_e64 v1, v0, 1
	v_lshrrev_b32_e32 v2, v0, v41
	v_lshl_or_b32 v1, v2, v55, v1
	v_bfm_b32 v0, v0, 0
	v_and_b32_e32 v0, v0, v41
	v_lshl_add_u32 v4, v1, 4, v56
	v_lshl_add_u32 v59, v0, 4, v4
	v_add_u32_e32 v4, -16, v4
	ds_read_b128 v[0:3], v59
	ds_read_b128 v[4:7], v4
	s_getpc_b64 s[0:1]
	s_add_u32 s0, s0, _ZZZZN2at6native31launch_logcumsumexp_cuda_kernelERKNS_10TensorBaseES3_lENKUlvE_clEvENKUlvE1_clEvENKUlN3c107complexIdEES8_E_clES8_S8_@rel32@lo+4
	s_addc_u32 s1, s1, _ZZZZN2at6native31launch_logcumsumexp_cuda_kernelERKNS_10TensorBaseES3_lENKUlvE_clEvENKUlvE1_clEvENKUlN3c107complexIdEES8_E_clES8_S8_@rel32@hi+12
	s_swappc_b64 s[30:31], s[0:1]
	ds_write_b128 v59, v[0:3]
	v_mov_b32_e32 v0, v55
	s_branch .LBB259_17
.LBB259_22:                             ;   in Loop: Header=BB259_7 Depth=2
	s_or_b64 exec, exec, s[46:47]
	s_and_saveexec_b64 s[0:1], s[42:43]
	s_cbranch_execz .LBB259_6
; %bb.23:                               ;   in Loop: Header=BB259_7 Depth=2
	v_cmp_gt_u32_e32 vcc, s53, v44
	s_and_saveexec_b64 s[2:3], vcc
	s_cbranch_execz .LBB259_25
; %bb.24:                               ;   in Loop: Header=BB259_7 Depth=2
	ds_read_b128 v[0:3], v43
	v_lshl_add_u64 v[4:5], v[44:45], 4, v[52:53]
	s_waitcnt lgkmcnt(0)
	global_store_dwordx4 v[4:5], v[0:3], off
.LBB259_25:                             ;   in Loop: Header=BB259_7 Depth=2
	s_or_b64 exec, exec, s[2:3]
	v_cmp_gt_u32_e32 vcc, s53, v54
	s_and_b64 exec, exec, vcc
	s_cbranch_execz .LBB259_6
; %bb.26:                               ;   in Loop: Header=BB259_7 Depth=2
	ds_read_b128 v[0:3], v57
	v_mov_b32_e32 v55, v45
	v_lshl_add_u64 v[4:5], v[54:55], 4, v[52:53]
	s_waitcnt lgkmcnt(0)
	global_store_dwordx4 v[4:5], v[0:3], off
	s_branch .LBB259_6
.LBB259_27:                             ;   in Loop: Header=BB259_7 Depth=2
	v_mov_b32_e32 v0, s56
	v_mov_b32_e32 v1, s57
	v_mov_b32_e32 v2, s58
	v_mov_b32_e32 v3, s59
	ds_write_b128 v57, v[0:3]
	s_andn2_saveexec_b64 s[0:1], s[0:1]
	s_cbranch_execz .LBB259_14
.LBB259_28:                             ;   in Loop: Header=BB259_7 Depth=2
	v_mov_b32_e32 v55, v45
	v_lshl_add_u64 v[0:1], v[54:55], 4, v[46:47]
	global_load_dwordx4 v[0:3], v[0:1], off
	s_waitcnt vmcnt(0)
	ds_write_b128 v57, v[0:3]
	s_or_b64 exec, exec, s[0:1]
	s_and_b64 exec, exec, s[36:37]
	s_cbranch_execnz .LBB259_15
	s_branch .LBB259_16
.LBB259_29:
	s_mov_b64 s[0:1], 0
.LBB259_30:
	s_andn2_b64 vcc, exec, s[0:1]
	s_cbranch_vccnz .LBB259_61
; %bb.31:
	s_load_dword s2, s[34:35], 0x44
	s_add_u32 s0, s34, 56
	s_mov_b32 s45, 0
	s_addc_u32 s1, s35, 0
	s_mov_b32 s44, s52
	s_waitcnt lgkmcnt(0)
	s_lshr_b32 s2, s2, 16
	s_mul_hi_u32 s47, s2, s33
	s_mul_i32 s46, s2, s33
	v_mov_b64_e32 v[0:1], s[44:45]
	v_cmp_ge_u64_e32 vcc, s[46:47], v[0:1]
	s_cbranch_vccnz .LBB259_61
; %bb.32:
	s_lshl_b32 s60, 1, s54
	s_load_dword s0, s[0:1], 0x0
	s_and_b32 s4, 0xffff, s2
	s_ashr_i32 s61, s60, 31
	s_cmp_lg_u32 s53, 0
	s_mov_b32 s62, s53
	s_cselect_b64 s[2:3], -1, 0
	v_and_b32_e32 v40, 0x3ff, v40
	s_lshl_b64 s[52:53], s[60:61], 1
	v_mov_b32_e32 v43, 0
	v_lshl_add_u32 v57, v40, 4, v56
	s_lshl_b32 s1, s52, 4
	v_cndmask_b32_e64 v0, 0, 1, s[2:3]
	s_mov_b32 s63, s45
	v_mov_b32_e32 v41, v43
	v_lshl_add_u32 v58, s60, 4, v57
	v_cmp_eq_u32_e64 s[34:35], 0, v40
	v_add3_u32 v59, v56, s1, -16
	s_waitcnt lgkmcnt(0)
	s_mul_i32 s33, s0, s4
	s_add_i32 s68, s54, 1
	v_cmp_ne_u32_e64 s[36:37], 1, v0
	s_branch .LBB259_34
.LBB259_33:                             ;   in Loop: Header=BB259_34 Depth=1
	s_add_u32 s46, s46, s33
	s_addc_u32 s47, s47, 0
	v_mov_b64_e32 v[0:1], s[44:45]
	v_cmp_ge_u64_e32 vcc, s[46:47], v[0:1]
	s_cbranch_vccnz .LBB259_61
.LBB259_34:                             ; =>This Loop Header: Depth=1
                                        ;     Child Loop BB259_37 Depth 2
                                        ;       Child Loop BB259_49 Depth 3
	s_and_b64 vcc, exec, s[36:37]
	s_cbranch_vccnz .LBB259_33
; %bb.35:                               ;   in Loop: Header=BB259_34 Depth=1
	v_lshl_add_u64 v[0:1], s[46:47], 0, v[42:43]
	v_mad_u64_u32 v[2:3], s[0:1], v0, s62, 0
	v_mov_b32_e32 v4, v3
	v_mad_u64_u32 v[4:5], s[0:1], v1, s62, v[4:5]
	v_mov_b32_e32 v3, v4
	v_lshlrev_b64 v[2:3], 4, v[2:3]
	v_lshl_add_u64 v[44:45], s[50:51], 0, v[2:3]
	v_lshl_add_u64 v[46:47], s[48:49], 0, v[2:3]
	v_cmp_gt_u64_e64 s[38:39], s[44:45], v[0:1]
	v_cmp_le_u64_e64 s[42:43], s[44:45], v[0:1]
	s_mov_b64 s[54:55], 0
	v_mov_b64_e32 v[6:7], s[58:59]
	v_mov_b64_e32 v[4:5], s[56:57]
	s_branch .LBB259_37
.LBB259_36:                             ;   in Loop: Header=BB259_37 Depth=2
	s_or_b64 exec, exec, s[0:1]
	ds_read_b128 v[4:7], v59
	s_add_u32 s54, s54, s52
	s_addc_u32 s55, s55, s53
	v_mov_b64_e32 v[0:1], s[62:63]
	v_cmp_ge_u64_e32 vcc, s[54:55], v[0:1]
	s_waitcnt lgkmcnt(0)
	s_barrier
	s_cbranch_vccnz .LBB259_33
.LBB259_37:                             ;   Parent Loop BB259_34 Depth=1
                                        ; =>  This Loop Header: Depth=2
                                        ;       Child Loop BB259_49 Depth 3
	v_lshl_add_u64 v[54:55], s[54:55], 0, v[40:41]
	v_lshl_add_u64 v[52:53], v[54:55], 0, s[60:61]
	s_and_saveexec_b64 s[64:65], s[38:39]
	s_cbranch_execz .LBB259_46
; %bb.38:                               ;   in Loop: Header=BB259_37 Depth=2
	v_cmp_le_u64_e32 vcc, s[62:63], v[54:55]
	s_and_saveexec_b64 s[0:1], vcc
	s_xor_b64 s[0:1], exec, s[0:1]
; %bb.39:                               ;   in Loop: Header=BB259_37 Depth=2
	v_mov_b32_e32 v0, s56
	v_mov_b32_e32 v1, s57
	;; [unrolled: 1-line block ×4, first 2 shown]
	ds_write_b128 v57, v[0:3]
; %bb.40:                               ;   in Loop: Header=BB259_37 Depth=2
	s_andn2_saveexec_b64 s[0:1], s[0:1]
	s_cbranch_execz .LBB259_42
; %bb.41:                               ;   in Loop: Header=BB259_37 Depth=2
	v_lshl_add_u64 v[0:1], v[54:55], 4, v[44:45]
	global_load_dwordx4 v[0:3], v[0:1], off
	s_waitcnt vmcnt(0)
	ds_write_b128 v57, v[0:3]
.LBB259_42:                             ;   in Loop: Header=BB259_37 Depth=2
	s_or_b64 exec, exec, s[0:1]
	v_cmp_le_u64_e32 vcc, s[62:63], v[52:53]
	s_and_saveexec_b64 s[0:1], vcc
	s_xor_b64 s[0:1], exec, s[0:1]
	s_cbranch_execnz .LBB259_59
; %bb.43:                               ;   in Loop: Header=BB259_37 Depth=2
	s_andn2_saveexec_b64 s[0:1], s[0:1]
	s_cbranch_execnz .LBB259_60
.LBB259_44:                             ;   in Loop: Header=BB259_37 Depth=2
	s_or_b64 exec, exec, s[0:1]
	s_and_b64 exec, exec, s[34:35]
	s_cbranch_execz .LBB259_46
.LBB259_45:                             ;   in Loop: Header=BB259_37 Depth=2
	ds_read_b128 v[0:3], v56
	s_getpc_b64 s[0:1]
	s_add_u32 s0, s0, _ZZZZN2at6native31launch_logcumsumexp_cuda_kernelERKNS_10TensorBaseES3_lENKUlvE_clEvENKUlvE1_clEvENKUlN3c107complexIdEES8_E_clES8_S8_@rel32@lo+4
	s_addc_u32 s1, s1, _ZZZZN2at6native31launch_logcumsumexp_cuda_kernelERKNS_10TensorBaseES3_lENKUlvE_clEvENKUlvE1_clEvENKUlN3c107complexIdEES8_E_clES8_S8_@rel32@hi+12
	s_swappc_b64 s[30:31], s[0:1]
	ds_write_b128 v56, v[0:3]
.LBB259_46:                             ;   in Loop: Header=BB259_37 Depth=2
	s_or_b64 exec, exec, s[64:65]
	v_mov_b32_e32 v4, 0
	s_mov_b64 s[64:65], 0
	s_waitcnt lgkmcnt(0)
	s_barrier
	s_branch .LBB259_49
.LBB259_47:                             ;   in Loop: Header=BB259_49 Depth=3
	s_or_b64 exec, exec, s[0:1]
	v_lshrrev_b32_e32 v1, v4, v40
	v_lshl_or_b32 v0, v1, v60, v0
	v_lshl_add_u32 v4, v0, 4, v56
	v_lshl_add_u32 v61, v2, 4, v4
	v_add_u32_e32 v4, -16, v4
	ds_read_b128 v[0:3], v61
	ds_read_b128 v[4:7], v4
	s_getpc_b64 s[0:1]
	s_add_u32 s0, s0, _ZZZZN2at6native31launch_logcumsumexp_cuda_kernelERKNS_10TensorBaseES3_lENKUlvE_clEvENKUlvE1_clEvENKUlN3c107complexIdEES8_E_clES8_S8_@rel32@lo+4
	s_addc_u32 s1, s1, _ZZZZN2at6native31launch_logcumsumexp_cuda_kernelERKNS_10TensorBaseES3_lENKUlvE_clEvENKUlvE1_clEvENKUlN3c107complexIdEES8_E_clES8_S8_@rel32@hi+12
	s_swappc_b64 s[30:31], s[0:1]
	ds_write_b128 v61, v[0:3]
.LBB259_48:                             ;   in Loop: Header=BB259_49 Depth=3
	s_or_b64 exec, exec, s[66:67]
	v_cmp_eq_u32_e32 vcc, s68, v60
	s_or_b64 s[64:65], vcc, s[64:65]
	v_mov_b32_e32 v4, v60
	s_waitcnt lgkmcnt(0)
	s_barrier
	s_andn2_b64 exec, exec, s[64:65]
	s_cbranch_execz .LBB259_54
.LBB259_49:                             ;   Parent Loop BB259_34 Depth=1
                                        ;     Parent Loop BB259_37 Depth=2
                                        ; =>    This Inner Loop Header: Depth=3
	v_add_u32_e32 v60, 1, v4
	s_and_saveexec_b64 s[0:1], s[42:43]
	s_xor_b64 s[0:1], exec, s[0:1]
; %bb.50:                               ;   in Loop: Header=BB259_49 Depth=3
	v_add_u32_e32 v60, 1, v4
                                        ; implicit-def: $vgpr4
; %bb.51:                               ;   in Loop: Header=BB259_49 Depth=3
	s_andn2_saveexec_b64 s[66:67], s[0:1]
	s_cbranch_execz .LBB259_48
; %bb.52:                               ;   in Loop: Header=BB259_49 Depth=3
	v_lshlrev_b32_e64 v0, v4, 1
	v_ashrrev_i32_e32 v1, 31, v0
	v_cmp_ge_u64_e32 vcc, v[40:41], v[0:1]
	v_mov_b64_e32 v[2:3], v[40:41]
	s_and_saveexec_b64 s[0:1], vcc
	s_cbranch_execz .LBB259_47
; %bb.53:                               ;   in Loop: Header=BB259_49 Depth=3
	v_cvt_f32_u32_e32 v1, v0
	v_sub_u32_e32 v2, 0, v0
	v_rcp_iflag_f32_e32 v1, v1
	s_nop 0
	v_mul_f32_e32 v1, 0x4f7ffffe, v1
	v_cvt_u32_f32_e32 v1, v1
	v_mul_lo_u32 v2, v2, v1
	v_mul_hi_u32 v2, v1, v2
	v_add_u32_e32 v1, v1, v2
	v_mul_hi_u32 v1, v40, v1
	v_mul_lo_u32 v1, v1, v0
	v_sub_u32_e32 v1, v40, v1
	v_sub_u32_e32 v2, v1, v0
	v_cmp_ge_u32_e32 vcc, v1, v0
	s_nop 1
	v_cndmask_b32_e32 v1, v1, v2, vcc
	v_sub_u32_e32 v2, v1, v0
	v_cmp_ge_u32_e32 vcc, v1, v0
	s_nop 1
	v_cndmask_b32_e32 v2, v1, v2, vcc
	s_branch .LBB259_47
.LBB259_54:                             ;   in Loop: Header=BB259_37 Depth=2
	s_or_b64 exec, exec, s[64:65]
	s_and_saveexec_b64 s[0:1], s[38:39]
	s_cbranch_execz .LBB259_36
; %bb.55:                               ;   in Loop: Header=BB259_37 Depth=2
	v_cmp_gt_u64_e32 vcc, s[62:63], v[54:55]
	s_and_saveexec_b64 s[2:3], vcc
	s_cbranch_execz .LBB259_57
; %bb.56:                               ;   in Loop: Header=BB259_37 Depth=2
	ds_read_b128 v[0:3], v57
	v_lshl_add_u64 v[4:5], v[54:55], 4, v[46:47]
	s_waitcnt lgkmcnt(0)
	global_store_dwordx4 v[4:5], v[0:3], off
.LBB259_57:                             ;   in Loop: Header=BB259_37 Depth=2
	s_or_b64 exec, exec, s[2:3]
	v_cmp_gt_u64_e32 vcc, s[62:63], v[52:53]
	s_and_b64 exec, exec, vcc
	s_cbranch_execz .LBB259_36
; %bb.58:                               ;   in Loop: Header=BB259_37 Depth=2
	ds_read_b128 v[0:3], v58
	v_lshl_add_u64 v[4:5], v[52:53], 4, v[46:47]
	s_waitcnt lgkmcnt(0)
	global_store_dwordx4 v[4:5], v[0:3], off
	s_branch .LBB259_36
.LBB259_59:                             ;   in Loop: Header=BB259_37 Depth=2
	v_mov_b32_e32 v0, s56
	v_mov_b32_e32 v1, s57
	;; [unrolled: 1-line block ×4, first 2 shown]
	ds_write_b128 v58, v[0:3]
	s_andn2_saveexec_b64 s[0:1], s[0:1]
	s_cbranch_execz .LBB259_44
.LBB259_60:                             ;   in Loop: Header=BB259_37 Depth=2
	v_lshl_add_u64 v[0:1], v[52:53], 4, v[44:45]
	global_load_dwordx4 v[0:3], v[0:1], off
	s_waitcnt vmcnt(0)
	ds_write_b128 v58, v[0:3]
	s_or_b64 exec, exec, s[0:1]
	s_and_b64 exec, exec, s[34:35]
	s_cbranch_execnz .LBB259_45
	s_branch .LBB259_46
.LBB259_61:
	s_endpgm
	.section	.rodata,"a",@progbits
	.p2align	6, 0x0
	.amdhsa_kernel _ZN2at6native32tensor_kernel_scan_innermost_dimIN3c107complexIdEEZZZNS0_31launch_logcumsumexp_cuda_kernelERKNS_10TensorBaseES7_lENKUlvE_clEvENKUlvE1_clEvEUlS4_S4_E_EEvPT_PKSB_jjjSB_T0_
		.amdhsa_group_segment_fixed_size 0
		.amdhsa_private_segment_fixed_size 0
		.amdhsa_kernarg_size 312
		.amdhsa_user_sgpr_count 2
		.amdhsa_user_sgpr_dispatch_ptr 0
		.amdhsa_user_sgpr_queue_ptr 0
		.amdhsa_user_sgpr_kernarg_segment_ptr 1
		.amdhsa_user_sgpr_dispatch_id 0
		.amdhsa_user_sgpr_kernarg_preload_length 0
		.amdhsa_user_sgpr_kernarg_preload_offset 0
		.amdhsa_user_sgpr_private_segment_size 0
		.amdhsa_uses_dynamic_stack 0
		.amdhsa_enable_private_segment 0
		.amdhsa_system_sgpr_workgroup_id_x 1
		.amdhsa_system_sgpr_workgroup_id_y 0
		.amdhsa_system_sgpr_workgroup_id_z 0
		.amdhsa_system_sgpr_workgroup_info 0
		.amdhsa_system_vgpr_workitem_id 1
		.amdhsa_next_free_vgpr 62
		.amdhsa_next_free_sgpr 69
		.amdhsa_accum_offset 64
		.amdhsa_reserve_vcc 1
		.amdhsa_float_round_mode_32 0
		.amdhsa_float_round_mode_16_64 0
		.amdhsa_float_denorm_mode_32 3
		.amdhsa_float_denorm_mode_16_64 3
		.amdhsa_dx10_clamp 1
		.amdhsa_ieee_mode 1
		.amdhsa_fp16_overflow 0
		.amdhsa_tg_split 0
		.amdhsa_exception_fp_ieee_invalid_op 0
		.amdhsa_exception_fp_denorm_src 0
		.amdhsa_exception_fp_ieee_div_zero 0
		.amdhsa_exception_fp_ieee_overflow 0
		.amdhsa_exception_fp_ieee_underflow 0
		.amdhsa_exception_fp_ieee_inexact 0
		.amdhsa_exception_int_div_zero 0
	.end_amdhsa_kernel
	.section	.text._ZN2at6native32tensor_kernel_scan_innermost_dimIN3c107complexIdEEZZZNS0_31launch_logcumsumexp_cuda_kernelERKNS_10TensorBaseES7_lENKUlvE_clEvENKUlvE1_clEvEUlS4_S4_E_EEvPT_PKSB_jjjSB_T0_,"axG",@progbits,_ZN2at6native32tensor_kernel_scan_innermost_dimIN3c107complexIdEEZZZNS0_31launch_logcumsumexp_cuda_kernelERKNS_10TensorBaseES7_lENKUlvE_clEvENKUlvE1_clEvEUlS4_S4_E_EEvPT_PKSB_jjjSB_T0_,comdat
.Lfunc_end259:
	.size	_ZN2at6native32tensor_kernel_scan_innermost_dimIN3c107complexIdEEZZZNS0_31launch_logcumsumexp_cuda_kernelERKNS_10TensorBaseES7_lENKUlvE_clEvENKUlvE1_clEvEUlS4_S4_E_EEvPT_PKSB_jjjSB_T0_, .Lfunc_end259-_ZN2at6native32tensor_kernel_scan_innermost_dimIN3c107complexIdEEZZZNS0_31launch_logcumsumexp_cuda_kernelERKNS_10TensorBaseES7_lENKUlvE_clEvENKUlvE1_clEvEUlS4_S4_E_EEvPT_PKSB_jjjSB_T0_
                                        ; -- End function
	.set _ZN2at6native32tensor_kernel_scan_innermost_dimIN3c107complexIdEEZZZNS0_31launch_logcumsumexp_cuda_kernelERKNS_10TensorBaseES7_lENKUlvE_clEvENKUlvE1_clEvEUlS4_S4_E_EEvPT_PKSB_jjjSB_T0_.num_vgpr, max(62, .L_ZZZZN2at6native31launch_logcumsumexp_cuda_kernelERKNS_10TensorBaseES3_lENKUlvE_clEvENKUlvE1_clEvENKUlN3c107complexIdEES8_E_clES8_S8_.num_vgpr)
	.set _ZN2at6native32tensor_kernel_scan_innermost_dimIN3c107complexIdEEZZZNS0_31launch_logcumsumexp_cuda_kernelERKNS_10TensorBaseES7_lENKUlvE_clEvENKUlvE1_clEvEUlS4_S4_E_EEvPT_PKSB_jjjSB_T0_.num_agpr, max(0, .L_ZZZZN2at6native31launch_logcumsumexp_cuda_kernelERKNS_10TensorBaseES3_lENKUlvE_clEvENKUlvE1_clEvENKUlN3c107complexIdEES8_E_clES8_S8_.num_agpr)
	.set _ZN2at6native32tensor_kernel_scan_innermost_dimIN3c107complexIdEEZZZNS0_31launch_logcumsumexp_cuda_kernelERKNS_10TensorBaseES7_lENKUlvE_clEvENKUlvE1_clEvEUlS4_S4_E_EEvPT_PKSB_jjjSB_T0_.numbered_sgpr, max(69, .L_ZZZZN2at6native31launch_logcumsumexp_cuda_kernelERKNS_10TensorBaseES3_lENKUlvE_clEvENKUlvE1_clEvENKUlN3c107complexIdEES8_E_clES8_S8_.numbered_sgpr)
	.set _ZN2at6native32tensor_kernel_scan_innermost_dimIN3c107complexIdEEZZZNS0_31launch_logcumsumexp_cuda_kernelERKNS_10TensorBaseES7_lENKUlvE_clEvENKUlvE1_clEvEUlS4_S4_E_EEvPT_PKSB_jjjSB_T0_.num_named_barrier, max(0, .L_ZZZZN2at6native31launch_logcumsumexp_cuda_kernelERKNS_10TensorBaseES3_lENKUlvE_clEvENKUlvE1_clEvENKUlN3c107complexIdEES8_E_clES8_S8_.num_named_barrier)
	.set _ZN2at6native32tensor_kernel_scan_innermost_dimIN3c107complexIdEEZZZNS0_31launch_logcumsumexp_cuda_kernelERKNS_10TensorBaseES7_lENKUlvE_clEvENKUlvE1_clEvEUlS4_S4_E_EEvPT_PKSB_jjjSB_T0_.private_seg_size, 0+max(.L_ZZZZN2at6native31launch_logcumsumexp_cuda_kernelERKNS_10TensorBaseES3_lENKUlvE_clEvENKUlvE1_clEvENKUlN3c107complexIdEES8_E_clES8_S8_.private_seg_size)
	.set _ZN2at6native32tensor_kernel_scan_innermost_dimIN3c107complexIdEEZZZNS0_31launch_logcumsumexp_cuda_kernelERKNS_10TensorBaseES7_lENKUlvE_clEvENKUlvE1_clEvEUlS4_S4_E_EEvPT_PKSB_jjjSB_T0_.uses_vcc, or(1, .L_ZZZZN2at6native31launch_logcumsumexp_cuda_kernelERKNS_10TensorBaseES3_lENKUlvE_clEvENKUlvE1_clEvENKUlN3c107complexIdEES8_E_clES8_S8_.uses_vcc)
	.set _ZN2at6native32tensor_kernel_scan_innermost_dimIN3c107complexIdEEZZZNS0_31launch_logcumsumexp_cuda_kernelERKNS_10TensorBaseES7_lENKUlvE_clEvENKUlvE1_clEvEUlS4_S4_E_EEvPT_PKSB_jjjSB_T0_.uses_flat_scratch, or(0, .L_ZZZZN2at6native31launch_logcumsumexp_cuda_kernelERKNS_10TensorBaseES3_lENKUlvE_clEvENKUlvE1_clEvENKUlN3c107complexIdEES8_E_clES8_S8_.uses_flat_scratch)
	.set _ZN2at6native32tensor_kernel_scan_innermost_dimIN3c107complexIdEEZZZNS0_31launch_logcumsumexp_cuda_kernelERKNS_10TensorBaseES7_lENKUlvE_clEvENKUlvE1_clEvEUlS4_S4_E_EEvPT_PKSB_jjjSB_T0_.has_dyn_sized_stack, or(0, .L_ZZZZN2at6native31launch_logcumsumexp_cuda_kernelERKNS_10TensorBaseES3_lENKUlvE_clEvENKUlvE1_clEvENKUlN3c107complexIdEES8_E_clES8_S8_.has_dyn_sized_stack)
	.set _ZN2at6native32tensor_kernel_scan_innermost_dimIN3c107complexIdEEZZZNS0_31launch_logcumsumexp_cuda_kernelERKNS_10TensorBaseES7_lENKUlvE_clEvENKUlvE1_clEvEUlS4_S4_E_EEvPT_PKSB_jjjSB_T0_.has_recursion, or(0, .L_ZZZZN2at6native31launch_logcumsumexp_cuda_kernelERKNS_10TensorBaseES3_lENKUlvE_clEvENKUlvE1_clEvENKUlN3c107complexIdEES8_E_clES8_S8_.has_recursion)
	.set _ZN2at6native32tensor_kernel_scan_innermost_dimIN3c107complexIdEEZZZNS0_31launch_logcumsumexp_cuda_kernelERKNS_10TensorBaseES7_lENKUlvE_clEvENKUlvE1_clEvEUlS4_S4_E_EEvPT_PKSB_jjjSB_T0_.has_indirect_call, or(0, .L_ZZZZN2at6native31launch_logcumsumexp_cuda_kernelERKNS_10TensorBaseES3_lENKUlvE_clEvENKUlvE1_clEvENKUlN3c107complexIdEES8_E_clES8_S8_.has_indirect_call)
	.section	.AMDGPU.csdata,"",@progbits
; Kernel info:
; codeLenInByte = 1872
; TotalNumSgprs: 75
; NumVgprs: 62
; NumAgprs: 0
; TotalNumVgprs: 62
; ScratchSize: 0
; MemoryBound: 0
; FloatMode: 240
; IeeeMode: 1
; LDSByteSize: 0 bytes/workgroup (compile time only)
; SGPRBlocks: 9
; VGPRBlocks: 7
; NumSGPRsForWavesPerEU: 75
; NumVGPRsForWavesPerEU: 62
; AccumOffset: 64
; Occupancy: 8
; WaveLimiterHint : 0
; COMPUTE_PGM_RSRC2:SCRATCH_EN: 0
; COMPUTE_PGM_RSRC2:USER_SGPR: 2
; COMPUTE_PGM_RSRC2:TRAP_HANDLER: 0
; COMPUTE_PGM_RSRC2:TGID_X_EN: 1
; COMPUTE_PGM_RSRC2:TGID_Y_EN: 0
; COMPUTE_PGM_RSRC2:TGID_Z_EN: 0
; COMPUTE_PGM_RSRC2:TIDIG_COMP_CNT: 1
; COMPUTE_PGM_RSRC3_GFX90A:ACCUM_OFFSET: 15
; COMPUTE_PGM_RSRC3_GFX90A:TG_SPLIT: 0
	.section	.text._ZN2at6native28tensor_kernel_scan_outer_dimIN3c107complexIdEEjZZZNS0_31launch_logcumsumexp_cuda_kernelERKNS_10TensorBaseES7_lENKUlvE_clEvENKUlvE1_clEvEUlS4_S4_E_EEvPT_PKSB_jjjSB_T1_,"axG",@progbits,_ZN2at6native28tensor_kernel_scan_outer_dimIN3c107complexIdEEjZZZNS0_31launch_logcumsumexp_cuda_kernelERKNS_10TensorBaseES7_lENKUlvE_clEvENKUlvE1_clEvEUlS4_S4_E_EEvPT_PKSB_jjjSB_T1_,comdat
	.globl	_ZN2at6native28tensor_kernel_scan_outer_dimIN3c107complexIdEEjZZZNS0_31launch_logcumsumexp_cuda_kernelERKNS_10TensorBaseES7_lENKUlvE_clEvENKUlvE1_clEvEUlS4_S4_E_EEvPT_PKSB_jjjSB_T1_ ; -- Begin function _ZN2at6native28tensor_kernel_scan_outer_dimIN3c107complexIdEEjZZZNS0_31launch_logcumsumexp_cuda_kernelERKNS_10TensorBaseES7_lENKUlvE_clEvENKUlvE1_clEvEUlS4_S4_E_EEvPT_PKSB_jjjSB_T1_
	.p2align	8
	.type	_ZN2at6native28tensor_kernel_scan_outer_dimIN3c107complexIdEEjZZZNS0_31launch_logcumsumexp_cuda_kernelERKNS_10TensorBaseES7_lENKUlvE_clEvENKUlvE1_clEvEUlS4_S4_E_EEvPT_PKSB_jjjSB_T1_,@function
_ZN2at6native28tensor_kernel_scan_outer_dimIN3c107complexIdEEjZZZNS0_31launch_logcumsumexp_cuda_kernelERKNS_10TensorBaseES7_lENKUlvE_clEvENKUlvE1_clEvEUlS4_S4_E_EEvPT_PKSB_jjjSB_T1_: ; @_ZN2at6native28tensor_kernel_scan_outer_dimIN3c107complexIdEEjZZZNS0_31launch_logcumsumexp_cuda_kernelERKNS_10TensorBaseES7_lENKUlvE_clEvENKUlvE1_clEvEUlS4_S4_E_EEvPT_PKSB_jjjSB_T1_
; %bb.0:
	s_load_dwordx4 s[44:47], s[0:1], 0x10
	s_mov_b32 s32, 0
	s_waitcnt lgkmcnt(0)
	s_cmp_ge_u32 s2, s44
	s_cbranch_scc1 .LBB260_9
; %bb.1:
	s_mov_b32 s33, s2
	s_load_dword s47, s[0:1], 0x38
	s_load_dword s2, s[0:1], 0x44
	s_load_dwordx4 s[48:51], s[0:1], 0x0
	s_load_dwordx4 s[52:55], s[0:1], 0x20
	s_add_u32 s38, s0, 56
	s_addc_u32 s39, s1, 0
	s_waitcnt lgkmcnt(0)
	s_and_b32 s64, s2, 0xffff
	s_cmp_lg_u32 s46, 0
	s_mul_i32 s3, s3, s64
	s_cselect_b64 s[0:1], -1, 0
	s_mul_i32 s2, s33, s46
	v_add_u32_e32 v44, s3, v0
	s_mov_b32 s43, 0
	s_mov_b32 s42, s45
	s_mul_i32 s2, s2, s45
	s_mul_i32 s65, s47, s46
	v_cndmask_b32_e64 v0, 0, 1, s[0:1]
	v_cmp_gt_u32_e64 s[34:35], s45, v44
	s_mul_i32 s65, s65, s45
	s_lshl_b64 s[56:57], s[42:43], 4
	v_cmp_ne_u32_e64 s[36:37], 1, v0
	v_mov_b32_e32 v41, 0
	s_mov_b32 s42, s2
	s_branch .LBB260_3
.LBB260_2:                              ;   in Loop: Header=BB260_3 Depth=1
	s_or_b64 exec, exec, s[58:59]
	s_add_i32 s33, s47, s33
	s_add_i32 s42, s42, s65
	s_cmp_ge_u32 s33, s44
	s_cbranch_scc1 .LBB260_9
.LBB260_3:                              ; =>This Loop Header: Depth=1
                                        ;     Child Loop BB260_6 Depth 2
                                        ;       Child Loop BB260_8 Depth 3
	s_and_saveexec_b64 s[58:59], s[34:35]
	s_cbranch_execz .LBB260_2
; %bb.4:                                ;   in Loop: Header=BB260_3 Depth=1
	s_load_dword s66, s[38:39], 0x4
	s_lshl_b64 s[60:61], s[42:43], 4
	s_mov_b64 s[62:63], 0
	v_mov_b32_e32 v40, v44
	s_waitcnt lgkmcnt(0)
	s_mul_i32 s66, s66, s64
	s_branch .LBB260_6
.LBB260_5:                              ;   in Loop: Header=BB260_6 Depth=2
	v_add_u32_e32 v40, s66, v40
	v_cmp_le_u32_e32 vcc, s45, v40
	s_or_b64 s[62:63], vcc, s[62:63]
	s_andn2_b64 exec, exec, s[62:63]
	s_cbranch_execz .LBB260_2
.LBB260_6:                              ;   Parent Loop BB260_3 Depth=1
                                        ; =>  This Loop Header: Depth=2
                                        ;       Child Loop BB260_8 Depth 3
	s_and_b64 vcc, exec, s[36:37]
	s_cbranch_vccnz .LBB260_5
; %bb.7:                                ;   in Loop: Header=BB260_6 Depth=2
	v_lshl_add_u64 v[42:43], v[40:41], 4, s[60:61]
	v_mov_b64_e32 v[2:3], s[54:55]
	v_mov_b64_e32 v[0:1], s[52:53]
	s_mov_b32 s67, s46
.LBB260_8:                              ;   Parent Loop BB260_3 Depth=1
                                        ;     Parent Loop BB260_6 Depth=2
                                        ; =>    This Inner Loop Header: Depth=3
	v_lshl_add_u64 v[4:5], s[50:51], 0, v[42:43]
	global_load_dwordx4 v[4:7], v[4:5], off
	s_getpc_b64 s[0:1]
	s_add_u32 s0, s0, _ZZZZN2at6native31launch_logcumsumexp_cuda_kernelERKNS_10TensorBaseES3_lENKUlvE_clEvENKUlvE1_clEvENKUlN3c107complexIdEES8_E_clES8_S8_@rel32@lo+4
	s_addc_u32 s1, s1, _ZZZZN2at6native31launch_logcumsumexp_cuda_kernelERKNS_10TensorBaseES3_lENKUlvE_clEvENKUlvE1_clEvENKUlN3c107complexIdEES8_E_clES8_S8_@rel32@hi+12
	v_lshl_add_u64 v[46:47], s[48:49], 0, v[42:43]
	s_swappc_b64 s[30:31], s[0:1]
	s_add_i32 s67, s67, -1
	s_cmp_eq_u32 s67, 0
	v_lshl_add_u64 v[42:43], v[42:43], 0, s[56:57]
	global_store_dwordx4 v[46:47], v[0:3], off
	s_cbranch_scc0 .LBB260_8
	s_branch .LBB260_5
.LBB260_9:
	s_endpgm
	.section	.rodata,"a",@progbits
	.p2align	6, 0x0
	.amdhsa_kernel _ZN2at6native28tensor_kernel_scan_outer_dimIN3c107complexIdEEjZZZNS0_31launch_logcumsumexp_cuda_kernelERKNS_10TensorBaseES7_lENKUlvE_clEvENKUlvE1_clEvEUlS4_S4_E_EEvPT_PKSB_jjjSB_T1_
		.amdhsa_group_segment_fixed_size 0
		.amdhsa_private_segment_fixed_size 0
		.amdhsa_kernarg_size 312
		.amdhsa_user_sgpr_count 2
		.amdhsa_user_sgpr_dispatch_ptr 0
		.amdhsa_user_sgpr_queue_ptr 0
		.amdhsa_user_sgpr_kernarg_segment_ptr 1
		.amdhsa_user_sgpr_dispatch_id 0
		.amdhsa_user_sgpr_kernarg_preload_length 0
		.amdhsa_user_sgpr_kernarg_preload_offset 0
		.amdhsa_user_sgpr_private_segment_size 0
		.amdhsa_uses_dynamic_stack 0
		.amdhsa_enable_private_segment 0
		.amdhsa_system_sgpr_workgroup_id_x 1
		.amdhsa_system_sgpr_workgroup_id_y 1
		.amdhsa_system_sgpr_workgroup_id_z 0
		.amdhsa_system_sgpr_workgroup_info 0
		.amdhsa_system_vgpr_workitem_id 0
		.amdhsa_next_free_vgpr 52
		.amdhsa_next_free_sgpr 68
		.amdhsa_accum_offset 52
		.amdhsa_reserve_vcc 1
		.amdhsa_float_round_mode_32 0
		.amdhsa_float_round_mode_16_64 0
		.amdhsa_float_denorm_mode_32 3
		.amdhsa_float_denorm_mode_16_64 3
		.amdhsa_dx10_clamp 1
		.amdhsa_ieee_mode 1
		.amdhsa_fp16_overflow 0
		.amdhsa_tg_split 0
		.amdhsa_exception_fp_ieee_invalid_op 0
		.amdhsa_exception_fp_denorm_src 0
		.amdhsa_exception_fp_ieee_div_zero 0
		.amdhsa_exception_fp_ieee_overflow 0
		.amdhsa_exception_fp_ieee_underflow 0
		.amdhsa_exception_fp_ieee_inexact 0
		.amdhsa_exception_int_div_zero 0
	.end_amdhsa_kernel
	.section	.text._ZN2at6native28tensor_kernel_scan_outer_dimIN3c107complexIdEEjZZZNS0_31launch_logcumsumexp_cuda_kernelERKNS_10TensorBaseES7_lENKUlvE_clEvENKUlvE1_clEvEUlS4_S4_E_EEvPT_PKSB_jjjSB_T1_,"axG",@progbits,_ZN2at6native28tensor_kernel_scan_outer_dimIN3c107complexIdEEjZZZNS0_31launch_logcumsumexp_cuda_kernelERKNS_10TensorBaseES7_lENKUlvE_clEvENKUlvE1_clEvEUlS4_S4_E_EEvPT_PKSB_jjjSB_T1_,comdat
.Lfunc_end260:
	.size	_ZN2at6native28tensor_kernel_scan_outer_dimIN3c107complexIdEEjZZZNS0_31launch_logcumsumexp_cuda_kernelERKNS_10TensorBaseES7_lENKUlvE_clEvENKUlvE1_clEvEUlS4_S4_E_EEvPT_PKSB_jjjSB_T1_, .Lfunc_end260-_ZN2at6native28tensor_kernel_scan_outer_dimIN3c107complexIdEEjZZZNS0_31launch_logcumsumexp_cuda_kernelERKNS_10TensorBaseES7_lENKUlvE_clEvENKUlvE1_clEvEUlS4_S4_E_EEvPT_PKSB_jjjSB_T1_
                                        ; -- End function
	.set _ZN2at6native28tensor_kernel_scan_outer_dimIN3c107complexIdEEjZZZNS0_31launch_logcumsumexp_cuda_kernelERKNS_10TensorBaseES7_lENKUlvE_clEvENKUlvE1_clEvEUlS4_S4_E_EEvPT_PKSB_jjjSB_T1_.num_vgpr, max(48, .L_ZZZZN2at6native31launch_logcumsumexp_cuda_kernelERKNS_10TensorBaseES3_lENKUlvE_clEvENKUlvE1_clEvENKUlN3c107complexIdEES8_E_clES8_S8_.num_vgpr)
	.set _ZN2at6native28tensor_kernel_scan_outer_dimIN3c107complexIdEEjZZZNS0_31launch_logcumsumexp_cuda_kernelERKNS_10TensorBaseES7_lENKUlvE_clEvENKUlvE1_clEvEUlS4_S4_E_EEvPT_PKSB_jjjSB_T1_.num_agpr, max(0, .L_ZZZZN2at6native31launch_logcumsumexp_cuda_kernelERKNS_10TensorBaseES3_lENKUlvE_clEvENKUlvE1_clEvENKUlN3c107complexIdEES8_E_clES8_S8_.num_agpr)
	.set _ZN2at6native28tensor_kernel_scan_outer_dimIN3c107complexIdEEjZZZNS0_31launch_logcumsumexp_cuda_kernelERKNS_10TensorBaseES7_lENKUlvE_clEvENKUlvE1_clEvEUlS4_S4_E_EEvPT_PKSB_jjjSB_T1_.numbered_sgpr, max(68, .L_ZZZZN2at6native31launch_logcumsumexp_cuda_kernelERKNS_10TensorBaseES3_lENKUlvE_clEvENKUlvE1_clEvENKUlN3c107complexIdEES8_E_clES8_S8_.numbered_sgpr)
	.set _ZN2at6native28tensor_kernel_scan_outer_dimIN3c107complexIdEEjZZZNS0_31launch_logcumsumexp_cuda_kernelERKNS_10TensorBaseES7_lENKUlvE_clEvENKUlvE1_clEvEUlS4_S4_E_EEvPT_PKSB_jjjSB_T1_.num_named_barrier, max(0, .L_ZZZZN2at6native31launch_logcumsumexp_cuda_kernelERKNS_10TensorBaseES3_lENKUlvE_clEvENKUlvE1_clEvENKUlN3c107complexIdEES8_E_clES8_S8_.num_named_barrier)
	.set _ZN2at6native28tensor_kernel_scan_outer_dimIN3c107complexIdEEjZZZNS0_31launch_logcumsumexp_cuda_kernelERKNS_10TensorBaseES7_lENKUlvE_clEvENKUlvE1_clEvEUlS4_S4_E_EEvPT_PKSB_jjjSB_T1_.private_seg_size, 0+max(.L_ZZZZN2at6native31launch_logcumsumexp_cuda_kernelERKNS_10TensorBaseES3_lENKUlvE_clEvENKUlvE1_clEvENKUlN3c107complexIdEES8_E_clES8_S8_.private_seg_size)
	.set _ZN2at6native28tensor_kernel_scan_outer_dimIN3c107complexIdEEjZZZNS0_31launch_logcumsumexp_cuda_kernelERKNS_10TensorBaseES7_lENKUlvE_clEvENKUlvE1_clEvEUlS4_S4_E_EEvPT_PKSB_jjjSB_T1_.uses_vcc, or(1, .L_ZZZZN2at6native31launch_logcumsumexp_cuda_kernelERKNS_10TensorBaseES3_lENKUlvE_clEvENKUlvE1_clEvENKUlN3c107complexIdEES8_E_clES8_S8_.uses_vcc)
	.set _ZN2at6native28tensor_kernel_scan_outer_dimIN3c107complexIdEEjZZZNS0_31launch_logcumsumexp_cuda_kernelERKNS_10TensorBaseES7_lENKUlvE_clEvENKUlvE1_clEvEUlS4_S4_E_EEvPT_PKSB_jjjSB_T1_.uses_flat_scratch, or(0, .L_ZZZZN2at6native31launch_logcumsumexp_cuda_kernelERKNS_10TensorBaseES3_lENKUlvE_clEvENKUlvE1_clEvENKUlN3c107complexIdEES8_E_clES8_S8_.uses_flat_scratch)
	.set _ZN2at6native28tensor_kernel_scan_outer_dimIN3c107complexIdEEjZZZNS0_31launch_logcumsumexp_cuda_kernelERKNS_10TensorBaseES7_lENKUlvE_clEvENKUlvE1_clEvEUlS4_S4_E_EEvPT_PKSB_jjjSB_T1_.has_dyn_sized_stack, or(0, .L_ZZZZN2at6native31launch_logcumsumexp_cuda_kernelERKNS_10TensorBaseES3_lENKUlvE_clEvENKUlvE1_clEvENKUlN3c107complexIdEES8_E_clES8_S8_.has_dyn_sized_stack)
	.set _ZN2at6native28tensor_kernel_scan_outer_dimIN3c107complexIdEEjZZZNS0_31launch_logcumsumexp_cuda_kernelERKNS_10TensorBaseES7_lENKUlvE_clEvENKUlvE1_clEvEUlS4_S4_E_EEvPT_PKSB_jjjSB_T1_.has_recursion, or(0, .L_ZZZZN2at6native31launch_logcumsumexp_cuda_kernelERKNS_10TensorBaseES3_lENKUlvE_clEvENKUlvE1_clEvENKUlN3c107complexIdEES8_E_clES8_S8_.has_recursion)
	.set _ZN2at6native28tensor_kernel_scan_outer_dimIN3c107complexIdEEjZZZNS0_31launch_logcumsumexp_cuda_kernelERKNS_10TensorBaseES7_lENKUlvE_clEvENKUlvE1_clEvEUlS4_S4_E_EEvPT_PKSB_jjjSB_T1_.has_indirect_call, or(0, .L_ZZZZN2at6native31launch_logcumsumexp_cuda_kernelERKNS_10TensorBaseES3_lENKUlvE_clEvENKUlvE1_clEvENKUlN3c107complexIdEES8_E_clES8_S8_.has_indirect_call)
	.section	.AMDGPU.csdata,"",@progbits
; Kernel info:
; codeLenInByte = 352
; TotalNumSgprs: 74
; NumVgprs: 52
; NumAgprs: 0
; TotalNumVgprs: 52
; ScratchSize: 0
; MemoryBound: 0
; FloatMode: 240
; IeeeMode: 1
; LDSByteSize: 0 bytes/workgroup (compile time only)
; SGPRBlocks: 9
; VGPRBlocks: 6
; NumSGPRsForWavesPerEU: 74
; NumVGPRsForWavesPerEU: 52
; AccumOffset: 52
; Occupancy: 8
; WaveLimiterHint : 0
; COMPUTE_PGM_RSRC2:SCRATCH_EN: 0
; COMPUTE_PGM_RSRC2:USER_SGPR: 2
; COMPUTE_PGM_RSRC2:TRAP_HANDLER: 0
; COMPUTE_PGM_RSRC2:TGID_X_EN: 1
; COMPUTE_PGM_RSRC2:TGID_Y_EN: 1
; COMPUTE_PGM_RSRC2:TGID_Z_EN: 0
; COMPUTE_PGM_RSRC2:TIDIG_COMP_CNT: 0
; COMPUTE_PGM_RSRC3_GFX90A:ACCUM_OFFSET: 12
; COMPUTE_PGM_RSRC3_GFX90A:TG_SPLIT: 0
	.section	.text._ZN2at6native28tensor_kernel_scan_outer_dimIN3c107complexIdEEmZZZNS0_31launch_logcumsumexp_cuda_kernelERKNS_10TensorBaseES7_lENKUlvE_clEvENKUlvE1_clEvEUlS4_S4_E_EEvPT_PKSB_jjjSB_T1_,"axG",@progbits,_ZN2at6native28tensor_kernel_scan_outer_dimIN3c107complexIdEEmZZZNS0_31launch_logcumsumexp_cuda_kernelERKNS_10TensorBaseES7_lENKUlvE_clEvENKUlvE1_clEvEUlS4_S4_E_EEvPT_PKSB_jjjSB_T1_,comdat
	.globl	_ZN2at6native28tensor_kernel_scan_outer_dimIN3c107complexIdEEmZZZNS0_31launch_logcumsumexp_cuda_kernelERKNS_10TensorBaseES7_lENKUlvE_clEvENKUlvE1_clEvEUlS4_S4_E_EEvPT_PKSB_jjjSB_T1_ ; -- Begin function _ZN2at6native28tensor_kernel_scan_outer_dimIN3c107complexIdEEmZZZNS0_31launch_logcumsumexp_cuda_kernelERKNS_10TensorBaseES7_lENKUlvE_clEvENKUlvE1_clEvEUlS4_S4_E_EEvPT_PKSB_jjjSB_T1_
	.p2align	8
	.type	_ZN2at6native28tensor_kernel_scan_outer_dimIN3c107complexIdEEmZZZNS0_31launch_logcumsumexp_cuda_kernelERKNS_10TensorBaseES7_lENKUlvE_clEvENKUlvE1_clEvEUlS4_S4_E_EEvPT_PKSB_jjjSB_T1_,@function
_ZN2at6native28tensor_kernel_scan_outer_dimIN3c107complexIdEEmZZZNS0_31launch_logcumsumexp_cuda_kernelERKNS_10TensorBaseES7_lENKUlvE_clEvENKUlvE1_clEvEUlS4_S4_E_EEvPT_PKSB_jjjSB_T1_: ; @_ZN2at6native28tensor_kernel_scan_outer_dimIN3c107complexIdEEmZZZNS0_31launch_logcumsumexp_cuda_kernelERKNS_10TensorBaseES7_lENKUlvE_clEvENKUlvE1_clEvEUlS4_S4_E_EEvPT_PKSB_jjjSB_T1_
; %bb.0:
	s_load_dwordx4 s[44:47], s[0:1], 0x10
	s_mov_b32 s32, 0
	s_waitcnt lgkmcnt(0)
	s_cmp_ge_u32 s2, s44
	s_cbranch_scc1 .LBB261_9
; %bb.1:
	s_mov_b32 s33, s2
	s_load_dword s47, s[0:1], 0x38
	s_load_dword s2, s[0:1], 0x44
	s_load_dwordx4 s[48:51], s[0:1], 0x0
	s_load_dwordx4 s[52:55], s[0:1], 0x20
	s_add_u32 s38, s0, 56
	s_addc_u32 s39, s1, 0
	s_waitcnt lgkmcnt(0)
	s_and_b32 s64, s2, 0xffff
	s_mul_i32 s3, s3, s64
	s_cmp_lg_u32 s46, 0
	v_add_u32_e32 v44, s3, v0
	s_cselect_b64 s[2:3], -1, 0
	s_mov_b32 s1, 0
	s_mov_b32 s0, s45
	s_mul_hi_u32 s5, s46, s45
	s_mul_i32 s4, s46, s45
	v_cndmask_b32_e64 v0, 0, 1, s[2:3]
	v_cmp_gt_u32_e64 s[34:35], s45, v44
	s_lshl_b64 s[42:43], s[4:5], 4
	s_lshl_b64 s[56:57], s[0:1], 4
	v_cmp_ne_u32_e64 s[36:37], 1, v0
	v_mov_b32_e32 v41, 0
	s_branch .LBB261_3
.LBB261_2:                              ;   in Loop: Header=BB261_3 Depth=1
	s_or_b64 exec, exec, s[58:59]
	s_add_i32 s33, s33, s47
	s_cmp_ge_u32 s33, s44
	s_cbranch_scc1 .LBB261_9
.LBB261_3:                              ; =>This Loop Header: Depth=1
                                        ;     Child Loop BB261_6 Depth 2
                                        ;       Child Loop BB261_8 Depth 3
	s_and_saveexec_b64 s[58:59], s[34:35]
	s_cbranch_execz .LBB261_2
; %bb.4:                                ;   in Loop: Header=BB261_3 Depth=1
	s_load_dword s65, s[38:39], 0x4
	s_mul_i32 s0, s43, s33
	s_mul_hi_u32 s1, s42, s33
	s_mul_i32 s60, s42, s33
	s_add_i32 s61, s1, s0
	s_waitcnt lgkmcnt(0)
	s_mul_i32 s65, s65, s64
	s_mov_b64 s[62:63], 0
	v_mov_b32_e32 v40, v44
	s_branch .LBB261_6
.LBB261_5:                              ;   in Loop: Header=BB261_6 Depth=2
	v_add_u32_e32 v40, s65, v40
	v_cmp_le_u32_e32 vcc, s45, v40
	s_or_b64 s[62:63], vcc, s[62:63]
	s_andn2_b64 exec, exec, s[62:63]
	s_cbranch_execz .LBB261_2
.LBB261_6:                              ;   Parent Loop BB261_3 Depth=1
                                        ; =>  This Loop Header: Depth=2
                                        ;       Child Loop BB261_8 Depth 3
	s_and_b64 vcc, exec, s[36:37]
	s_cbranch_vccnz .LBB261_5
; %bb.7:                                ;   in Loop: Header=BB261_6 Depth=2
	v_lshl_add_u64 v[42:43], v[40:41], 4, s[60:61]
	v_mov_b64_e32 v[2:3], s[54:55]
	v_mov_b64_e32 v[0:1], s[52:53]
	s_mov_b32 s66, s46
.LBB261_8:                              ;   Parent Loop BB261_3 Depth=1
                                        ;     Parent Loop BB261_6 Depth=2
                                        ; =>    This Inner Loop Header: Depth=3
	v_lshl_add_u64 v[4:5], s[50:51], 0, v[42:43]
	global_load_dwordx4 v[4:7], v[4:5], off
	s_getpc_b64 s[0:1]
	s_add_u32 s0, s0, _ZZZZN2at6native31launch_logcumsumexp_cuda_kernelERKNS_10TensorBaseES3_lENKUlvE_clEvENKUlvE1_clEvENKUlN3c107complexIdEES8_E_clES8_S8_@rel32@lo+4
	s_addc_u32 s1, s1, _ZZZZN2at6native31launch_logcumsumexp_cuda_kernelERKNS_10TensorBaseES3_lENKUlvE_clEvENKUlvE1_clEvENKUlN3c107complexIdEES8_E_clES8_S8_@rel32@hi+12
	v_lshl_add_u64 v[46:47], s[48:49], 0, v[42:43]
	s_swappc_b64 s[30:31], s[0:1]
	s_add_i32 s66, s66, -1
	s_cmp_eq_u32 s66, 0
	v_lshl_add_u64 v[42:43], v[42:43], 0, s[56:57]
	global_store_dwordx4 v[46:47], v[0:3], off
	s_cbranch_scc0 .LBB261_8
	s_branch .LBB261_5
.LBB261_9:
	s_endpgm
	.section	.rodata,"a",@progbits
	.p2align	6, 0x0
	.amdhsa_kernel _ZN2at6native28tensor_kernel_scan_outer_dimIN3c107complexIdEEmZZZNS0_31launch_logcumsumexp_cuda_kernelERKNS_10TensorBaseES7_lENKUlvE_clEvENKUlvE1_clEvEUlS4_S4_E_EEvPT_PKSB_jjjSB_T1_
		.amdhsa_group_segment_fixed_size 0
		.amdhsa_private_segment_fixed_size 0
		.amdhsa_kernarg_size 312
		.amdhsa_user_sgpr_count 2
		.amdhsa_user_sgpr_dispatch_ptr 0
		.amdhsa_user_sgpr_queue_ptr 0
		.amdhsa_user_sgpr_kernarg_segment_ptr 1
		.amdhsa_user_sgpr_dispatch_id 0
		.amdhsa_user_sgpr_kernarg_preload_length 0
		.amdhsa_user_sgpr_kernarg_preload_offset 0
		.amdhsa_user_sgpr_private_segment_size 0
		.amdhsa_uses_dynamic_stack 0
		.amdhsa_enable_private_segment 0
		.amdhsa_system_sgpr_workgroup_id_x 1
		.amdhsa_system_sgpr_workgroup_id_y 1
		.amdhsa_system_sgpr_workgroup_id_z 0
		.amdhsa_system_sgpr_workgroup_info 0
		.amdhsa_system_vgpr_workitem_id 0
		.amdhsa_next_free_vgpr 52
		.amdhsa_next_free_sgpr 67
		.amdhsa_accum_offset 52
		.amdhsa_reserve_vcc 1
		.amdhsa_float_round_mode_32 0
		.amdhsa_float_round_mode_16_64 0
		.amdhsa_float_denorm_mode_32 3
		.amdhsa_float_denorm_mode_16_64 3
		.amdhsa_dx10_clamp 1
		.amdhsa_ieee_mode 1
		.amdhsa_fp16_overflow 0
		.amdhsa_tg_split 0
		.amdhsa_exception_fp_ieee_invalid_op 0
		.amdhsa_exception_fp_denorm_src 0
		.amdhsa_exception_fp_ieee_div_zero 0
		.amdhsa_exception_fp_ieee_overflow 0
		.amdhsa_exception_fp_ieee_underflow 0
		.amdhsa_exception_fp_ieee_inexact 0
		.amdhsa_exception_int_div_zero 0
	.end_amdhsa_kernel
	.section	.text._ZN2at6native28tensor_kernel_scan_outer_dimIN3c107complexIdEEmZZZNS0_31launch_logcumsumexp_cuda_kernelERKNS_10TensorBaseES7_lENKUlvE_clEvENKUlvE1_clEvEUlS4_S4_E_EEvPT_PKSB_jjjSB_T1_,"axG",@progbits,_ZN2at6native28tensor_kernel_scan_outer_dimIN3c107complexIdEEmZZZNS0_31launch_logcumsumexp_cuda_kernelERKNS_10TensorBaseES7_lENKUlvE_clEvENKUlvE1_clEvEUlS4_S4_E_EEvPT_PKSB_jjjSB_T1_,comdat
.Lfunc_end261:
	.size	_ZN2at6native28tensor_kernel_scan_outer_dimIN3c107complexIdEEmZZZNS0_31launch_logcumsumexp_cuda_kernelERKNS_10TensorBaseES7_lENKUlvE_clEvENKUlvE1_clEvEUlS4_S4_E_EEvPT_PKSB_jjjSB_T1_, .Lfunc_end261-_ZN2at6native28tensor_kernel_scan_outer_dimIN3c107complexIdEEmZZZNS0_31launch_logcumsumexp_cuda_kernelERKNS_10TensorBaseES7_lENKUlvE_clEvENKUlvE1_clEvEUlS4_S4_E_EEvPT_PKSB_jjjSB_T1_
                                        ; -- End function
	.set _ZN2at6native28tensor_kernel_scan_outer_dimIN3c107complexIdEEmZZZNS0_31launch_logcumsumexp_cuda_kernelERKNS_10TensorBaseES7_lENKUlvE_clEvENKUlvE1_clEvEUlS4_S4_E_EEvPT_PKSB_jjjSB_T1_.num_vgpr, max(48, .L_ZZZZN2at6native31launch_logcumsumexp_cuda_kernelERKNS_10TensorBaseES3_lENKUlvE_clEvENKUlvE1_clEvENKUlN3c107complexIdEES8_E_clES8_S8_.num_vgpr)
	.set _ZN2at6native28tensor_kernel_scan_outer_dimIN3c107complexIdEEmZZZNS0_31launch_logcumsumexp_cuda_kernelERKNS_10TensorBaseES7_lENKUlvE_clEvENKUlvE1_clEvEUlS4_S4_E_EEvPT_PKSB_jjjSB_T1_.num_agpr, max(0, .L_ZZZZN2at6native31launch_logcumsumexp_cuda_kernelERKNS_10TensorBaseES3_lENKUlvE_clEvENKUlvE1_clEvENKUlN3c107complexIdEES8_E_clES8_S8_.num_agpr)
	.set _ZN2at6native28tensor_kernel_scan_outer_dimIN3c107complexIdEEmZZZNS0_31launch_logcumsumexp_cuda_kernelERKNS_10TensorBaseES7_lENKUlvE_clEvENKUlvE1_clEvEUlS4_S4_E_EEvPT_PKSB_jjjSB_T1_.numbered_sgpr, max(67, .L_ZZZZN2at6native31launch_logcumsumexp_cuda_kernelERKNS_10TensorBaseES3_lENKUlvE_clEvENKUlvE1_clEvENKUlN3c107complexIdEES8_E_clES8_S8_.numbered_sgpr)
	.set _ZN2at6native28tensor_kernel_scan_outer_dimIN3c107complexIdEEmZZZNS0_31launch_logcumsumexp_cuda_kernelERKNS_10TensorBaseES7_lENKUlvE_clEvENKUlvE1_clEvEUlS4_S4_E_EEvPT_PKSB_jjjSB_T1_.num_named_barrier, max(0, .L_ZZZZN2at6native31launch_logcumsumexp_cuda_kernelERKNS_10TensorBaseES3_lENKUlvE_clEvENKUlvE1_clEvENKUlN3c107complexIdEES8_E_clES8_S8_.num_named_barrier)
	.set _ZN2at6native28tensor_kernel_scan_outer_dimIN3c107complexIdEEmZZZNS0_31launch_logcumsumexp_cuda_kernelERKNS_10TensorBaseES7_lENKUlvE_clEvENKUlvE1_clEvEUlS4_S4_E_EEvPT_PKSB_jjjSB_T1_.private_seg_size, 0+max(.L_ZZZZN2at6native31launch_logcumsumexp_cuda_kernelERKNS_10TensorBaseES3_lENKUlvE_clEvENKUlvE1_clEvENKUlN3c107complexIdEES8_E_clES8_S8_.private_seg_size)
	.set _ZN2at6native28tensor_kernel_scan_outer_dimIN3c107complexIdEEmZZZNS0_31launch_logcumsumexp_cuda_kernelERKNS_10TensorBaseES7_lENKUlvE_clEvENKUlvE1_clEvEUlS4_S4_E_EEvPT_PKSB_jjjSB_T1_.uses_vcc, or(1, .L_ZZZZN2at6native31launch_logcumsumexp_cuda_kernelERKNS_10TensorBaseES3_lENKUlvE_clEvENKUlvE1_clEvENKUlN3c107complexIdEES8_E_clES8_S8_.uses_vcc)
	.set _ZN2at6native28tensor_kernel_scan_outer_dimIN3c107complexIdEEmZZZNS0_31launch_logcumsumexp_cuda_kernelERKNS_10TensorBaseES7_lENKUlvE_clEvENKUlvE1_clEvEUlS4_S4_E_EEvPT_PKSB_jjjSB_T1_.uses_flat_scratch, or(0, .L_ZZZZN2at6native31launch_logcumsumexp_cuda_kernelERKNS_10TensorBaseES3_lENKUlvE_clEvENKUlvE1_clEvENKUlN3c107complexIdEES8_E_clES8_S8_.uses_flat_scratch)
	.set _ZN2at6native28tensor_kernel_scan_outer_dimIN3c107complexIdEEmZZZNS0_31launch_logcumsumexp_cuda_kernelERKNS_10TensorBaseES7_lENKUlvE_clEvENKUlvE1_clEvEUlS4_S4_E_EEvPT_PKSB_jjjSB_T1_.has_dyn_sized_stack, or(0, .L_ZZZZN2at6native31launch_logcumsumexp_cuda_kernelERKNS_10TensorBaseES3_lENKUlvE_clEvENKUlvE1_clEvENKUlN3c107complexIdEES8_E_clES8_S8_.has_dyn_sized_stack)
	.set _ZN2at6native28tensor_kernel_scan_outer_dimIN3c107complexIdEEmZZZNS0_31launch_logcumsumexp_cuda_kernelERKNS_10TensorBaseES7_lENKUlvE_clEvENKUlvE1_clEvEUlS4_S4_E_EEvPT_PKSB_jjjSB_T1_.has_recursion, or(0, .L_ZZZZN2at6native31launch_logcumsumexp_cuda_kernelERKNS_10TensorBaseES3_lENKUlvE_clEvENKUlvE1_clEvENKUlN3c107complexIdEES8_E_clES8_S8_.has_recursion)
	.set _ZN2at6native28tensor_kernel_scan_outer_dimIN3c107complexIdEEmZZZNS0_31launch_logcumsumexp_cuda_kernelERKNS_10TensorBaseES7_lENKUlvE_clEvENKUlvE1_clEvEUlS4_S4_E_EEvPT_PKSB_jjjSB_T1_.has_indirect_call, or(0, .L_ZZZZN2at6native31launch_logcumsumexp_cuda_kernelERKNS_10TensorBaseES3_lENKUlvE_clEvENKUlvE1_clEvENKUlN3c107complexIdEES8_E_clES8_S8_.has_indirect_call)
	.section	.AMDGPU.csdata,"",@progbits
; Kernel info:
; codeLenInByte = 352
; TotalNumSgprs: 73
; NumVgprs: 52
; NumAgprs: 0
; TotalNumVgprs: 52
; ScratchSize: 0
; MemoryBound: 0
; FloatMode: 240
; IeeeMode: 1
; LDSByteSize: 0 bytes/workgroup (compile time only)
; SGPRBlocks: 9
; VGPRBlocks: 6
; NumSGPRsForWavesPerEU: 73
; NumVGPRsForWavesPerEU: 52
; AccumOffset: 52
; Occupancy: 8
; WaveLimiterHint : 0
; COMPUTE_PGM_RSRC2:SCRATCH_EN: 0
; COMPUTE_PGM_RSRC2:USER_SGPR: 2
; COMPUTE_PGM_RSRC2:TRAP_HANDLER: 0
; COMPUTE_PGM_RSRC2:TGID_X_EN: 1
; COMPUTE_PGM_RSRC2:TGID_Y_EN: 1
; COMPUTE_PGM_RSRC2:TGID_Z_EN: 0
; COMPUTE_PGM_RSRC2:TIDIG_COMP_CNT: 0
; COMPUTE_PGM_RSRC3_GFX90A:ACCUM_OFFSET: 12
; COMPUTE_PGM_RSRC3_GFX90A:TG_SPLIT: 0
	.section	.text._ZN7rocprim17ROCPRIM_400000_NS6detail31init_lookback_scan_state_kernelINS1_19lookback_scan_stateIN3c107complexIfEELb0ELb1EEENS1_16block_id_wrapperIjLb0EEEEEvT_jT0_jPNSA_10value_typeE,"axG",@progbits,_ZN7rocprim17ROCPRIM_400000_NS6detail31init_lookback_scan_state_kernelINS1_19lookback_scan_stateIN3c107complexIfEELb0ELb1EEENS1_16block_id_wrapperIjLb0EEEEEvT_jT0_jPNSA_10value_typeE,comdat
	.protected	_ZN7rocprim17ROCPRIM_400000_NS6detail31init_lookback_scan_state_kernelINS1_19lookback_scan_stateIN3c107complexIfEELb0ELb1EEENS1_16block_id_wrapperIjLb0EEEEEvT_jT0_jPNSA_10value_typeE ; -- Begin function _ZN7rocprim17ROCPRIM_400000_NS6detail31init_lookback_scan_state_kernelINS1_19lookback_scan_stateIN3c107complexIfEELb0ELb1EEENS1_16block_id_wrapperIjLb0EEEEEvT_jT0_jPNSA_10value_typeE
	.globl	_ZN7rocprim17ROCPRIM_400000_NS6detail31init_lookback_scan_state_kernelINS1_19lookback_scan_stateIN3c107complexIfEELb0ELb1EEENS1_16block_id_wrapperIjLb0EEEEEvT_jT0_jPNSA_10value_typeE
	.p2align	8
	.type	_ZN7rocprim17ROCPRIM_400000_NS6detail31init_lookback_scan_state_kernelINS1_19lookback_scan_stateIN3c107complexIfEELb0ELb1EEENS1_16block_id_wrapperIjLb0EEEEEvT_jT0_jPNSA_10value_typeE,@function
_ZN7rocprim17ROCPRIM_400000_NS6detail31init_lookback_scan_state_kernelINS1_19lookback_scan_stateIN3c107complexIfEELb0ELb1EEENS1_16block_id_wrapperIjLb0EEEEEvT_jT0_jPNSA_10value_typeE: ; @_ZN7rocprim17ROCPRIM_400000_NS6detail31init_lookback_scan_state_kernelINS1_19lookback_scan_stateIN3c107complexIfEELb0ELb1EEENS1_16block_id_wrapperIjLb0EEEEEvT_jT0_jPNSA_10value_typeE
; %bb.0:
	s_load_dword s3, s[0:1], 0x2c
	s_load_dwordx2 s[6:7], s[0:1], 0x18
	s_load_dwordx2 s[4:5], s[0:1], 0x0
	s_load_dword s12, s[0:1], 0x8
	s_waitcnt lgkmcnt(0)
	s_and_b32 s3, s3, 0xffff
	s_mul_i32 s2, s2, s3
	s_cmp_eq_u64 s[6:7], 0
	v_add_u32_e32 v0, s2, v0
	s_cbranch_scc1 .LBB262_8
; %bb.1:
	s_load_dword s2, s[0:1], 0x10
	s_mov_b32 s3, 0
	s_waitcnt lgkmcnt(0)
	s_cmp_lt_u32 s2, s12
	s_cselect_b32 s0, s2, 0
	v_cmp_eq_u32_e32 vcc, s0, v0
	s_and_saveexec_b64 s[0:1], vcc
	s_cbranch_execz .LBB262_7
; %bb.2:
	s_add_i32 s2, s2, 64
	s_lshl_b64 s[2:3], s[2:3], 4
	s_add_u32 s10, s4, s2
	s_addc_u32 s11, s5, s3
	v_mov_b64_e32 v[2:3], s[10:11]
	;;#ASMSTART
	global_load_dwordx4 v[2:5], v[2:3] off sc1	
s_waitcnt vmcnt(0)
	;;#ASMEND
	v_mov_b32_e32 v7, 0
	v_and_b32_e32 v6, 0xff, v4
	s_mov_b64 s[8:9], 0
	v_cmp_eq_u64_e32 vcc, 0, v[6:7]
	s_and_saveexec_b64 s[2:3], vcc
	s_cbranch_execz .LBB262_6
; %bb.3:
	v_mov_b64_e32 v[8:9], s[10:11]
.LBB262_4:                              ; =>This Inner Loop Header: Depth=1
	;;#ASMSTART
	global_load_dwordx4 v[2:5], v[8:9] off sc1	
s_waitcnt vmcnt(0)
	;;#ASMEND
	s_nop 0
	v_and_b32_e32 v6, 0xff, v4
	v_cmp_ne_u64_e32 vcc, 0, v[6:7]
	s_or_b64 s[8:9], vcc, s[8:9]
	s_andn2_b64 exec, exec, s[8:9]
	s_cbranch_execnz .LBB262_4
; %bb.5:
	s_or_b64 exec, exec, s[8:9]
.LBB262_6:
	s_or_b64 exec, exec, s[2:3]
	v_mov_b32_e32 v1, 0
	global_store_dwordx2 v1, v[2:3], s[6:7]
.LBB262_7:
	s_or_b64 exec, exec, s[0:1]
.LBB262_8:
	v_cmp_gt_u32_e32 vcc, s12, v0
	s_and_saveexec_b64 s[0:1], vcc
	s_cbranch_execnz .LBB262_11
; %bb.9:
	s_or_b64 exec, exec, s[0:1]
	v_cmp_gt_u32_e32 vcc, 64, v0
	s_and_saveexec_b64 s[0:1], vcc
	s_cbranch_execnz .LBB262_12
.LBB262_10:
	s_endpgm
.LBB262_11:
	v_add_u32_e32 v2, 64, v0
	v_mov_b32_e32 v3, 0
	v_lshl_add_u64 v[6:7], v[2:3], 4, s[4:5]
	v_mov_b32_e32 v2, v3
	v_mov_b32_e32 v4, v3
	;; [unrolled: 1-line block ×3, first 2 shown]
	global_store_dwordx4 v[6:7], v[2:5], off
	s_or_b64 exec, exec, s[0:1]
	v_cmp_gt_u32_e32 vcc, 64, v0
	s_and_saveexec_b64 s[0:1], vcc
	s_cbranch_execz .LBB262_10
.LBB262_12:
	v_mov_b32_e32 v1, 0
	v_lshl_add_u64 v[4:5], v[0:1], 4, s[4:5]
	v_mov_b32_e32 v2, 0xff
	v_mov_b32_e32 v0, v1
	;; [unrolled: 1-line block ×3, first 2 shown]
	global_store_dwordx4 v[4:5], v[0:3], off
	s_endpgm
	.section	.rodata,"a",@progbits
	.p2align	6, 0x0
	.amdhsa_kernel _ZN7rocprim17ROCPRIM_400000_NS6detail31init_lookback_scan_state_kernelINS1_19lookback_scan_stateIN3c107complexIfEELb0ELb1EEENS1_16block_id_wrapperIjLb0EEEEEvT_jT0_jPNSA_10value_typeE
		.amdhsa_group_segment_fixed_size 0
		.amdhsa_private_segment_fixed_size 0
		.amdhsa_kernarg_size 288
		.amdhsa_user_sgpr_count 2
		.amdhsa_user_sgpr_dispatch_ptr 0
		.amdhsa_user_sgpr_queue_ptr 0
		.amdhsa_user_sgpr_kernarg_segment_ptr 1
		.amdhsa_user_sgpr_dispatch_id 0
		.amdhsa_user_sgpr_kernarg_preload_length 0
		.amdhsa_user_sgpr_kernarg_preload_offset 0
		.amdhsa_user_sgpr_private_segment_size 0
		.amdhsa_uses_dynamic_stack 0
		.amdhsa_enable_private_segment 0
		.amdhsa_system_sgpr_workgroup_id_x 1
		.amdhsa_system_sgpr_workgroup_id_y 0
		.amdhsa_system_sgpr_workgroup_id_z 0
		.amdhsa_system_sgpr_workgroup_info 0
		.amdhsa_system_vgpr_workitem_id 0
		.amdhsa_next_free_vgpr 10
		.amdhsa_next_free_sgpr 13
		.amdhsa_accum_offset 12
		.amdhsa_reserve_vcc 1
		.amdhsa_float_round_mode_32 0
		.amdhsa_float_round_mode_16_64 0
		.amdhsa_float_denorm_mode_32 3
		.amdhsa_float_denorm_mode_16_64 3
		.amdhsa_dx10_clamp 1
		.amdhsa_ieee_mode 1
		.amdhsa_fp16_overflow 0
		.amdhsa_tg_split 0
		.amdhsa_exception_fp_ieee_invalid_op 0
		.amdhsa_exception_fp_denorm_src 0
		.amdhsa_exception_fp_ieee_div_zero 0
		.amdhsa_exception_fp_ieee_overflow 0
		.amdhsa_exception_fp_ieee_underflow 0
		.amdhsa_exception_fp_ieee_inexact 0
		.amdhsa_exception_int_div_zero 0
	.end_amdhsa_kernel
	.section	.text._ZN7rocprim17ROCPRIM_400000_NS6detail31init_lookback_scan_state_kernelINS1_19lookback_scan_stateIN3c107complexIfEELb0ELb1EEENS1_16block_id_wrapperIjLb0EEEEEvT_jT0_jPNSA_10value_typeE,"axG",@progbits,_ZN7rocprim17ROCPRIM_400000_NS6detail31init_lookback_scan_state_kernelINS1_19lookback_scan_stateIN3c107complexIfEELb0ELb1EEENS1_16block_id_wrapperIjLb0EEEEEvT_jT0_jPNSA_10value_typeE,comdat
.Lfunc_end262:
	.size	_ZN7rocprim17ROCPRIM_400000_NS6detail31init_lookback_scan_state_kernelINS1_19lookback_scan_stateIN3c107complexIfEELb0ELb1EEENS1_16block_id_wrapperIjLb0EEEEEvT_jT0_jPNSA_10value_typeE, .Lfunc_end262-_ZN7rocprim17ROCPRIM_400000_NS6detail31init_lookback_scan_state_kernelINS1_19lookback_scan_stateIN3c107complexIfEELb0ELb1EEENS1_16block_id_wrapperIjLb0EEEEEvT_jT0_jPNSA_10value_typeE
                                        ; -- End function
	.set _ZN7rocprim17ROCPRIM_400000_NS6detail31init_lookback_scan_state_kernelINS1_19lookback_scan_stateIN3c107complexIfEELb0ELb1EEENS1_16block_id_wrapperIjLb0EEEEEvT_jT0_jPNSA_10value_typeE.num_vgpr, 10
	.set _ZN7rocprim17ROCPRIM_400000_NS6detail31init_lookback_scan_state_kernelINS1_19lookback_scan_stateIN3c107complexIfEELb0ELb1EEENS1_16block_id_wrapperIjLb0EEEEEvT_jT0_jPNSA_10value_typeE.num_agpr, 0
	.set _ZN7rocprim17ROCPRIM_400000_NS6detail31init_lookback_scan_state_kernelINS1_19lookback_scan_stateIN3c107complexIfEELb0ELb1EEENS1_16block_id_wrapperIjLb0EEEEEvT_jT0_jPNSA_10value_typeE.numbered_sgpr, 13
	.set _ZN7rocprim17ROCPRIM_400000_NS6detail31init_lookback_scan_state_kernelINS1_19lookback_scan_stateIN3c107complexIfEELb0ELb1EEENS1_16block_id_wrapperIjLb0EEEEEvT_jT0_jPNSA_10value_typeE.num_named_barrier, 0
	.set _ZN7rocprim17ROCPRIM_400000_NS6detail31init_lookback_scan_state_kernelINS1_19lookback_scan_stateIN3c107complexIfEELb0ELb1EEENS1_16block_id_wrapperIjLb0EEEEEvT_jT0_jPNSA_10value_typeE.private_seg_size, 0
	.set _ZN7rocprim17ROCPRIM_400000_NS6detail31init_lookback_scan_state_kernelINS1_19lookback_scan_stateIN3c107complexIfEELb0ELb1EEENS1_16block_id_wrapperIjLb0EEEEEvT_jT0_jPNSA_10value_typeE.uses_vcc, 1
	.set _ZN7rocprim17ROCPRIM_400000_NS6detail31init_lookback_scan_state_kernelINS1_19lookback_scan_stateIN3c107complexIfEELb0ELb1EEENS1_16block_id_wrapperIjLb0EEEEEvT_jT0_jPNSA_10value_typeE.uses_flat_scratch, 0
	.set _ZN7rocprim17ROCPRIM_400000_NS6detail31init_lookback_scan_state_kernelINS1_19lookback_scan_stateIN3c107complexIfEELb0ELb1EEENS1_16block_id_wrapperIjLb0EEEEEvT_jT0_jPNSA_10value_typeE.has_dyn_sized_stack, 0
	.set _ZN7rocprim17ROCPRIM_400000_NS6detail31init_lookback_scan_state_kernelINS1_19lookback_scan_stateIN3c107complexIfEELb0ELb1EEENS1_16block_id_wrapperIjLb0EEEEEvT_jT0_jPNSA_10value_typeE.has_recursion, 0
	.set _ZN7rocprim17ROCPRIM_400000_NS6detail31init_lookback_scan_state_kernelINS1_19lookback_scan_stateIN3c107complexIfEELb0ELb1EEENS1_16block_id_wrapperIjLb0EEEEEvT_jT0_jPNSA_10value_typeE.has_indirect_call, 0
	.section	.AMDGPU.csdata,"",@progbits
; Kernel info:
; codeLenInByte = 388
; TotalNumSgprs: 19
; NumVgprs: 10
; NumAgprs: 0
; TotalNumVgprs: 10
; ScratchSize: 0
; MemoryBound: 0
; FloatMode: 240
; IeeeMode: 1
; LDSByteSize: 0 bytes/workgroup (compile time only)
; SGPRBlocks: 2
; VGPRBlocks: 1
; NumSGPRsForWavesPerEU: 19
; NumVGPRsForWavesPerEU: 10
; AccumOffset: 12
; Occupancy: 8
; WaveLimiterHint : 0
; COMPUTE_PGM_RSRC2:SCRATCH_EN: 0
; COMPUTE_PGM_RSRC2:USER_SGPR: 2
; COMPUTE_PGM_RSRC2:TRAP_HANDLER: 0
; COMPUTE_PGM_RSRC2:TGID_X_EN: 1
; COMPUTE_PGM_RSRC2:TGID_Y_EN: 0
; COMPUTE_PGM_RSRC2:TGID_Z_EN: 0
; COMPUTE_PGM_RSRC2:TIDIG_COMP_CNT: 0
; COMPUTE_PGM_RSRC3_GFX90A:ACCUM_OFFSET: 2
; COMPUTE_PGM_RSRC3_GFX90A:TG_SPLIT: 0
	.text
	.p2align	2                               ; -- Begin function _ZZZZN2at6native31launch_logcumsumexp_cuda_kernelERKNS_10TensorBaseES3_lENKUlvE_clEvENKUlvE2_clEvENKUlN3c107complexIfEES8_E_clES8_S8_
	.type	_ZZZZN2at6native31launch_logcumsumexp_cuda_kernelERKNS_10TensorBaseES3_lENKUlvE_clEvENKUlvE2_clEvENKUlN3c107complexIfEES8_E_clES8_S8_,@function
_ZZZZN2at6native31launch_logcumsumexp_cuda_kernelERKNS_10TensorBaseES3_lENKUlvE_clEvENKUlvE2_clEvENKUlN3c107complexIfEES8_E_clES8_S8_: ; @_ZZZZN2at6native31launch_logcumsumexp_cuda_kernelERKNS_10TensorBaseES3_lENKUlvE_clEvENKUlvE2_clEvENKUlN3c107complexIfEES8_E_clES8_S8_
; %bb.0:
	s_waitcnt vmcnt(0) expcnt(0) lgkmcnt(0)
	v_mov_b32_e32 v4, v3
	v_mov_b32_e32 v5, v2
	v_cmp_o_f32_e32 vcc, v5, v4
	v_mov_b32_e32 v6, v3
	v_mov_b64_e32 v[2:3], v[4:5]
	s_and_saveexec_b64 s[4:5], vcc
; %bb.1:
	v_cmp_u_f32_e64 s[0:1], v0, v1
	v_cmp_lt_f32_e64 s[2:3], v0, v5
	s_or_b64 s[0:1], s[0:1], s[2:3]
	v_cndmask_b32_e64 v7, v5, v0, s[0:1]
	v_cndmask_b32_e64 v6, v4, v1, s[0:1]
	v_mov_b64_e32 v[2:3], v[6:7]
; %bb.2:
	s_or_b64 exec, exec, s[4:5]
	s_and_saveexec_b64 s[2:3], vcc
; %bb.3:
	v_cmp_u_f32_e32 vcc, v0, v1
	v_cmp_ge_f32_e64 s[0:1], v0, v5
	s_or_b64 vcc, vcc, s[0:1]
	v_cndmask_b32_e32 v4, v4, v1, vcc
	v_cndmask_b32_e32 v5, v5, v0, vcc
; %bb.4:
	s_or_b64 exec, exec, s[2:3]
	v_mov_b32_e32 v8, 0x7fc00000
	v_cmp_o_f32_e32 vcc, v3, v2
	v_mov_b32_e32 v9, v8
	s_and_saveexec_b64 s[6:7], vcc
	s_cbranch_execz .LBB263_48
; %bb.5:
	s_movk_i32 s0, 0x1f8
	v_cmp_class_f32_e64 s[0:1], v3, s0
	v_cmp_neq_f32_e32 vcc, v5, v3
	s_or_b64 s[0:1], s[0:1], vcc
	s_and_saveexec_b64 s[2:3], s[0:1]
	s_xor_b64 s[8:9], exec, s[2:3]
	s_cbranch_execz .LBB263_21
; %bb.6:
	v_pk_add_f32 v[0:1], v[2:3], v[4:5] neg_lo:[0,1] neg_hi:[0,1]
	s_brev_b32 s0, 18
	v_and_b32_e32 v8, 0x7fffffff, v0
	v_cmp_nlt_f32_e64 s[10:11], |v0|, s0
	v_lshrrev_b32_e32 v6, 23, v8
                                        ; implicit-def: $vgpr3
                                        ; implicit-def: $vgpr2
	s_and_saveexec_b64 s[0:1], s[10:11]
	s_xor_b64 s[12:13], exec, s[0:1]
	s_cbranch_execz .LBB263_8
; %bb.7:
	v_add_u32_e32 v2, 0xffffff88, v6
	v_not_b32_e32 v3, 63
	v_cmp_lt_u32_e32 vcc, 63, v2
	s_mov_b32 s4, 0xfe5163ab
	v_mov_b32_e32 v11, 0
	v_cndmask_b32_e32 v3, 0, v3, vcc
	v_add_u32_e32 v2, v3, v2
	v_not_b32_e32 v3, 31
	v_cmp_lt_u32_e64 s[0:1], 31, v2
	s_nop 1
	v_cndmask_b32_e64 v7, 0, v3, s[0:1]
	v_add_u32_e32 v2, v7, v2
	v_cmp_lt_u32_e64 s[2:3], 31, v2
	s_nop 1
	v_cndmask_b32_e64 v3, 0, v3, s[2:3]
	v_add_u32_e32 v7, v3, v2
	v_and_b32_e32 v2, 0x7fffff, v8
	v_or_b32_e32 v9, 0x800000, v2
	v_mad_u64_u32 v[2:3], s[4:5], v9, s4, 0
	v_mov_b32_e32 v10, v3
	s_mov_b32 s4, 0x3c439041
	v_mad_u64_u32 v[12:13], s[4:5], v9, s4, v[10:11]
	v_mov_b32_e32 v10, v13
	s_mov_b32 s4, 0xdb629599
	;; [unrolled: 3-line block ×6, first 2 shown]
	v_mad_u64_u32 v[10:11], s[4:5], v9, s4, v[10:11]
	v_cndmask_b32_e32 v3, v20, v16, vcc
	v_cndmask_b32_e32 v9, v10, v18, vcc
	;; [unrolled: 1-line block ×3, first 2 shown]
	v_cndmask_b32_e64 v10, v9, v3, s[0:1]
	v_cndmask_b32_e64 v9, v11, v9, s[0:1]
	v_cndmask_b32_e32 v11, v18, v14, vcc
	v_cndmask_b32_e64 v3, v3, v11, s[0:1]
	v_cndmask_b32_e64 v9, v9, v10, s[2:3]
	;; [unrolled: 1-line block ×3, first 2 shown]
	v_sub_u32_e32 v13, 32, v7
	v_alignbit_b32 v15, v9, v10, v13
	v_cmp_eq_u32_e64 s[4:5], 0, v7
	v_cndmask_b32_e32 v2, v14, v2, vcc
	s_nop 0
	v_cndmask_b32_e64 v7, v15, v9, s[4:5]
	v_cndmask_b32_e32 v9, v16, v12, vcc
	v_cndmask_b32_e64 v11, v11, v9, s[0:1]
	v_cndmask_b32_e64 v3, v3, v11, s[2:3]
	v_alignbit_b32 v12, v10, v3, v13
	v_cndmask_b32_e64 v2, v9, v2, s[0:1]
	v_cndmask_b32_e64 v10, v12, v10, s[4:5]
	v_bfe_u32 v16, v7, 29, 1
	v_cndmask_b32_e64 v2, v11, v2, s[2:3]
	v_alignbit_b32 v12, v7, v10, 30
	v_sub_u32_e32 v17, 0, v16
	v_alignbit_b32 v9, v3, v2, v13
	v_xor_b32_e32 v12, v12, v17
	v_cndmask_b32_e64 v3, v9, v3, s[4:5]
	v_alignbit_b32 v9, v10, v3, 30
	v_ffbh_u32_e32 v10, v12
	v_min_u32_e32 v10, 32, v10
	v_alignbit_b32 v2, v3, v2, 30
	v_xor_b32_e32 v9, v9, v17
	v_sub_u32_e32 v11, 31, v10
	v_xor_b32_e32 v2, v2, v17
	v_alignbit_b32 v12, v12, v9, v11
	v_alignbit_b32 v2, v9, v2, v11
	;; [unrolled: 1-line block ×3, first 2 shown]
	v_ffbh_u32_e32 v9, v3
	v_min_u32_e32 v9, 32, v9
	v_lshrrev_b32_e32 v15, 29, v7
	v_not_b32_e32 v11, v9
	v_alignbit_b32 v2, v3, v2, v11
	v_lshlrev_b32_e32 v3, 31, v15
	v_or_b32_e32 v11, 0x33000000, v3
	v_add_lshl_u32 v9, v9, v10, 23
	v_lshrrev_b32_e32 v2, 9, v2
	v_sub_u32_e32 v9, v11, v9
	v_or_b32_e32 v3, 0.5, v3
	v_lshlrev_b32_e32 v10, 23, v10
	v_or_b32_e32 v2, v9, v2
	v_lshrrev_b32_e32 v9, 9, v12
	v_sub_u32_e32 v3, v3, v10
	v_or_b32_e32 v3, v9, v3
	s_mov_b32 s0, 0x3fc90fda
	v_mul_f32_e32 v9, 0x3fc90fda, v3
	v_fma_f32 v10, v3, s0, -v9
	v_fmamk_f32 v3, v3, 0x33a22168, v10
	v_fmac_f32_e32 v3, 0x3fc90fda, v2
	v_add_f32_e32 v2, v9, v3
	v_lshrrev_b32_e32 v3, 30, v7
	v_add_u32_e32 v3, v16, v3
	s_andn2_saveexec_b64 s[0:1], s[12:13]
	s_cbranch_execz .LBB263_10
	s_branch .LBB263_9
.LBB263_8:
	s_andn2_saveexec_b64 s[0:1], s[12:13]
	s_cbranch_execz .LBB263_10
.LBB263_9:
	s_mov_b32 s2, 0x3f22f983
	v_mul_f32_e64 v2, |v0|, s2
	v_rndne_f32_e32 v2, v2
	s_mov_b32 s2, 0xbfc90fda
	v_cvt_i32_f32_e32 v3, v2
	v_fma_f32 v7, v2, s2, |v0|
	v_fmamk_f32 v7, v2, 0xb3a22168, v7
	v_fmamk_f32 v2, v2, 0xa7c234c4, v7
.LBB263_10:
	s_or_b64 exec, exec, s[0:1]
                                        ; implicit-def: $vgpr10
                                        ; implicit-def: $vgpr7
	s_and_saveexec_b64 s[0:1], s[10:11]
	s_xor_b64 s[10:11], exec, s[0:1]
	s_cbranch_execz .LBB263_12
; %bb.11:
	v_add_u32_e32 v6, 0xffffff88, v6
	v_not_b32_e32 v7, 63
	v_cmp_lt_u32_e32 vcc, 63, v6
	s_mov_b32 s4, 0xfe5163ab
	v_mov_b32_e32 v11, 0
	v_cndmask_b32_e32 v7, 0, v7, vcc
	v_add_u32_e32 v6, v7, v6
	v_not_b32_e32 v7, 31
	v_cmp_lt_u32_e64 s[0:1], 31, v6
	s_nop 1
	v_cndmask_b32_e64 v9, 0, v7, s[0:1]
	v_add_u32_e32 v6, v9, v6
	v_cmp_lt_u32_e64 s[2:3], 31, v6
	s_nop 1
	v_cndmask_b32_e64 v7, 0, v7, s[2:3]
	v_add_u32_e32 v9, v7, v6
	v_and_b32_e32 v6, 0x7fffff, v8
	v_or_b32_e32 v22, 0x800000, v6
	v_mad_u64_u32 v[6:7], s[4:5], v22, s4, 0
	v_mov_b32_e32 v10, v7
	s_mov_b32 s4, 0x3c439041
	v_mad_u64_u32 v[12:13], s[4:5], v22, s4, v[10:11]
	v_mov_b32_e32 v10, v13
	s_mov_b32 s4, 0xdb629599
	;; [unrolled: 3-line block ×6, first 2 shown]
	v_mad_u64_u32 v[10:11], s[4:5], v22, s4, v[10:11]
	v_cndmask_b32_e32 v7, v20, v16, vcc
	v_cndmask_b32_e32 v10, v10, v18, vcc
	;; [unrolled: 1-line block ×3, first 2 shown]
	v_cndmask_b32_e64 v13, v10, v7, s[0:1]
	v_cndmask_b32_e64 v10, v11, v10, s[0:1]
	v_cndmask_b32_e32 v11, v18, v14, vcc
	v_cndmask_b32_e64 v7, v7, v11, s[0:1]
	v_cndmask_b32_e64 v10, v10, v13, s[2:3]
	;; [unrolled: 1-line block ×3, first 2 shown]
	v_sub_u32_e32 v15, 32, v9
	v_alignbit_b32 v17, v10, v13, v15
	v_cmp_eq_u32_e64 s[4:5], 0, v9
	v_cndmask_b32_e32 v6, v14, v6, vcc
	s_nop 0
	v_cndmask_b32_e64 v9, v17, v10, s[4:5]
	v_cndmask_b32_e32 v10, v16, v12, vcc
	v_cndmask_b32_e64 v11, v11, v10, s[0:1]
	v_cndmask_b32_e64 v7, v7, v11, s[2:3]
	v_alignbit_b32 v12, v13, v7, v15
	v_cndmask_b32_e64 v12, v12, v13, s[4:5]
	v_bfe_u32 v17, v9, 29, 1
	v_cndmask_b32_e64 v6, v10, v6, s[0:1]
	v_alignbit_b32 v13, v9, v12, 30
	v_sub_u32_e32 v18, 0, v17
	v_cndmask_b32_e64 v6, v11, v6, s[2:3]
	v_xor_b32_e32 v13, v13, v18
	v_alignbit_b32 v10, v7, v6, v15
	v_cndmask_b32_e64 v7, v10, v7, s[4:5]
	v_ffbh_u32_e32 v11, v13
	v_alignbit_b32 v10, v12, v7, 30
	v_min_u32_e32 v11, 32, v11
	v_alignbit_b32 v6, v7, v6, 30
	v_xor_b32_e32 v10, v10, v18
	v_sub_u32_e32 v12, 31, v11
	v_xor_b32_e32 v6, v6, v18
	v_alignbit_b32 v13, v13, v10, v12
	v_alignbit_b32 v6, v10, v6, v12
	;; [unrolled: 1-line block ×3, first 2 shown]
	v_ffbh_u32_e32 v10, v7
	v_min_u32_e32 v10, 32, v10
	v_lshrrev_b32_e32 v16, 29, v9
	v_not_b32_e32 v12, v10
	v_alignbit_b32 v6, v7, v6, v12
	v_lshlrev_b32_e32 v7, 31, v16
	v_or_b32_e32 v12, 0x33000000, v7
	v_add_lshl_u32 v10, v10, v11, 23
	v_lshrrev_b32_e32 v6, 9, v6
	v_sub_u32_e32 v10, v12, v10
	v_or_b32_e32 v7, 0.5, v7
	v_lshlrev_b32_e32 v11, 23, v11
	v_or_b32_e32 v6, v10, v6
	v_lshrrev_b32_e32 v10, 9, v13
	v_sub_u32_e32 v7, v7, v11
	v_or_b32_e32 v7, v10, v7
	s_mov_b32 s0, 0x3fc90fda
	v_mul_f32_e32 v10, 0x3fc90fda, v7
	v_fma_f32 v11, v7, s0, -v10
	v_fmamk_f32 v7, v7, 0x33a22168, v11
	v_fmac_f32_e32 v7, 0x3fc90fda, v6
	v_lshrrev_b32_e32 v6, 30, v9
	v_add_f32_e32 v7, v10, v7
	v_add_u32_e32 v10, v17, v6
	s_andn2_saveexec_b64 s[0:1], s[10:11]
	s_cbranch_execnz .LBB263_13
	s_branch .LBB263_14
.LBB263_12:
	s_andn2_saveexec_b64 s[0:1], s[10:11]
	s_cbranch_execz .LBB263_14
.LBB263_13:
	s_mov_b32 s2, 0x3f22f983
	v_mul_f32_e64 v6, |v0|, s2
	v_rndne_f32_e32 v6, v6
	s_mov_b32 s2, 0xbfc90fda
	v_cvt_i32_f32_e32 v10, v6
	v_fma_f32 v7, v6, s2, |v0|
	v_fmamk_f32 v7, v6, 0xb3a22168, v7
	v_fmamk_f32 v7, v6, 0xa7c234c4, v7
.LBB263_14:
	s_or_b64 exec, exec, s[0:1]
	v_mul_f32_e32 v6, 0x3fb8aa3b, v1
	s_mov_b32 s0, 0x3fb8aa3b
	v_rndne_f32_e32 v9, v6
	v_sub_f32_e32 v11, v6, v9
	v_fma_f32 v6, v1, s0, -v6
	v_fmamk_f32 v6, v1, 0x32a5705f, v6
	v_add_f32_e32 v6, v11, v6
	v_exp_f32_e32 v6, v6
	v_cvt_i32_f32_e32 v9, v9
	s_mov_b32 s0, 0xc2ce8ed0
	v_cmp_ngt_f32_e32 vcc, s0, v1
	s_mov_b32 s0, 0x42b17218
	v_ldexp_f32 v6, v6, v9
	v_cndmask_b32_e32 v6, 0, v6, vcc
	v_mov_b32_e32 v9, 0x7f800000
	v_cmp_nlt_f32_e32 vcc, s0, v1
	v_lshlrev_b32_e32 v1, 30, v3
	v_and_b32_e32 v13, 1, v10
	v_and_b32_e32 v16, 1, v3
	v_mul_f32_e32 v3, v7, v7
	v_mov_b32_e32 v15, 0x3c0881c4
	v_lshlrev_b32_e32 v10, 30, v10
	v_cndmask_b32_e32 v12, v9, v6, vcc
	v_fmamk_f32 v6, v3, 0xb94c1982, v15
	v_and_b32_e32 v10, 0x80000000, v10
	v_xor_b32_e32 v8, v8, v0
	v_fmaak_f32 v11, v3, v6, 0xbe2aaa9d
	v_xor_b32_e32 v8, v8, v10
	v_mov_b32_e32 v10, v2
	v_mov_b32_e32 v18, 0xbab64f3b
	v_pk_mul_f32 v[10:11], v[2:3], v[10:11]
	v_fmamk_f32 v6, v3, 0x37d75334, v18
	v_mov_b32_e32 v19, 0x3d2aabf7
	v_fmac_f32_e32 v18, 0x37d75334, v10
	v_mov_b32_e32 v17, 0xbe2aaa9d
	v_fmaak_f32 v14, v3, v6, 0x3d2aabf7
	v_mov_b32_e32 v6, 0xbf000004
	v_fmac_f32_e32 v19, v10, v18
	v_fmac_f32_e32 v15, 0xb94c1982, v10
	v_fmaak_f32 v20, v3, v14, 0xbf000004
	v_mov_b32_e32 v14, 1.0
	v_fmac_f32_e32 v6, v10, v19
	v_fmac_f32_e32 v17, v10, v15
	v_mov_b32_e32 v15, v7
	v_fma_f32 v20, v3, v20, 1.0
	v_mul_f32_e32 v3, v10, v17
	v_pk_fma_f32 v[6:7], v[10:11], v[6:7], v[14:15]
	v_cmp_eq_u32_e32 vcc, 0, v13
	v_fmac_f32_e32 v2, v2, v3
	s_movk_i32 s0, 0x1f8
	v_cndmask_b32_e32 v3, v20, v7, vcc
	v_cmp_eq_u32_e32 vcc, 0, v16
	v_and_b32_e32 v1, 0x80000000, v1
	v_xor_b32_e32 v3, v8, v3
	v_cndmask_b32_e64 v2, -v2, v6, vcc
	v_xor_b32_e32 v2, v1, v2
	v_mov_b32_e32 v6, 0x7fc00000
	v_cmp_class_f32_e64 vcc, v0, s0
	s_mov_b32 s4, 0x7f800000
	s_nop 0
	v_cndmask_b32_e32 v1, v6, v3, vcc
	v_cndmask_b32_e32 v0, v6, v2, vcc
	v_pk_mul_f32 v[0:1], v[12:13], v[0:1] op_sel_hi:[0,1]
	v_max_f32_e64 v6, |v0|, |v1|
	v_cvt_f64_f32_e32 v[2:3], v6
	v_frexp_exp_i32_f64_e32 v2, v[2:3]
	v_sub_u32_e32 v3, 0, v2
	v_ldexp_f32 v7, |v0|, v3
	v_ldexp_f32 v3, |v1|, v3
	v_mul_f32_e32 v3, v3, v3
	v_fmac_f32_e32 v3, v7, v7
	v_sqrt_f32_e32 v3, v3
	v_cmp_eq_f32_e32 vcc, s4, v6
	v_ldexp_f32 v3, v3, v2
	v_add_f32_e32 v2, 1.0, v0
	v_cmp_ngt_f32_e64 s[0:1], 0.5, v3
	v_max_f32_e64 v6, |v2|, |v1|
	s_or_b64 s[0:1], vcc, s[0:1]
                                        ; implicit-def: $vgpr3
	s_and_saveexec_b64 s[2:3], s[0:1]
	s_xor_b64 s[2:3], exec, s[2:3]
	s_cbranch_execz .LBB263_16
; %bb.15:
	v_cvt_f64_f32_e32 v[10:11], v6
	v_frexp_exp_i32_f64_e32 v3, v[10:11]
	v_sub_u32_e32 v7, 0, v3
	v_ldexp_f32 v8, |v2|, v7
	v_ldexp_f32 v7, |v1|, v7
	v_mul_f32_e32 v7, v7, v7
	v_fmac_f32_e32 v7, v8, v8
	v_sqrt_f32_e32 v7, v7
	v_cmp_neq_f32_e32 vcc, s4, v6
	s_mov_b32 s0, 0x800000
	v_ldexp_f32 v3, v7, v3
	v_cndmask_b32_e32 v3, v9, v3, vcc
	v_cmp_gt_f32_e32 vcc, s0, v3
	s_mov_b32 s0, 0x3f317217
	s_nop 0
	v_cndmask_b32_e64 v7, 0, 32, vcc
	v_ldexp_f32 v3, v3, v7
	v_log_f32_e32 v3, v3
	s_nop 0
	v_mul_f32_e32 v7, 0x3f317217, v3
	v_fma_f32 v7, v3, s0, -v7
	v_fmamk_f32 v7, v3, 0x3377d1cf, v7
	v_fmac_f32_e32 v7, 0x3f317217, v3
	v_cmp_lt_f32_e64 s[0:1], |v3|, s4
	s_nop 1
	v_cndmask_b32_e64 v3, v3, v7, s[0:1]
	v_mov_b32_e32 v7, 0x41b17218
	v_cndmask_b32_e32 v7, 0, v7, vcc
	v_sub_f32_e32 v3, v3, v7
.LBB263_16:
	s_andn2_saveexec_b64 s[0:1], s[2:3]
	s_cbranch_execz .LBB263_20
; %bb.17:
	v_add_f32_e32 v8, 2.0, v0
	v_mov_b32_e32 v9, v1
	v_pk_mul_f32 v[8:9], v[0:1], v[8:9]
	s_nop 0
	v_add_f32_e32 v3, v8, v9
	v_cmp_neq_f32_e32 vcc, 0, v3
	s_and_saveexec_b64 s[2:3], vcc
	s_cbranch_execz .LBB263_19
; %bb.18:
	v_add_f32_e32 v0, 1.0, v3
	v_add_f32_e32 v7, -1.0, v0
	v_sub_f32_e32 v8, v7, v0
	v_add_f32_e32 v8, 1.0, v8
	v_sub_f32_e32 v7, v3, v7
	v_add_f32_e32 v7, v7, v8
	v_frexp_mant_f32_e32 v10, v0
	s_mov_b32 s4, 0x3f2aaaab
	v_cvt_f64_f32_e32 v[8:9], v0
	v_frexp_exp_i32_f64_e32 v8, v[8:9]
	v_cmp_gt_f32_e32 vcc, s4, v10
	s_mov_b32 s4, 0x3f317218
	s_nop 0
	v_subbrev_co_u32_e32 v16, vcc, 0, v8, vcc
	v_sub_u32_e32 v8, 0, v16
	v_ldexp_f32 v0, v0, v8
	v_ldexp_f32 v7, v7, v8
	v_add_f32_e32 v8, -1.0, v0
	v_add_f32_e32 v9, 1.0, v8
	v_sub_f32_e32 v9, v0, v9
	v_add_f32_e32 v10, v7, v9
	v_add_f32_e32 v9, 1.0, v0
	v_add_f32_e32 v11, -1.0, v9
	v_sub_f32_e32 v0, v0, v11
	v_add_f32_e32 v0, v7, v0
	v_add_f32_e32 v7, v9, v0
	v_rcp_f32_e32 v17, v7
	v_sub_f32_e32 v9, v7, v9
	v_sub_f32_e32 v0, v0, v9
	v_add_f32_e32 v9, v8, v10
	v_sub_f32_e32 v8, v9, v8
	v_mul_f32_e32 v19, v9, v17
	v_sub_f32_e32 v18, v10, v8
	v_mul_f32_e32 v10, v7, v19
	v_fma_f32 v12, v19, v7, -v10
	v_fmac_f32_e32 v12, v19, v0
	v_add_f32_e32 v8, v10, v12
	v_sub_f32_e32 v11, v9, v8
	v_pk_add_f32 v[14:15], v[8:9], v[10:11] neg_lo:[0,1] neg_hi:[0,1]
	v_mov_b32_e32 v13, v8
	v_pk_add_f32 v[8:9], v[14:15], v[12:13] neg_lo:[0,1] neg_hi:[0,1]
	s_nop 0
	v_add_f32_e32 v9, v18, v9
	v_add_f32_e32 v8, v8, v9
	;; [unrolled: 1-line block ×3, first 2 shown]
	v_mul_f32_e32 v18, v17, v9
	v_mul_f32_e32 v10, v7, v18
	v_fma_f32 v12, v18, v7, -v10
	v_fmac_f32_e32 v12, v18, v0
	v_sub_f32_e32 v0, v11, v9
	v_add_f32_e32 v0, v8, v0
	v_add_f32_e32 v8, v10, v12
	v_sub_f32_e32 v11, v9, v8
	v_pk_add_f32 v[14:15], v[8:9], v[10:11] neg_lo:[0,1] neg_hi:[0,1]
	v_mov_b32_e32 v13, v8
	v_pk_add_f32 v[8:9], v[14:15], v[12:13] neg_lo:[0,1] neg_hi:[0,1]
	v_add_f32_e32 v7, v19, v18
	v_add_f32_e32 v0, v0, v9
	;; [unrolled: 1-line block ×4, first 2 shown]
	v_sub_f32_e32 v8, v7, v19
	v_mul_f32_e32 v0, v17, v0
	v_sub_f32_e32 v8, v18, v8
	v_add_f32_e32 v0, v8, v0
	v_add_f32_e32 v8, v7, v0
	v_cvt_f32_i32_e32 v10, v16
	v_mul_f32_e32 v11, v8, v8
	v_mov_b32_e32 v9, 0x3ecc95a3
	v_fmac_f32_e32 v9, 0x3e9b6dac, v11
	v_fmaak_f32 v9, v11, v9, 0x3f2aaada
	v_sub_f32_e32 v7, v8, v7
	v_ldexp_f32 v13, v8, 1
	v_mul_f32_e32 v11, v8, v11
	v_mov_b32_e32 v8, 0x3f317218
	v_pk_mul_f32 v[8:9], v[10:11], v[8:9]
	v_sub_f32_e32 v0, v0, v7
	v_fma_f32 v7, v10, s4, -v8
	v_fmamk_f32 v12, v10, 0xb102e308, v7
	v_pk_add_f32 v[10:11], v[8:9], v[12:13]
	v_ldexp_f32 v0, v0, 1
	v_sub_f32_e32 v7, v11, v13
	v_sub_f32_e32 v7, v9, v7
	v_add_f32_e32 v15, v0, v7
	v_mov_b32_e32 v14, v8
	v_pk_add_f32 v[8:9], v[10:11], v[8:9] neg_lo:[0,1] neg_hi:[0,1]
	v_pk_add_f32 v[16:17], v[10:11], v[14:15]
	v_mov_b32_e32 v13, v10
	v_mov_b32_e32 v9, v17
	v_pk_add_f32 v[18:19], v[12:13], v[8:9] neg_lo:[0,1] neg_hi:[0,1]
	v_pk_add_f32 v[8:9], v[12:13], v[8:9]
	v_mov_b32_e32 v14, v15
	v_pk_add_f32 v[12:13], v[8:9], v[10:11] op_sel:[1,0] op_sel_hi:[0,1] neg_lo:[0,1] neg_hi:[0,1]
	v_pk_add_f32 v[20:21], v[16:17], v[12:13] op_sel_hi:[1,0] neg_lo:[0,1] neg_hi:[0,1]
	v_mov_b32_e32 v16, v17
	v_mov_b32_e32 v17, v9
	v_pk_mov_b32 v[12:13], v[10:11], v[12:13] op_sel:[1,0]
	v_mov_b32_e32 v15, v10
	v_pk_add_f32 v[12:13], v[16:17], v[12:13] neg_lo:[0,1] neg_hi:[0,1]
	v_mov_b32_e32 v20, v18
	v_pk_add_f32 v[10:11], v[14:15], v[12:13] neg_lo:[0,1] neg_hi:[0,1]
	v_mov_b32_e32 v19, v9
	v_pk_add_f32 v[12:13], v[20:21], v[10:11]
	s_mov_b32 s4, 0x7f800000
	v_pk_add_f32 v[14:15], v[12:13], v[12:13] op_sel:[0,1] op_sel_hi:[1,0]
	v_mov_b32_e32 v7, 0x7f800000
	v_pk_add_f32 v[8:9], v[8:9], v[14:15] op_sel:[1,0] op_sel_hi:[0,1]
	v_mov_b32_e32 v13, v8
	v_pk_add_f32 v[16:17], v[12:13], v[18:19] neg_lo:[0,1] neg_hi:[0,1]
	v_mov_b32_e32 v11, v14
	v_sub_f32_e32 v0, v12, v16
	v_pk_add_f32 v[10:11], v[10:11], v[16:17] neg_lo:[0,1] neg_hi:[0,1]
	v_sub_f32_e32 v0, v18, v0
	v_add_f32_e32 v0, v10, v0
	v_add_f32_e32 v0, v0, v11
	v_add_f32_e32 v0, v8, v0
	v_cmp_neq_f32_e32 vcc, s4, v3
	s_mov_b32 s4, 0x33800000
	s_nop 0
	v_cndmask_b32_e32 v0, v7, v0, vcc
	v_mov_b32_e32 v7, 0x7fc00000
	v_cmp_ngt_f32_e32 vcc, -1.0, v3
	s_nop 1
	v_cndmask_b32_e32 v0, v7, v0, vcc
	v_mov_b32_e32 v7, 0xff800000
	v_cmp_neq_f32_e32 vcc, -1.0, v3
	s_nop 1
	v_cndmask_b32_e32 v0, v7, v0, vcc
	v_cmp_lt_f32_e64 vcc, |v3|, s4
	s_nop 1
	v_cndmask_b32_e32 v0, v0, v3, vcc
	v_mul_f32_e32 v0, 0.5, v0
.LBB263_19:
	s_or_b64 exec, exec, s[2:3]
	v_mov_b32_e32 v3, v0
.LBB263_20:
	s_or_b64 exec, exec, s[0:1]
	v_max_f32_e64 v8, |v1|, |v1|
	v_max_f32_e64 v9, |v2|, |v2|
	v_min_f32_e32 v8, v9, v8
	v_frexp_mant_f32_e32 v9, v6
	v_rcp_f32_e32 v9, v9
	v_frexp_exp_i32_f32_e32 v6, v6
	v_frexp_exp_i32_f32_e32 v10, v8
	v_frexp_mant_f32_e32 v8, v8
	v_mul_f32_e32 v8, v8, v9
	v_sub_u32_e32 v6, v10, v6
	v_ldexp_f32 v6, v8, v6
	v_mul_f32_e32 v8, v6, v6
	v_mov_b32_e32 v9, 0xbc7a590c
	v_fmac_f32_e32 v9, 0x3b2d2a58, v8
	v_fmaak_f32 v9, v8, v9, 0x3d29fb3f
	v_fmaak_f32 v9, v8, v9, 0xbd97d4d7
	;; [unrolled: 1-line block ×6, first 2 shown]
	s_movk_i32 s0, 0x204
	v_mov_b32_e32 v0, 0x3f490fdb
	v_mov_b32_e32 v7, 0x4016cbe4
	v_cmp_gt_f32_e32 vcc, 0, v2
	v_mul_f32_e32 v8, v8, v9
	v_cmp_class_f32_e64 s[2:3], v1, s0
	v_cmp_class_f32_e64 s[4:5], v2, s0
	v_cndmask_b32_e32 v0, v0, v7, vcc
	v_mov_b32_e32 v7, 0x40490fdb
	v_cmp_gt_i32_e64 s[0:1], 0, v2
	v_fmac_f32_e32 v6, v6, v8
	v_sub_f32_e32 v8, 0x3fc90fdb, v6
	v_cndmask_b32_e64 v7, 0, v7, s[0:1]
	v_cmp_gt_f32_e64 s[0:1], |v1|, |v2|
	s_nop 1
	v_cndmask_b32_e64 v6, v6, v8, s[0:1]
	v_sub_f32_e32 v8, 0x40490fdb, v6
	v_cndmask_b32_e32 v6, v6, v8, vcc
	v_cmp_eq_f32_e32 vcc, 0, v1
	s_brev_b32 s0, -2
	s_nop 0
	v_cndmask_b32_e32 v6, v6, v7, vcc
	s_and_b64 vcc, s[4:5], s[2:3]
	v_cndmask_b32_e32 v0, v6, v0, vcc
	v_mov_b32_e32 v6, 0x7fc00000
	v_cmp_o_f32_e32 vcc, v2, v1
	s_nop 1
	v_cndmask_b32_e32 v0, v6, v0, vcc
	v_bfi_b32 v2, s0, v0, v1
	v_pk_add_f32 v[2:3], v[2:3], v[4:5]
                                        ; implicit-def: $vgpr6
                                        ; implicit-def: $vgpr4_vgpr5
.LBB263_21:
	s_andn2_saveexec_b64 s[8:9], s[8:9]
	s_cbranch_execz .LBB263_47
; %bb.22:
	v_cmp_ngt_f32_e32 vcc, 0, v3
	s_and_saveexec_b64 s[10:11], vcc
	s_cbranch_execz .LBB263_46
; %bb.23:
	v_and_b32_e32 v0, 0x7fffffff, v2
	s_brev_b32 s0, 18
	v_cmp_nlt_f32_e64 s[12:13], |v2|, s0
	v_lshrrev_b32_e32 v8, 23, v0
                                        ; implicit-def: $vgpr3
                                        ; implicit-def: $vgpr1
	s_and_saveexec_b64 s[0:1], s[12:13]
	s_xor_b64 s[14:15], exec, s[0:1]
	s_cbranch_execz .LBB263_25
; %bb.24:
	v_add_u32_e32 v1, 0xffffff88, v8
	v_not_b32_e32 v3, 63
	v_cmp_lt_u32_e32 vcc, 63, v1
	s_mov_b32 s4, 0xfe5163ab
	v_mov_b32_e32 v13, 0
	v_cndmask_b32_e32 v3, 0, v3, vcc
	v_add_u32_e32 v1, v3, v1
	v_not_b32_e32 v3, 31
	v_cmp_lt_u32_e64 s[0:1], 31, v1
	s_nop 1
	v_cndmask_b32_e64 v5, 0, v3, s[0:1]
	v_add_u32_e32 v1, v5, v1
	v_cmp_lt_u32_e64 s[2:3], 31, v1
	s_nop 1
	v_cndmask_b32_e64 v3, 0, v3, s[2:3]
	v_add_u32_e32 v1, v3, v1
	v_and_b32_e32 v3, 0x7fffff, v0
	v_or_b32_e32 v3, 0x800000, v3
	v_mad_u64_u32 v[10:11], s[4:5], v3, s4, 0
	v_mov_b32_e32 v12, v11
	s_mov_b32 s4, 0x3c439041
	v_mad_u64_u32 v[14:15], s[4:5], v3, s4, v[12:13]
	v_mov_b32_e32 v12, v15
	s_mov_b32 s4, 0xdb629599
	;; [unrolled: 3-line block ×6, first 2 shown]
	v_mad_u64_u32 v[12:13], s[4:5], v3, s4, v[12:13]
	v_cndmask_b32_e32 v5, v22, v18, vcc
	v_cndmask_b32_e32 v3, v12, v20, vcc
	;; [unrolled: 1-line block ×3, first 2 shown]
	v_cndmask_b32_e64 v7, v3, v5, s[0:1]
	v_cndmask_b32_e64 v3, v9, v3, s[0:1]
	v_cndmask_b32_e32 v9, v20, v16, vcc
	v_cndmask_b32_e64 v5, v5, v9, s[0:1]
	v_sub_u32_e32 v11, 32, v1
	v_cmp_eq_u32_e64 s[4:5], 0, v1
	v_cndmask_b32_e32 v1, v18, v14, vcc
	v_cndmask_b32_e64 v3, v3, v7, s[2:3]
	v_cndmask_b32_e64 v7, v7, v5, s[2:3]
	;; [unrolled: 1-line block ×3, first 2 shown]
	v_alignbit_b32 v12, v3, v7, v11
	v_cndmask_b32_e64 v5, v5, v9, s[2:3]
	v_cndmask_b32_e64 v3, v12, v3, s[4:5]
	v_alignbit_b32 v12, v7, v5, v11
	v_cndmask_b32_e32 v10, v16, v10, vcc
	v_cndmask_b32_e64 v7, v12, v7, s[4:5]
	v_bfe_u32 v14, v3, 29, 1
	v_cndmask_b32_e64 v1, v1, v10, s[0:1]
	v_alignbit_b32 v12, v3, v7, 30
	v_sub_u32_e32 v15, 0, v14
	v_cndmask_b32_e64 v1, v9, v1, s[2:3]
	v_xor_b32_e32 v12, v12, v15
	v_alignbit_b32 v9, v5, v1, v11
	v_cndmask_b32_e64 v5, v9, v5, s[4:5]
	v_ffbh_u32_e32 v9, v12
	v_alignbit_b32 v7, v7, v5, 30
	v_min_u32_e32 v9, 32, v9
	v_alignbit_b32 v1, v5, v1, 30
	v_xor_b32_e32 v7, v7, v15
	v_sub_u32_e32 v10, 31, v9
	v_xor_b32_e32 v1, v1, v15
	v_alignbit_b32 v11, v12, v7, v10
	v_alignbit_b32 v1, v7, v1, v10
	;; [unrolled: 1-line block ×3, first 2 shown]
	v_ffbh_u32_e32 v7, v5
	v_min_u32_e32 v7, 32, v7
	v_lshrrev_b32_e32 v13, 29, v3
	v_not_b32_e32 v10, v7
	v_alignbit_b32 v1, v5, v1, v10
	v_lshlrev_b32_e32 v5, 31, v13
	v_or_b32_e32 v10, 0x33000000, v5
	v_add_lshl_u32 v7, v7, v9, 23
	v_lshrrev_b32_e32 v1, 9, v1
	v_sub_u32_e32 v7, v10, v7
	v_or_b32_e32 v5, 0.5, v5
	v_lshlrev_b32_e32 v9, 23, v9
	v_or_b32_e32 v1, v7, v1
	v_lshrrev_b32_e32 v7, 9, v11
	v_sub_u32_e32 v5, v5, v9
	v_or_b32_e32 v5, v7, v5
	s_mov_b32 s0, 0x3fc90fda
	v_mul_f32_e32 v7, 0x3fc90fda, v5
	v_fma_f32 v9, v5, s0, -v7
	v_fmamk_f32 v5, v5, 0x33a22168, v9
	v_fmac_f32_e32 v5, 0x3fc90fda, v1
	v_lshrrev_b32_e32 v3, 30, v3
	v_add_f32_e32 v1, v7, v5
	v_add_u32_e32 v3, v14, v3
	s_andn2_saveexec_b64 s[0:1], s[14:15]
	s_cbranch_execz .LBB263_27
	s_branch .LBB263_26
.LBB263_25:
	s_andn2_saveexec_b64 s[0:1], s[14:15]
	s_cbranch_execz .LBB263_27
.LBB263_26:
	s_mov_b32 s2, 0x3f22f983
	v_mul_f32_e64 v1, |v2|, s2
	v_rndne_f32_e32 v1, v1
	s_mov_b32 s2, 0xbfc90fda
	v_cvt_i32_f32_e32 v3, v1
	v_fma_f32 v5, v1, s2, |v2|
	v_fmamk_f32 v5, v1, 0xb3a22168, v5
	v_fmamk_f32 v1, v1, 0xa7c234c4, v5
.LBB263_27:
	s_or_b64 exec, exec, s[0:1]
                                        ; implicit-def: $vgpr5
                                        ; implicit-def: $vgpr7
	s_and_saveexec_b64 s[0:1], s[12:13]
	s_xor_b64 s[12:13], exec, s[0:1]
	s_cbranch_execz .LBB263_29
; %bb.28:
	v_add_u32_e32 v5, 0xffffff88, v8
	v_not_b32_e32 v7, 63
	v_cmp_lt_u32_e32 vcc, 63, v5
	s_mov_b32 s4, 0xfe5163ab
	v_mov_b32_e32 v11, 0
	v_cndmask_b32_e32 v7, 0, v7, vcc
	v_add_u32_e32 v5, v7, v5
	v_not_b32_e32 v7, 31
	v_cmp_lt_u32_e64 s[0:1], 31, v5
	s_nop 1
	v_cndmask_b32_e64 v8, 0, v7, s[0:1]
	v_add_u32_e32 v5, v8, v5
	v_cmp_lt_u32_e64 s[2:3], 31, v5
	s_nop 1
	v_cndmask_b32_e64 v7, 0, v7, s[2:3]
	v_add_u32_e32 v5, v7, v5
	v_and_b32_e32 v7, 0x7fffff, v0
	v_or_b32_e32 v7, 0x800000, v7
	v_mad_u64_u32 v[8:9], s[4:5], v7, s4, 0
	v_mov_b32_e32 v10, v9
	s_mov_b32 s4, 0x3c439041
	v_mad_u64_u32 v[12:13], s[4:5], v7, s4, v[10:11]
	v_mov_b32_e32 v10, v13
	s_mov_b32 s4, 0xdb629599
	;; [unrolled: 3-line block ×6, first 2 shown]
	v_mad_u64_u32 v[10:11], s[4:5], v7, s4, v[10:11]
	v_cndmask_b32_e32 v9, v20, v16, vcc
	v_cndmask_b32_e32 v7, v10, v18, vcc
	;; [unrolled: 1-line block ×3, first 2 shown]
	v_cndmask_b32_e64 v10, v7, v9, s[0:1]
	v_cndmask_b32_e64 v7, v11, v7, s[0:1]
	v_cndmask_b32_e32 v11, v18, v14, vcc
	v_cndmask_b32_e64 v9, v9, v11, s[0:1]
	v_cndmask_b32_e64 v7, v7, v10, s[2:3]
	;; [unrolled: 1-line block ×3, first 2 shown]
	v_sub_u32_e32 v13, 32, v5
	v_alignbit_b32 v15, v7, v10, v13
	v_cmp_eq_u32_e64 s[4:5], 0, v5
	v_cndmask_b32_e32 v8, v14, v8, vcc
	s_nop 0
	v_cndmask_b32_e64 v5, v15, v7, s[4:5]
	v_cndmask_b32_e32 v7, v16, v12, vcc
	v_cndmask_b32_e64 v11, v11, v7, s[0:1]
	v_cndmask_b32_e64 v9, v9, v11, s[2:3]
	v_alignbit_b32 v12, v10, v9, v13
	v_cndmask_b32_e64 v7, v7, v8, s[0:1]
	v_cndmask_b32_e64 v10, v12, v10, s[4:5]
	v_bfe_u32 v16, v5, 29, 1
	v_cndmask_b32_e64 v7, v11, v7, s[2:3]
	v_alignbit_b32 v12, v5, v10, 30
	v_sub_u32_e32 v17, 0, v16
	v_alignbit_b32 v8, v9, v7, v13
	v_xor_b32_e32 v12, v12, v17
	v_cndmask_b32_e64 v8, v8, v9, s[4:5]
	v_alignbit_b32 v9, v10, v8, 30
	v_ffbh_u32_e32 v10, v12
	v_min_u32_e32 v10, 32, v10
	v_alignbit_b32 v7, v8, v7, 30
	v_xor_b32_e32 v9, v9, v17
	v_sub_u32_e32 v11, 31, v10
	v_xor_b32_e32 v7, v7, v17
	v_alignbit_b32 v12, v12, v9, v11
	v_alignbit_b32 v7, v9, v7, v11
	;; [unrolled: 1-line block ×3, first 2 shown]
	v_ffbh_u32_e32 v9, v8
	v_min_u32_e32 v9, 32, v9
	v_lshrrev_b32_e32 v15, 29, v5
	v_not_b32_e32 v11, v9
	v_alignbit_b32 v7, v8, v7, v11
	v_lshlrev_b32_e32 v8, 31, v15
	v_or_b32_e32 v11, 0x33000000, v8
	v_add_lshl_u32 v9, v9, v10, 23
	v_lshrrev_b32_e32 v7, 9, v7
	v_sub_u32_e32 v9, v11, v9
	v_or_b32_e32 v8, 0.5, v8
	v_lshlrev_b32_e32 v10, 23, v10
	v_or_b32_e32 v7, v9, v7
	v_lshrrev_b32_e32 v9, 9, v12
	v_sub_u32_e32 v8, v8, v10
	v_or_b32_e32 v8, v9, v8
	s_mov_b32 s0, 0x3fc90fda
	v_mul_f32_e32 v9, 0x3fc90fda, v8
	v_fma_f32 v10, v8, s0, -v9
	v_fmamk_f32 v8, v8, 0x33a22168, v10
	v_fmac_f32_e32 v8, 0x3fc90fda, v7
	v_lshrrev_b32_e32 v5, 30, v5
	v_add_f32_e32 v7, v9, v8
	v_add_u32_e32 v5, v16, v5
	s_andn2_saveexec_b64 s[0:1], s[12:13]
	s_cbranch_execnz .LBB263_30
	s_branch .LBB263_31
.LBB263_29:
	s_andn2_saveexec_b64 s[0:1], s[12:13]
	s_cbranch_execz .LBB263_31
.LBB263_30:
	s_mov_b32 s2, 0x3f22f983
	v_mul_f32_e64 v5, |v2|, s2
	v_rndne_f32_e32 v7, v5
	s_mov_b32 s2, 0xbfc90fda
	v_cvt_i32_f32_e32 v5, v7
	v_fma_f32 v8, v7, s2, |v2|
	v_fmamk_f32 v8, v7, 0xb3a22168, v8
	v_fmamk_f32 v7, v7, 0xa7c234c4, v8
.LBB263_31:
	s_or_b64 exec, exec, s[0:1]
	v_and_b32_e32 v8, 0x7fffffff, v4
	s_brev_b32 s0, 18
	v_cmp_nlt_f32_e64 s[12:13], |v4|, s0
	v_lshrrev_b32_e32 v11, 23, v8
                                        ; implicit-def: $vgpr10
                                        ; implicit-def: $vgpr9
	s_and_saveexec_b64 s[0:1], s[12:13]
	s_xor_b64 s[14:15], exec, s[0:1]
	s_cbranch_execz .LBB263_33
; %bb.32:
	v_add_u32_e32 v9, 0xffffff88, v11
	v_not_b32_e32 v10, 63
	v_cmp_lt_u32_e32 vcc, 63, v9
	s_mov_b32 s4, 0xfe5163ab
	v_mov_b32_e32 v15, 0
	v_cndmask_b32_e32 v10, 0, v10, vcc
	v_add_u32_e32 v9, v10, v9
	v_not_b32_e32 v10, 31
	v_cmp_lt_u32_e64 s[0:1], 31, v9
	s_nop 1
	v_cndmask_b32_e64 v12, 0, v10, s[0:1]
	v_add_u32_e32 v9, v12, v9
	v_cmp_lt_u32_e64 s[2:3], 31, v9
	s_nop 1
	v_cndmask_b32_e64 v10, 0, v10, s[2:3]
	v_add_u32_e32 v9, v10, v9
	v_and_b32_e32 v10, 0x7fffff, v8
	v_or_b32_e32 v10, 0x800000, v10
	v_mad_u64_u32 v[12:13], s[4:5], v10, s4, 0
	v_mov_b32_e32 v14, v13
	s_mov_b32 s4, 0x3c439041
	v_mad_u64_u32 v[16:17], s[4:5], v10, s4, v[14:15]
	v_mov_b32_e32 v14, v17
	s_mov_b32 s4, 0xdb629599
	;; [unrolled: 3-line block ×6, first 2 shown]
	v_mad_u64_u32 v[14:15], s[4:5], v10, s4, v[14:15]
	v_cndmask_b32_e32 v13, v24, v20, vcc
	v_cndmask_b32_e32 v10, v14, v22, vcc
	;; [unrolled: 1-line block ×3, first 2 shown]
	v_cndmask_b32_e64 v14, v10, v13, s[0:1]
	v_cndmask_b32_e64 v10, v15, v10, s[0:1]
	v_cndmask_b32_e32 v15, v22, v18, vcc
	v_cndmask_b32_e64 v13, v13, v15, s[0:1]
	v_sub_u32_e32 v17, 32, v9
	v_cmp_eq_u32_e64 s[4:5], 0, v9
	v_cndmask_b32_e32 v9, v20, v16, vcc
	v_cndmask_b32_e64 v10, v10, v14, s[2:3]
	v_cndmask_b32_e64 v14, v14, v13, s[2:3]
	;; [unrolled: 1-line block ×3, first 2 shown]
	v_alignbit_b32 v19, v10, v14, v17
	v_cndmask_b32_e64 v13, v13, v15, s[2:3]
	v_cndmask_b32_e32 v12, v18, v12, vcc
	v_cndmask_b32_e64 v10, v19, v10, s[4:5]
	v_alignbit_b32 v16, v14, v13, v17
	v_cndmask_b32_e64 v9, v9, v12, s[0:1]
	v_cndmask_b32_e64 v14, v16, v14, s[4:5]
	v_bfe_u32 v20, v10, 29, 1
	v_cndmask_b32_e64 v9, v15, v9, s[2:3]
	v_alignbit_b32 v16, v10, v14, 30
	v_sub_u32_e32 v21, 0, v20
	v_alignbit_b32 v12, v13, v9, v17
	v_xor_b32_e32 v16, v16, v21
	v_cndmask_b32_e64 v12, v12, v13, s[4:5]
	v_alignbit_b32 v13, v14, v12, 30
	v_ffbh_u32_e32 v14, v16
	v_min_u32_e32 v14, 32, v14
	v_alignbit_b32 v9, v12, v9, 30
	v_xor_b32_e32 v13, v13, v21
	v_sub_u32_e32 v15, 31, v14
	v_xor_b32_e32 v9, v9, v21
	v_alignbit_b32 v16, v16, v13, v15
	v_alignbit_b32 v9, v13, v9, v15
	;; [unrolled: 1-line block ×3, first 2 shown]
	v_ffbh_u32_e32 v13, v12
	v_min_u32_e32 v13, 32, v13
	v_lshrrev_b32_e32 v19, 29, v10
	v_not_b32_e32 v15, v13
	v_alignbit_b32 v9, v12, v9, v15
	v_lshlrev_b32_e32 v12, 31, v19
	v_or_b32_e32 v15, 0x33000000, v12
	v_add_lshl_u32 v13, v13, v14, 23
	v_lshrrev_b32_e32 v9, 9, v9
	v_sub_u32_e32 v13, v15, v13
	v_or_b32_e32 v12, 0.5, v12
	v_lshlrev_b32_e32 v14, 23, v14
	v_or_b32_e32 v9, v13, v9
	v_lshrrev_b32_e32 v13, 9, v16
	v_sub_u32_e32 v12, v12, v14
	v_or_b32_e32 v12, v13, v12
	s_mov_b32 s0, 0x3fc90fda
	v_mul_f32_e32 v13, 0x3fc90fda, v12
	v_fma_f32 v14, v12, s0, -v13
	v_fmamk_f32 v12, v12, 0x33a22168, v14
	v_fmac_f32_e32 v12, 0x3fc90fda, v9
	v_lshrrev_b32_e32 v10, 30, v10
	v_add_f32_e32 v9, v13, v12
	v_add_u32_e32 v10, v20, v10
	s_andn2_saveexec_b64 s[0:1], s[14:15]
	s_cbranch_execz .LBB263_35
	s_branch .LBB263_34
.LBB263_33:
	s_andn2_saveexec_b64 s[0:1], s[14:15]
	s_cbranch_execz .LBB263_35
.LBB263_34:
	s_mov_b32 s2, 0x3f22f983
	v_mul_f32_e64 v9, |v4|, s2
	v_rndne_f32_e32 v9, v9
	s_mov_b32 s2, 0xbfc90fda
	v_cvt_i32_f32_e32 v10, v9
	v_fma_f32 v12, v9, s2, |v4|
	v_fmamk_f32 v12, v9, 0xb3a22168, v12
	v_fmamk_f32 v9, v9, 0xa7c234c4, v12
.LBB263_35:
	s_or_b64 exec, exec, s[0:1]
                                        ; implicit-def: $vgpr12
                                        ; implicit-def: $vgpr13
	s_and_saveexec_b64 s[0:1], s[12:13]
	s_xor_b64 s[12:13], exec, s[0:1]
	s_cbranch_execz .LBB263_37
; %bb.36:
	v_add_u32_e32 v11, 0xffffff88, v11
	v_not_b32_e32 v12, 63
	v_cmp_lt_u32_e32 vcc, 63, v11
	s_mov_b32 s4, 0xfe5163ab
	v_mov_b32_e32 v15, 0
	v_cndmask_b32_e32 v12, 0, v12, vcc
	v_add_u32_e32 v11, v12, v11
	v_not_b32_e32 v12, 31
	v_cmp_lt_u32_e64 s[0:1], 31, v11
	s_nop 1
	v_cndmask_b32_e64 v13, 0, v12, s[0:1]
	v_add_u32_e32 v11, v13, v11
	v_cmp_lt_u32_e64 s[2:3], 31, v11
	s_nop 1
	v_cndmask_b32_e64 v12, 0, v12, s[2:3]
	v_add_u32_e32 v11, v12, v11
	v_and_b32_e32 v12, 0x7fffff, v8
	v_or_b32_e32 v26, 0x800000, v12
	v_mad_u64_u32 v[12:13], s[4:5], v26, s4, 0
	v_mov_b32_e32 v14, v13
	s_mov_b32 s4, 0x3c439041
	v_mad_u64_u32 v[16:17], s[4:5], v26, s4, v[14:15]
	v_mov_b32_e32 v14, v17
	s_mov_b32 s4, 0xdb629599
	;; [unrolled: 3-line block ×6, first 2 shown]
	v_mad_u64_u32 v[14:15], s[4:5], v26, s4, v[14:15]
	v_cndmask_b32_e32 v13, v24, v20, vcc
	v_cndmask_b32_e32 v14, v14, v22, vcc
	;; [unrolled: 1-line block ×3, first 2 shown]
	v_cndmask_b32_e64 v17, v14, v13, s[0:1]
	v_cndmask_b32_e64 v14, v15, v14, s[0:1]
	v_cndmask_b32_e32 v15, v22, v18, vcc
	v_cndmask_b32_e64 v13, v13, v15, s[0:1]
	v_cndmask_b32_e64 v14, v14, v17, s[2:3]
	v_cndmask_b32_e64 v17, v17, v13, s[2:3]
	v_sub_u32_e32 v19, 32, v11
	v_alignbit_b32 v21, v14, v17, v19
	v_cmp_eq_u32_e64 s[4:5], 0, v11
	v_cndmask_b32_e32 v12, v18, v12, vcc
	s_nop 0
	v_cndmask_b32_e64 v11, v21, v14, s[4:5]
	v_cndmask_b32_e32 v14, v20, v16, vcc
	v_cndmask_b32_e64 v15, v15, v14, s[0:1]
	v_cndmask_b32_e64 v13, v13, v15, s[2:3]
	v_alignbit_b32 v16, v17, v13, v19
	v_cndmask_b32_e64 v16, v16, v17, s[4:5]
	v_bfe_u32 v21, v11, 29, 1
	v_cndmask_b32_e64 v12, v14, v12, s[0:1]
	v_alignbit_b32 v17, v11, v16, 30
	v_sub_u32_e32 v22, 0, v21
	v_cndmask_b32_e64 v12, v15, v12, s[2:3]
	v_xor_b32_e32 v17, v17, v22
	v_alignbit_b32 v14, v13, v12, v19
	v_cndmask_b32_e64 v13, v14, v13, s[4:5]
	v_ffbh_u32_e32 v15, v17
	v_alignbit_b32 v14, v16, v13, 30
	v_min_u32_e32 v15, 32, v15
	v_alignbit_b32 v12, v13, v12, 30
	v_xor_b32_e32 v14, v14, v22
	v_sub_u32_e32 v16, 31, v15
	v_xor_b32_e32 v12, v12, v22
	v_alignbit_b32 v17, v17, v14, v16
	v_alignbit_b32 v12, v14, v12, v16
	v_alignbit_b32 v13, v17, v12, 9
	v_ffbh_u32_e32 v14, v13
	v_min_u32_e32 v14, 32, v14
	v_lshrrev_b32_e32 v20, 29, v11
	v_not_b32_e32 v16, v14
	v_alignbit_b32 v12, v13, v12, v16
	v_lshlrev_b32_e32 v13, 31, v20
	v_or_b32_e32 v16, 0x33000000, v13
	v_add_lshl_u32 v14, v14, v15, 23
	v_lshrrev_b32_e32 v12, 9, v12
	v_sub_u32_e32 v14, v16, v14
	v_or_b32_e32 v13, 0.5, v13
	v_lshlrev_b32_e32 v15, 23, v15
	v_or_b32_e32 v12, v14, v12
	v_lshrrev_b32_e32 v14, 9, v17
	v_sub_u32_e32 v13, v13, v15
	v_or_b32_e32 v13, v14, v13
	s_mov_b32 s0, 0x3fc90fda
	v_mul_f32_e32 v14, 0x3fc90fda, v13
	v_fma_f32 v15, v13, s0, -v14
	v_fmamk_f32 v13, v13, 0x33a22168, v15
	v_fmac_f32_e32 v13, 0x3fc90fda, v12
	v_lshrrev_b32_e32 v11, 30, v11
	v_add_f32_e32 v13, v14, v13
	v_add_u32_e32 v12, v21, v11
	s_andn2_saveexec_b64 s[0:1], s[12:13]
	s_cbranch_execnz .LBB263_38
	s_branch .LBB263_39
.LBB263_37:
	s_andn2_saveexec_b64 s[0:1], s[12:13]
	s_cbranch_execz .LBB263_39
.LBB263_38:
	s_mov_b32 s2, 0x3f22f983
	v_mul_f32_e64 v11, |v4|, s2
	v_rndne_f32_e32 v11, v11
	s_mov_b32 s2, 0xbfc90fda
	v_cvt_i32_f32_e32 v12, v11
	v_fma_f32 v13, v11, s2, |v4|
	v_fmamk_f32 v13, v11, 0xb3a22168, v13
	v_fmamk_f32 v13, v11, 0xa7c234c4, v13
.LBB263_39:
	s_or_b64 exec, exec, s[0:1]
	v_mul_f32_e32 v14, v1, v1
	v_mov_b32_e32 v15, 0x3c0881c4
	v_fmamk_f32 v16, v14, 0xb94c1982, v15
	v_fmaak_f32 v16, v14, v16, 0xbe2aaa9d
	v_mul_f32_e32 v16, v14, v16
	v_fmac_f32_e32 v1, v1, v16
	v_mov_b32_e32 v16, 0xbab64f3b
	v_fmamk_f32 v18, v14, 0x37d75334, v16
	v_fmaak_f32 v18, v14, v18, 0x3d2aabf7
	v_lshlrev_b32_e32 v11, 30, v3
	v_and_b32_e32 v3, 1, v3
	v_fmaak_f32 v18, v14, v18, 0xbf000004
	s_movk_i32 s2, 0x1f8
	v_fma_f32 v14, v14, v18, 1.0
	v_cmp_eq_u32_e32 vcc, 0, v3
	s_brev_b32 s3, 1
	v_bitop3_b32 v0, v0, v11, s3 bitop3:0x78
	v_cndmask_b32_e32 v1, v14, v1, vcc
	v_cmp_class_f32_e64 vcc, v2, s2
	v_mul_f32_e32 v2, v7, v7
	v_fmamk_f32 v3, v2, 0xb94c1982, v15
	v_fmaak_f32 v3, v2, v3, 0xbe2aaa9d
	v_mul_f32_e32 v3, v2, v3
	v_fmac_f32_e32 v7, v7, v3
	v_fmamk_f32 v3, v2, 0x37d75334, v16
	v_fmaak_f32 v3, v2, v3, 0x3d2aabf7
	v_fmaak_f32 v3, v2, v3, 0xbf000004
	v_xor_b32_e32 v0, v0, v1
	v_fma_f32 v2, v2, v3, 1.0
	v_and_b32_e32 v3, 1, v5
	v_xor_b32_e32 v0, v0, v6
	v_cmp_eq_u32_e64 s[0:1], 0, v3
	v_mul_f32_e32 v6, v9, v9
	v_lshlrev_b32_e32 v3, 30, v5
	v_cndmask_b32_e64 v2, -v7, v2, s[0:1]
	v_fmamk_f32 v7, v6, 0xb94c1982, v15
	v_fmaak_f32 v7, v6, v7, 0xbe2aaa9d
	v_mov_b32_e32 v1, 0x7fc00000
	v_bitop3_b32 v2, v3, v2, s3 bitop3:0x6c
	v_mul_f32_e32 v7, v6, v7
	v_cndmask_b32_e32 v2, v1, v2, vcc
	v_fmac_f32_e32 v9, v9, v7
	v_fmamk_f32 v7, v6, 0x37d75334, v16
	v_cndmask_b32_e32 v0, v1, v0, vcc
	v_mul_f32_e32 v3, 0x7f800000, v2
	v_cmp_neq_f32_e32 vcc, 0, v2
	v_fmaak_f32 v7, v6, v7, 0x3d2aabf7
	v_mul_f32_e32 v2, 0x7f800000, v0
	v_cndmask_b32_e32 v3, 0, v3, vcc
	v_cmp_neq_f32_e32 vcc, 0, v0
	v_and_b32_e32 v5, 1, v10
	v_fmaak_f32 v7, v6, v7, 0xbf000004
	v_cndmask_b32_e32 v0, 0, v2, vcc
	v_lshlrev_b32_e32 v2, 30, v10
	v_fma_f32 v6, v6, v7, 1.0
	v_cmp_eq_u32_e32 vcc, 0, v5
	v_bitop3_b32 v2, v8, v2, s3 bitop3:0x78
	v_mov_b32_e32 v17, 0xbe2aaa9d
	v_cndmask_b32_e32 v5, v6, v9, vcc
	v_xor_b32_e32 v2, v2, v5
	v_xor_b32_e32 v2, v2, v4
	v_cmp_class_f32_e64 vcc, v4, s2
	v_mul_f32_e32 v4, v13, v13
	v_fmac_f32_e32 v15, 0xb94c1982, v4
	v_mov_b32_e32 v19, 0x3d2aabf7
	v_fmac_f32_e32 v17, v4, v15
	v_fmac_f32_e32 v16, 0x37d75334, v4
	v_mov_b32_e32 v20, 0xbf000004
	v_mul_f32_e32 v5, v4, v17
	v_fmac_f32_e32 v19, v4, v16
	v_fmac_f32_e32 v13, v13, v5
	;; [unrolled: 1-line block ×3, first 2 shown]
	v_and_b32_e32 v5, 1, v12
	v_fma_f32 v4, v4, v20, 1.0
	v_cmp_eq_u32_e64 s[0:1], 0, v5
	v_lshlrev_b32_e32 v5, 30, v12
	v_cndmask_b32_e32 v2, v1, v2, vcc
	v_cndmask_b32_e64 v4, -v13, v4, s[0:1]
	v_bitop3_b32 v4, v5, v4, s3 bitop3:0x6c
	v_cndmask_b32_e32 v1, v1, v4, vcc
	v_mul_f32_e32 v4, 0x7f800000, v1
	v_cmp_neq_f32_e32 vcc, 0, v1
	s_mov_b32 s4, 0x7f800000
	s_nop 0
	v_cndmask_b32_e32 v1, 0, v4, vcc
	v_mul_f32_e32 v4, 0x7f800000, v2
	v_cmp_neq_f32_e32 vcc, 0, v2
	v_add_f32_e32 v1, v3, v1
	v_mov_b32_e32 v3, -1.0
	v_cndmask_b32_e32 v2, 0, v4, vcc
	v_pk_add_f32 v[0:1], v[0:1], v[2:3]
	s_nop 0
	v_max_f32_e64 v4, |v1|, |v0|
	v_cvt_f64_f32_e32 v[2:3], v4
	v_frexp_exp_i32_f64_e32 v2, v[2:3]
	v_sub_u32_e32 v3, 0, v2
	v_ldexp_f32 v5, |v1|, v3
	v_ldexp_f32 v3, |v0|, v3
	v_mul_f32_e32 v3, v3, v3
	v_fmac_f32_e32 v3, v5, v5
	v_sqrt_f32_e32 v3, v3
	v_cmp_eq_f32_e32 vcc, s4, v4
	v_ldexp_f32 v3, v3, v2
	v_add_f32_e32 v2, 1.0, v1
	v_cmp_ngt_f32_e64 s[0:1], 0.5, v3
	v_max_f32_e64 v4, |v2|, |v0|
	s_or_b64 s[0:1], vcc, s[0:1]
                                        ; implicit-def: $vgpr3
	s_and_saveexec_b64 s[2:3], s[0:1]
	s_xor_b64 s[2:3], exec, s[2:3]
	s_cbranch_execz .LBB263_41
; %bb.40:
	v_cvt_f64_f32_e32 v[6:7], v4
	v_frexp_exp_i32_f64_e32 v3, v[6:7]
	v_sub_u32_e32 v5, 0, v3
	v_ldexp_f32 v6, |v2|, v5
	v_ldexp_f32 v5, |v0|, v5
	v_mul_f32_e32 v5, v5, v5
	v_fmac_f32_e32 v5, v6, v6
	v_sqrt_f32_e32 v5, v5
	v_mov_b32_e32 v6, 0x7f800000
	v_cmp_neq_f32_e32 vcc, s4, v4
	s_mov_b32 s0, 0x800000
	v_ldexp_f32 v3, v5, v3
	v_cndmask_b32_e32 v3, v6, v3, vcc
	v_cmp_gt_f32_e32 vcc, s0, v3
	s_mov_b32 s0, 0x3f317217
	s_nop 0
	v_cndmask_b32_e64 v5, 0, 32, vcc
	v_ldexp_f32 v3, v3, v5
	v_log_f32_e32 v3, v3
	s_nop 0
	v_mul_f32_e32 v5, 0x3f317217, v3
	v_fma_f32 v5, v3, s0, -v5
	v_fmamk_f32 v5, v3, 0x3377d1cf, v5
	v_fmac_f32_e32 v5, 0x3f317217, v3
	v_cmp_lt_f32_e64 s[0:1], |v3|, s4
	s_nop 1
	v_cndmask_b32_e64 v3, v3, v5, s[0:1]
	v_mov_b32_e32 v5, 0x41b17218
	v_cndmask_b32_e32 v5, 0, v5, vcc
	v_sub_f32_e32 v3, v3, v5
.LBB263_41:
	s_andn2_saveexec_b64 s[0:1], s[2:3]
	s_cbranch_execz .LBB263_45
; %bb.42:
	v_add_f32_e32 v7, 2.0, v1
	v_mov_b32_e32 v6, v0
	v_pk_mul_f32 v[6:7], v[0:1], v[6:7]
	s_nop 0
	v_add_f32_e32 v3, v6, v7
	v_cmp_neq_f32_e32 vcc, 0, v3
	s_and_saveexec_b64 s[2:3], vcc
	s_cbranch_execz .LBB263_44
; %bb.43:
	v_add_f32_e32 v1, 1.0, v3
	v_add_f32_e32 v5, -1.0, v1
	v_sub_f32_e32 v6, v5, v1
	v_add_f32_e32 v6, 1.0, v6
	v_sub_f32_e32 v5, v3, v5
	v_add_f32_e32 v5, v5, v6
	v_frexp_mant_f32_e32 v8, v1
	s_mov_b32 s4, 0x3f2aaaab
	v_cvt_f64_f32_e32 v[6:7], v1
	v_frexp_exp_i32_f64_e32 v6, v[6:7]
	v_cmp_gt_f32_e32 vcc, s4, v8
	s_mov_b32 s4, 0x3f317218
	s_nop 0
	v_subbrev_co_u32_e32 v14, vcc, 0, v6, vcc
	v_sub_u32_e32 v6, 0, v14
	v_ldexp_f32 v1, v1, v6
	v_ldexp_f32 v5, v5, v6
	v_add_f32_e32 v6, -1.0, v1
	v_add_f32_e32 v7, 1.0, v6
	v_sub_f32_e32 v7, v1, v7
	v_add_f32_e32 v8, v5, v7
	v_add_f32_e32 v7, 1.0, v1
	v_add_f32_e32 v9, -1.0, v7
	v_sub_f32_e32 v1, v1, v9
	v_add_f32_e32 v1, v5, v1
	v_add_f32_e32 v5, v7, v1
	v_rcp_f32_e32 v15, v5
	v_sub_f32_e32 v7, v5, v7
	v_sub_f32_e32 v1, v1, v7
	v_add_f32_e32 v7, v6, v8
	v_sub_f32_e32 v6, v7, v6
	v_mul_f32_e32 v17, v7, v15
	v_sub_f32_e32 v16, v8, v6
	v_mul_f32_e32 v8, v5, v17
	v_fma_f32 v10, v17, v5, -v8
	v_fmac_f32_e32 v10, v17, v1
	v_add_f32_e32 v6, v8, v10
	v_sub_f32_e32 v9, v7, v6
	v_pk_add_f32 v[12:13], v[6:7], v[8:9] neg_lo:[0,1] neg_hi:[0,1]
	v_mov_b32_e32 v11, v6
	v_pk_add_f32 v[6:7], v[12:13], v[10:11] neg_lo:[0,1] neg_hi:[0,1]
	s_nop 0
	v_add_f32_e32 v7, v16, v7
	v_add_f32_e32 v6, v6, v7
	;; [unrolled: 1-line block ×3, first 2 shown]
	v_mul_f32_e32 v16, v15, v7
	v_mul_f32_e32 v8, v5, v16
	v_fma_f32 v10, v16, v5, -v8
	v_fmac_f32_e32 v10, v16, v1
	v_sub_f32_e32 v1, v9, v7
	v_add_f32_e32 v1, v6, v1
	v_add_f32_e32 v6, v8, v10
	v_sub_f32_e32 v9, v7, v6
	v_pk_add_f32 v[12:13], v[6:7], v[8:9] neg_lo:[0,1] neg_hi:[0,1]
	v_mov_b32_e32 v11, v6
	v_pk_add_f32 v[6:7], v[12:13], v[10:11] neg_lo:[0,1] neg_hi:[0,1]
	v_add_f32_e32 v5, v17, v16
	v_add_f32_e32 v1, v1, v7
	;; [unrolled: 1-line block ×4, first 2 shown]
	v_sub_f32_e32 v6, v5, v17
	v_mul_f32_e32 v1, v15, v1
	v_sub_f32_e32 v6, v16, v6
	v_add_f32_e32 v1, v6, v1
	v_add_f32_e32 v6, v5, v1
	v_cvt_f32_i32_e32 v8, v14
	v_mul_f32_e32 v9, v6, v6
	v_mov_b32_e32 v7, 0x3ecc95a3
	v_fmac_f32_e32 v7, 0x3e9b6dac, v9
	v_fmaak_f32 v7, v9, v7, 0x3f2aaada
	v_sub_f32_e32 v5, v6, v5
	v_ldexp_f32 v11, v6, 1
	v_mul_f32_e32 v9, v6, v9
	v_mov_b32_e32 v6, 0x3f317218
	v_pk_mul_f32 v[6:7], v[8:9], v[6:7]
	v_sub_f32_e32 v1, v1, v5
	v_fma_f32 v5, v8, s4, -v6
	v_fmamk_f32 v10, v8, 0xb102e308, v5
	v_pk_add_f32 v[8:9], v[6:7], v[10:11]
	v_ldexp_f32 v1, v1, 1
	v_sub_f32_e32 v5, v9, v11
	v_sub_f32_e32 v5, v7, v5
	v_add_f32_e32 v13, v1, v5
	v_mov_b32_e32 v12, v6
	v_pk_add_f32 v[6:7], v[8:9], v[6:7] neg_lo:[0,1] neg_hi:[0,1]
	v_pk_add_f32 v[14:15], v[8:9], v[12:13]
	v_mov_b32_e32 v11, v8
	v_mov_b32_e32 v7, v15
	v_pk_add_f32 v[16:17], v[10:11], v[6:7] neg_lo:[0,1] neg_hi:[0,1]
	v_pk_add_f32 v[6:7], v[10:11], v[6:7]
	v_mov_b32_e32 v12, v13
	v_pk_add_f32 v[10:11], v[6:7], v[8:9] op_sel:[1,0] op_sel_hi:[0,1] neg_lo:[0,1] neg_hi:[0,1]
	v_pk_add_f32 v[18:19], v[14:15], v[10:11] op_sel_hi:[1,0] neg_lo:[0,1] neg_hi:[0,1]
	v_mov_b32_e32 v14, v15
	v_mov_b32_e32 v15, v7
	v_pk_mov_b32 v[10:11], v[8:9], v[10:11] op_sel:[1,0]
	v_mov_b32_e32 v13, v8
	v_pk_add_f32 v[10:11], v[14:15], v[10:11] neg_lo:[0,1] neg_hi:[0,1]
	v_mov_b32_e32 v18, v16
	v_pk_add_f32 v[8:9], v[12:13], v[10:11] neg_lo:[0,1] neg_hi:[0,1]
	v_mov_b32_e32 v17, v7
	v_pk_add_f32 v[10:11], v[18:19], v[8:9]
	s_mov_b32 s4, 0x7f800000
	v_pk_add_f32 v[12:13], v[10:11], v[10:11] op_sel:[0,1] op_sel_hi:[1,0]
	v_mov_b32_e32 v5, 0x7f800000
	v_pk_add_f32 v[6:7], v[6:7], v[12:13] op_sel:[1,0] op_sel_hi:[0,1]
	v_mov_b32_e32 v11, v6
	v_pk_add_f32 v[14:15], v[10:11], v[16:17] neg_lo:[0,1] neg_hi:[0,1]
	v_mov_b32_e32 v9, v12
	v_sub_f32_e32 v1, v10, v14
	v_pk_add_f32 v[8:9], v[8:9], v[14:15] neg_lo:[0,1] neg_hi:[0,1]
	v_sub_f32_e32 v1, v16, v1
	v_add_f32_e32 v1, v8, v1
	v_add_f32_e32 v1, v1, v9
	;; [unrolled: 1-line block ×3, first 2 shown]
	v_cmp_neq_f32_e32 vcc, s4, v3
	s_mov_b32 s4, 0x33800000
	s_nop 0
	v_cndmask_b32_e32 v1, v5, v1, vcc
	v_mov_b32_e32 v5, 0x7fc00000
	v_cmp_ngt_f32_e32 vcc, -1.0, v3
	s_nop 1
	v_cndmask_b32_e32 v1, v5, v1, vcc
	v_mov_b32_e32 v5, 0xff800000
	v_cmp_neq_f32_e32 vcc, -1.0, v3
	s_nop 1
	v_cndmask_b32_e32 v1, v5, v1, vcc
	v_cmp_lt_f32_e64 vcc, |v3|, s4
	s_nop 1
	v_cndmask_b32_e32 v1, v1, v3, vcc
	v_mul_f32_e32 v1, 0.5, v1
.LBB263_44:
	s_or_b64 exec, exec, s[2:3]
	v_mov_b32_e32 v3, v1
.LBB263_45:
	s_or_b64 exec, exec, s[0:1]
	v_max_f32_e64 v6, |v0|, |v0|
	v_max_f32_e64 v7, |v2|, |v2|
	v_min_f32_e32 v6, v7, v6
	v_frexp_mant_f32_e32 v7, v4
	v_rcp_f32_e32 v7, v7
	v_frexp_exp_i32_f32_e32 v4, v4
	v_frexp_exp_i32_f32_e32 v8, v6
	v_frexp_mant_f32_e32 v6, v6
	v_mul_f32_e32 v6, v6, v7
	v_sub_u32_e32 v4, v8, v4
	v_ldexp_f32 v4, v6, v4
	v_mul_f32_e32 v6, v4, v4
	v_mov_b32_e32 v7, 0xbc7a590c
	v_fmac_f32_e32 v7, 0x3b2d2a58, v6
	v_fmaak_f32 v7, v6, v7, 0x3d29fb3f
	v_fmaak_f32 v7, v6, v7, 0xbd97d4d7
	;; [unrolled: 1-line block ×6, first 2 shown]
	s_movk_i32 s0, 0x204
	v_mov_b32_e32 v1, 0x3f490fdb
	v_mov_b32_e32 v5, 0x4016cbe4
	v_cmp_gt_f32_e32 vcc, 0, v2
	v_mul_f32_e32 v6, v6, v7
	v_cmp_class_f32_e64 s[2:3], v0, s0
	v_cmp_class_f32_e64 s[4:5], v2, s0
	v_cndmask_b32_e32 v1, v1, v5, vcc
	v_mov_b32_e32 v5, 0x40490fdb
	v_cmp_gt_i32_e64 s[0:1], 0, v2
	v_fmac_f32_e32 v4, v4, v6
	v_sub_f32_e32 v6, 0x3fc90fdb, v4
	v_cndmask_b32_e64 v5, 0, v5, s[0:1]
	v_cmp_gt_f32_e64 s[0:1], |v0|, |v2|
	s_nop 1
	v_cndmask_b32_e64 v4, v4, v6, s[0:1]
	v_sub_f32_e32 v6, 0x40490fdb, v4
	v_cndmask_b32_e32 v4, v4, v6, vcc
	v_cmp_eq_f32_e32 vcc, 0, v0
	s_brev_b32 s0, -2
	s_nop 0
	v_cndmask_b32_e32 v4, v4, v5, vcc
	s_and_b64 vcc, s[2:3], s[4:5]
	v_cndmask_b32_e32 v1, v4, v1, vcc
	v_mov_b32_e32 v4, 0x7fc00000
	v_cmp_o_f32_e32 vcc, v2, v0
	s_nop 1
	v_cndmask_b32_e32 v1, v4, v1, vcc
	v_bfi_b32 v2, s0, v1, v0
.LBB263_46:
	s_or_b64 exec, exec, s[10:11]
.LBB263_47:
	s_or_b64 exec, exec, s[8:9]
	v_mov_b64_e32 v[8:9], v[2:3]
.LBB263_48:
	s_or_b64 exec, exec, s[6:7]
	v_mov_b32_e32 v0, v9
	v_mov_b32_e32 v1, v8
	s_setpc_b64 s[30:31]
.Lfunc_end263:
	.size	_ZZZZN2at6native31launch_logcumsumexp_cuda_kernelERKNS_10TensorBaseES3_lENKUlvE_clEvENKUlvE2_clEvENKUlN3c107complexIfEES8_E_clES8_S8_, .Lfunc_end263-_ZZZZN2at6native31launch_logcumsumexp_cuda_kernelERKNS_10TensorBaseES3_lENKUlvE_clEvENKUlvE2_clEvENKUlN3c107complexIfEES8_E_clES8_S8_
                                        ; -- End function
	.set .L_ZZZZN2at6native31launch_logcumsumexp_cuda_kernelERKNS_10TensorBaseES3_lENKUlvE_clEvENKUlvE2_clEvENKUlN3c107complexIfEES8_E_clES8_S8_.num_vgpr, 27
	.set .L_ZZZZN2at6native31launch_logcumsumexp_cuda_kernelERKNS_10TensorBaseES3_lENKUlvE_clEvENKUlvE2_clEvENKUlN3c107complexIfEES8_E_clES8_S8_.num_agpr, 0
	.set .L_ZZZZN2at6native31launch_logcumsumexp_cuda_kernelERKNS_10TensorBaseES3_lENKUlvE_clEvENKUlvE2_clEvENKUlN3c107complexIfEES8_E_clES8_S8_.numbered_sgpr, 32
	.set .L_ZZZZN2at6native31launch_logcumsumexp_cuda_kernelERKNS_10TensorBaseES3_lENKUlvE_clEvENKUlvE2_clEvENKUlN3c107complexIfEES8_E_clES8_S8_.num_named_barrier, 0
	.set .L_ZZZZN2at6native31launch_logcumsumexp_cuda_kernelERKNS_10TensorBaseES3_lENKUlvE_clEvENKUlvE2_clEvENKUlN3c107complexIfEES8_E_clES8_S8_.private_seg_size, 0
	.set .L_ZZZZN2at6native31launch_logcumsumexp_cuda_kernelERKNS_10TensorBaseES3_lENKUlvE_clEvENKUlvE2_clEvENKUlN3c107complexIfEES8_E_clES8_S8_.uses_vcc, 1
	.set .L_ZZZZN2at6native31launch_logcumsumexp_cuda_kernelERKNS_10TensorBaseES3_lENKUlvE_clEvENKUlvE2_clEvENKUlN3c107complexIfEES8_E_clES8_S8_.uses_flat_scratch, 0
	.set .L_ZZZZN2at6native31launch_logcumsumexp_cuda_kernelERKNS_10TensorBaseES3_lENKUlvE_clEvENKUlvE2_clEvENKUlN3c107complexIfEES8_E_clES8_S8_.has_dyn_sized_stack, 0
	.set .L_ZZZZN2at6native31launch_logcumsumexp_cuda_kernelERKNS_10TensorBaseES3_lENKUlvE_clEvENKUlvE2_clEvENKUlN3c107complexIfEES8_E_clES8_S8_.has_recursion, 0
	.set .L_ZZZZN2at6native31launch_logcumsumexp_cuda_kernelERKNS_10TensorBaseES3_lENKUlvE_clEvENKUlvE2_clEvENKUlN3c107complexIfEES8_E_clES8_S8_.has_indirect_call, 0
	.section	.AMDGPU.csdata,"",@progbits
; Function info:
; codeLenInByte = 7984
; TotalNumSgprs: 38
; NumVgprs: 27
; NumAgprs: 0
; TotalNumVgprs: 27
; ScratchSize: 0
; MemoryBound: 0
	.section	.text._ZN7rocprim17ROCPRIM_400000_NS6detail17trampoline_kernelINS0_14default_configENS1_20scan_config_selectorIN3c107complexIfEEEEZZNS1_9scan_implILNS1_25lookback_scan_determinismE0ELb0ELb0ES3_PKS7_PS7_S7_ZZZN2at6native31launch_logcumsumexp_cuda_kernelERKNSE_10TensorBaseESI_lENKUlvE_clEvENKUlvE2_clEvEUlS7_S7_E_S7_EEDaPvRmT3_T4_T5_mT6_P12ihipStream_tbENKUlT_T0_E_clISt17integral_constantIbLb0EESZ_EEDaSU_SV_EUlSU_E_NS1_11comp_targetILNS1_3genE0ELNS1_11target_archE4294967295ELNS1_3gpuE0ELNS1_3repE0EEENS1_30default_config_static_selectorELNS0_4arch9wavefront6targetE1EEEvT1_,"axG",@progbits,_ZN7rocprim17ROCPRIM_400000_NS6detail17trampoline_kernelINS0_14default_configENS1_20scan_config_selectorIN3c107complexIfEEEEZZNS1_9scan_implILNS1_25lookback_scan_determinismE0ELb0ELb0ES3_PKS7_PS7_S7_ZZZN2at6native31launch_logcumsumexp_cuda_kernelERKNSE_10TensorBaseESI_lENKUlvE_clEvENKUlvE2_clEvEUlS7_S7_E_S7_EEDaPvRmT3_T4_T5_mT6_P12ihipStream_tbENKUlT_T0_E_clISt17integral_constantIbLb0EESZ_EEDaSU_SV_EUlSU_E_NS1_11comp_targetILNS1_3genE0ELNS1_11target_archE4294967295ELNS1_3gpuE0ELNS1_3repE0EEENS1_30default_config_static_selectorELNS0_4arch9wavefront6targetE1EEEvT1_,comdat
	.globl	_ZN7rocprim17ROCPRIM_400000_NS6detail17trampoline_kernelINS0_14default_configENS1_20scan_config_selectorIN3c107complexIfEEEEZZNS1_9scan_implILNS1_25lookback_scan_determinismE0ELb0ELb0ES3_PKS7_PS7_S7_ZZZN2at6native31launch_logcumsumexp_cuda_kernelERKNSE_10TensorBaseESI_lENKUlvE_clEvENKUlvE2_clEvEUlS7_S7_E_S7_EEDaPvRmT3_T4_T5_mT6_P12ihipStream_tbENKUlT_T0_E_clISt17integral_constantIbLb0EESZ_EEDaSU_SV_EUlSU_E_NS1_11comp_targetILNS1_3genE0ELNS1_11target_archE4294967295ELNS1_3gpuE0ELNS1_3repE0EEENS1_30default_config_static_selectorELNS0_4arch9wavefront6targetE1EEEvT1_ ; -- Begin function _ZN7rocprim17ROCPRIM_400000_NS6detail17trampoline_kernelINS0_14default_configENS1_20scan_config_selectorIN3c107complexIfEEEEZZNS1_9scan_implILNS1_25lookback_scan_determinismE0ELb0ELb0ES3_PKS7_PS7_S7_ZZZN2at6native31launch_logcumsumexp_cuda_kernelERKNSE_10TensorBaseESI_lENKUlvE_clEvENKUlvE2_clEvEUlS7_S7_E_S7_EEDaPvRmT3_T4_T5_mT6_P12ihipStream_tbENKUlT_T0_E_clISt17integral_constantIbLb0EESZ_EEDaSU_SV_EUlSU_E_NS1_11comp_targetILNS1_3genE0ELNS1_11target_archE4294967295ELNS1_3gpuE0ELNS1_3repE0EEENS1_30default_config_static_selectorELNS0_4arch9wavefront6targetE1EEEvT1_
	.p2align	8
	.type	_ZN7rocprim17ROCPRIM_400000_NS6detail17trampoline_kernelINS0_14default_configENS1_20scan_config_selectorIN3c107complexIfEEEEZZNS1_9scan_implILNS1_25lookback_scan_determinismE0ELb0ELb0ES3_PKS7_PS7_S7_ZZZN2at6native31launch_logcumsumexp_cuda_kernelERKNSE_10TensorBaseESI_lENKUlvE_clEvENKUlvE2_clEvEUlS7_S7_E_S7_EEDaPvRmT3_T4_T5_mT6_P12ihipStream_tbENKUlT_T0_E_clISt17integral_constantIbLb0EESZ_EEDaSU_SV_EUlSU_E_NS1_11comp_targetILNS1_3genE0ELNS1_11target_archE4294967295ELNS1_3gpuE0ELNS1_3repE0EEENS1_30default_config_static_selectorELNS0_4arch9wavefront6targetE1EEEvT1_,@function
_ZN7rocprim17ROCPRIM_400000_NS6detail17trampoline_kernelINS0_14default_configENS1_20scan_config_selectorIN3c107complexIfEEEEZZNS1_9scan_implILNS1_25lookback_scan_determinismE0ELb0ELb0ES3_PKS7_PS7_S7_ZZZN2at6native31launch_logcumsumexp_cuda_kernelERKNSE_10TensorBaseESI_lENKUlvE_clEvENKUlvE2_clEvEUlS7_S7_E_S7_EEDaPvRmT3_T4_T5_mT6_P12ihipStream_tbENKUlT_T0_E_clISt17integral_constantIbLb0EESZ_EEDaSU_SV_EUlSU_E_NS1_11comp_targetILNS1_3genE0ELNS1_11target_archE4294967295ELNS1_3gpuE0ELNS1_3repE0EEENS1_30default_config_static_selectorELNS0_4arch9wavefront6targetE1EEEvT1_: ; @_ZN7rocprim17ROCPRIM_400000_NS6detail17trampoline_kernelINS0_14default_configENS1_20scan_config_selectorIN3c107complexIfEEEEZZNS1_9scan_implILNS1_25lookback_scan_determinismE0ELb0ELb0ES3_PKS7_PS7_S7_ZZZN2at6native31launch_logcumsumexp_cuda_kernelERKNSE_10TensorBaseESI_lENKUlvE_clEvENKUlvE2_clEvEUlS7_S7_E_S7_EEDaPvRmT3_T4_T5_mT6_P12ihipStream_tbENKUlT_T0_E_clISt17integral_constantIbLb0EESZ_EEDaSU_SV_EUlSU_E_NS1_11comp_targetILNS1_3genE0ELNS1_11target_archE4294967295ELNS1_3gpuE0ELNS1_3repE0EEENS1_30default_config_static_selectorELNS0_4arch9wavefront6targetE1EEEvT1_
; %bb.0:
	s_mov_b64 s[16:17], s[0:1]
	s_load_dwordx8 s[24:31], s[0:1], 0x0
	s_nop 0
	s_load_dword s0, s[0:1], 0x38
	s_mov_b32 s22, s2
	s_mov_b32 s1, 0
	v_mov_b32_e32 v34, v0
	s_waitcnt lgkmcnt(0)
	s_lshl_b64 s[34:35], s[26:27], 3
	s_add_u32 s2, s24, s34
	s_addc_u32 s3, s25, s35
	s_add_i32 s4, s0, -1
	s_mul_i32 s5, s4, 0x600
	s_sub_u32 s33, s30, s5
	s_subb_u32 s42, s31, 0
	s_mul_i32 s0, s22, 0x600
	s_cmp_lg_u32 s22, s4
	s_cselect_b64 s[36:37], -1, 0
	s_lshl_b64 s[38:39], s[0:1], 3
	s_add_u32 s2, s2, s38
	s_addc_u32 s3, s3, s39
	s_mov_b64 s[0:1], -1
	s_and_b64 vcc, exec, s[36:37]
	v_lshlrev_b32_e32 v58, 3, v34
	s_mov_b32 s32, 0
	s_cbranch_vccz .LBB264_2
; %bb.1:
	v_mov_b32_e32 v59, 0
	v_lshl_add_u64 v[0:1], s[2:3], 0, v[58:59]
	v_add_co_u32_e32 v6, vcc, 0x1000, v0
	global_load_dwordx2 v[2:3], v58, s[2:3]
	global_load_dwordx2 v[4:5], v58, s[2:3] offset:2048
	v_addc_co_u32_e32 v7, vcc, 0, v1, vcc
	v_add_co_u32_e32 v0, vcc, 0x2000, v0
	s_mov_b64 s[0:1], 0
	s_nop 0
	v_addc_co_u32_e32 v1, vcc, 0, v1, vcc
	global_load_dwordx2 v[8:9], v[6:7], off
	global_load_dwordx2 v[10:11], v[6:7], off offset:2048
	global_load_dwordx2 v[12:13], v[0:1], off
	global_load_dwordx2 v[14:15], v[0:1], off offset:2048
	s_waitcnt vmcnt(4)
	ds_write2st64_b64 v58, v[2:3], v[4:5] offset1:4
	s_waitcnt vmcnt(2)
	ds_write2st64_b64 v58, v[8:9], v[10:11] offset0:8 offset1:12
	s_waitcnt vmcnt(0)
	ds_write2st64_b64 v58, v[12:13], v[14:15] offset0:16 offset1:20
	s_waitcnt lgkmcnt(0)
	s_barrier
.LBB264_2:
	s_load_dwordx2 s[40:41], s[16:17], 0x30
	s_andn2_b64 vcc, exec, s[0:1]
	v_cmp_gt_u32_e64 s[0:1], s33, v34
	s_cbranch_vccnz .LBB264_16
; %bb.3:
	s_load_dwordx2 s[4:5], s[2:3], 0x0
	s_waitcnt lgkmcnt(0)
	v_mov_b64_e32 v[0:1], s[4:5]
	s_and_saveexec_b64 s[6:7], s[0:1]
	s_cbranch_execz .LBB264_5
; %bb.4:
	global_load_dwordx2 v[0:1], v58, s[2:3]
.LBB264_5:
	s_or_b64 exec, exec, s[6:7]
	v_or_b32_e32 v2, 0x100, v34
	v_cmp_gt_u32_e32 vcc, s33, v2
	v_mov_b64_e32 v[2:3], s[4:5]
	s_and_saveexec_b64 s[0:1], vcc
	s_cbranch_execz .LBB264_7
; %bb.6:
	global_load_dwordx2 v[2:3], v58, s[2:3] offset:2048
.LBB264_7:
	s_or_b64 exec, exec, s[0:1]
	v_or_b32_e32 v6, 0x200, v34
	v_cmp_gt_u32_e32 vcc, s33, v6
	v_mov_b64_e32 v[4:5], s[4:5]
	s_and_saveexec_b64 s[0:1], vcc
	s_cbranch_execz .LBB264_9
; %bb.8:
	v_lshlrev_b32_e32 v4, 3, v6
	global_load_dwordx2 v[4:5], v4, s[2:3]
.LBB264_9:
	s_or_b64 exec, exec, s[0:1]
	v_or_b32_e32 v8, 0x300, v34
	v_cmp_gt_u32_e32 vcc, s33, v8
	v_mov_b64_e32 v[6:7], s[4:5]
	s_and_saveexec_b64 s[0:1], vcc
	s_cbranch_execz .LBB264_11
; %bb.10:
	v_lshlrev_b32_e32 v6, 3, v8
	global_load_dwordx2 v[6:7], v6, s[2:3]
.LBB264_11:
	;; [unrolled: 10-line block ×4, first 2 shown]
	s_or_b64 exec, exec, s[0:1]
	s_waitcnt vmcnt(0)
	ds_write2st64_b64 v58, v[0:1], v[2:3] offset1:4
	ds_write2st64_b64 v58, v[4:5], v[6:7] offset0:8 offset1:12
	ds_write2st64_b64 v58, v[8:9], v[10:11] offset0:16 offset1:20
	s_waitcnt lgkmcnt(0)
	s_barrier
.LBB264_16:
	v_mul_u32_u24_e32 v60, 48, v34
	s_waitcnt lgkmcnt(0)
	ds_read_b128 v[46:49], v60
	ds_read_b128 v[42:45], v60 offset:16
	ds_read_b128 v[38:41], v60 offset:32
	s_cmp_lg_u32 s22, 0
	s_waitcnt lgkmcnt(0)
	s_barrier
	s_cbranch_scc0 .LBB264_79
; %bb.17:
	s_getpc_b64 s[18:19]
	s_add_u32 s18, s18, _ZZZZN2at6native31launch_logcumsumexp_cuda_kernelERKNS_10TensorBaseES3_lENKUlvE_clEvENKUlvE2_clEvENKUlN3c107complexIfEES8_E_clES8_S8_@rel32@lo+4
	s_addc_u32 s19, s19, _ZZZZN2at6native31launch_logcumsumexp_cuda_kernelERKNS_10TensorBaseES3_lENKUlvE_clEvENKUlvE2_clEvENKUlN3c107complexIfEES8_E_clES8_S8_@rel32@hi+12
	v_mov_b32_e32 v0, v46
	v_mov_b32_e32 v1, v47
	v_mov_b32_e32 v2, v48
	v_mov_b32_e32 v3, v49
	s_swappc_b64 s[30:31], s[18:19]
	v_mov_b32_e32 v2, v42
	v_mov_b32_e32 v3, v43
	s_swappc_b64 s[30:31], s[18:19]
	v_mov_b32_e32 v2, v44
	v_mov_b32_e32 v3, v45
	;; [unrolled: 3-line block ×4, first 2 shown]
	s_swappc_b64 s[30:31], s[18:19]
	v_mov_b32_e32 v28, v0
	v_mbcnt_lo_u32_b32 v0, -1, 0
	v_mbcnt_hi_u32_b32 v32, -1, v0
	v_mov_b32_e32 v29, v1
	v_and_b32_e32 v27, 15, v32
	v_mov_b32_dpp v0, v28 row_shr:1 row_mask:0xf bank_mask:0xf
	v_mov_b32_dpp v1, v29 row_shr:1 row_mask:0xf bank_mask:0xf
	v_cmp_ne_u32_e32 vcc, 0, v27
	s_and_saveexec_b64 s[20:21], vcc
	s_cbranch_execz .LBB264_19
; %bb.18:
	v_mov_b32_e32 v2, v28
	v_mov_b32_e32 v3, v29
	s_swappc_b64 s[30:31], s[18:19]
	v_mov_b32_e32 v28, v0
	v_mov_b32_e32 v29, v1
.LBB264_19:
	s_or_b64 exec, exec, s[20:21]
	v_mov_b32_dpp v0, v28 row_shr:2 row_mask:0xf bank_mask:0xf
	v_mov_b32_dpp v1, v29 row_shr:2 row_mask:0xf bank_mask:0xf
	v_cmp_lt_u32_e32 vcc, 1, v27
	s_and_saveexec_b64 s[18:19], vcc
	s_cbranch_execz .LBB264_21
; %bb.20:
	s_getpc_b64 s[0:1]
	s_add_u32 s0, s0, _ZZZZN2at6native31launch_logcumsumexp_cuda_kernelERKNS_10TensorBaseES3_lENKUlvE_clEvENKUlvE2_clEvENKUlN3c107complexIfEES8_E_clES8_S8_@rel32@lo+4
	s_addc_u32 s1, s1, _ZZZZN2at6native31launch_logcumsumexp_cuda_kernelERKNS_10TensorBaseES3_lENKUlvE_clEvENKUlvE2_clEvENKUlN3c107complexIfEES8_E_clES8_S8_@rel32@hi+12
	v_mov_b32_e32 v2, v28
	v_mov_b32_e32 v3, v29
	s_swappc_b64 s[30:31], s[0:1]
	v_mov_b32_e32 v28, v0
	v_mov_b32_e32 v29, v1
.LBB264_21:
	s_or_b64 exec, exec, s[18:19]
	v_mov_b32_dpp v0, v28 row_shr:4 row_mask:0xf bank_mask:0xf
	v_mov_b32_dpp v1, v29 row_shr:4 row_mask:0xf bank_mask:0xf
	v_cmp_lt_u32_e32 vcc, 3, v27
	s_and_saveexec_b64 s[18:19], vcc
	s_cbranch_execz .LBB264_23
; %bb.22:
	s_getpc_b64 s[0:1]
	s_add_u32 s0, s0, _ZZZZN2at6native31launch_logcumsumexp_cuda_kernelERKNS_10TensorBaseES3_lENKUlvE_clEvENKUlvE2_clEvENKUlN3c107complexIfEES8_E_clES8_S8_@rel32@lo+4
	s_addc_u32 s1, s1, _ZZZZN2at6native31launch_logcumsumexp_cuda_kernelERKNS_10TensorBaseES3_lENKUlvE_clEvENKUlvE2_clEvENKUlN3c107complexIfEES8_E_clES8_S8_@rel32@hi+12
	v_mov_b32_e32 v2, v28
	v_mov_b32_e32 v3, v29
	s_swappc_b64 s[30:31], s[0:1]
	v_mov_b32_e32 v28, v0
	v_mov_b32_e32 v29, v1
.LBB264_23:
	;; [unrolled: 16-line block ×3, first 2 shown]
	s_or_b64 exec, exec, s[18:19]
	v_and_b32_e32 v2, 16, v32
	v_mov_b32_dpp v0, v28 row_bcast:15 row_mask:0xf bank_mask:0xf
	v_mov_b32_dpp v1, v29 row_bcast:15 row_mask:0xf bank_mask:0xf
	v_cmp_ne_u32_e32 vcc, 0, v2
	s_and_saveexec_b64 s[18:19], vcc
	s_cbranch_execz .LBB264_27
; %bb.26:
	s_getpc_b64 s[0:1]
	s_add_u32 s0, s0, _ZZZZN2at6native31launch_logcumsumexp_cuda_kernelERKNS_10TensorBaseES3_lENKUlvE_clEvENKUlvE2_clEvENKUlN3c107complexIfEES8_E_clES8_S8_@rel32@lo+4
	s_addc_u32 s1, s1, _ZZZZN2at6native31launch_logcumsumexp_cuda_kernelERKNS_10TensorBaseES3_lENKUlvE_clEvENKUlvE2_clEvENKUlN3c107complexIfEES8_E_clES8_S8_@rel32@hi+12
	v_mov_b32_e32 v2, v28
	v_mov_b32_e32 v3, v29
	s_swappc_b64 s[30:31], s[0:1]
	v_mov_b32_e32 v28, v0
	v_mov_b32_e32 v29, v1
.LBB264_27:
	s_or_b64 exec, exec, s[18:19]
	v_mov_b32_dpp v0, v28 row_bcast:31 row_mask:0xf bank_mask:0xf
	v_mov_b32_dpp v1, v29 row_bcast:31 row_mask:0xf bank_mask:0xf
	v_cmp_lt_u32_e32 vcc, 31, v32
	s_and_saveexec_b64 s[18:19], vcc
	s_cbranch_execz .LBB264_29
; %bb.28:
	s_getpc_b64 s[0:1]
	s_add_u32 s0, s0, _ZZZZN2at6native31launch_logcumsumexp_cuda_kernelERKNS_10TensorBaseES3_lENKUlvE_clEvENKUlvE2_clEvENKUlN3c107complexIfEES8_E_clES8_S8_@rel32@lo+4
	s_addc_u32 s1, s1, _ZZZZN2at6native31launch_logcumsumexp_cuda_kernelERKNS_10TensorBaseES3_lENKUlvE_clEvENKUlvE2_clEvENKUlN3c107complexIfEES8_E_clES8_S8_@rel32@hi+12
	v_mov_b32_e32 v2, v28
	v_mov_b32_e32 v3, v29
	s_swappc_b64 s[30:31], s[0:1]
	v_mov_b32_e32 v28, v0
	v_mov_b32_e32 v29, v1
.LBB264_29:
	s_or_b64 exec, exec, s[18:19]
	v_or_b32_e32 v0, 63, v34
	v_lshrrev_b32_e32 v27, 6, v34
	v_cmp_eq_u32_e32 vcc, v34, v0
	s_and_saveexec_b64 s[0:1], vcc
; %bb.30:
	v_lshlrev_b32_e32 v0, 3, v27
	ds_write_b64 v0, v[28:29]
; %bb.31:
	s_or_b64 exec, exec, s[0:1]
	v_cmp_gt_u32_e32 vcc, 4, v34
	s_waitcnt lgkmcnt(0)
	s_barrier
	s_and_saveexec_b64 s[18:19], vcc
	s_cbranch_execz .LBB264_37
; %bb.32:
	ds_read_b64 v[2:3], v58
	v_and_b32_e32 v30, 3, v32
	v_cmp_ne_u32_e32 vcc, 0, v30
	s_waitcnt lgkmcnt(0)
	v_mov_b32_dpp v0, v2 row_shr:1 row_mask:0xf bank_mask:0xf
	v_mov_b32_dpp v1, v3 row_shr:1 row_mask:0xf bank_mask:0xf
	s_and_saveexec_b64 s[20:21], vcc
	s_cbranch_execz .LBB264_34
; %bb.33:
	s_getpc_b64 s[0:1]
	s_add_u32 s0, s0, _ZZZZN2at6native31launch_logcumsumexp_cuda_kernelERKNS_10TensorBaseES3_lENKUlvE_clEvENKUlvE2_clEvENKUlN3c107complexIfEES8_E_clES8_S8_@rel32@lo+4
	s_addc_u32 s1, s1, _ZZZZN2at6native31launch_logcumsumexp_cuda_kernelERKNS_10TensorBaseES3_lENKUlvE_clEvENKUlvE2_clEvENKUlN3c107complexIfEES8_E_clES8_S8_@rel32@hi+12
	s_swappc_b64 s[30:31], s[0:1]
	v_mov_b32_e32 v2, v0
	v_mov_b32_e32 v3, v1
.LBB264_34:
	s_or_b64 exec, exec, s[20:21]
	v_mov_b32_dpp v0, v2 row_shr:2 row_mask:0xf bank_mask:0xf
	v_mov_b32_dpp v1, v3 row_shr:2 row_mask:0xf bank_mask:0xf
	v_cmp_lt_u32_e32 vcc, 1, v30
	s_and_saveexec_b64 s[20:21], vcc
	s_cbranch_execz .LBB264_36
; %bb.35:
	s_getpc_b64 s[0:1]
	s_add_u32 s0, s0, _ZZZZN2at6native31launch_logcumsumexp_cuda_kernelERKNS_10TensorBaseES3_lENKUlvE_clEvENKUlvE2_clEvENKUlN3c107complexIfEES8_E_clES8_S8_@rel32@lo+4
	s_addc_u32 s1, s1, _ZZZZN2at6native31launch_logcumsumexp_cuda_kernelERKNS_10TensorBaseES3_lENKUlvE_clEvENKUlvE2_clEvENKUlN3c107complexIfEES8_E_clES8_S8_@rel32@hi+12
	s_swappc_b64 s[30:31], s[0:1]
	v_mov_b32_e32 v2, v0
	v_mov_b32_e32 v3, v1
.LBB264_36:
	s_or_b64 exec, exec, s[20:21]
	ds_write_b64 v58, v[2:3]
.LBB264_37:
	s_or_b64 exec, exec, s[18:19]
	v_cmp_gt_u32_e64 s[20:21], 64, v34
	v_cmp_lt_u32_e32 vcc, 63, v34
	v_mov_b32_e32 v36, 0
	v_mov_b32_e32 v37, 0
	s_waitcnt lgkmcnt(0)
	s_barrier
	s_and_saveexec_b64 s[18:19], vcc
	s_cbranch_execz .LBB264_39
; %bb.38:
	v_lshl_add_u32 v0, v27, 3, -8
	ds_read_b64 v[36:37], v0
	s_getpc_b64 s[0:1]
	s_add_u32 s0, s0, _ZZZZN2at6native31launch_logcumsumexp_cuda_kernelERKNS_10TensorBaseES3_lENKUlvE_clEvENKUlvE2_clEvENKUlN3c107complexIfEES8_E_clES8_S8_@rel32@lo+4
	s_addc_u32 s1, s1, _ZZZZN2at6native31launch_logcumsumexp_cuda_kernelERKNS_10TensorBaseES3_lENKUlvE_clEvENKUlvE2_clEvENKUlN3c107complexIfEES8_E_clES8_S8_@rel32@hi+12
	v_mov_b32_e32 v2, v28
	v_mov_b32_e32 v3, v29
	s_waitcnt lgkmcnt(0)
	v_mov_b32_e32 v0, v36
	v_mov_b32_e32 v1, v37
	s_swappc_b64 s[30:31], s[0:1]
	v_mov_b32_e32 v28, v0
	v_mov_b32_e32 v29, v1
.LBB264_39:
	s_or_b64 exec, exec, s[18:19]
	v_subrev_co_u32_e64 v0, s[18:19], 1, v32
	v_and_b32_e32 v1, 64, v32
	v_cmp_lt_i32_e32 vcc, v0, v1
	s_nop 1
	v_cndmask_b32_e32 v0, v0, v32, vcc
	v_lshlrev_b32_e32 v0, 2, v0
	ds_bpermute_b32 v59, v0, v28
	ds_bpermute_b32 v61, v0, v29
	s_and_saveexec_b64 s[24:25], s[20:21]
	s_cbranch_execz .LBB264_84
; %bb.40:
	v_mov_b32_e32 v31, 0
	ds_read_b64 v[28:29], v31 offset:24
	s_and_saveexec_b64 s[0:1], s[18:19]
	s_cbranch_execz .LBB264_42
; %bb.41:
	s_add_i32 s2, s22, 64
	s_mov_b32 s3, 0
	s_lshl_b64 s[2:3], s[2:3], 4
	s_add_u32 s2, s40, s2
	s_addc_u32 s3, s41, s3
	v_mov_b32_e32 v30, 1
	v_mov_b64_e32 v[0:1], s[2:3]
	s_waitcnt lgkmcnt(0)
	;;#ASMSTART
	global_store_dwordx4 v[0:1], v[28:31] off sc1	
s_waitcnt vmcnt(0)
	;;#ASMEND
.LBB264_42:
	s_or_b64 exec, exec, s[0:1]
	v_xad_u32 v62, v32, -1, s22
	v_add_u32_e32 v30, 64, v62
	v_lshl_add_u64 v[0:1], v[30:31], 4, s[40:41]
	;;#ASMSTART
	global_load_dwordx4 v[50:53], v[0:1] off sc1	
s_waitcnt vmcnt(0)
	;;#ASMEND
	s_nop 0
	v_and_b32_e32 v2, 0xffffff, v51
	v_and_b32_e32 v3, 0xffffff, v50
	;; [unrolled: 1-line block ×4, first 2 shown]
	v_or_b32_e32 v27, v2, v4
	v_or_b32_e32 v35, v3, v5
	v_cmp_eq_u16_sdwa s[2:3], v52, v31 src0_sel:BYTE_0 src1_sel:DWORD
	s_and_saveexec_b64 s[0:1], s[2:3]
	s_cbranch_execz .LBB264_46
; %bb.43:
	s_mov_b64 s[2:3], 0
	v_mov_b32_e32 v2, 0
.LBB264_44:                             ; =>This Inner Loop Header: Depth=1
	;;#ASMSTART
	global_load_dwordx4 v[50:53], v[0:1] off sc1	
s_waitcnt vmcnt(0)
	;;#ASMEND
	s_nop 0
	v_cmp_ne_u16_sdwa s[4:5], v52, v2 src0_sel:BYTE_0 src1_sel:DWORD
	s_or_b64 s[2:3], s[4:5], s[2:3]
	s_andn2_b64 exec, exec, s[2:3]
	s_cbranch_execnz .LBB264_44
; %bb.45:
	s_or_b64 exec, exec, s[2:3]
	v_and_b32_e32 v0, 0xff000000, v51
	v_and_b32_e32 v1, 0xff000000, v50
	;; [unrolled: 1-line block ×4, first 2 shown]
	v_or_b32_e32 v27, v2, v0
	v_or_b32_e32 v35, v3, v1
.LBB264_46:
	s_or_b64 exec, exec, s[0:1]
	v_mov_b32_e32 v0, 2
	v_cmp_eq_u16_sdwa s[0:1], v52, v0 src0_sel:BYTE_0 src1_sel:DWORD
	v_lshlrev_b64 v[54:55], v32, -1
	v_and_b32_e32 v53, 63, v32
	v_and_b32_e32 v0, s1, v55
	v_or_b32_e32 v0, 0x80000000, v0
	v_cmp_ne_u32_e32 vcc, 63, v53
	v_ffbl_b32_e32 v3, v0
	v_and_b32_e32 v2, s0, v54
	v_addc_co_u32_e32 v0, vcc, 0, v32, vcc
	v_lshlrev_b32_e32 v63, 2, v0
	ds_bpermute_b32 v0, v63, v35
	ds_bpermute_b32 v1, v63, v27
	v_add_u32_e32 v3, 32, v3
	v_ffbl_b32_e32 v2, v2
	v_min_u32_e32 v33, v2, v3
	v_cmp_lt_u32_e32 vcc, v53, v33
	s_and_saveexec_b64 s[20:21], vcc
	s_cbranch_execz .LBB264_48
; %bb.47:
	s_getpc_b64 s[0:1]
	s_add_u32 s0, s0, _ZZZZN2at6native31launch_logcumsumexp_cuda_kernelERKNS_10TensorBaseES3_lENKUlvE_clEvENKUlvE2_clEvENKUlN3c107complexIfEES8_E_clES8_S8_@rel32@lo+4
	s_addc_u32 s1, s1, _ZZZZN2at6native31launch_logcumsumexp_cuda_kernelERKNS_10TensorBaseES3_lENKUlvE_clEvENKUlvE2_clEvENKUlN3c107complexIfEES8_E_clES8_S8_@rel32@hi+12
	v_mov_b32_e32 v2, v35
	v_mov_b32_e32 v3, v27
	s_swappc_b64 s[30:31], s[0:1]
	v_mov_b32_e32 v35, v0
	v_mov_b32_e32 v27, v1
.LBB264_48:
	s_or_b64 exec, exec, s[20:21]
	v_cmp_gt_u32_e32 vcc, 62, v53
	v_add_u32_e32 v65, 2, v53
	s_waitcnt lgkmcnt(1)
	v_cndmask_b32_e64 v0, 0, 2, vcc
	v_add_lshl_u32 v64, v0, v32, 2
	ds_bpermute_b32 v0, v64, v35
	s_waitcnt lgkmcnt(1)
	ds_bpermute_b32 v1, v64, v27
	v_cmp_le_u32_e32 vcc, v65, v33
	s_and_saveexec_b64 s[20:21], vcc
	s_cbranch_execz .LBB264_50
; %bb.49:
	s_getpc_b64 s[0:1]
	s_add_u32 s0, s0, _ZZZZN2at6native31launch_logcumsumexp_cuda_kernelERKNS_10TensorBaseES3_lENKUlvE_clEvENKUlvE2_clEvENKUlN3c107complexIfEES8_E_clES8_S8_@rel32@lo+4
	s_addc_u32 s1, s1, _ZZZZN2at6native31launch_logcumsumexp_cuda_kernelERKNS_10TensorBaseES3_lENKUlvE_clEvENKUlvE2_clEvENKUlN3c107complexIfEES8_E_clES8_S8_@rel32@hi+12
	v_mov_b32_e32 v2, v35
	v_mov_b32_e32 v3, v27
	s_swappc_b64 s[30:31], s[0:1]
	v_mov_b32_e32 v35, v0
	v_mov_b32_e32 v27, v1
.LBB264_50:
	s_or_b64 exec, exec, s[20:21]
	v_cmp_gt_u32_e32 vcc, 60, v53
	v_add_u32_e32 v67, 4, v53
	s_waitcnt lgkmcnt(1)
	v_cndmask_b32_e64 v0, 0, 4, vcc
	v_add_lshl_u32 v66, v0, v32, 2
	ds_bpermute_b32 v0, v66, v35
	s_waitcnt lgkmcnt(1)
	ds_bpermute_b32 v1, v66, v27
	v_cmp_le_u32_e32 vcc, v67, v33
	;; [unrolled: 22-line block ×4, first 2 shown]
	s_and_saveexec_b64 s[20:21], vcc
	s_cbranch_execz .LBB264_56
; %bb.55:
	s_getpc_b64 s[0:1]
	s_add_u32 s0, s0, _ZZZZN2at6native31launch_logcumsumexp_cuda_kernelERKNS_10TensorBaseES3_lENKUlvE_clEvENKUlvE2_clEvENKUlN3c107complexIfEES8_E_clES8_S8_@rel32@lo+4
	s_addc_u32 s1, s1, _ZZZZN2at6native31launch_logcumsumexp_cuda_kernelERKNS_10TensorBaseES3_lENKUlvE_clEvENKUlvE2_clEvENKUlN3c107complexIfEES8_E_clES8_S8_@rel32@hi+12
	v_mov_b32_e32 v2, v35
	v_mov_b32_e32 v3, v27
	s_swappc_b64 s[30:31], s[0:1]
	v_mov_b32_e32 v35, v0
	v_mov_b32_e32 v27, v1
.LBB264_56:
	s_or_b64 exec, exec, s[20:21]
	s_waitcnt lgkmcnt(1)
	v_mov_b32_e32 v0, 0x80
	v_lshl_or_b32 v73, v32, 2, v0
	ds_bpermute_b32 v30, v73, v35
	ds_bpermute_b32 v31, v73, v27
	v_add_u32_e32 v72, 32, v53
	v_cmp_le_u32_e64 s[20:21], v72, v33
	v_mov_b32_e32 v57, 0
	v_mov_b32_e32 v74, 2
	v_mov_b32_e32 v33, v62
	v_mov_b32_e32 v32, v52
	v_mov_b32_e32 v3, v27
	v_mov_b32_e32 v2, v35
.LBB264_57:                             ; =>This Loop Header: Depth=1
                                        ;     Child Loop BB264_62 Depth 2
	s_waitcnt lgkmcnt(1)
	v_mov_b32_e32 v0, v52
	v_mov_b32_e32 v56, v62
	;; [unrolled: 1-line block ×4, first 2 shown]
	s_and_saveexec_b64 s[0:1], s[20:21]
	s_xor_b64 s[20:21], exec, s[0:1]
	s_cbranch_execz .LBB264_59
; %bb.58:                               ;   in Loop: Header=BB264_57 Depth=1
	s_getpc_b64 s[0:1]
	s_add_u32 s0, s0, _ZZZZN2at6native31launch_logcumsumexp_cuda_kernelERKNS_10TensorBaseES3_lENKUlvE_clEvENKUlvE2_clEvENKUlN3c107complexIfEES8_E_clES8_S8_@rel32@lo+4
	s_addc_u32 s1, s1, _ZZZZN2at6native31launch_logcumsumexp_cuda_kernelERKNS_10TensorBaseES3_lENKUlvE_clEvENKUlvE2_clEvENKUlN3c107complexIfEES8_E_clES8_S8_@rel32@hi+12
	s_waitcnt lgkmcnt(1)
	v_mov_b32_e32 v0, v30
	s_waitcnt lgkmcnt(0)
	v_mov_b32_e32 v1, v31
	s_swappc_b64 s[30:31], s[0:1]
	v_mov_b32_e32 v50, v0
	v_mov_b32_e32 v51, v1
	;; [unrolled: 1-line block ×4, first 2 shown]
.LBB264_59:                             ;   in Loop: Header=BB264_57 Depth=1
	s_or_b64 exec, exec, s[20:21]
	v_cmp_ne_u16_sdwa s[0:1], v0, v74 src0_sel:BYTE_0 src1_sel:DWORD
	s_mov_b64 s[20:21], -1
	s_cmp_lg_u64 s[0:1], exec
	s_mov_b64 s[0:1], -1
                                        ; implicit-def: $vgpr30
                                        ; implicit-def: $vgpr33
	s_cbranch_scc1 .LBB264_77
; %bb.60:                               ;   in Loop: Header=BB264_57 Depth=1
	s_waitcnt lgkmcnt(0)
	v_lshl_add_u64 v[0:1], v[56:57], 4, s[40:41]
	s_waitcnt lgkmcnt(0)
	;;#ASMSTART
	global_load_dwordx4 v[30:33], v[0:1] off sc1	
s_waitcnt vmcnt(0)
	;;#ASMEND
	s_nop 0
	v_cmp_eq_u16_sdwa s[2:3], v32, v57 src0_sel:BYTE_0 src1_sel:DWORD
	s_and_saveexec_b64 s[0:1], s[2:3]
	s_cbranch_execz .LBB264_64
; %bb.61:                               ;   in Loop: Header=BB264_57 Depth=1
	s_mov_b64 s[2:3], 0
.LBB264_62:                             ;   Parent Loop BB264_57 Depth=1
                                        ; =>  This Inner Loop Header: Depth=2
	;;#ASMSTART
	global_load_dwordx4 v[30:33], v[0:1] off sc1	
s_waitcnt vmcnt(0)
	;;#ASMEND
	s_nop 0
	v_cmp_ne_u16_sdwa s[4:5], v32, v57 src0_sel:BYTE_0 src1_sel:DWORD
	s_or_b64 s[2:3], s[4:5], s[2:3]
	s_andn2_b64 exec, exec, s[2:3]
	s_cbranch_execnz .LBB264_62
; %bb.63:                               ;   in Loop: Header=BB264_57 Depth=1
	s_or_b64 exec, exec, s[2:3]
.LBB264_64:                             ;   in Loop: Header=BB264_57 Depth=1
	s_or_b64 exec, exec, s[0:1]
	v_cmp_eq_u16_sdwa s[0:1], v32, v74 src0_sel:BYTE_0 src1_sel:DWORD
	ds_bpermute_b32 v1, v63, v31
	s_nop 0
	v_and_b32_e32 v0, s1, v55
	v_or_b32_e32 v0, 0x80000000, v0
	v_ffbl_b32_e32 v3, v0
	ds_bpermute_b32 v0, v63, v30
	v_and_b32_e32 v2, s0, v54
	v_add_u32_e32 v3, 32, v3
	v_ffbl_b32_e32 v2, v2
	v_min_u32_e32 v33, v2, v3
	v_cmp_lt_u32_e32 vcc, v53, v33
	s_and_saveexec_b64 s[26:27], vcc
	s_cbranch_execz .LBB264_66
; %bb.65:                               ;   in Loop: Header=BB264_57 Depth=1
	s_getpc_b64 s[0:1]
	s_add_u32 s0, s0, _ZZZZN2at6native31launch_logcumsumexp_cuda_kernelERKNS_10TensorBaseES3_lENKUlvE_clEvENKUlvE2_clEvENKUlN3c107complexIfEES8_E_clES8_S8_@rel32@lo+4
	s_addc_u32 s1, s1, _ZZZZN2at6native31launch_logcumsumexp_cuda_kernelERKNS_10TensorBaseES3_lENKUlvE_clEvENKUlvE2_clEvENKUlN3c107complexIfEES8_E_clES8_S8_@rel32@hi+12
	v_mov_b32_e32 v2, v30
	v_mov_b32_e32 v3, v31
	s_swappc_b64 s[30:31], s[0:1]
	v_mov_b32_e32 v30, v0
	v_mov_b32_e32 v31, v1
.LBB264_66:                             ;   in Loop: Header=BB264_57 Depth=1
	s_or_b64 exec, exec, s[26:27]
	s_waitcnt lgkmcnt(0)
	ds_bpermute_b32 v0, v64, v30
	ds_bpermute_b32 v1, v64, v31
	v_cmp_le_u32_e32 vcc, v65, v33
	s_and_saveexec_b64 s[26:27], vcc
	s_cbranch_execz .LBB264_68
; %bb.67:                               ;   in Loop: Header=BB264_57 Depth=1
	s_getpc_b64 s[0:1]
	s_add_u32 s0, s0, _ZZZZN2at6native31launch_logcumsumexp_cuda_kernelERKNS_10TensorBaseES3_lENKUlvE_clEvENKUlvE2_clEvENKUlN3c107complexIfEES8_E_clES8_S8_@rel32@lo+4
	s_addc_u32 s1, s1, _ZZZZN2at6native31launch_logcumsumexp_cuda_kernelERKNS_10TensorBaseES3_lENKUlvE_clEvENKUlvE2_clEvENKUlN3c107complexIfEES8_E_clES8_S8_@rel32@hi+12
	v_mov_b32_e32 v2, v30
	v_mov_b32_e32 v3, v31
	s_swappc_b64 s[30:31], s[0:1]
	v_mov_b32_e32 v30, v0
	v_mov_b32_e32 v31, v1
.LBB264_68:                             ;   in Loop: Header=BB264_57 Depth=1
	s_or_b64 exec, exec, s[26:27]
	s_waitcnt lgkmcnt(1)
	ds_bpermute_b32 v0, v66, v30
	s_waitcnt lgkmcnt(1)
	ds_bpermute_b32 v1, v66, v31
	v_cmp_le_u32_e32 vcc, v67, v33
	s_and_saveexec_b64 s[26:27], vcc
	s_cbranch_execz .LBB264_70
; %bb.69:                               ;   in Loop: Header=BB264_57 Depth=1
	s_getpc_b64 s[0:1]
	s_add_u32 s0, s0, _ZZZZN2at6native31launch_logcumsumexp_cuda_kernelERKNS_10TensorBaseES3_lENKUlvE_clEvENKUlvE2_clEvENKUlN3c107complexIfEES8_E_clES8_S8_@rel32@lo+4
	s_addc_u32 s1, s1, _ZZZZN2at6native31launch_logcumsumexp_cuda_kernelERKNS_10TensorBaseES3_lENKUlvE_clEvENKUlvE2_clEvENKUlN3c107complexIfEES8_E_clES8_S8_@rel32@hi+12
	v_mov_b32_e32 v2, v30
	v_mov_b32_e32 v3, v31
	s_swappc_b64 s[30:31], s[0:1]
	v_mov_b32_e32 v30, v0
	v_mov_b32_e32 v31, v1
.LBB264_70:                             ;   in Loop: Header=BB264_57 Depth=1
	s_or_b64 exec, exec, s[26:27]
	s_waitcnt lgkmcnt(1)
	ds_bpermute_b32 v0, v68, v30
	s_waitcnt lgkmcnt(1)
	;; [unrolled: 18-line block ×4, first 2 shown]
	ds_bpermute_b32 v1, v73, v31
	v_cmp_le_u32_e32 vcc, v72, v33
	s_and_saveexec_b64 s[26:27], vcc
	s_cbranch_execz .LBB264_76
; %bb.75:                               ;   in Loop: Header=BB264_57 Depth=1
	s_getpc_b64 s[0:1]
	s_add_u32 s0, s0, _ZZZZN2at6native31launch_logcumsumexp_cuda_kernelERKNS_10TensorBaseES3_lENKUlvE_clEvENKUlvE2_clEvENKUlN3c107complexIfEES8_E_clES8_S8_@rel32@lo+4
	s_addc_u32 s1, s1, _ZZZZN2at6native31launch_logcumsumexp_cuda_kernelERKNS_10TensorBaseES3_lENKUlvE_clEvENKUlvE2_clEvENKUlN3c107complexIfEES8_E_clES8_S8_@rel32@hi+12
	v_mov_b32_e32 v2, v30
	v_mov_b32_e32 v3, v31
	s_swappc_b64 s[30:31], s[0:1]
	v_mov_b32_e32 v30, v0
	v_mov_b32_e32 v31, v1
.LBB264_76:                             ;   in Loop: Header=BB264_57 Depth=1
	s_or_b64 exec, exec, s[26:27]
	v_subrev_u32_e32 v33, 64, v56
	s_mov_b64 s[0:1], 0
.LBB264_77:                             ;   in Loop: Header=BB264_57 Depth=1
	s_and_b64 vcc, exec, s[0:1]
	s_cbranch_vccnz .LBB264_80
; %bb.78:                               ;   in Loop: Header=BB264_57 Depth=1
	v_mov_b32_e32 v3, v51
	v_mov_b32_e32 v2, v50
	s_branch .LBB264_57
.LBB264_79:
                                        ; implicit-def: $vgpr52
                                        ; implicit-def: $vgpr54
                                        ; implicit-def: $vgpr28
	s_load_dwordx8 s[20:27], s[16:17], 0x40
	s_cbranch_execnz .LBB264_87
	s_branch .LBB264_118
.LBB264_80:
	s_and_saveexec_b64 s[20:21], s[18:19]
	s_cbranch_execz .LBB264_82
; %bb.81:
	s_getpc_b64 s[0:1]
	s_add_u32 s0, s0, _ZZZZN2at6native31launch_logcumsumexp_cuda_kernelERKNS_10TensorBaseES3_lENKUlvE_clEvENKUlvE2_clEvENKUlN3c107complexIfEES8_E_clES8_S8_@rel32@lo+4
	s_addc_u32 s1, s1, _ZZZZN2at6native31launch_logcumsumexp_cuda_kernelERKNS_10TensorBaseES3_lENKUlvE_clEvENKUlvE2_clEvENKUlN3c107complexIfEES8_E_clES8_S8_@rel32@hi+12
	s_waitcnt lgkmcnt(1)
	v_mov_b32_e32 v0, v50
	s_waitcnt lgkmcnt(0)
	v_mov_b32_e32 v1, v51
	v_mov_b32_e32 v2, v28
	;; [unrolled: 1-line block ×3, first 2 shown]
	s_swappc_b64 s[30:31], s[0:1]
	s_add_i32 s0, s22, 64
	s_mov_b32 s1, 0
	s_lshl_b64 s[0:1], s[0:1], 4
	s_add_u32 s0, s40, s0
	s_addc_u32 s1, s41, s1
	v_mov_b32_e32 v2, 2
	v_mov_b32_e32 v3, 0
	v_mov_b64_e32 v[4:5], s[0:1]
	;;#ASMSTART
	global_store_dwordx4 v[4:5], v[0:3] off sc1	
s_waitcnt vmcnt(0)
	;;#ASMEND
.LBB264_82:
	s_or_b64 exec, exec, s[20:21]
	v_cmp_eq_u32_e32 vcc, 0, v34
	s_and_b64 exec, exec, vcc
	s_cbranch_execz .LBB264_84
; %bb.83:
	s_waitcnt lgkmcnt(1)
	v_mov_b32_e32 v0, 0
	ds_write_b64 v0, v[50:51] offset:24
.LBB264_84:
	s_or_b64 exec, exec, s[24:25]
	s_waitcnt lgkmcnt(1)
	v_mov_b32_e32 v0, 0
	s_waitcnt lgkmcnt(0)
	s_barrier
	ds_read_b64 v[28:29], v0 offset:24
	v_cmp_ne_u32_e32 vcc, 0, v34
	v_mov_b32_e32 v2, v46
	v_mov_b32_e32 v3, v47
	s_and_saveexec_b64 s[20:21], vcc
	s_cbranch_execz .LBB264_86
; %bb.85:
	v_cndmask_b32_e64 v1, v61, v37, s[18:19]
	v_cndmask_b32_e64 v0, v59, v36, s[18:19]
	s_getpc_b64 s[0:1]
	s_add_u32 s0, s0, _ZZZZN2at6native31launch_logcumsumexp_cuda_kernelERKNS_10TensorBaseES3_lENKUlvE_clEvENKUlvE2_clEvENKUlN3c107complexIfEES8_E_clES8_S8_@rel32@lo+4
	s_addc_u32 s1, s1, _ZZZZN2at6native31launch_logcumsumexp_cuda_kernelERKNS_10TensorBaseES3_lENKUlvE_clEvENKUlvE2_clEvENKUlN3c107complexIfEES8_E_clES8_S8_@rel32@hi+12
	v_mov_b32_e32 v2, v46
	v_mov_b32_e32 v3, v47
	s_swappc_b64 s[30:31], s[0:1]
	v_mov_b32_e32 v2, v0
	v_mov_b32_e32 v3, v1
.LBB264_86:
	s_or_b64 exec, exec, s[20:21]
	s_getpc_b64 s[18:19]
	s_add_u32 s18, s18, _ZZZZN2at6native31launch_logcumsumexp_cuda_kernelERKNS_10TensorBaseES3_lENKUlvE_clEvENKUlvE2_clEvENKUlN3c107complexIfEES8_E_clES8_S8_@rel32@lo+4
	s_addc_u32 s19, s19, _ZZZZN2at6native31launch_logcumsumexp_cuda_kernelERKNS_10TensorBaseES3_lENKUlvE_clEvENKUlvE2_clEvENKUlN3c107complexIfEES8_E_clES8_S8_@rel32@hi+12
	s_waitcnt lgkmcnt(0)
	v_mov_b32_e32 v0, v28
	v_mov_b32_e32 v1, v29
	s_swappc_b64 s[30:31], s[18:19]
	v_mov_b32_e32 v2, v48
	v_mov_b32_e32 v3, v49
	v_mov_b32_e32 v50, v0
	v_mov_b32_e32 v51, v1
	s_swappc_b64 s[30:31], s[18:19]
	v_mov_b32_e32 v2, v42
	v_mov_b32_e32 v3, v43
	;; [unrolled: 5-line block ×6, first 2 shown]
	s_load_dwordx8 s[20:27], s[16:17], 0x40
	s_branch .LBB264_118
.LBB264_87:
	s_waitcnt lgkmcnt(0)
	s_cmp_eq_u64 s[24:25], 0
	s_cselect_b64 s[0:1], -1, 0
	v_cmp_ne_u32_e64 s[16:17], 0, v34
	s_or_b64 s[0:1], s[16:17], s[0:1]
                                        ; implicit-def: $vgpr50_vgpr51
	s_and_saveexec_b64 s[2:3], s[0:1]
	s_xor_b64 s[0:1], exec, s[2:3]
; %bb.88:
	v_mov_b64_e32 v[50:51], v[46:47]
; %bb.89:
	s_andn2_saveexec_b64 s[18:19], s[0:1]
	s_cbranch_execz .LBB264_91
; %bb.90:
	v_mov_b32_e32 v0, 0
	global_load_dwordx2 v[0:1], v0, s[20:21]
	s_getpc_b64 s[0:1]
	s_add_u32 s0, s0, _ZZZZN2at6native31launch_logcumsumexp_cuda_kernelERKNS_10TensorBaseES3_lENKUlvE_clEvENKUlvE2_clEvENKUlN3c107complexIfEES8_E_clES8_S8_@rel32@lo+4
	s_addc_u32 s1, s1, _ZZZZN2at6native31launch_logcumsumexp_cuda_kernelERKNS_10TensorBaseES3_lENKUlvE_clEvENKUlvE2_clEvENKUlN3c107complexIfEES8_E_clES8_S8_@rel32@hi+12
	v_mov_b32_e32 v2, v46
	v_mov_b32_e32 v3, v47
	s_swappc_b64 s[30:31], s[0:1]
	v_mov_b32_e32 v50, v0
	v_mov_b32_e32 v51, v1
	;; [unrolled: 1-line block ×4, first 2 shown]
.LBB264_91:
	s_or_b64 exec, exec, s[18:19]
	s_getpc_b64 s[18:19]
	s_add_u32 s18, s18, _ZZZZN2at6native31launch_logcumsumexp_cuda_kernelERKNS_10TensorBaseES3_lENKUlvE_clEvENKUlvE2_clEvENKUlN3c107complexIfEES8_E_clES8_S8_@rel32@lo+4
	s_addc_u32 s19, s19, _ZZZZN2at6native31launch_logcumsumexp_cuda_kernelERKNS_10TensorBaseES3_lENKUlvE_clEvENKUlvE2_clEvENKUlN3c107complexIfEES8_E_clES8_S8_@rel32@hi+12
	v_mov_b32_e32 v0, v46
	v_mov_b32_e32 v1, v47
	v_mov_b32_e32 v2, v48
	v_mov_b32_e32 v3, v49
	s_swappc_b64 s[30:31], s[18:19]
	v_mov_b32_e32 v2, v42
	v_mov_b32_e32 v3, v43
	v_mov_b32_e32 v52, v0
	v_mov_b32_e32 v53, v1
	s_swappc_b64 s[30:31], s[18:19]
	v_mov_b32_e32 v2, v44
	v_mov_b32_e32 v3, v45
	v_mov_b32_e32 v54, v0
	v_mov_b32_e32 v55, v1
	s_swappc_b64 s[30:31], s[18:19]
	v_mov_b32_e32 v2, v38
	v_mov_b32_e32 v3, v39
	v_mov_b32_e32 v56, v0
	v_mov_b32_e32 v57, v1
	s_swappc_b64 s[30:31], s[18:19]
	v_mov_b32_e32 v2, v40
	v_mov_b32_e32 v3, v41
	v_mov_b32_e32 v28, v0
	v_mov_b32_e32 v29, v1
	s_swappc_b64 s[30:31], s[18:19]
	v_mov_b32_e32 v30, v0
	v_mbcnt_lo_u32_b32 v0, -1, 0
	v_mbcnt_hi_u32_b32 v36, -1, v0
	v_mov_b32_e32 v31, v1
	v_and_b32_e32 v32, 15, v36
	v_mov_b32_dpp v0, v30 row_shr:1 row_mask:0xf bank_mask:0xf
	v_mov_b32_dpp v1, v31 row_shr:1 row_mask:0xf bank_mask:0xf
	v_cmp_ne_u32_e32 vcc, 0, v32
	v_mov_b64_e32 v[4:5], v[30:31]
	v_mov_b32_e32 v2, v30
	v_mov_b32_e32 v3, v31
	;; [unrolled: 1-line block ×4, first 2 shown]
	s_and_saveexec_b64 s[20:21], vcc
	s_cbranch_execz .LBB264_93
; %bb.92:
	v_mov_b32_e32 v2, v30
	v_mov_b32_e32 v3, v31
	s_swappc_b64 s[30:31], s[18:19]
	v_mov_b32_e32 v4, v0
	v_mov_b32_e32 v5, v1
	;; [unrolled: 1-line block ×6, first 2 shown]
.LBB264_93:
	s_or_b64 exec, exec, s[20:21]
	v_mov_b32_dpp v0, v35 row_shr:2 row_mask:0xf bank_mask:0xf
	v_mov_b32_dpp v1, v27 row_shr:2 row_mask:0xf bank_mask:0xf
	v_cmp_lt_u32_e32 vcc, 1, v32
	s_and_saveexec_b64 s[18:19], vcc
	s_cbranch_execz .LBB264_95
; %bb.94:
	s_getpc_b64 s[0:1]
	s_add_u32 s0, s0, _ZZZZN2at6native31launch_logcumsumexp_cuda_kernelERKNS_10TensorBaseES3_lENKUlvE_clEvENKUlvE2_clEvENKUlN3c107complexIfEES8_E_clES8_S8_@rel32@lo+4
	s_addc_u32 s1, s1, _ZZZZN2at6native31launch_logcumsumexp_cuda_kernelERKNS_10TensorBaseES3_lENKUlvE_clEvENKUlvE2_clEvENKUlN3c107complexIfEES8_E_clES8_S8_@rel32@hi+12
	s_swappc_b64 s[30:31], s[0:1]
	v_mov_b32_e32 v4, v0
	v_mov_b32_e32 v5, v1
	;; [unrolled: 1-line block ×4, first 2 shown]
.LBB264_95:
	s_or_b64 exec, exec, s[18:19]
	s_nop 0
	v_mov_b32_dpp v0, v35 row_shr:4 row_mask:0xf bank_mask:0xf
	v_mov_b32_dpp v1, v27 row_shr:4 row_mask:0xf bank_mask:0xf
	v_cmp_lt_u32_e32 vcc, 3, v32
	s_and_saveexec_b64 s[18:19], vcc
	s_cbranch_execz .LBB264_97
; %bb.96:
	s_getpc_b64 s[0:1]
	s_add_u32 s0, s0, _ZZZZN2at6native31launch_logcumsumexp_cuda_kernelERKNS_10TensorBaseES3_lENKUlvE_clEvENKUlvE2_clEvENKUlN3c107complexIfEES8_E_clES8_S8_@rel32@lo+4
	s_addc_u32 s1, s1, _ZZZZN2at6native31launch_logcumsumexp_cuda_kernelERKNS_10TensorBaseES3_lENKUlvE_clEvENKUlvE2_clEvENKUlN3c107complexIfEES8_E_clES8_S8_@rel32@hi+12
	v_mov_b32_e32 v2, v35
	v_mov_b32_e32 v3, v27
	s_swappc_b64 s[30:31], s[0:1]
	v_mov_b32_e32 v4, v0
	v_mov_b32_e32 v5, v1
	;; [unrolled: 1-line block ×4, first 2 shown]
.LBB264_97:
	s_or_b64 exec, exec, s[18:19]
	s_nop 0
	v_mov_b32_dpp v0, v35 row_shr:8 row_mask:0xf bank_mask:0xf
	v_mov_b32_dpp v1, v27 row_shr:8 row_mask:0xf bank_mask:0xf
	v_cmp_lt_u32_e32 vcc, 7, v32
	s_and_saveexec_b64 s[18:19], vcc
	s_cbranch_execz .LBB264_99
; %bb.98:
	s_getpc_b64 s[0:1]
	s_add_u32 s0, s0, _ZZZZN2at6native31launch_logcumsumexp_cuda_kernelERKNS_10TensorBaseES3_lENKUlvE_clEvENKUlvE2_clEvENKUlN3c107complexIfEES8_E_clES8_S8_@rel32@lo+4
	s_addc_u32 s1, s1, _ZZZZN2at6native31launch_logcumsumexp_cuda_kernelERKNS_10TensorBaseES3_lENKUlvE_clEvENKUlvE2_clEvENKUlN3c107complexIfEES8_E_clES8_S8_@rel32@hi+12
	v_mov_b32_e32 v2, v35
	v_mov_b32_e32 v3, v27
	s_swappc_b64 s[30:31], s[0:1]
	v_mov_b32_e32 v4, v0
	v_mov_b32_e32 v5, v1
	;; [unrolled: 1-line block ×4, first 2 shown]
.LBB264_99:
	s_or_b64 exec, exec, s[18:19]
	v_and_b32_e32 v2, 16, v36
	v_mov_b32_dpp v0, v35 row_bcast:15 row_mask:0xf bank_mask:0xf
	v_mov_b32_dpp v1, v27 row_bcast:15 row_mask:0xf bank_mask:0xf
	v_cmp_ne_u32_e32 vcc, 0, v2
	s_and_saveexec_b64 s[18:19], vcc
	s_cbranch_execz .LBB264_101
; %bb.100:
	s_getpc_b64 s[0:1]
	s_add_u32 s0, s0, _ZZZZN2at6native31launch_logcumsumexp_cuda_kernelERKNS_10TensorBaseES3_lENKUlvE_clEvENKUlvE2_clEvENKUlN3c107complexIfEES8_E_clES8_S8_@rel32@lo+4
	s_addc_u32 s1, s1, _ZZZZN2at6native31launch_logcumsumexp_cuda_kernelERKNS_10TensorBaseES3_lENKUlvE_clEvENKUlvE2_clEvENKUlN3c107complexIfEES8_E_clES8_S8_@rel32@hi+12
	v_mov_b32_e32 v2, v35
	v_mov_b32_e32 v3, v27
	s_swappc_b64 s[30:31], s[0:1]
	v_mov_b32_e32 v4, v0
	v_mov_b32_e32 v5, v1
	v_mov_b32_e32 v27, v1
	v_mov_b32_e32 v35, v0
.LBB264_101:
	s_or_b64 exec, exec, s[18:19]
	s_nop 0
	v_mov_b32_dpp v0, v35 row_bcast:31 row_mask:0xf bank_mask:0xf
	v_mov_b32_dpp v1, v27 row_bcast:31 row_mask:0xf bank_mask:0xf
	v_cmp_lt_u32_e32 vcc, 31, v36
	s_and_saveexec_b64 s[18:19], vcc
	s_cbranch_execz .LBB264_103
; %bb.102:
	s_getpc_b64 s[0:1]
	s_add_u32 s0, s0, _ZZZZN2at6native31launch_logcumsumexp_cuda_kernelERKNS_10TensorBaseES3_lENKUlvE_clEvENKUlvE2_clEvENKUlN3c107complexIfEES8_E_clES8_S8_@rel32@lo+4
	s_addc_u32 s1, s1, _ZZZZN2at6native31launch_logcumsumexp_cuda_kernelERKNS_10TensorBaseES3_lENKUlvE_clEvENKUlvE2_clEvENKUlN3c107complexIfEES8_E_clES8_S8_@rel32@hi+12
	v_mov_b32_e32 v2, v35
	v_mov_b32_e32 v3, v27
	s_swappc_b64 s[30:31], s[0:1]
	v_mov_b32_e32 v4, v0
	v_mov_b32_e32 v5, v1
	;; [unrolled: 1-line block ×4, first 2 shown]
.LBB264_103:
	s_or_b64 exec, exec, s[18:19]
	v_or_b32_e32 v0, 63, v34
	v_lshrrev_b32_e32 v37, 6, v34
	v_cmp_eq_u32_e32 vcc, v34, v0
	s_and_saveexec_b64 s[0:1], vcc
; %bb.104:
	v_lshlrev_b32_e32 v0, 3, v37
	ds_write_b64 v0, v[4:5]
; %bb.105:
	s_or_b64 exec, exec, s[0:1]
	v_cmp_gt_u32_e32 vcc, 4, v34
	s_waitcnt lgkmcnt(0)
	s_barrier
	s_and_saveexec_b64 s[18:19], vcc
	s_cbranch_execz .LBB264_111
; %bb.106:
	s_movk_i32 s0, 0xffd8
	v_mad_i32_i24 v0, v34, s0, v60
	ds_read_b64 v[2:3], v0
	v_and_b32_e32 v32, 3, v36
	v_cmp_ne_u32_e32 vcc, 0, v32
	s_waitcnt lgkmcnt(0)
	v_mov_b32_dpp v0, v2 row_shr:1 row_mask:0xf bank_mask:0xf
	v_mov_b32_dpp v1, v3 row_shr:1 row_mask:0xf bank_mask:0xf
	s_and_saveexec_b64 s[20:21], vcc
	s_cbranch_execz .LBB264_108
; %bb.107:
	s_getpc_b64 s[0:1]
	s_add_u32 s0, s0, _ZZZZN2at6native31launch_logcumsumexp_cuda_kernelERKNS_10TensorBaseES3_lENKUlvE_clEvENKUlvE2_clEvENKUlN3c107complexIfEES8_E_clES8_S8_@rel32@lo+4
	s_addc_u32 s1, s1, _ZZZZN2at6native31launch_logcumsumexp_cuda_kernelERKNS_10TensorBaseES3_lENKUlvE_clEvENKUlvE2_clEvENKUlN3c107complexIfEES8_E_clES8_S8_@rel32@hi+12
	s_swappc_b64 s[30:31], s[0:1]
	v_mov_b32_e32 v2, v0
	v_mov_b32_e32 v3, v1
.LBB264_108:
	s_or_b64 exec, exec, s[20:21]
	v_mul_i32_i24_e32 v33, 0xffffffd8, v34
	v_mov_b32_dpp v0, v2 row_shr:2 row_mask:0xf bank_mask:0xf
	v_mov_b32_dpp v1, v3 row_shr:2 row_mask:0xf bank_mask:0xf
	v_cmp_lt_u32_e32 vcc, 1, v32
	s_and_saveexec_b64 s[20:21], vcc
	s_cbranch_execz .LBB264_110
; %bb.109:
	s_getpc_b64 s[0:1]
	s_add_u32 s0, s0, _ZZZZN2at6native31launch_logcumsumexp_cuda_kernelERKNS_10TensorBaseES3_lENKUlvE_clEvENKUlvE2_clEvENKUlN3c107complexIfEES8_E_clES8_S8_@rel32@lo+4
	s_addc_u32 s1, s1, _ZZZZN2at6native31launch_logcumsumexp_cuda_kernelERKNS_10TensorBaseES3_lENKUlvE_clEvENKUlvE2_clEvENKUlN3c107complexIfEES8_E_clES8_S8_@rel32@hi+12
	s_swappc_b64 s[30:31], s[0:1]
	v_mov_b32_e32 v2, v0
	v_mov_b32_e32 v3, v1
.LBB264_110:
	s_or_b64 exec, exec, s[20:21]
	v_add_u32_e32 v0, v60, v33
	ds_write_b64 v0, v[2:3]
.LBB264_111:
	s_or_b64 exec, exec, s[18:19]
	v_cmp_lt_u32_e32 vcc, 63, v34
	v_mov_b32_e32 v32, 0
	v_mov_b32_e32 v33, 0
	s_waitcnt lgkmcnt(0)
	s_barrier
	s_and_saveexec_b64 s[18:19], vcc
	s_cbranch_execz .LBB264_113
; %bb.112:
	v_lshl_add_u32 v0, v37, 3, -8
	ds_read_b64 v[32:33], v0
	s_getpc_b64 s[0:1]
	s_add_u32 s0, s0, _ZZZZN2at6native31launch_logcumsumexp_cuda_kernelERKNS_10TensorBaseES3_lENKUlvE_clEvENKUlvE2_clEvENKUlN3c107complexIfEES8_E_clES8_S8_@rel32@lo+4
	s_addc_u32 s1, s1, _ZZZZN2at6native31launch_logcumsumexp_cuda_kernelERKNS_10TensorBaseES3_lENKUlvE_clEvENKUlvE2_clEvENKUlN3c107complexIfEES8_E_clES8_S8_@rel32@hi+12
	v_mov_b32_e32 v2, v35
	v_mov_b32_e32 v3, v27
	s_waitcnt lgkmcnt(0)
	v_mov_b32_e32 v0, v32
	v_mov_b32_e32 v1, v33
	s_swappc_b64 s[30:31], s[0:1]
	v_mov_b32_e32 v35, v0
	v_mov_b32_e32 v27, v1
.LBB264_113:
	s_or_b64 exec, exec, s[18:19]
	v_add_u32_e32 v0, -1, v36
	v_and_b32_e32 v1, 64, v36
	v_cmp_lt_i32_e32 vcc, v0, v1
	s_nop 1
	v_cndmask_b32_e32 v0, v0, v36, vcc
	v_lshlrev_b32_e32 v1, 2, v0
	ds_bpermute_b32 v0, v1, v35
	ds_bpermute_b32 v1, v1, v27
	s_and_saveexec_b64 s[18:19], s[16:17]
	s_cbranch_execz .LBB264_115
; %bb.114:
	v_cmp_eq_u32_e32 vcc, 0, v36
	s_getpc_b64 s[16:17]
	s_add_u32 s16, s16, _ZZZZN2at6native31launch_logcumsumexp_cuda_kernelERKNS_10TensorBaseES3_lENKUlvE_clEvENKUlvE2_clEvENKUlN3c107complexIfEES8_E_clES8_S8_@rel32@lo+4
	s_addc_u32 s17, s17, _ZZZZN2at6native31launch_logcumsumexp_cuda_kernelERKNS_10TensorBaseES3_lENKUlvE_clEvENKUlvE2_clEvENKUlN3c107complexIfEES8_E_clES8_S8_@rel32@hi+12
	s_waitcnt lgkmcnt(1)
	v_cndmask_b32_e32 v0, v0, v32, vcc
	s_waitcnt lgkmcnt(0)
	v_cndmask_b32_e32 v1, v1, v33, vcc
	v_mov_b32_e32 v2, v46
	v_mov_b32_e32 v3, v47
	s_swappc_b64 s[30:31], s[16:17]
	v_mov_b32_e32 v2, v48
	v_mov_b32_e32 v3, v49
	;; [unrolled: 1-line block ×4, first 2 shown]
	;;#ASMSTART
	;;#ASMEND
	s_swappc_b64 s[30:31], s[16:17]
	v_mov_b32_e32 v2, v42
	v_mov_b32_e32 v3, v43
	v_mov_b32_e32 v52, v0
	v_mov_b32_e32 v53, v1
	s_swappc_b64 s[30:31], s[16:17]
	v_mov_b32_e32 v2, v44
	v_mov_b32_e32 v3, v45
	v_mov_b32_e32 v54, v0
	v_mov_b32_e32 v55, v1
	;; [unrolled: 5-line block ×4, first 2 shown]
	s_swappc_b64 s[30:31], s[16:17]
	v_mov_b32_e32 v30, v0
	v_mov_b32_e32 v31, v1
.LBB264_115:
	s_or_b64 exec, exec, s[18:19]
	s_movk_i32 s0, 0xff
	v_cmp_eq_u32_e32 vcc, s0, v34
	s_and_saveexec_b64 s[0:1], vcc
	s_cbranch_execz .LBB264_117
; %bb.116:
	s_add_u32 s2, s40, 0x400
	s_addc_u32 s3, s41, 0
	v_mov_b32_e32 v2, 2
	v_mov_b32_e32 v3, 0
	s_waitcnt lgkmcnt(1)
	v_mov_b32_e32 v0, v30
	s_waitcnt lgkmcnt(0)
	v_mov_b32_e32 v1, v31
	v_mov_b64_e32 v[4:5], s[2:3]
	;;#ASMSTART
	global_store_dwordx4 v[4:5], v[0:3] off sc1	
s_waitcnt vmcnt(0)
	;;#ASMEND
.LBB264_117:
	s_or_b64 exec, exec, s[0:1]
.LBB264_118:
	s_add_u32 s0, s28, s34
	s_addc_u32 s1, s29, s35
	s_add_u32 s0, s0, s38
	s_addc_u32 s1, s1, s39
	s_mov_b64 s[2:3], -1
	s_and_b64 vcc, exec, s[36:37]
	s_waitcnt lgkmcnt(0)
	s_barrier
	s_cbranch_vccz .LBB264_120
; %bb.119:
	s_movk_i32 s2, 0xffd8
	v_mad_i32_i24 v8, v34, s2, v60
	ds_write_b128 v60, v[50:53]
	ds_write_b128 v60, v[54:57] offset:16
	ds_write_b128 v60, v[28:31] offset:32
	s_waitcnt lgkmcnt(0)
	s_barrier
	ds_read2st64_b64 v[0:3], v8 offset1:4
	ds_read2st64_b64 v[4:7], v8 offset0:8 offset1:12
	ds_read2st64_b64 v[8:11], v8 offset0:16 offset1:20
	v_mov_b32_e32 v59, 0
	v_lshl_add_u64 v[12:13], s[0:1], 0, v[58:59]
	s_waitcnt lgkmcnt(2)
	global_store_dwordx2 v58, v[0:1], s[0:1]
	global_store_dwordx2 v58, v[2:3], s[0:1] offset:2048
	v_add_co_u32_e32 v0, vcc, 0x1000, v12
	s_mov_b64 s[2:3], 0
	s_nop 0
	v_addc_co_u32_e32 v1, vcc, 0, v13, vcc
	s_waitcnt lgkmcnt(1)
	global_store_dwordx2 v[0:1], v[4:5], off
	global_store_dwordx2 v[0:1], v[6:7], off offset:2048
	v_add_co_u32_e32 v0, vcc, 0x2000, v12
	s_nop 1
	v_addc_co_u32_e32 v1, vcc, 0, v13, vcc
	s_waitcnt lgkmcnt(0)
	global_store_dwordx2 v[0:1], v[8:9], off
	global_store_dwordx2 v[0:1], v[10:11], off offset:2048
.LBB264_120:
	s_andn2_b64 vcc, exec, s[2:3]
	s_cbranch_vccnz .LBB264_153
; %bb.121:
	s_movk_i32 s2, 0xffd8
	v_mad_i32_i24 v0, v34, s2, v60
	ds_write_b128 v60, v[50:53]
	ds_write_b128 v60, v[54:57] offset:16
	ds_write_b128 v60, v[28:31] offset:32
	s_waitcnt lgkmcnt(0)
	s_barrier
	ds_read2st64_b64 v[2:5], v0 offset1:4
	ds_read2st64_b64 v[6:9], v0 offset0:8 offset1:12
	ds_read2st64_b64 v[10:13], v0 offset0:16 offset1:20
	v_mov_b32_e32 v59, 0
	v_lshl_add_u64 v[0:1], s[0:1], 0, v[58:59]
	v_cmp_gt_u32_e32 vcc, s33, v34
	s_and_saveexec_b64 s[0:1], vcc
	s_cbranch_execz .LBB264_123
; %bb.122:
	s_waitcnt lgkmcnt(2)
	global_store_dwordx2 v[0:1], v[2:3], off
.LBB264_123:
	s_or_b64 exec, exec, s[0:1]
	v_or_b32_e32 v14, 0x100, v34
	v_cmp_gt_u32_e32 vcc, s33, v14
	s_and_saveexec_b64 s[0:1], vcc
	s_cbranch_execz .LBB264_125
; %bb.124:
	s_waitcnt lgkmcnt(2)
	global_store_dwordx2 v[0:1], v[4:5], off offset:2048
.LBB264_125:
	s_or_b64 exec, exec, s[0:1]
	v_or_b32_e32 v14, 0x200, v34
	v_cmp_gt_u32_e32 vcc, s33, v14
	s_and_saveexec_b64 s[0:1], vcc
	s_cbranch_execz .LBB264_127
; %bb.126:
	v_add_co_u32_e32 v14, vcc, 0x1000, v0
	s_nop 1
	v_addc_co_u32_e32 v15, vcc, 0, v1, vcc
	s_waitcnt lgkmcnt(1)
	global_store_dwordx2 v[14:15], v[6:7], off
.LBB264_127:
	s_or_b64 exec, exec, s[0:1]
	v_or_b32_e32 v14, 0x300, v34
	v_cmp_gt_u32_e32 vcc, s33, v14
	s_and_saveexec_b64 s[0:1], vcc
	s_cbranch_execz .LBB264_129
; %bb.128:
	v_add_co_u32_e32 v14, vcc, 0x1000, v0
	s_nop 1
	v_addc_co_u32_e32 v15, vcc, 0, v1, vcc
	s_waitcnt lgkmcnt(1)
	global_store_dwordx2 v[14:15], v[8:9], off offset:2048
.LBB264_129:
	s_or_b64 exec, exec, s[0:1]
	v_or_b32_e32 v14, 0x400, v34
	v_cmp_gt_u32_e32 vcc, s33, v14
	s_and_saveexec_b64 s[0:1], vcc
	s_cbranch_execz .LBB264_131
; %bb.130:
	v_add_co_u32_e32 v14, vcc, 0x2000, v0
	s_nop 1
	v_addc_co_u32_e32 v15, vcc, 0, v1, vcc
	s_waitcnt lgkmcnt(0)
	global_store_dwordx2 v[14:15], v[10:11], off
.LBB264_131:
	s_or_b64 exec, exec, s[0:1]
	v_or_b32_e32 v14, 0x500, v34
	v_cmp_gt_u32_e32 vcc, s33, v14
	s_and_saveexec_b64 s[0:1], vcc
	s_cbranch_execz .LBB264_133
; %bb.132:
	v_add_co_u32_e32 v0, vcc, 0x2000, v0
	s_nop 1
	v_addc_co_u32_e32 v1, vcc, 0, v1, vcc
	s_waitcnt lgkmcnt(0)
	global_store_dwordx2 v[0:1], v[12:13], off offset:2048
.LBB264_133:
	s_or_b64 exec, exec, s[0:1]
	v_cmp_lt_u64_e64 s[0:1], s[26:27], 2
	s_and_b64 vcc, exec, s[0:1]
	s_cbranch_vccnz .LBB264_153
; %bb.134:
	s_add_u32 s0, s33, -1
	s_addc_u32 s1, s42, -1
	s_mul_i32 s5, s1, 0xaaaaaaab
	s_mul_hi_u32 s6, s0, 0xaaaaaaab
	s_mul_hi_u32 s4, s1, 0xaaaaaaab
	s_add_u32 s5, s5, s6
	s_mul_i32 s3, s0, 0xaaaaaaaa
	s_addc_u32 s4, s4, 0
	s_mul_hi_u32 s2, s0, 0xaaaaaaaa
	s_add_u32 s3, s3, s5
	s_addc_u32 s2, s2, 0
	s_add_u32 s2, s4, s2
	s_addc_u32 s3, 0, 0
	s_mul_i32 s5, s1, 0xaaaaaaaa
	s_mul_hi_u32 s4, s1, 0xaaaaaaaa
	s_add_u32 s2, s5, s2
	s_addc_u32 s3, s4, s3
	v_mov_b32_e32 v35, v59
	s_lshr_b64 s[2:3], s[2:3], 2
	v_cmp_eq_u64_e32 vcc, s[2:3], v[34:35]
	s_and_saveexec_b64 s[2:3], vcc
	s_cbranch_execz .LBB264_153
; %bb.135:
	v_mul_u32_u24_e32 v0, 6, v34
	v_mul_hi_u32_u24_e32 v1, 6, v34
	v_mov_b32_e32 v14, s1
	v_sub_co_u32_e32 v0, vcc, s0, v0
	s_nop 1
	v_subb_co_u32_e32 v1, vcc, v14, v1, vcc
	v_cmp_lt_i64_e32 vcc, 2, v[0:1]
	s_and_saveexec_b64 s[0:1], vcc
	s_xor_b64 s[0:1], exec, s[0:1]
	s_cbranch_execz .LBB264_145
; %bb.136:
	v_cmp_lt_i64_e32 vcc, 3, v[0:1]
	s_and_saveexec_b64 s[2:3], vcc
	s_xor_b64 s[2:3], exec, s[2:3]
	s_cbranch_execz .LBB264_142
; %bb.137:
	;; [unrolled: 5-line block ×3, first 2 shown]
	v_mov_b32_e32 v0, 0
	s_waitcnt lgkmcnt(0)
	global_store_dwordx2 v0, v[12:13], s[22:23]
                                        ; implicit-def: $vgpr10_vgpr11_vgpr12_vgpr13
.LBB264_139:
	s_andn2_saveexec_b64 s[4:5], s[4:5]
	s_cbranch_execz .LBB264_141
; %bb.140:
	v_mov_b32_e32 v0, 0
	s_waitcnt lgkmcnt(0)
	global_store_dwordx2 v0, v[10:11], s[22:23]
.LBB264_141:
	s_or_b64 exec, exec, s[4:5]
                                        ; implicit-def: $vgpr6_vgpr7_vgpr8_vgpr9
.LBB264_142:
	s_andn2_saveexec_b64 s[2:3], s[2:3]
	s_cbranch_execz .LBB264_144
; %bb.143:
	v_mov_b32_e32 v0, 0
	s_waitcnt lgkmcnt(1)
	global_store_dwordx2 v0, v[8:9], s[22:23]
.LBB264_144:
	s_or_b64 exec, exec, s[2:3]
                                        ; implicit-def: $vgpr0_vgpr1
                                        ; implicit-def: $vgpr6_vgpr7_vgpr8_vgpr9
                                        ; implicit-def: $vgpr2_vgpr3_vgpr4_vgpr5
.LBB264_145:
	s_andn2_saveexec_b64 s[0:1], s[0:1]
	s_cbranch_execz .LBB264_153
; %bb.146:
	v_cmp_lt_i64_e32 vcc, 1, v[0:1]
	s_and_saveexec_b64 s[0:1], vcc
	s_xor_b64 s[0:1], exec, s[0:1]
	s_cbranch_execz .LBB264_148
; %bb.147:
	v_mov_b32_e32 v0, 0
	s_waitcnt lgkmcnt(1)
	global_store_dwordx2 v0, v[6:7], s[22:23]
                                        ; implicit-def: $vgpr2_vgpr3_vgpr4_vgpr5
                                        ; implicit-def: $vgpr0_vgpr1
.LBB264_148:
	s_andn2_saveexec_b64 s[0:1], s[0:1]
	s_cbranch_execz .LBB264_153
; %bb.149:
	v_cmp_ne_u64_e32 vcc, 1, v[0:1]
	s_and_saveexec_b64 s[0:1], vcc
	s_xor_b64 s[0:1], exec, s[0:1]
	s_cbranch_execz .LBB264_151
; %bb.150:
	v_mov_b32_e32 v0, 0
	s_waitcnt lgkmcnt(2)
	global_store_dwordx2 v0, v[2:3], s[22:23]
                                        ; implicit-def: $vgpr2_vgpr3_vgpr4_vgpr5
.LBB264_151:
	s_andn2_saveexec_b64 s[0:1], s[0:1]
	s_cbranch_execz .LBB264_153
; %bb.152:
	v_mov_b32_e32 v0, 0
	s_waitcnt lgkmcnt(2)
	global_store_dwordx2 v0, v[4:5], s[22:23]
.LBB264_153:
	s_endpgm
	.section	.rodata,"a",@progbits
	.p2align	6, 0x0
	.amdhsa_kernel _ZN7rocprim17ROCPRIM_400000_NS6detail17trampoline_kernelINS0_14default_configENS1_20scan_config_selectorIN3c107complexIfEEEEZZNS1_9scan_implILNS1_25lookback_scan_determinismE0ELb0ELb0ES3_PKS7_PS7_S7_ZZZN2at6native31launch_logcumsumexp_cuda_kernelERKNSE_10TensorBaseESI_lENKUlvE_clEvENKUlvE2_clEvEUlS7_S7_E_S7_EEDaPvRmT3_T4_T5_mT6_P12ihipStream_tbENKUlT_T0_E_clISt17integral_constantIbLb0EESZ_EEDaSU_SV_EUlSU_E_NS1_11comp_targetILNS1_3genE0ELNS1_11target_archE4294967295ELNS1_3gpuE0ELNS1_3repE0EEENS1_30default_config_static_selectorELNS0_4arch9wavefront6targetE1EEEvT1_
		.amdhsa_group_segment_fixed_size 12288
		.amdhsa_private_segment_fixed_size 0
		.amdhsa_kernarg_size 104
		.amdhsa_user_sgpr_count 2
		.amdhsa_user_sgpr_dispatch_ptr 0
		.amdhsa_user_sgpr_queue_ptr 0
		.amdhsa_user_sgpr_kernarg_segment_ptr 1
		.amdhsa_user_sgpr_dispatch_id 0
		.amdhsa_user_sgpr_kernarg_preload_length 0
		.amdhsa_user_sgpr_kernarg_preload_offset 0
		.amdhsa_user_sgpr_private_segment_size 0
		.amdhsa_uses_dynamic_stack 0
		.amdhsa_enable_private_segment 0
		.amdhsa_system_sgpr_workgroup_id_x 1
		.amdhsa_system_sgpr_workgroup_id_y 0
		.amdhsa_system_sgpr_workgroup_id_z 0
		.amdhsa_system_sgpr_workgroup_info 0
		.amdhsa_system_vgpr_workitem_id 0
		.amdhsa_next_free_vgpr 75
		.amdhsa_next_free_sgpr 43
		.amdhsa_accum_offset 76
		.amdhsa_reserve_vcc 1
		.amdhsa_float_round_mode_32 0
		.amdhsa_float_round_mode_16_64 0
		.amdhsa_float_denorm_mode_32 3
		.amdhsa_float_denorm_mode_16_64 3
		.amdhsa_dx10_clamp 1
		.amdhsa_ieee_mode 1
		.amdhsa_fp16_overflow 0
		.amdhsa_tg_split 0
		.amdhsa_exception_fp_ieee_invalid_op 0
		.amdhsa_exception_fp_denorm_src 0
		.amdhsa_exception_fp_ieee_div_zero 0
		.amdhsa_exception_fp_ieee_overflow 0
		.amdhsa_exception_fp_ieee_underflow 0
		.amdhsa_exception_fp_ieee_inexact 0
		.amdhsa_exception_int_div_zero 0
	.end_amdhsa_kernel
	.section	.text._ZN7rocprim17ROCPRIM_400000_NS6detail17trampoline_kernelINS0_14default_configENS1_20scan_config_selectorIN3c107complexIfEEEEZZNS1_9scan_implILNS1_25lookback_scan_determinismE0ELb0ELb0ES3_PKS7_PS7_S7_ZZZN2at6native31launch_logcumsumexp_cuda_kernelERKNSE_10TensorBaseESI_lENKUlvE_clEvENKUlvE2_clEvEUlS7_S7_E_S7_EEDaPvRmT3_T4_T5_mT6_P12ihipStream_tbENKUlT_T0_E_clISt17integral_constantIbLb0EESZ_EEDaSU_SV_EUlSU_E_NS1_11comp_targetILNS1_3genE0ELNS1_11target_archE4294967295ELNS1_3gpuE0ELNS1_3repE0EEENS1_30default_config_static_selectorELNS0_4arch9wavefront6targetE1EEEvT1_,"axG",@progbits,_ZN7rocprim17ROCPRIM_400000_NS6detail17trampoline_kernelINS0_14default_configENS1_20scan_config_selectorIN3c107complexIfEEEEZZNS1_9scan_implILNS1_25lookback_scan_determinismE0ELb0ELb0ES3_PKS7_PS7_S7_ZZZN2at6native31launch_logcumsumexp_cuda_kernelERKNSE_10TensorBaseESI_lENKUlvE_clEvENKUlvE2_clEvEUlS7_S7_E_S7_EEDaPvRmT3_T4_T5_mT6_P12ihipStream_tbENKUlT_T0_E_clISt17integral_constantIbLb0EESZ_EEDaSU_SV_EUlSU_E_NS1_11comp_targetILNS1_3genE0ELNS1_11target_archE4294967295ELNS1_3gpuE0ELNS1_3repE0EEENS1_30default_config_static_selectorELNS0_4arch9wavefront6targetE1EEEvT1_,comdat
.Lfunc_end264:
	.size	_ZN7rocprim17ROCPRIM_400000_NS6detail17trampoline_kernelINS0_14default_configENS1_20scan_config_selectorIN3c107complexIfEEEEZZNS1_9scan_implILNS1_25lookback_scan_determinismE0ELb0ELb0ES3_PKS7_PS7_S7_ZZZN2at6native31launch_logcumsumexp_cuda_kernelERKNSE_10TensorBaseESI_lENKUlvE_clEvENKUlvE2_clEvEUlS7_S7_E_S7_EEDaPvRmT3_T4_T5_mT6_P12ihipStream_tbENKUlT_T0_E_clISt17integral_constantIbLb0EESZ_EEDaSU_SV_EUlSU_E_NS1_11comp_targetILNS1_3genE0ELNS1_11target_archE4294967295ELNS1_3gpuE0ELNS1_3repE0EEENS1_30default_config_static_selectorELNS0_4arch9wavefront6targetE1EEEvT1_, .Lfunc_end264-_ZN7rocprim17ROCPRIM_400000_NS6detail17trampoline_kernelINS0_14default_configENS1_20scan_config_selectorIN3c107complexIfEEEEZZNS1_9scan_implILNS1_25lookback_scan_determinismE0ELb0ELb0ES3_PKS7_PS7_S7_ZZZN2at6native31launch_logcumsumexp_cuda_kernelERKNSE_10TensorBaseESI_lENKUlvE_clEvENKUlvE2_clEvEUlS7_S7_E_S7_EEDaPvRmT3_T4_T5_mT6_P12ihipStream_tbENKUlT_T0_E_clISt17integral_constantIbLb0EESZ_EEDaSU_SV_EUlSU_E_NS1_11comp_targetILNS1_3genE0ELNS1_11target_archE4294967295ELNS1_3gpuE0ELNS1_3repE0EEENS1_30default_config_static_selectorELNS0_4arch9wavefront6targetE1EEEvT1_
                                        ; -- End function
	.set _ZN7rocprim17ROCPRIM_400000_NS6detail17trampoline_kernelINS0_14default_configENS1_20scan_config_selectorIN3c107complexIfEEEEZZNS1_9scan_implILNS1_25lookback_scan_determinismE0ELb0ELb0ES3_PKS7_PS7_S7_ZZZN2at6native31launch_logcumsumexp_cuda_kernelERKNSE_10TensorBaseESI_lENKUlvE_clEvENKUlvE2_clEvEUlS7_S7_E_S7_EEDaPvRmT3_T4_T5_mT6_P12ihipStream_tbENKUlT_T0_E_clISt17integral_constantIbLb0EESZ_EEDaSU_SV_EUlSU_E_NS1_11comp_targetILNS1_3genE0ELNS1_11target_archE4294967295ELNS1_3gpuE0ELNS1_3repE0EEENS1_30default_config_static_selectorELNS0_4arch9wavefront6targetE1EEEvT1_.num_vgpr, max(75, .L_ZZZZN2at6native31launch_logcumsumexp_cuda_kernelERKNS_10TensorBaseES3_lENKUlvE_clEvENKUlvE2_clEvENKUlN3c107complexIfEES8_E_clES8_S8_.num_vgpr)
	.set _ZN7rocprim17ROCPRIM_400000_NS6detail17trampoline_kernelINS0_14default_configENS1_20scan_config_selectorIN3c107complexIfEEEEZZNS1_9scan_implILNS1_25lookback_scan_determinismE0ELb0ELb0ES3_PKS7_PS7_S7_ZZZN2at6native31launch_logcumsumexp_cuda_kernelERKNSE_10TensorBaseESI_lENKUlvE_clEvENKUlvE2_clEvEUlS7_S7_E_S7_EEDaPvRmT3_T4_T5_mT6_P12ihipStream_tbENKUlT_T0_E_clISt17integral_constantIbLb0EESZ_EEDaSU_SV_EUlSU_E_NS1_11comp_targetILNS1_3genE0ELNS1_11target_archE4294967295ELNS1_3gpuE0ELNS1_3repE0EEENS1_30default_config_static_selectorELNS0_4arch9wavefront6targetE1EEEvT1_.num_agpr, max(0, .L_ZZZZN2at6native31launch_logcumsumexp_cuda_kernelERKNS_10TensorBaseES3_lENKUlvE_clEvENKUlvE2_clEvENKUlN3c107complexIfEES8_E_clES8_S8_.num_agpr)
	.set _ZN7rocprim17ROCPRIM_400000_NS6detail17trampoline_kernelINS0_14default_configENS1_20scan_config_selectorIN3c107complexIfEEEEZZNS1_9scan_implILNS1_25lookback_scan_determinismE0ELb0ELb0ES3_PKS7_PS7_S7_ZZZN2at6native31launch_logcumsumexp_cuda_kernelERKNSE_10TensorBaseESI_lENKUlvE_clEvENKUlvE2_clEvEUlS7_S7_E_S7_EEDaPvRmT3_T4_T5_mT6_P12ihipStream_tbENKUlT_T0_E_clISt17integral_constantIbLb0EESZ_EEDaSU_SV_EUlSU_E_NS1_11comp_targetILNS1_3genE0ELNS1_11target_archE4294967295ELNS1_3gpuE0ELNS1_3repE0EEENS1_30default_config_static_selectorELNS0_4arch9wavefront6targetE1EEEvT1_.numbered_sgpr, max(43, .L_ZZZZN2at6native31launch_logcumsumexp_cuda_kernelERKNS_10TensorBaseES3_lENKUlvE_clEvENKUlvE2_clEvENKUlN3c107complexIfEES8_E_clES8_S8_.numbered_sgpr)
	.set _ZN7rocprim17ROCPRIM_400000_NS6detail17trampoline_kernelINS0_14default_configENS1_20scan_config_selectorIN3c107complexIfEEEEZZNS1_9scan_implILNS1_25lookback_scan_determinismE0ELb0ELb0ES3_PKS7_PS7_S7_ZZZN2at6native31launch_logcumsumexp_cuda_kernelERKNSE_10TensorBaseESI_lENKUlvE_clEvENKUlvE2_clEvEUlS7_S7_E_S7_EEDaPvRmT3_T4_T5_mT6_P12ihipStream_tbENKUlT_T0_E_clISt17integral_constantIbLb0EESZ_EEDaSU_SV_EUlSU_E_NS1_11comp_targetILNS1_3genE0ELNS1_11target_archE4294967295ELNS1_3gpuE0ELNS1_3repE0EEENS1_30default_config_static_selectorELNS0_4arch9wavefront6targetE1EEEvT1_.num_named_barrier, max(0, .L_ZZZZN2at6native31launch_logcumsumexp_cuda_kernelERKNS_10TensorBaseES3_lENKUlvE_clEvENKUlvE2_clEvENKUlN3c107complexIfEES8_E_clES8_S8_.num_named_barrier)
	.set _ZN7rocprim17ROCPRIM_400000_NS6detail17trampoline_kernelINS0_14default_configENS1_20scan_config_selectorIN3c107complexIfEEEEZZNS1_9scan_implILNS1_25lookback_scan_determinismE0ELb0ELb0ES3_PKS7_PS7_S7_ZZZN2at6native31launch_logcumsumexp_cuda_kernelERKNSE_10TensorBaseESI_lENKUlvE_clEvENKUlvE2_clEvEUlS7_S7_E_S7_EEDaPvRmT3_T4_T5_mT6_P12ihipStream_tbENKUlT_T0_E_clISt17integral_constantIbLb0EESZ_EEDaSU_SV_EUlSU_E_NS1_11comp_targetILNS1_3genE0ELNS1_11target_archE4294967295ELNS1_3gpuE0ELNS1_3repE0EEENS1_30default_config_static_selectorELNS0_4arch9wavefront6targetE1EEEvT1_.private_seg_size, 0+max(.L_ZZZZN2at6native31launch_logcumsumexp_cuda_kernelERKNS_10TensorBaseES3_lENKUlvE_clEvENKUlvE2_clEvENKUlN3c107complexIfEES8_E_clES8_S8_.private_seg_size)
	.set _ZN7rocprim17ROCPRIM_400000_NS6detail17trampoline_kernelINS0_14default_configENS1_20scan_config_selectorIN3c107complexIfEEEEZZNS1_9scan_implILNS1_25lookback_scan_determinismE0ELb0ELb0ES3_PKS7_PS7_S7_ZZZN2at6native31launch_logcumsumexp_cuda_kernelERKNSE_10TensorBaseESI_lENKUlvE_clEvENKUlvE2_clEvEUlS7_S7_E_S7_EEDaPvRmT3_T4_T5_mT6_P12ihipStream_tbENKUlT_T0_E_clISt17integral_constantIbLb0EESZ_EEDaSU_SV_EUlSU_E_NS1_11comp_targetILNS1_3genE0ELNS1_11target_archE4294967295ELNS1_3gpuE0ELNS1_3repE0EEENS1_30default_config_static_selectorELNS0_4arch9wavefront6targetE1EEEvT1_.uses_vcc, or(1, .L_ZZZZN2at6native31launch_logcumsumexp_cuda_kernelERKNS_10TensorBaseES3_lENKUlvE_clEvENKUlvE2_clEvENKUlN3c107complexIfEES8_E_clES8_S8_.uses_vcc)
	.set _ZN7rocprim17ROCPRIM_400000_NS6detail17trampoline_kernelINS0_14default_configENS1_20scan_config_selectorIN3c107complexIfEEEEZZNS1_9scan_implILNS1_25lookback_scan_determinismE0ELb0ELb0ES3_PKS7_PS7_S7_ZZZN2at6native31launch_logcumsumexp_cuda_kernelERKNSE_10TensorBaseESI_lENKUlvE_clEvENKUlvE2_clEvEUlS7_S7_E_S7_EEDaPvRmT3_T4_T5_mT6_P12ihipStream_tbENKUlT_T0_E_clISt17integral_constantIbLb0EESZ_EEDaSU_SV_EUlSU_E_NS1_11comp_targetILNS1_3genE0ELNS1_11target_archE4294967295ELNS1_3gpuE0ELNS1_3repE0EEENS1_30default_config_static_selectorELNS0_4arch9wavefront6targetE1EEEvT1_.uses_flat_scratch, or(0, .L_ZZZZN2at6native31launch_logcumsumexp_cuda_kernelERKNS_10TensorBaseES3_lENKUlvE_clEvENKUlvE2_clEvENKUlN3c107complexIfEES8_E_clES8_S8_.uses_flat_scratch)
	.set _ZN7rocprim17ROCPRIM_400000_NS6detail17trampoline_kernelINS0_14default_configENS1_20scan_config_selectorIN3c107complexIfEEEEZZNS1_9scan_implILNS1_25lookback_scan_determinismE0ELb0ELb0ES3_PKS7_PS7_S7_ZZZN2at6native31launch_logcumsumexp_cuda_kernelERKNSE_10TensorBaseESI_lENKUlvE_clEvENKUlvE2_clEvEUlS7_S7_E_S7_EEDaPvRmT3_T4_T5_mT6_P12ihipStream_tbENKUlT_T0_E_clISt17integral_constantIbLb0EESZ_EEDaSU_SV_EUlSU_E_NS1_11comp_targetILNS1_3genE0ELNS1_11target_archE4294967295ELNS1_3gpuE0ELNS1_3repE0EEENS1_30default_config_static_selectorELNS0_4arch9wavefront6targetE1EEEvT1_.has_dyn_sized_stack, or(0, .L_ZZZZN2at6native31launch_logcumsumexp_cuda_kernelERKNS_10TensorBaseES3_lENKUlvE_clEvENKUlvE2_clEvENKUlN3c107complexIfEES8_E_clES8_S8_.has_dyn_sized_stack)
	.set _ZN7rocprim17ROCPRIM_400000_NS6detail17trampoline_kernelINS0_14default_configENS1_20scan_config_selectorIN3c107complexIfEEEEZZNS1_9scan_implILNS1_25lookback_scan_determinismE0ELb0ELb0ES3_PKS7_PS7_S7_ZZZN2at6native31launch_logcumsumexp_cuda_kernelERKNSE_10TensorBaseESI_lENKUlvE_clEvENKUlvE2_clEvEUlS7_S7_E_S7_EEDaPvRmT3_T4_T5_mT6_P12ihipStream_tbENKUlT_T0_E_clISt17integral_constantIbLb0EESZ_EEDaSU_SV_EUlSU_E_NS1_11comp_targetILNS1_3genE0ELNS1_11target_archE4294967295ELNS1_3gpuE0ELNS1_3repE0EEENS1_30default_config_static_selectorELNS0_4arch9wavefront6targetE1EEEvT1_.has_recursion, or(0, .L_ZZZZN2at6native31launch_logcumsumexp_cuda_kernelERKNS_10TensorBaseES3_lENKUlvE_clEvENKUlvE2_clEvENKUlN3c107complexIfEES8_E_clES8_S8_.has_recursion)
	.set _ZN7rocprim17ROCPRIM_400000_NS6detail17trampoline_kernelINS0_14default_configENS1_20scan_config_selectorIN3c107complexIfEEEEZZNS1_9scan_implILNS1_25lookback_scan_determinismE0ELb0ELb0ES3_PKS7_PS7_S7_ZZZN2at6native31launch_logcumsumexp_cuda_kernelERKNSE_10TensorBaseESI_lENKUlvE_clEvENKUlvE2_clEvEUlS7_S7_E_S7_EEDaPvRmT3_T4_T5_mT6_P12ihipStream_tbENKUlT_T0_E_clISt17integral_constantIbLb0EESZ_EEDaSU_SV_EUlSU_E_NS1_11comp_targetILNS1_3genE0ELNS1_11target_archE4294967295ELNS1_3gpuE0ELNS1_3repE0EEENS1_30default_config_static_selectorELNS0_4arch9wavefront6targetE1EEEvT1_.has_indirect_call, or(0, .L_ZZZZN2at6native31launch_logcumsumexp_cuda_kernelERKNS_10TensorBaseES3_lENKUlvE_clEvENKUlvE2_clEvENKUlN3c107complexIfEES8_E_clES8_S8_.has_indirect_call)
	.section	.AMDGPU.csdata,"",@progbits
; Kernel info:
; codeLenInByte = 6004
; TotalNumSgprs: 49
; NumVgprs: 75
; NumAgprs: 0
; TotalNumVgprs: 75
; ScratchSize: 0
; MemoryBound: 0
; FloatMode: 240
; IeeeMode: 1
; LDSByteSize: 12288 bytes/workgroup (compile time only)
; SGPRBlocks: 6
; VGPRBlocks: 9
; NumSGPRsForWavesPerEU: 49
; NumVGPRsForWavesPerEU: 75
; AccumOffset: 76
; Occupancy: 6
; WaveLimiterHint : 0
; COMPUTE_PGM_RSRC2:SCRATCH_EN: 0
; COMPUTE_PGM_RSRC2:USER_SGPR: 2
; COMPUTE_PGM_RSRC2:TRAP_HANDLER: 0
; COMPUTE_PGM_RSRC2:TGID_X_EN: 1
; COMPUTE_PGM_RSRC2:TGID_Y_EN: 0
; COMPUTE_PGM_RSRC2:TGID_Z_EN: 0
; COMPUTE_PGM_RSRC2:TIDIG_COMP_CNT: 0
; COMPUTE_PGM_RSRC3_GFX90A:ACCUM_OFFSET: 18
; COMPUTE_PGM_RSRC3_GFX90A:TG_SPLIT: 0
	.section	.text._ZN7rocprim17ROCPRIM_400000_NS6detail17trampoline_kernelINS0_14default_configENS1_20scan_config_selectorIN3c107complexIfEEEEZZNS1_9scan_implILNS1_25lookback_scan_determinismE0ELb0ELb0ES3_PKS7_PS7_S7_ZZZN2at6native31launch_logcumsumexp_cuda_kernelERKNSE_10TensorBaseESI_lENKUlvE_clEvENKUlvE2_clEvEUlS7_S7_E_S7_EEDaPvRmT3_T4_T5_mT6_P12ihipStream_tbENKUlT_T0_E_clISt17integral_constantIbLb0EESZ_EEDaSU_SV_EUlSU_E_NS1_11comp_targetILNS1_3genE5ELNS1_11target_archE942ELNS1_3gpuE9ELNS1_3repE0EEENS1_30default_config_static_selectorELNS0_4arch9wavefront6targetE1EEEvT1_,"axG",@progbits,_ZN7rocprim17ROCPRIM_400000_NS6detail17trampoline_kernelINS0_14default_configENS1_20scan_config_selectorIN3c107complexIfEEEEZZNS1_9scan_implILNS1_25lookback_scan_determinismE0ELb0ELb0ES3_PKS7_PS7_S7_ZZZN2at6native31launch_logcumsumexp_cuda_kernelERKNSE_10TensorBaseESI_lENKUlvE_clEvENKUlvE2_clEvEUlS7_S7_E_S7_EEDaPvRmT3_T4_T5_mT6_P12ihipStream_tbENKUlT_T0_E_clISt17integral_constantIbLb0EESZ_EEDaSU_SV_EUlSU_E_NS1_11comp_targetILNS1_3genE5ELNS1_11target_archE942ELNS1_3gpuE9ELNS1_3repE0EEENS1_30default_config_static_selectorELNS0_4arch9wavefront6targetE1EEEvT1_,comdat
	.globl	_ZN7rocprim17ROCPRIM_400000_NS6detail17trampoline_kernelINS0_14default_configENS1_20scan_config_selectorIN3c107complexIfEEEEZZNS1_9scan_implILNS1_25lookback_scan_determinismE0ELb0ELb0ES3_PKS7_PS7_S7_ZZZN2at6native31launch_logcumsumexp_cuda_kernelERKNSE_10TensorBaseESI_lENKUlvE_clEvENKUlvE2_clEvEUlS7_S7_E_S7_EEDaPvRmT3_T4_T5_mT6_P12ihipStream_tbENKUlT_T0_E_clISt17integral_constantIbLb0EESZ_EEDaSU_SV_EUlSU_E_NS1_11comp_targetILNS1_3genE5ELNS1_11target_archE942ELNS1_3gpuE9ELNS1_3repE0EEENS1_30default_config_static_selectorELNS0_4arch9wavefront6targetE1EEEvT1_ ; -- Begin function _ZN7rocprim17ROCPRIM_400000_NS6detail17trampoline_kernelINS0_14default_configENS1_20scan_config_selectorIN3c107complexIfEEEEZZNS1_9scan_implILNS1_25lookback_scan_determinismE0ELb0ELb0ES3_PKS7_PS7_S7_ZZZN2at6native31launch_logcumsumexp_cuda_kernelERKNSE_10TensorBaseESI_lENKUlvE_clEvENKUlvE2_clEvEUlS7_S7_E_S7_EEDaPvRmT3_T4_T5_mT6_P12ihipStream_tbENKUlT_T0_E_clISt17integral_constantIbLb0EESZ_EEDaSU_SV_EUlSU_E_NS1_11comp_targetILNS1_3genE5ELNS1_11target_archE942ELNS1_3gpuE9ELNS1_3repE0EEENS1_30default_config_static_selectorELNS0_4arch9wavefront6targetE1EEEvT1_
	.p2align	8
	.type	_ZN7rocprim17ROCPRIM_400000_NS6detail17trampoline_kernelINS0_14default_configENS1_20scan_config_selectorIN3c107complexIfEEEEZZNS1_9scan_implILNS1_25lookback_scan_determinismE0ELb0ELb0ES3_PKS7_PS7_S7_ZZZN2at6native31launch_logcumsumexp_cuda_kernelERKNSE_10TensorBaseESI_lENKUlvE_clEvENKUlvE2_clEvEUlS7_S7_E_S7_EEDaPvRmT3_T4_T5_mT6_P12ihipStream_tbENKUlT_T0_E_clISt17integral_constantIbLb0EESZ_EEDaSU_SV_EUlSU_E_NS1_11comp_targetILNS1_3genE5ELNS1_11target_archE942ELNS1_3gpuE9ELNS1_3repE0EEENS1_30default_config_static_selectorELNS0_4arch9wavefront6targetE1EEEvT1_,@function
_ZN7rocprim17ROCPRIM_400000_NS6detail17trampoline_kernelINS0_14default_configENS1_20scan_config_selectorIN3c107complexIfEEEEZZNS1_9scan_implILNS1_25lookback_scan_determinismE0ELb0ELb0ES3_PKS7_PS7_S7_ZZZN2at6native31launch_logcumsumexp_cuda_kernelERKNSE_10TensorBaseESI_lENKUlvE_clEvENKUlvE2_clEvEUlS7_S7_E_S7_EEDaPvRmT3_T4_T5_mT6_P12ihipStream_tbENKUlT_T0_E_clISt17integral_constantIbLb0EESZ_EEDaSU_SV_EUlSU_E_NS1_11comp_targetILNS1_3genE5ELNS1_11target_archE942ELNS1_3gpuE9ELNS1_3repE0EEENS1_30default_config_static_selectorELNS0_4arch9wavefront6targetE1EEEvT1_: ; @_ZN7rocprim17ROCPRIM_400000_NS6detail17trampoline_kernelINS0_14default_configENS1_20scan_config_selectorIN3c107complexIfEEEEZZNS1_9scan_implILNS1_25lookback_scan_determinismE0ELb0ELb0ES3_PKS7_PS7_S7_ZZZN2at6native31launch_logcumsumexp_cuda_kernelERKNSE_10TensorBaseESI_lENKUlvE_clEvENKUlvE2_clEvEUlS7_S7_E_S7_EEDaPvRmT3_T4_T5_mT6_P12ihipStream_tbENKUlT_T0_E_clISt17integral_constantIbLb0EESZ_EEDaSU_SV_EUlSU_E_NS1_11comp_targetILNS1_3genE5ELNS1_11target_archE942ELNS1_3gpuE9ELNS1_3repE0EEENS1_30default_config_static_selectorELNS0_4arch9wavefront6targetE1EEEvT1_
; %bb.0:
	.section	.rodata,"a",@progbits
	.p2align	6, 0x0
	.amdhsa_kernel _ZN7rocprim17ROCPRIM_400000_NS6detail17trampoline_kernelINS0_14default_configENS1_20scan_config_selectorIN3c107complexIfEEEEZZNS1_9scan_implILNS1_25lookback_scan_determinismE0ELb0ELb0ES3_PKS7_PS7_S7_ZZZN2at6native31launch_logcumsumexp_cuda_kernelERKNSE_10TensorBaseESI_lENKUlvE_clEvENKUlvE2_clEvEUlS7_S7_E_S7_EEDaPvRmT3_T4_T5_mT6_P12ihipStream_tbENKUlT_T0_E_clISt17integral_constantIbLb0EESZ_EEDaSU_SV_EUlSU_E_NS1_11comp_targetILNS1_3genE5ELNS1_11target_archE942ELNS1_3gpuE9ELNS1_3repE0EEENS1_30default_config_static_selectorELNS0_4arch9wavefront6targetE1EEEvT1_
		.amdhsa_group_segment_fixed_size 0
		.amdhsa_private_segment_fixed_size 0
		.amdhsa_kernarg_size 104
		.amdhsa_user_sgpr_count 2
		.amdhsa_user_sgpr_dispatch_ptr 0
		.amdhsa_user_sgpr_queue_ptr 0
		.amdhsa_user_sgpr_kernarg_segment_ptr 1
		.amdhsa_user_sgpr_dispatch_id 0
		.amdhsa_user_sgpr_kernarg_preload_length 0
		.amdhsa_user_sgpr_kernarg_preload_offset 0
		.amdhsa_user_sgpr_private_segment_size 0
		.amdhsa_uses_dynamic_stack 0
		.amdhsa_enable_private_segment 0
		.amdhsa_system_sgpr_workgroup_id_x 1
		.amdhsa_system_sgpr_workgroup_id_y 0
		.amdhsa_system_sgpr_workgroup_id_z 0
		.amdhsa_system_sgpr_workgroup_info 0
		.amdhsa_system_vgpr_workitem_id 0
		.amdhsa_next_free_vgpr 1
		.amdhsa_next_free_sgpr 0
		.amdhsa_accum_offset 4
		.amdhsa_reserve_vcc 0
		.amdhsa_float_round_mode_32 0
		.amdhsa_float_round_mode_16_64 0
		.amdhsa_float_denorm_mode_32 3
		.amdhsa_float_denorm_mode_16_64 3
		.amdhsa_dx10_clamp 1
		.amdhsa_ieee_mode 1
		.amdhsa_fp16_overflow 0
		.amdhsa_tg_split 0
		.amdhsa_exception_fp_ieee_invalid_op 0
		.amdhsa_exception_fp_denorm_src 0
		.amdhsa_exception_fp_ieee_div_zero 0
		.amdhsa_exception_fp_ieee_overflow 0
		.amdhsa_exception_fp_ieee_underflow 0
		.amdhsa_exception_fp_ieee_inexact 0
		.amdhsa_exception_int_div_zero 0
	.end_amdhsa_kernel
	.section	.text._ZN7rocprim17ROCPRIM_400000_NS6detail17trampoline_kernelINS0_14default_configENS1_20scan_config_selectorIN3c107complexIfEEEEZZNS1_9scan_implILNS1_25lookback_scan_determinismE0ELb0ELb0ES3_PKS7_PS7_S7_ZZZN2at6native31launch_logcumsumexp_cuda_kernelERKNSE_10TensorBaseESI_lENKUlvE_clEvENKUlvE2_clEvEUlS7_S7_E_S7_EEDaPvRmT3_T4_T5_mT6_P12ihipStream_tbENKUlT_T0_E_clISt17integral_constantIbLb0EESZ_EEDaSU_SV_EUlSU_E_NS1_11comp_targetILNS1_3genE5ELNS1_11target_archE942ELNS1_3gpuE9ELNS1_3repE0EEENS1_30default_config_static_selectorELNS0_4arch9wavefront6targetE1EEEvT1_,"axG",@progbits,_ZN7rocprim17ROCPRIM_400000_NS6detail17trampoline_kernelINS0_14default_configENS1_20scan_config_selectorIN3c107complexIfEEEEZZNS1_9scan_implILNS1_25lookback_scan_determinismE0ELb0ELb0ES3_PKS7_PS7_S7_ZZZN2at6native31launch_logcumsumexp_cuda_kernelERKNSE_10TensorBaseESI_lENKUlvE_clEvENKUlvE2_clEvEUlS7_S7_E_S7_EEDaPvRmT3_T4_T5_mT6_P12ihipStream_tbENKUlT_T0_E_clISt17integral_constantIbLb0EESZ_EEDaSU_SV_EUlSU_E_NS1_11comp_targetILNS1_3genE5ELNS1_11target_archE942ELNS1_3gpuE9ELNS1_3repE0EEENS1_30default_config_static_selectorELNS0_4arch9wavefront6targetE1EEEvT1_,comdat
.Lfunc_end265:
	.size	_ZN7rocprim17ROCPRIM_400000_NS6detail17trampoline_kernelINS0_14default_configENS1_20scan_config_selectorIN3c107complexIfEEEEZZNS1_9scan_implILNS1_25lookback_scan_determinismE0ELb0ELb0ES3_PKS7_PS7_S7_ZZZN2at6native31launch_logcumsumexp_cuda_kernelERKNSE_10TensorBaseESI_lENKUlvE_clEvENKUlvE2_clEvEUlS7_S7_E_S7_EEDaPvRmT3_T4_T5_mT6_P12ihipStream_tbENKUlT_T0_E_clISt17integral_constantIbLb0EESZ_EEDaSU_SV_EUlSU_E_NS1_11comp_targetILNS1_3genE5ELNS1_11target_archE942ELNS1_3gpuE9ELNS1_3repE0EEENS1_30default_config_static_selectorELNS0_4arch9wavefront6targetE1EEEvT1_, .Lfunc_end265-_ZN7rocprim17ROCPRIM_400000_NS6detail17trampoline_kernelINS0_14default_configENS1_20scan_config_selectorIN3c107complexIfEEEEZZNS1_9scan_implILNS1_25lookback_scan_determinismE0ELb0ELb0ES3_PKS7_PS7_S7_ZZZN2at6native31launch_logcumsumexp_cuda_kernelERKNSE_10TensorBaseESI_lENKUlvE_clEvENKUlvE2_clEvEUlS7_S7_E_S7_EEDaPvRmT3_T4_T5_mT6_P12ihipStream_tbENKUlT_T0_E_clISt17integral_constantIbLb0EESZ_EEDaSU_SV_EUlSU_E_NS1_11comp_targetILNS1_3genE5ELNS1_11target_archE942ELNS1_3gpuE9ELNS1_3repE0EEENS1_30default_config_static_selectorELNS0_4arch9wavefront6targetE1EEEvT1_
                                        ; -- End function
	.set _ZN7rocprim17ROCPRIM_400000_NS6detail17trampoline_kernelINS0_14default_configENS1_20scan_config_selectorIN3c107complexIfEEEEZZNS1_9scan_implILNS1_25lookback_scan_determinismE0ELb0ELb0ES3_PKS7_PS7_S7_ZZZN2at6native31launch_logcumsumexp_cuda_kernelERKNSE_10TensorBaseESI_lENKUlvE_clEvENKUlvE2_clEvEUlS7_S7_E_S7_EEDaPvRmT3_T4_T5_mT6_P12ihipStream_tbENKUlT_T0_E_clISt17integral_constantIbLb0EESZ_EEDaSU_SV_EUlSU_E_NS1_11comp_targetILNS1_3genE5ELNS1_11target_archE942ELNS1_3gpuE9ELNS1_3repE0EEENS1_30default_config_static_selectorELNS0_4arch9wavefront6targetE1EEEvT1_.num_vgpr, 0
	.set _ZN7rocprim17ROCPRIM_400000_NS6detail17trampoline_kernelINS0_14default_configENS1_20scan_config_selectorIN3c107complexIfEEEEZZNS1_9scan_implILNS1_25lookback_scan_determinismE0ELb0ELb0ES3_PKS7_PS7_S7_ZZZN2at6native31launch_logcumsumexp_cuda_kernelERKNSE_10TensorBaseESI_lENKUlvE_clEvENKUlvE2_clEvEUlS7_S7_E_S7_EEDaPvRmT3_T4_T5_mT6_P12ihipStream_tbENKUlT_T0_E_clISt17integral_constantIbLb0EESZ_EEDaSU_SV_EUlSU_E_NS1_11comp_targetILNS1_3genE5ELNS1_11target_archE942ELNS1_3gpuE9ELNS1_3repE0EEENS1_30default_config_static_selectorELNS0_4arch9wavefront6targetE1EEEvT1_.num_agpr, 0
	.set _ZN7rocprim17ROCPRIM_400000_NS6detail17trampoline_kernelINS0_14default_configENS1_20scan_config_selectorIN3c107complexIfEEEEZZNS1_9scan_implILNS1_25lookback_scan_determinismE0ELb0ELb0ES3_PKS7_PS7_S7_ZZZN2at6native31launch_logcumsumexp_cuda_kernelERKNSE_10TensorBaseESI_lENKUlvE_clEvENKUlvE2_clEvEUlS7_S7_E_S7_EEDaPvRmT3_T4_T5_mT6_P12ihipStream_tbENKUlT_T0_E_clISt17integral_constantIbLb0EESZ_EEDaSU_SV_EUlSU_E_NS1_11comp_targetILNS1_3genE5ELNS1_11target_archE942ELNS1_3gpuE9ELNS1_3repE0EEENS1_30default_config_static_selectorELNS0_4arch9wavefront6targetE1EEEvT1_.numbered_sgpr, 0
	.set _ZN7rocprim17ROCPRIM_400000_NS6detail17trampoline_kernelINS0_14default_configENS1_20scan_config_selectorIN3c107complexIfEEEEZZNS1_9scan_implILNS1_25lookback_scan_determinismE0ELb0ELb0ES3_PKS7_PS7_S7_ZZZN2at6native31launch_logcumsumexp_cuda_kernelERKNSE_10TensorBaseESI_lENKUlvE_clEvENKUlvE2_clEvEUlS7_S7_E_S7_EEDaPvRmT3_T4_T5_mT6_P12ihipStream_tbENKUlT_T0_E_clISt17integral_constantIbLb0EESZ_EEDaSU_SV_EUlSU_E_NS1_11comp_targetILNS1_3genE5ELNS1_11target_archE942ELNS1_3gpuE9ELNS1_3repE0EEENS1_30default_config_static_selectorELNS0_4arch9wavefront6targetE1EEEvT1_.num_named_barrier, 0
	.set _ZN7rocprim17ROCPRIM_400000_NS6detail17trampoline_kernelINS0_14default_configENS1_20scan_config_selectorIN3c107complexIfEEEEZZNS1_9scan_implILNS1_25lookback_scan_determinismE0ELb0ELb0ES3_PKS7_PS7_S7_ZZZN2at6native31launch_logcumsumexp_cuda_kernelERKNSE_10TensorBaseESI_lENKUlvE_clEvENKUlvE2_clEvEUlS7_S7_E_S7_EEDaPvRmT3_T4_T5_mT6_P12ihipStream_tbENKUlT_T0_E_clISt17integral_constantIbLb0EESZ_EEDaSU_SV_EUlSU_E_NS1_11comp_targetILNS1_3genE5ELNS1_11target_archE942ELNS1_3gpuE9ELNS1_3repE0EEENS1_30default_config_static_selectorELNS0_4arch9wavefront6targetE1EEEvT1_.private_seg_size, 0
	.set _ZN7rocprim17ROCPRIM_400000_NS6detail17trampoline_kernelINS0_14default_configENS1_20scan_config_selectorIN3c107complexIfEEEEZZNS1_9scan_implILNS1_25lookback_scan_determinismE0ELb0ELb0ES3_PKS7_PS7_S7_ZZZN2at6native31launch_logcumsumexp_cuda_kernelERKNSE_10TensorBaseESI_lENKUlvE_clEvENKUlvE2_clEvEUlS7_S7_E_S7_EEDaPvRmT3_T4_T5_mT6_P12ihipStream_tbENKUlT_T0_E_clISt17integral_constantIbLb0EESZ_EEDaSU_SV_EUlSU_E_NS1_11comp_targetILNS1_3genE5ELNS1_11target_archE942ELNS1_3gpuE9ELNS1_3repE0EEENS1_30default_config_static_selectorELNS0_4arch9wavefront6targetE1EEEvT1_.uses_vcc, 0
	.set _ZN7rocprim17ROCPRIM_400000_NS6detail17trampoline_kernelINS0_14default_configENS1_20scan_config_selectorIN3c107complexIfEEEEZZNS1_9scan_implILNS1_25lookback_scan_determinismE0ELb0ELb0ES3_PKS7_PS7_S7_ZZZN2at6native31launch_logcumsumexp_cuda_kernelERKNSE_10TensorBaseESI_lENKUlvE_clEvENKUlvE2_clEvEUlS7_S7_E_S7_EEDaPvRmT3_T4_T5_mT6_P12ihipStream_tbENKUlT_T0_E_clISt17integral_constantIbLb0EESZ_EEDaSU_SV_EUlSU_E_NS1_11comp_targetILNS1_3genE5ELNS1_11target_archE942ELNS1_3gpuE9ELNS1_3repE0EEENS1_30default_config_static_selectorELNS0_4arch9wavefront6targetE1EEEvT1_.uses_flat_scratch, 0
	.set _ZN7rocprim17ROCPRIM_400000_NS6detail17trampoline_kernelINS0_14default_configENS1_20scan_config_selectorIN3c107complexIfEEEEZZNS1_9scan_implILNS1_25lookback_scan_determinismE0ELb0ELb0ES3_PKS7_PS7_S7_ZZZN2at6native31launch_logcumsumexp_cuda_kernelERKNSE_10TensorBaseESI_lENKUlvE_clEvENKUlvE2_clEvEUlS7_S7_E_S7_EEDaPvRmT3_T4_T5_mT6_P12ihipStream_tbENKUlT_T0_E_clISt17integral_constantIbLb0EESZ_EEDaSU_SV_EUlSU_E_NS1_11comp_targetILNS1_3genE5ELNS1_11target_archE942ELNS1_3gpuE9ELNS1_3repE0EEENS1_30default_config_static_selectorELNS0_4arch9wavefront6targetE1EEEvT1_.has_dyn_sized_stack, 0
	.set _ZN7rocprim17ROCPRIM_400000_NS6detail17trampoline_kernelINS0_14default_configENS1_20scan_config_selectorIN3c107complexIfEEEEZZNS1_9scan_implILNS1_25lookback_scan_determinismE0ELb0ELb0ES3_PKS7_PS7_S7_ZZZN2at6native31launch_logcumsumexp_cuda_kernelERKNSE_10TensorBaseESI_lENKUlvE_clEvENKUlvE2_clEvEUlS7_S7_E_S7_EEDaPvRmT3_T4_T5_mT6_P12ihipStream_tbENKUlT_T0_E_clISt17integral_constantIbLb0EESZ_EEDaSU_SV_EUlSU_E_NS1_11comp_targetILNS1_3genE5ELNS1_11target_archE942ELNS1_3gpuE9ELNS1_3repE0EEENS1_30default_config_static_selectorELNS0_4arch9wavefront6targetE1EEEvT1_.has_recursion, 0
	.set _ZN7rocprim17ROCPRIM_400000_NS6detail17trampoline_kernelINS0_14default_configENS1_20scan_config_selectorIN3c107complexIfEEEEZZNS1_9scan_implILNS1_25lookback_scan_determinismE0ELb0ELb0ES3_PKS7_PS7_S7_ZZZN2at6native31launch_logcumsumexp_cuda_kernelERKNSE_10TensorBaseESI_lENKUlvE_clEvENKUlvE2_clEvEUlS7_S7_E_S7_EEDaPvRmT3_T4_T5_mT6_P12ihipStream_tbENKUlT_T0_E_clISt17integral_constantIbLb0EESZ_EEDaSU_SV_EUlSU_E_NS1_11comp_targetILNS1_3genE5ELNS1_11target_archE942ELNS1_3gpuE9ELNS1_3repE0EEENS1_30default_config_static_selectorELNS0_4arch9wavefront6targetE1EEEvT1_.has_indirect_call, 0
	.section	.AMDGPU.csdata,"",@progbits
; Kernel info:
; codeLenInByte = 0
; TotalNumSgprs: 6
; NumVgprs: 0
; NumAgprs: 0
; TotalNumVgprs: 0
; ScratchSize: 0
; MemoryBound: 0
; FloatMode: 240
; IeeeMode: 1
; LDSByteSize: 0 bytes/workgroup (compile time only)
; SGPRBlocks: 0
; VGPRBlocks: 0
; NumSGPRsForWavesPerEU: 6
; NumVGPRsForWavesPerEU: 1
; AccumOffset: 4
; Occupancy: 8
; WaveLimiterHint : 0
; COMPUTE_PGM_RSRC2:SCRATCH_EN: 0
; COMPUTE_PGM_RSRC2:USER_SGPR: 2
; COMPUTE_PGM_RSRC2:TRAP_HANDLER: 0
; COMPUTE_PGM_RSRC2:TGID_X_EN: 1
; COMPUTE_PGM_RSRC2:TGID_Y_EN: 0
; COMPUTE_PGM_RSRC2:TGID_Z_EN: 0
; COMPUTE_PGM_RSRC2:TIDIG_COMP_CNT: 0
; COMPUTE_PGM_RSRC3_GFX90A:ACCUM_OFFSET: 0
; COMPUTE_PGM_RSRC3_GFX90A:TG_SPLIT: 0
	.section	.text._ZN7rocprim17ROCPRIM_400000_NS6detail17trampoline_kernelINS0_14default_configENS1_20scan_config_selectorIN3c107complexIfEEEEZZNS1_9scan_implILNS1_25lookback_scan_determinismE0ELb0ELb0ES3_PKS7_PS7_S7_ZZZN2at6native31launch_logcumsumexp_cuda_kernelERKNSE_10TensorBaseESI_lENKUlvE_clEvENKUlvE2_clEvEUlS7_S7_E_S7_EEDaPvRmT3_T4_T5_mT6_P12ihipStream_tbENKUlT_T0_E_clISt17integral_constantIbLb0EESZ_EEDaSU_SV_EUlSU_E_NS1_11comp_targetILNS1_3genE4ELNS1_11target_archE910ELNS1_3gpuE8ELNS1_3repE0EEENS1_30default_config_static_selectorELNS0_4arch9wavefront6targetE1EEEvT1_,"axG",@progbits,_ZN7rocprim17ROCPRIM_400000_NS6detail17trampoline_kernelINS0_14default_configENS1_20scan_config_selectorIN3c107complexIfEEEEZZNS1_9scan_implILNS1_25lookback_scan_determinismE0ELb0ELb0ES3_PKS7_PS7_S7_ZZZN2at6native31launch_logcumsumexp_cuda_kernelERKNSE_10TensorBaseESI_lENKUlvE_clEvENKUlvE2_clEvEUlS7_S7_E_S7_EEDaPvRmT3_T4_T5_mT6_P12ihipStream_tbENKUlT_T0_E_clISt17integral_constantIbLb0EESZ_EEDaSU_SV_EUlSU_E_NS1_11comp_targetILNS1_3genE4ELNS1_11target_archE910ELNS1_3gpuE8ELNS1_3repE0EEENS1_30default_config_static_selectorELNS0_4arch9wavefront6targetE1EEEvT1_,comdat
	.globl	_ZN7rocprim17ROCPRIM_400000_NS6detail17trampoline_kernelINS0_14default_configENS1_20scan_config_selectorIN3c107complexIfEEEEZZNS1_9scan_implILNS1_25lookback_scan_determinismE0ELb0ELb0ES3_PKS7_PS7_S7_ZZZN2at6native31launch_logcumsumexp_cuda_kernelERKNSE_10TensorBaseESI_lENKUlvE_clEvENKUlvE2_clEvEUlS7_S7_E_S7_EEDaPvRmT3_T4_T5_mT6_P12ihipStream_tbENKUlT_T0_E_clISt17integral_constantIbLb0EESZ_EEDaSU_SV_EUlSU_E_NS1_11comp_targetILNS1_3genE4ELNS1_11target_archE910ELNS1_3gpuE8ELNS1_3repE0EEENS1_30default_config_static_selectorELNS0_4arch9wavefront6targetE1EEEvT1_ ; -- Begin function _ZN7rocprim17ROCPRIM_400000_NS6detail17trampoline_kernelINS0_14default_configENS1_20scan_config_selectorIN3c107complexIfEEEEZZNS1_9scan_implILNS1_25lookback_scan_determinismE0ELb0ELb0ES3_PKS7_PS7_S7_ZZZN2at6native31launch_logcumsumexp_cuda_kernelERKNSE_10TensorBaseESI_lENKUlvE_clEvENKUlvE2_clEvEUlS7_S7_E_S7_EEDaPvRmT3_T4_T5_mT6_P12ihipStream_tbENKUlT_T0_E_clISt17integral_constantIbLb0EESZ_EEDaSU_SV_EUlSU_E_NS1_11comp_targetILNS1_3genE4ELNS1_11target_archE910ELNS1_3gpuE8ELNS1_3repE0EEENS1_30default_config_static_selectorELNS0_4arch9wavefront6targetE1EEEvT1_
	.p2align	8
	.type	_ZN7rocprim17ROCPRIM_400000_NS6detail17trampoline_kernelINS0_14default_configENS1_20scan_config_selectorIN3c107complexIfEEEEZZNS1_9scan_implILNS1_25lookback_scan_determinismE0ELb0ELb0ES3_PKS7_PS7_S7_ZZZN2at6native31launch_logcumsumexp_cuda_kernelERKNSE_10TensorBaseESI_lENKUlvE_clEvENKUlvE2_clEvEUlS7_S7_E_S7_EEDaPvRmT3_T4_T5_mT6_P12ihipStream_tbENKUlT_T0_E_clISt17integral_constantIbLb0EESZ_EEDaSU_SV_EUlSU_E_NS1_11comp_targetILNS1_3genE4ELNS1_11target_archE910ELNS1_3gpuE8ELNS1_3repE0EEENS1_30default_config_static_selectorELNS0_4arch9wavefront6targetE1EEEvT1_,@function
_ZN7rocprim17ROCPRIM_400000_NS6detail17trampoline_kernelINS0_14default_configENS1_20scan_config_selectorIN3c107complexIfEEEEZZNS1_9scan_implILNS1_25lookback_scan_determinismE0ELb0ELb0ES3_PKS7_PS7_S7_ZZZN2at6native31launch_logcumsumexp_cuda_kernelERKNSE_10TensorBaseESI_lENKUlvE_clEvENKUlvE2_clEvEUlS7_S7_E_S7_EEDaPvRmT3_T4_T5_mT6_P12ihipStream_tbENKUlT_T0_E_clISt17integral_constantIbLb0EESZ_EEDaSU_SV_EUlSU_E_NS1_11comp_targetILNS1_3genE4ELNS1_11target_archE910ELNS1_3gpuE8ELNS1_3repE0EEENS1_30default_config_static_selectorELNS0_4arch9wavefront6targetE1EEEvT1_: ; @_ZN7rocprim17ROCPRIM_400000_NS6detail17trampoline_kernelINS0_14default_configENS1_20scan_config_selectorIN3c107complexIfEEEEZZNS1_9scan_implILNS1_25lookback_scan_determinismE0ELb0ELb0ES3_PKS7_PS7_S7_ZZZN2at6native31launch_logcumsumexp_cuda_kernelERKNSE_10TensorBaseESI_lENKUlvE_clEvENKUlvE2_clEvEUlS7_S7_E_S7_EEDaPvRmT3_T4_T5_mT6_P12ihipStream_tbENKUlT_T0_E_clISt17integral_constantIbLb0EESZ_EEDaSU_SV_EUlSU_E_NS1_11comp_targetILNS1_3genE4ELNS1_11target_archE910ELNS1_3gpuE8ELNS1_3repE0EEENS1_30default_config_static_selectorELNS0_4arch9wavefront6targetE1EEEvT1_
; %bb.0:
	.section	.rodata,"a",@progbits
	.p2align	6, 0x0
	.amdhsa_kernel _ZN7rocprim17ROCPRIM_400000_NS6detail17trampoline_kernelINS0_14default_configENS1_20scan_config_selectorIN3c107complexIfEEEEZZNS1_9scan_implILNS1_25lookback_scan_determinismE0ELb0ELb0ES3_PKS7_PS7_S7_ZZZN2at6native31launch_logcumsumexp_cuda_kernelERKNSE_10TensorBaseESI_lENKUlvE_clEvENKUlvE2_clEvEUlS7_S7_E_S7_EEDaPvRmT3_T4_T5_mT6_P12ihipStream_tbENKUlT_T0_E_clISt17integral_constantIbLb0EESZ_EEDaSU_SV_EUlSU_E_NS1_11comp_targetILNS1_3genE4ELNS1_11target_archE910ELNS1_3gpuE8ELNS1_3repE0EEENS1_30default_config_static_selectorELNS0_4arch9wavefront6targetE1EEEvT1_
		.amdhsa_group_segment_fixed_size 0
		.amdhsa_private_segment_fixed_size 0
		.amdhsa_kernarg_size 104
		.amdhsa_user_sgpr_count 2
		.amdhsa_user_sgpr_dispatch_ptr 0
		.amdhsa_user_sgpr_queue_ptr 0
		.amdhsa_user_sgpr_kernarg_segment_ptr 1
		.amdhsa_user_sgpr_dispatch_id 0
		.amdhsa_user_sgpr_kernarg_preload_length 0
		.amdhsa_user_sgpr_kernarg_preload_offset 0
		.amdhsa_user_sgpr_private_segment_size 0
		.amdhsa_uses_dynamic_stack 0
		.amdhsa_enable_private_segment 0
		.amdhsa_system_sgpr_workgroup_id_x 1
		.amdhsa_system_sgpr_workgroup_id_y 0
		.amdhsa_system_sgpr_workgroup_id_z 0
		.amdhsa_system_sgpr_workgroup_info 0
		.amdhsa_system_vgpr_workitem_id 0
		.amdhsa_next_free_vgpr 1
		.amdhsa_next_free_sgpr 0
		.amdhsa_accum_offset 4
		.amdhsa_reserve_vcc 0
		.amdhsa_float_round_mode_32 0
		.amdhsa_float_round_mode_16_64 0
		.amdhsa_float_denorm_mode_32 3
		.amdhsa_float_denorm_mode_16_64 3
		.amdhsa_dx10_clamp 1
		.amdhsa_ieee_mode 1
		.amdhsa_fp16_overflow 0
		.amdhsa_tg_split 0
		.amdhsa_exception_fp_ieee_invalid_op 0
		.amdhsa_exception_fp_denorm_src 0
		.amdhsa_exception_fp_ieee_div_zero 0
		.amdhsa_exception_fp_ieee_overflow 0
		.amdhsa_exception_fp_ieee_underflow 0
		.amdhsa_exception_fp_ieee_inexact 0
		.amdhsa_exception_int_div_zero 0
	.end_amdhsa_kernel
	.section	.text._ZN7rocprim17ROCPRIM_400000_NS6detail17trampoline_kernelINS0_14default_configENS1_20scan_config_selectorIN3c107complexIfEEEEZZNS1_9scan_implILNS1_25lookback_scan_determinismE0ELb0ELb0ES3_PKS7_PS7_S7_ZZZN2at6native31launch_logcumsumexp_cuda_kernelERKNSE_10TensorBaseESI_lENKUlvE_clEvENKUlvE2_clEvEUlS7_S7_E_S7_EEDaPvRmT3_T4_T5_mT6_P12ihipStream_tbENKUlT_T0_E_clISt17integral_constantIbLb0EESZ_EEDaSU_SV_EUlSU_E_NS1_11comp_targetILNS1_3genE4ELNS1_11target_archE910ELNS1_3gpuE8ELNS1_3repE0EEENS1_30default_config_static_selectorELNS0_4arch9wavefront6targetE1EEEvT1_,"axG",@progbits,_ZN7rocprim17ROCPRIM_400000_NS6detail17trampoline_kernelINS0_14default_configENS1_20scan_config_selectorIN3c107complexIfEEEEZZNS1_9scan_implILNS1_25lookback_scan_determinismE0ELb0ELb0ES3_PKS7_PS7_S7_ZZZN2at6native31launch_logcumsumexp_cuda_kernelERKNSE_10TensorBaseESI_lENKUlvE_clEvENKUlvE2_clEvEUlS7_S7_E_S7_EEDaPvRmT3_T4_T5_mT6_P12ihipStream_tbENKUlT_T0_E_clISt17integral_constantIbLb0EESZ_EEDaSU_SV_EUlSU_E_NS1_11comp_targetILNS1_3genE4ELNS1_11target_archE910ELNS1_3gpuE8ELNS1_3repE0EEENS1_30default_config_static_selectorELNS0_4arch9wavefront6targetE1EEEvT1_,comdat
.Lfunc_end266:
	.size	_ZN7rocprim17ROCPRIM_400000_NS6detail17trampoline_kernelINS0_14default_configENS1_20scan_config_selectorIN3c107complexIfEEEEZZNS1_9scan_implILNS1_25lookback_scan_determinismE0ELb0ELb0ES3_PKS7_PS7_S7_ZZZN2at6native31launch_logcumsumexp_cuda_kernelERKNSE_10TensorBaseESI_lENKUlvE_clEvENKUlvE2_clEvEUlS7_S7_E_S7_EEDaPvRmT3_T4_T5_mT6_P12ihipStream_tbENKUlT_T0_E_clISt17integral_constantIbLb0EESZ_EEDaSU_SV_EUlSU_E_NS1_11comp_targetILNS1_3genE4ELNS1_11target_archE910ELNS1_3gpuE8ELNS1_3repE0EEENS1_30default_config_static_selectorELNS0_4arch9wavefront6targetE1EEEvT1_, .Lfunc_end266-_ZN7rocprim17ROCPRIM_400000_NS6detail17trampoline_kernelINS0_14default_configENS1_20scan_config_selectorIN3c107complexIfEEEEZZNS1_9scan_implILNS1_25lookback_scan_determinismE0ELb0ELb0ES3_PKS7_PS7_S7_ZZZN2at6native31launch_logcumsumexp_cuda_kernelERKNSE_10TensorBaseESI_lENKUlvE_clEvENKUlvE2_clEvEUlS7_S7_E_S7_EEDaPvRmT3_T4_T5_mT6_P12ihipStream_tbENKUlT_T0_E_clISt17integral_constantIbLb0EESZ_EEDaSU_SV_EUlSU_E_NS1_11comp_targetILNS1_3genE4ELNS1_11target_archE910ELNS1_3gpuE8ELNS1_3repE0EEENS1_30default_config_static_selectorELNS0_4arch9wavefront6targetE1EEEvT1_
                                        ; -- End function
	.set _ZN7rocprim17ROCPRIM_400000_NS6detail17trampoline_kernelINS0_14default_configENS1_20scan_config_selectorIN3c107complexIfEEEEZZNS1_9scan_implILNS1_25lookback_scan_determinismE0ELb0ELb0ES3_PKS7_PS7_S7_ZZZN2at6native31launch_logcumsumexp_cuda_kernelERKNSE_10TensorBaseESI_lENKUlvE_clEvENKUlvE2_clEvEUlS7_S7_E_S7_EEDaPvRmT3_T4_T5_mT6_P12ihipStream_tbENKUlT_T0_E_clISt17integral_constantIbLb0EESZ_EEDaSU_SV_EUlSU_E_NS1_11comp_targetILNS1_3genE4ELNS1_11target_archE910ELNS1_3gpuE8ELNS1_3repE0EEENS1_30default_config_static_selectorELNS0_4arch9wavefront6targetE1EEEvT1_.num_vgpr, 0
	.set _ZN7rocprim17ROCPRIM_400000_NS6detail17trampoline_kernelINS0_14default_configENS1_20scan_config_selectorIN3c107complexIfEEEEZZNS1_9scan_implILNS1_25lookback_scan_determinismE0ELb0ELb0ES3_PKS7_PS7_S7_ZZZN2at6native31launch_logcumsumexp_cuda_kernelERKNSE_10TensorBaseESI_lENKUlvE_clEvENKUlvE2_clEvEUlS7_S7_E_S7_EEDaPvRmT3_T4_T5_mT6_P12ihipStream_tbENKUlT_T0_E_clISt17integral_constantIbLb0EESZ_EEDaSU_SV_EUlSU_E_NS1_11comp_targetILNS1_3genE4ELNS1_11target_archE910ELNS1_3gpuE8ELNS1_3repE0EEENS1_30default_config_static_selectorELNS0_4arch9wavefront6targetE1EEEvT1_.num_agpr, 0
	.set _ZN7rocprim17ROCPRIM_400000_NS6detail17trampoline_kernelINS0_14default_configENS1_20scan_config_selectorIN3c107complexIfEEEEZZNS1_9scan_implILNS1_25lookback_scan_determinismE0ELb0ELb0ES3_PKS7_PS7_S7_ZZZN2at6native31launch_logcumsumexp_cuda_kernelERKNSE_10TensorBaseESI_lENKUlvE_clEvENKUlvE2_clEvEUlS7_S7_E_S7_EEDaPvRmT3_T4_T5_mT6_P12ihipStream_tbENKUlT_T0_E_clISt17integral_constantIbLb0EESZ_EEDaSU_SV_EUlSU_E_NS1_11comp_targetILNS1_3genE4ELNS1_11target_archE910ELNS1_3gpuE8ELNS1_3repE0EEENS1_30default_config_static_selectorELNS0_4arch9wavefront6targetE1EEEvT1_.numbered_sgpr, 0
	.set _ZN7rocprim17ROCPRIM_400000_NS6detail17trampoline_kernelINS0_14default_configENS1_20scan_config_selectorIN3c107complexIfEEEEZZNS1_9scan_implILNS1_25lookback_scan_determinismE0ELb0ELb0ES3_PKS7_PS7_S7_ZZZN2at6native31launch_logcumsumexp_cuda_kernelERKNSE_10TensorBaseESI_lENKUlvE_clEvENKUlvE2_clEvEUlS7_S7_E_S7_EEDaPvRmT3_T4_T5_mT6_P12ihipStream_tbENKUlT_T0_E_clISt17integral_constantIbLb0EESZ_EEDaSU_SV_EUlSU_E_NS1_11comp_targetILNS1_3genE4ELNS1_11target_archE910ELNS1_3gpuE8ELNS1_3repE0EEENS1_30default_config_static_selectorELNS0_4arch9wavefront6targetE1EEEvT1_.num_named_barrier, 0
	.set _ZN7rocprim17ROCPRIM_400000_NS6detail17trampoline_kernelINS0_14default_configENS1_20scan_config_selectorIN3c107complexIfEEEEZZNS1_9scan_implILNS1_25lookback_scan_determinismE0ELb0ELb0ES3_PKS7_PS7_S7_ZZZN2at6native31launch_logcumsumexp_cuda_kernelERKNSE_10TensorBaseESI_lENKUlvE_clEvENKUlvE2_clEvEUlS7_S7_E_S7_EEDaPvRmT3_T4_T5_mT6_P12ihipStream_tbENKUlT_T0_E_clISt17integral_constantIbLb0EESZ_EEDaSU_SV_EUlSU_E_NS1_11comp_targetILNS1_3genE4ELNS1_11target_archE910ELNS1_3gpuE8ELNS1_3repE0EEENS1_30default_config_static_selectorELNS0_4arch9wavefront6targetE1EEEvT1_.private_seg_size, 0
	.set _ZN7rocprim17ROCPRIM_400000_NS6detail17trampoline_kernelINS0_14default_configENS1_20scan_config_selectorIN3c107complexIfEEEEZZNS1_9scan_implILNS1_25lookback_scan_determinismE0ELb0ELb0ES3_PKS7_PS7_S7_ZZZN2at6native31launch_logcumsumexp_cuda_kernelERKNSE_10TensorBaseESI_lENKUlvE_clEvENKUlvE2_clEvEUlS7_S7_E_S7_EEDaPvRmT3_T4_T5_mT6_P12ihipStream_tbENKUlT_T0_E_clISt17integral_constantIbLb0EESZ_EEDaSU_SV_EUlSU_E_NS1_11comp_targetILNS1_3genE4ELNS1_11target_archE910ELNS1_3gpuE8ELNS1_3repE0EEENS1_30default_config_static_selectorELNS0_4arch9wavefront6targetE1EEEvT1_.uses_vcc, 0
	.set _ZN7rocprim17ROCPRIM_400000_NS6detail17trampoline_kernelINS0_14default_configENS1_20scan_config_selectorIN3c107complexIfEEEEZZNS1_9scan_implILNS1_25lookback_scan_determinismE0ELb0ELb0ES3_PKS7_PS7_S7_ZZZN2at6native31launch_logcumsumexp_cuda_kernelERKNSE_10TensorBaseESI_lENKUlvE_clEvENKUlvE2_clEvEUlS7_S7_E_S7_EEDaPvRmT3_T4_T5_mT6_P12ihipStream_tbENKUlT_T0_E_clISt17integral_constantIbLb0EESZ_EEDaSU_SV_EUlSU_E_NS1_11comp_targetILNS1_3genE4ELNS1_11target_archE910ELNS1_3gpuE8ELNS1_3repE0EEENS1_30default_config_static_selectorELNS0_4arch9wavefront6targetE1EEEvT1_.uses_flat_scratch, 0
	.set _ZN7rocprim17ROCPRIM_400000_NS6detail17trampoline_kernelINS0_14default_configENS1_20scan_config_selectorIN3c107complexIfEEEEZZNS1_9scan_implILNS1_25lookback_scan_determinismE0ELb0ELb0ES3_PKS7_PS7_S7_ZZZN2at6native31launch_logcumsumexp_cuda_kernelERKNSE_10TensorBaseESI_lENKUlvE_clEvENKUlvE2_clEvEUlS7_S7_E_S7_EEDaPvRmT3_T4_T5_mT6_P12ihipStream_tbENKUlT_T0_E_clISt17integral_constantIbLb0EESZ_EEDaSU_SV_EUlSU_E_NS1_11comp_targetILNS1_3genE4ELNS1_11target_archE910ELNS1_3gpuE8ELNS1_3repE0EEENS1_30default_config_static_selectorELNS0_4arch9wavefront6targetE1EEEvT1_.has_dyn_sized_stack, 0
	.set _ZN7rocprim17ROCPRIM_400000_NS6detail17trampoline_kernelINS0_14default_configENS1_20scan_config_selectorIN3c107complexIfEEEEZZNS1_9scan_implILNS1_25lookback_scan_determinismE0ELb0ELb0ES3_PKS7_PS7_S7_ZZZN2at6native31launch_logcumsumexp_cuda_kernelERKNSE_10TensorBaseESI_lENKUlvE_clEvENKUlvE2_clEvEUlS7_S7_E_S7_EEDaPvRmT3_T4_T5_mT6_P12ihipStream_tbENKUlT_T0_E_clISt17integral_constantIbLb0EESZ_EEDaSU_SV_EUlSU_E_NS1_11comp_targetILNS1_3genE4ELNS1_11target_archE910ELNS1_3gpuE8ELNS1_3repE0EEENS1_30default_config_static_selectorELNS0_4arch9wavefront6targetE1EEEvT1_.has_recursion, 0
	.set _ZN7rocprim17ROCPRIM_400000_NS6detail17trampoline_kernelINS0_14default_configENS1_20scan_config_selectorIN3c107complexIfEEEEZZNS1_9scan_implILNS1_25lookback_scan_determinismE0ELb0ELb0ES3_PKS7_PS7_S7_ZZZN2at6native31launch_logcumsumexp_cuda_kernelERKNSE_10TensorBaseESI_lENKUlvE_clEvENKUlvE2_clEvEUlS7_S7_E_S7_EEDaPvRmT3_T4_T5_mT6_P12ihipStream_tbENKUlT_T0_E_clISt17integral_constantIbLb0EESZ_EEDaSU_SV_EUlSU_E_NS1_11comp_targetILNS1_3genE4ELNS1_11target_archE910ELNS1_3gpuE8ELNS1_3repE0EEENS1_30default_config_static_selectorELNS0_4arch9wavefront6targetE1EEEvT1_.has_indirect_call, 0
	.section	.AMDGPU.csdata,"",@progbits
; Kernel info:
; codeLenInByte = 0
; TotalNumSgprs: 6
; NumVgprs: 0
; NumAgprs: 0
; TotalNumVgprs: 0
; ScratchSize: 0
; MemoryBound: 0
; FloatMode: 240
; IeeeMode: 1
; LDSByteSize: 0 bytes/workgroup (compile time only)
; SGPRBlocks: 0
; VGPRBlocks: 0
; NumSGPRsForWavesPerEU: 6
; NumVGPRsForWavesPerEU: 1
; AccumOffset: 4
; Occupancy: 8
; WaveLimiterHint : 0
; COMPUTE_PGM_RSRC2:SCRATCH_EN: 0
; COMPUTE_PGM_RSRC2:USER_SGPR: 2
; COMPUTE_PGM_RSRC2:TRAP_HANDLER: 0
; COMPUTE_PGM_RSRC2:TGID_X_EN: 1
; COMPUTE_PGM_RSRC2:TGID_Y_EN: 0
; COMPUTE_PGM_RSRC2:TGID_Z_EN: 0
; COMPUTE_PGM_RSRC2:TIDIG_COMP_CNT: 0
; COMPUTE_PGM_RSRC3_GFX90A:ACCUM_OFFSET: 0
; COMPUTE_PGM_RSRC3_GFX90A:TG_SPLIT: 0
	.section	.text._ZN7rocprim17ROCPRIM_400000_NS6detail17trampoline_kernelINS0_14default_configENS1_20scan_config_selectorIN3c107complexIfEEEEZZNS1_9scan_implILNS1_25lookback_scan_determinismE0ELb0ELb0ES3_PKS7_PS7_S7_ZZZN2at6native31launch_logcumsumexp_cuda_kernelERKNSE_10TensorBaseESI_lENKUlvE_clEvENKUlvE2_clEvEUlS7_S7_E_S7_EEDaPvRmT3_T4_T5_mT6_P12ihipStream_tbENKUlT_T0_E_clISt17integral_constantIbLb0EESZ_EEDaSU_SV_EUlSU_E_NS1_11comp_targetILNS1_3genE3ELNS1_11target_archE908ELNS1_3gpuE7ELNS1_3repE0EEENS1_30default_config_static_selectorELNS0_4arch9wavefront6targetE1EEEvT1_,"axG",@progbits,_ZN7rocprim17ROCPRIM_400000_NS6detail17trampoline_kernelINS0_14default_configENS1_20scan_config_selectorIN3c107complexIfEEEEZZNS1_9scan_implILNS1_25lookback_scan_determinismE0ELb0ELb0ES3_PKS7_PS7_S7_ZZZN2at6native31launch_logcumsumexp_cuda_kernelERKNSE_10TensorBaseESI_lENKUlvE_clEvENKUlvE2_clEvEUlS7_S7_E_S7_EEDaPvRmT3_T4_T5_mT6_P12ihipStream_tbENKUlT_T0_E_clISt17integral_constantIbLb0EESZ_EEDaSU_SV_EUlSU_E_NS1_11comp_targetILNS1_3genE3ELNS1_11target_archE908ELNS1_3gpuE7ELNS1_3repE0EEENS1_30default_config_static_selectorELNS0_4arch9wavefront6targetE1EEEvT1_,comdat
	.globl	_ZN7rocprim17ROCPRIM_400000_NS6detail17trampoline_kernelINS0_14default_configENS1_20scan_config_selectorIN3c107complexIfEEEEZZNS1_9scan_implILNS1_25lookback_scan_determinismE0ELb0ELb0ES3_PKS7_PS7_S7_ZZZN2at6native31launch_logcumsumexp_cuda_kernelERKNSE_10TensorBaseESI_lENKUlvE_clEvENKUlvE2_clEvEUlS7_S7_E_S7_EEDaPvRmT3_T4_T5_mT6_P12ihipStream_tbENKUlT_T0_E_clISt17integral_constantIbLb0EESZ_EEDaSU_SV_EUlSU_E_NS1_11comp_targetILNS1_3genE3ELNS1_11target_archE908ELNS1_3gpuE7ELNS1_3repE0EEENS1_30default_config_static_selectorELNS0_4arch9wavefront6targetE1EEEvT1_ ; -- Begin function _ZN7rocprim17ROCPRIM_400000_NS6detail17trampoline_kernelINS0_14default_configENS1_20scan_config_selectorIN3c107complexIfEEEEZZNS1_9scan_implILNS1_25lookback_scan_determinismE0ELb0ELb0ES3_PKS7_PS7_S7_ZZZN2at6native31launch_logcumsumexp_cuda_kernelERKNSE_10TensorBaseESI_lENKUlvE_clEvENKUlvE2_clEvEUlS7_S7_E_S7_EEDaPvRmT3_T4_T5_mT6_P12ihipStream_tbENKUlT_T0_E_clISt17integral_constantIbLb0EESZ_EEDaSU_SV_EUlSU_E_NS1_11comp_targetILNS1_3genE3ELNS1_11target_archE908ELNS1_3gpuE7ELNS1_3repE0EEENS1_30default_config_static_selectorELNS0_4arch9wavefront6targetE1EEEvT1_
	.p2align	8
	.type	_ZN7rocprim17ROCPRIM_400000_NS6detail17trampoline_kernelINS0_14default_configENS1_20scan_config_selectorIN3c107complexIfEEEEZZNS1_9scan_implILNS1_25lookback_scan_determinismE0ELb0ELb0ES3_PKS7_PS7_S7_ZZZN2at6native31launch_logcumsumexp_cuda_kernelERKNSE_10TensorBaseESI_lENKUlvE_clEvENKUlvE2_clEvEUlS7_S7_E_S7_EEDaPvRmT3_T4_T5_mT6_P12ihipStream_tbENKUlT_T0_E_clISt17integral_constantIbLb0EESZ_EEDaSU_SV_EUlSU_E_NS1_11comp_targetILNS1_3genE3ELNS1_11target_archE908ELNS1_3gpuE7ELNS1_3repE0EEENS1_30default_config_static_selectorELNS0_4arch9wavefront6targetE1EEEvT1_,@function
_ZN7rocprim17ROCPRIM_400000_NS6detail17trampoline_kernelINS0_14default_configENS1_20scan_config_selectorIN3c107complexIfEEEEZZNS1_9scan_implILNS1_25lookback_scan_determinismE0ELb0ELb0ES3_PKS7_PS7_S7_ZZZN2at6native31launch_logcumsumexp_cuda_kernelERKNSE_10TensorBaseESI_lENKUlvE_clEvENKUlvE2_clEvEUlS7_S7_E_S7_EEDaPvRmT3_T4_T5_mT6_P12ihipStream_tbENKUlT_T0_E_clISt17integral_constantIbLb0EESZ_EEDaSU_SV_EUlSU_E_NS1_11comp_targetILNS1_3genE3ELNS1_11target_archE908ELNS1_3gpuE7ELNS1_3repE0EEENS1_30default_config_static_selectorELNS0_4arch9wavefront6targetE1EEEvT1_: ; @_ZN7rocprim17ROCPRIM_400000_NS6detail17trampoline_kernelINS0_14default_configENS1_20scan_config_selectorIN3c107complexIfEEEEZZNS1_9scan_implILNS1_25lookback_scan_determinismE0ELb0ELb0ES3_PKS7_PS7_S7_ZZZN2at6native31launch_logcumsumexp_cuda_kernelERKNSE_10TensorBaseESI_lENKUlvE_clEvENKUlvE2_clEvEUlS7_S7_E_S7_EEDaPvRmT3_T4_T5_mT6_P12ihipStream_tbENKUlT_T0_E_clISt17integral_constantIbLb0EESZ_EEDaSU_SV_EUlSU_E_NS1_11comp_targetILNS1_3genE3ELNS1_11target_archE908ELNS1_3gpuE7ELNS1_3repE0EEENS1_30default_config_static_selectorELNS0_4arch9wavefront6targetE1EEEvT1_
; %bb.0:
	.section	.rodata,"a",@progbits
	.p2align	6, 0x0
	.amdhsa_kernel _ZN7rocprim17ROCPRIM_400000_NS6detail17trampoline_kernelINS0_14default_configENS1_20scan_config_selectorIN3c107complexIfEEEEZZNS1_9scan_implILNS1_25lookback_scan_determinismE0ELb0ELb0ES3_PKS7_PS7_S7_ZZZN2at6native31launch_logcumsumexp_cuda_kernelERKNSE_10TensorBaseESI_lENKUlvE_clEvENKUlvE2_clEvEUlS7_S7_E_S7_EEDaPvRmT3_T4_T5_mT6_P12ihipStream_tbENKUlT_T0_E_clISt17integral_constantIbLb0EESZ_EEDaSU_SV_EUlSU_E_NS1_11comp_targetILNS1_3genE3ELNS1_11target_archE908ELNS1_3gpuE7ELNS1_3repE0EEENS1_30default_config_static_selectorELNS0_4arch9wavefront6targetE1EEEvT1_
		.amdhsa_group_segment_fixed_size 0
		.amdhsa_private_segment_fixed_size 0
		.amdhsa_kernarg_size 104
		.amdhsa_user_sgpr_count 2
		.amdhsa_user_sgpr_dispatch_ptr 0
		.amdhsa_user_sgpr_queue_ptr 0
		.amdhsa_user_sgpr_kernarg_segment_ptr 1
		.amdhsa_user_sgpr_dispatch_id 0
		.amdhsa_user_sgpr_kernarg_preload_length 0
		.amdhsa_user_sgpr_kernarg_preload_offset 0
		.amdhsa_user_sgpr_private_segment_size 0
		.amdhsa_uses_dynamic_stack 0
		.amdhsa_enable_private_segment 0
		.amdhsa_system_sgpr_workgroup_id_x 1
		.amdhsa_system_sgpr_workgroup_id_y 0
		.amdhsa_system_sgpr_workgroup_id_z 0
		.amdhsa_system_sgpr_workgroup_info 0
		.amdhsa_system_vgpr_workitem_id 0
		.amdhsa_next_free_vgpr 1
		.amdhsa_next_free_sgpr 0
		.amdhsa_accum_offset 4
		.amdhsa_reserve_vcc 0
		.amdhsa_float_round_mode_32 0
		.amdhsa_float_round_mode_16_64 0
		.amdhsa_float_denorm_mode_32 3
		.amdhsa_float_denorm_mode_16_64 3
		.amdhsa_dx10_clamp 1
		.amdhsa_ieee_mode 1
		.amdhsa_fp16_overflow 0
		.amdhsa_tg_split 0
		.amdhsa_exception_fp_ieee_invalid_op 0
		.amdhsa_exception_fp_denorm_src 0
		.amdhsa_exception_fp_ieee_div_zero 0
		.amdhsa_exception_fp_ieee_overflow 0
		.amdhsa_exception_fp_ieee_underflow 0
		.amdhsa_exception_fp_ieee_inexact 0
		.amdhsa_exception_int_div_zero 0
	.end_amdhsa_kernel
	.section	.text._ZN7rocprim17ROCPRIM_400000_NS6detail17trampoline_kernelINS0_14default_configENS1_20scan_config_selectorIN3c107complexIfEEEEZZNS1_9scan_implILNS1_25lookback_scan_determinismE0ELb0ELb0ES3_PKS7_PS7_S7_ZZZN2at6native31launch_logcumsumexp_cuda_kernelERKNSE_10TensorBaseESI_lENKUlvE_clEvENKUlvE2_clEvEUlS7_S7_E_S7_EEDaPvRmT3_T4_T5_mT6_P12ihipStream_tbENKUlT_T0_E_clISt17integral_constantIbLb0EESZ_EEDaSU_SV_EUlSU_E_NS1_11comp_targetILNS1_3genE3ELNS1_11target_archE908ELNS1_3gpuE7ELNS1_3repE0EEENS1_30default_config_static_selectorELNS0_4arch9wavefront6targetE1EEEvT1_,"axG",@progbits,_ZN7rocprim17ROCPRIM_400000_NS6detail17trampoline_kernelINS0_14default_configENS1_20scan_config_selectorIN3c107complexIfEEEEZZNS1_9scan_implILNS1_25lookback_scan_determinismE0ELb0ELb0ES3_PKS7_PS7_S7_ZZZN2at6native31launch_logcumsumexp_cuda_kernelERKNSE_10TensorBaseESI_lENKUlvE_clEvENKUlvE2_clEvEUlS7_S7_E_S7_EEDaPvRmT3_T4_T5_mT6_P12ihipStream_tbENKUlT_T0_E_clISt17integral_constantIbLb0EESZ_EEDaSU_SV_EUlSU_E_NS1_11comp_targetILNS1_3genE3ELNS1_11target_archE908ELNS1_3gpuE7ELNS1_3repE0EEENS1_30default_config_static_selectorELNS0_4arch9wavefront6targetE1EEEvT1_,comdat
.Lfunc_end267:
	.size	_ZN7rocprim17ROCPRIM_400000_NS6detail17trampoline_kernelINS0_14default_configENS1_20scan_config_selectorIN3c107complexIfEEEEZZNS1_9scan_implILNS1_25lookback_scan_determinismE0ELb0ELb0ES3_PKS7_PS7_S7_ZZZN2at6native31launch_logcumsumexp_cuda_kernelERKNSE_10TensorBaseESI_lENKUlvE_clEvENKUlvE2_clEvEUlS7_S7_E_S7_EEDaPvRmT3_T4_T5_mT6_P12ihipStream_tbENKUlT_T0_E_clISt17integral_constantIbLb0EESZ_EEDaSU_SV_EUlSU_E_NS1_11comp_targetILNS1_3genE3ELNS1_11target_archE908ELNS1_3gpuE7ELNS1_3repE0EEENS1_30default_config_static_selectorELNS0_4arch9wavefront6targetE1EEEvT1_, .Lfunc_end267-_ZN7rocprim17ROCPRIM_400000_NS6detail17trampoline_kernelINS0_14default_configENS1_20scan_config_selectorIN3c107complexIfEEEEZZNS1_9scan_implILNS1_25lookback_scan_determinismE0ELb0ELb0ES3_PKS7_PS7_S7_ZZZN2at6native31launch_logcumsumexp_cuda_kernelERKNSE_10TensorBaseESI_lENKUlvE_clEvENKUlvE2_clEvEUlS7_S7_E_S7_EEDaPvRmT3_T4_T5_mT6_P12ihipStream_tbENKUlT_T0_E_clISt17integral_constantIbLb0EESZ_EEDaSU_SV_EUlSU_E_NS1_11comp_targetILNS1_3genE3ELNS1_11target_archE908ELNS1_3gpuE7ELNS1_3repE0EEENS1_30default_config_static_selectorELNS0_4arch9wavefront6targetE1EEEvT1_
                                        ; -- End function
	.set _ZN7rocprim17ROCPRIM_400000_NS6detail17trampoline_kernelINS0_14default_configENS1_20scan_config_selectorIN3c107complexIfEEEEZZNS1_9scan_implILNS1_25lookback_scan_determinismE0ELb0ELb0ES3_PKS7_PS7_S7_ZZZN2at6native31launch_logcumsumexp_cuda_kernelERKNSE_10TensorBaseESI_lENKUlvE_clEvENKUlvE2_clEvEUlS7_S7_E_S7_EEDaPvRmT3_T4_T5_mT6_P12ihipStream_tbENKUlT_T0_E_clISt17integral_constantIbLb0EESZ_EEDaSU_SV_EUlSU_E_NS1_11comp_targetILNS1_3genE3ELNS1_11target_archE908ELNS1_3gpuE7ELNS1_3repE0EEENS1_30default_config_static_selectorELNS0_4arch9wavefront6targetE1EEEvT1_.num_vgpr, 0
	.set _ZN7rocprim17ROCPRIM_400000_NS6detail17trampoline_kernelINS0_14default_configENS1_20scan_config_selectorIN3c107complexIfEEEEZZNS1_9scan_implILNS1_25lookback_scan_determinismE0ELb0ELb0ES3_PKS7_PS7_S7_ZZZN2at6native31launch_logcumsumexp_cuda_kernelERKNSE_10TensorBaseESI_lENKUlvE_clEvENKUlvE2_clEvEUlS7_S7_E_S7_EEDaPvRmT3_T4_T5_mT6_P12ihipStream_tbENKUlT_T0_E_clISt17integral_constantIbLb0EESZ_EEDaSU_SV_EUlSU_E_NS1_11comp_targetILNS1_3genE3ELNS1_11target_archE908ELNS1_3gpuE7ELNS1_3repE0EEENS1_30default_config_static_selectorELNS0_4arch9wavefront6targetE1EEEvT1_.num_agpr, 0
	.set _ZN7rocprim17ROCPRIM_400000_NS6detail17trampoline_kernelINS0_14default_configENS1_20scan_config_selectorIN3c107complexIfEEEEZZNS1_9scan_implILNS1_25lookback_scan_determinismE0ELb0ELb0ES3_PKS7_PS7_S7_ZZZN2at6native31launch_logcumsumexp_cuda_kernelERKNSE_10TensorBaseESI_lENKUlvE_clEvENKUlvE2_clEvEUlS7_S7_E_S7_EEDaPvRmT3_T4_T5_mT6_P12ihipStream_tbENKUlT_T0_E_clISt17integral_constantIbLb0EESZ_EEDaSU_SV_EUlSU_E_NS1_11comp_targetILNS1_3genE3ELNS1_11target_archE908ELNS1_3gpuE7ELNS1_3repE0EEENS1_30default_config_static_selectorELNS0_4arch9wavefront6targetE1EEEvT1_.numbered_sgpr, 0
	.set _ZN7rocprim17ROCPRIM_400000_NS6detail17trampoline_kernelINS0_14default_configENS1_20scan_config_selectorIN3c107complexIfEEEEZZNS1_9scan_implILNS1_25lookback_scan_determinismE0ELb0ELb0ES3_PKS7_PS7_S7_ZZZN2at6native31launch_logcumsumexp_cuda_kernelERKNSE_10TensorBaseESI_lENKUlvE_clEvENKUlvE2_clEvEUlS7_S7_E_S7_EEDaPvRmT3_T4_T5_mT6_P12ihipStream_tbENKUlT_T0_E_clISt17integral_constantIbLb0EESZ_EEDaSU_SV_EUlSU_E_NS1_11comp_targetILNS1_3genE3ELNS1_11target_archE908ELNS1_3gpuE7ELNS1_3repE0EEENS1_30default_config_static_selectorELNS0_4arch9wavefront6targetE1EEEvT1_.num_named_barrier, 0
	.set _ZN7rocprim17ROCPRIM_400000_NS6detail17trampoline_kernelINS0_14default_configENS1_20scan_config_selectorIN3c107complexIfEEEEZZNS1_9scan_implILNS1_25lookback_scan_determinismE0ELb0ELb0ES3_PKS7_PS7_S7_ZZZN2at6native31launch_logcumsumexp_cuda_kernelERKNSE_10TensorBaseESI_lENKUlvE_clEvENKUlvE2_clEvEUlS7_S7_E_S7_EEDaPvRmT3_T4_T5_mT6_P12ihipStream_tbENKUlT_T0_E_clISt17integral_constantIbLb0EESZ_EEDaSU_SV_EUlSU_E_NS1_11comp_targetILNS1_3genE3ELNS1_11target_archE908ELNS1_3gpuE7ELNS1_3repE0EEENS1_30default_config_static_selectorELNS0_4arch9wavefront6targetE1EEEvT1_.private_seg_size, 0
	.set _ZN7rocprim17ROCPRIM_400000_NS6detail17trampoline_kernelINS0_14default_configENS1_20scan_config_selectorIN3c107complexIfEEEEZZNS1_9scan_implILNS1_25lookback_scan_determinismE0ELb0ELb0ES3_PKS7_PS7_S7_ZZZN2at6native31launch_logcumsumexp_cuda_kernelERKNSE_10TensorBaseESI_lENKUlvE_clEvENKUlvE2_clEvEUlS7_S7_E_S7_EEDaPvRmT3_T4_T5_mT6_P12ihipStream_tbENKUlT_T0_E_clISt17integral_constantIbLb0EESZ_EEDaSU_SV_EUlSU_E_NS1_11comp_targetILNS1_3genE3ELNS1_11target_archE908ELNS1_3gpuE7ELNS1_3repE0EEENS1_30default_config_static_selectorELNS0_4arch9wavefront6targetE1EEEvT1_.uses_vcc, 0
	.set _ZN7rocprim17ROCPRIM_400000_NS6detail17trampoline_kernelINS0_14default_configENS1_20scan_config_selectorIN3c107complexIfEEEEZZNS1_9scan_implILNS1_25lookback_scan_determinismE0ELb0ELb0ES3_PKS7_PS7_S7_ZZZN2at6native31launch_logcumsumexp_cuda_kernelERKNSE_10TensorBaseESI_lENKUlvE_clEvENKUlvE2_clEvEUlS7_S7_E_S7_EEDaPvRmT3_T4_T5_mT6_P12ihipStream_tbENKUlT_T0_E_clISt17integral_constantIbLb0EESZ_EEDaSU_SV_EUlSU_E_NS1_11comp_targetILNS1_3genE3ELNS1_11target_archE908ELNS1_3gpuE7ELNS1_3repE0EEENS1_30default_config_static_selectorELNS0_4arch9wavefront6targetE1EEEvT1_.uses_flat_scratch, 0
	.set _ZN7rocprim17ROCPRIM_400000_NS6detail17trampoline_kernelINS0_14default_configENS1_20scan_config_selectorIN3c107complexIfEEEEZZNS1_9scan_implILNS1_25lookback_scan_determinismE0ELb0ELb0ES3_PKS7_PS7_S7_ZZZN2at6native31launch_logcumsumexp_cuda_kernelERKNSE_10TensorBaseESI_lENKUlvE_clEvENKUlvE2_clEvEUlS7_S7_E_S7_EEDaPvRmT3_T4_T5_mT6_P12ihipStream_tbENKUlT_T0_E_clISt17integral_constantIbLb0EESZ_EEDaSU_SV_EUlSU_E_NS1_11comp_targetILNS1_3genE3ELNS1_11target_archE908ELNS1_3gpuE7ELNS1_3repE0EEENS1_30default_config_static_selectorELNS0_4arch9wavefront6targetE1EEEvT1_.has_dyn_sized_stack, 0
	.set _ZN7rocprim17ROCPRIM_400000_NS6detail17trampoline_kernelINS0_14default_configENS1_20scan_config_selectorIN3c107complexIfEEEEZZNS1_9scan_implILNS1_25lookback_scan_determinismE0ELb0ELb0ES3_PKS7_PS7_S7_ZZZN2at6native31launch_logcumsumexp_cuda_kernelERKNSE_10TensorBaseESI_lENKUlvE_clEvENKUlvE2_clEvEUlS7_S7_E_S7_EEDaPvRmT3_T4_T5_mT6_P12ihipStream_tbENKUlT_T0_E_clISt17integral_constantIbLb0EESZ_EEDaSU_SV_EUlSU_E_NS1_11comp_targetILNS1_3genE3ELNS1_11target_archE908ELNS1_3gpuE7ELNS1_3repE0EEENS1_30default_config_static_selectorELNS0_4arch9wavefront6targetE1EEEvT1_.has_recursion, 0
	.set _ZN7rocprim17ROCPRIM_400000_NS6detail17trampoline_kernelINS0_14default_configENS1_20scan_config_selectorIN3c107complexIfEEEEZZNS1_9scan_implILNS1_25lookback_scan_determinismE0ELb0ELb0ES3_PKS7_PS7_S7_ZZZN2at6native31launch_logcumsumexp_cuda_kernelERKNSE_10TensorBaseESI_lENKUlvE_clEvENKUlvE2_clEvEUlS7_S7_E_S7_EEDaPvRmT3_T4_T5_mT6_P12ihipStream_tbENKUlT_T0_E_clISt17integral_constantIbLb0EESZ_EEDaSU_SV_EUlSU_E_NS1_11comp_targetILNS1_3genE3ELNS1_11target_archE908ELNS1_3gpuE7ELNS1_3repE0EEENS1_30default_config_static_selectorELNS0_4arch9wavefront6targetE1EEEvT1_.has_indirect_call, 0
	.section	.AMDGPU.csdata,"",@progbits
; Kernel info:
; codeLenInByte = 0
; TotalNumSgprs: 6
; NumVgprs: 0
; NumAgprs: 0
; TotalNumVgprs: 0
; ScratchSize: 0
; MemoryBound: 0
; FloatMode: 240
; IeeeMode: 1
; LDSByteSize: 0 bytes/workgroup (compile time only)
; SGPRBlocks: 0
; VGPRBlocks: 0
; NumSGPRsForWavesPerEU: 6
; NumVGPRsForWavesPerEU: 1
; AccumOffset: 4
; Occupancy: 8
; WaveLimiterHint : 0
; COMPUTE_PGM_RSRC2:SCRATCH_EN: 0
; COMPUTE_PGM_RSRC2:USER_SGPR: 2
; COMPUTE_PGM_RSRC2:TRAP_HANDLER: 0
; COMPUTE_PGM_RSRC2:TGID_X_EN: 1
; COMPUTE_PGM_RSRC2:TGID_Y_EN: 0
; COMPUTE_PGM_RSRC2:TGID_Z_EN: 0
; COMPUTE_PGM_RSRC2:TIDIG_COMP_CNT: 0
; COMPUTE_PGM_RSRC3_GFX90A:ACCUM_OFFSET: 0
; COMPUTE_PGM_RSRC3_GFX90A:TG_SPLIT: 0
	.section	.text._ZN7rocprim17ROCPRIM_400000_NS6detail17trampoline_kernelINS0_14default_configENS1_20scan_config_selectorIN3c107complexIfEEEEZZNS1_9scan_implILNS1_25lookback_scan_determinismE0ELb0ELb0ES3_PKS7_PS7_S7_ZZZN2at6native31launch_logcumsumexp_cuda_kernelERKNSE_10TensorBaseESI_lENKUlvE_clEvENKUlvE2_clEvEUlS7_S7_E_S7_EEDaPvRmT3_T4_T5_mT6_P12ihipStream_tbENKUlT_T0_E_clISt17integral_constantIbLb0EESZ_EEDaSU_SV_EUlSU_E_NS1_11comp_targetILNS1_3genE2ELNS1_11target_archE906ELNS1_3gpuE6ELNS1_3repE0EEENS1_30default_config_static_selectorELNS0_4arch9wavefront6targetE1EEEvT1_,"axG",@progbits,_ZN7rocprim17ROCPRIM_400000_NS6detail17trampoline_kernelINS0_14default_configENS1_20scan_config_selectorIN3c107complexIfEEEEZZNS1_9scan_implILNS1_25lookback_scan_determinismE0ELb0ELb0ES3_PKS7_PS7_S7_ZZZN2at6native31launch_logcumsumexp_cuda_kernelERKNSE_10TensorBaseESI_lENKUlvE_clEvENKUlvE2_clEvEUlS7_S7_E_S7_EEDaPvRmT3_T4_T5_mT6_P12ihipStream_tbENKUlT_T0_E_clISt17integral_constantIbLb0EESZ_EEDaSU_SV_EUlSU_E_NS1_11comp_targetILNS1_3genE2ELNS1_11target_archE906ELNS1_3gpuE6ELNS1_3repE0EEENS1_30default_config_static_selectorELNS0_4arch9wavefront6targetE1EEEvT1_,comdat
	.globl	_ZN7rocprim17ROCPRIM_400000_NS6detail17trampoline_kernelINS0_14default_configENS1_20scan_config_selectorIN3c107complexIfEEEEZZNS1_9scan_implILNS1_25lookback_scan_determinismE0ELb0ELb0ES3_PKS7_PS7_S7_ZZZN2at6native31launch_logcumsumexp_cuda_kernelERKNSE_10TensorBaseESI_lENKUlvE_clEvENKUlvE2_clEvEUlS7_S7_E_S7_EEDaPvRmT3_T4_T5_mT6_P12ihipStream_tbENKUlT_T0_E_clISt17integral_constantIbLb0EESZ_EEDaSU_SV_EUlSU_E_NS1_11comp_targetILNS1_3genE2ELNS1_11target_archE906ELNS1_3gpuE6ELNS1_3repE0EEENS1_30default_config_static_selectorELNS0_4arch9wavefront6targetE1EEEvT1_ ; -- Begin function _ZN7rocprim17ROCPRIM_400000_NS6detail17trampoline_kernelINS0_14default_configENS1_20scan_config_selectorIN3c107complexIfEEEEZZNS1_9scan_implILNS1_25lookback_scan_determinismE0ELb0ELb0ES3_PKS7_PS7_S7_ZZZN2at6native31launch_logcumsumexp_cuda_kernelERKNSE_10TensorBaseESI_lENKUlvE_clEvENKUlvE2_clEvEUlS7_S7_E_S7_EEDaPvRmT3_T4_T5_mT6_P12ihipStream_tbENKUlT_T0_E_clISt17integral_constantIbLb0EESZ_EEDaSU_SV_EUlSU_E_NS1_11comp_targetILNS1_3genE2ELNS1_11target_archE906ELNS1_3gpuE6ELNS1_3repE0EEENS1_30default_config_static_selectorELNS0_4arch9wavefront6targetE1EEEvT1_
	.p2align	8
	.type	_ZN7rocprim17ROCPRIM_400000_NS6detail17trampoline_kernelINS0_14default_configENS1_20scan_config_selectorIN3c107complexIfEEEEZZNS1_9scan_implILNS1_25lookback_scan_determinismE0ELb0ELb0ES3_PKS7_PS7_S7_ZZZN2at6native31launch_logcumsumexp_cuda_kernelERKNSE_10TensorBaseESI_lENKUlvE_clEvENKUlvE2_clEvEUlS7_S7_E_S7_EEDaPvRmT3_T4_T5_mT6_P12ihipStream_tbENKUlT_T0_E_clISt17integral_constantIbLb0EESZ_EEDaSU_SV_EUlSU_E_NS1_11comp_targetILNS1_3genE2ELNS1_11target_archE906ELNS1_3gpuE6ELNS1_3repE0EEENS1_30default_config_static_selectorELNS0_4arch9wavefront6targetE1EEEvT1_,@function
_ZN7rocprim17ROCPRIM_400000_NS6detail17trampoline_kernelINS0_14default_configENS1_20scan_config_selectorIN3c107complexIfEEEEZZNS1_9scan_implILNS1_25lookback_scan_determinismE0ELb0ELb0ES3_PKS7_PS7_S7_ZZZN2at6native31launch_logcumsumexp_cuda_kernelERKNSE_10TensorBaseESI_lENKUlvE_clEvENKUlvE2_clEvEUlS7_S7_E_S7_EEDaPvRmT3_T4_T5_mT6_P12ihipStream_tbENKUlT_T0_E_clISt17integral_constantIbLb0EESZ_EEDaSU_SV_EUlSU_E_NS1_11comp_targetILNS1_3genE2ELNS1_11target_archE906ELNS1_3gpuE6ELNS1_3repE0EEENS1_30default_config_static_selectorELNS0_4arch9wavefront6targetE1EEEvT1_: ; @_ZN7rocprim17ROCPRIM_400000_NS6detail17trampoline_kernelINS0_14default_configENS1_20scan_config_selectorIN3c107complexIfEEEEZZNS1_9scan_implILNS1_25lookback_scan_determinismE0ELb0ELb0ES3_PKS7_PS7_S7_ZZZN2at6native31launch_logcumsumexp_cuda_kernelERKNSE_10TensorBaseESI_lENKUlvE_clEvENKUlvE2_clEvEUlS7_S7_E_S7_EEDaPvRmT3_T4_T5_mT6_P12ihipStream_tbENKUlT_T0_E_clISt17integral_constantIbLb0EESZ_EEDaSU_SV_EUlSU_E_NS1_11comp_targetILNS1_3genE2ELNS1_11target_archE906ELNS1_3gpuE6ELNS1_3repE0EEENS1_30default_config_static_selectorELNS0_4arch9wavefront6targetE1EEEvT1_
; %bb.0:
	.section	.rodata,"a",@progbits
	.p2align	6, 0x0
	.amdhsa_kernel _ZN7rocprim17ROCPRIM_400000_NS6detail17trampoline_kernelINS0_14default_configENS1_20scan_config_selectorIN3c107complexIfEEEEZZNS1_9scan_implILNS1_25lookback_scan_determinismE0ELb0ELb0ES3_PKS7_PS7_S7_ZZZN2at6native31launch_logcumsumexp_cuda_kernelERKNSE_10TensorBaseESI_lENKUlvE_clEvENKUlvE2_clEvEUlS7_S7_E_S7_EEDaPvRmT3_T4_T5_mT6_P12ihipStream_tbENKUlT_T0_E_clISt17integral_constantIbLb0EESZ_EEDaSU_SV_EUlSU_E_NS1_11comp_targetILNS1_3genE2ELNS1_11target_archE906ELNS1_3gpuE6ELNS1_3repE0EEENS1_30default_config_static_selectorELNS0_4arch9wavefront6targetE1EEEvT1_
		.amdhsa_group_segment_fixed_size 0
		.amdhsa_private_segment_fixed_size 0
		.amdhsa_kernarg_size 104
		.amdhsa_user_sgpr_count 2
		.amdhsa_user_sgpr_dispatch_ptr 0
		.amdhsa_user_sgpr_queue_ptr 0
		.amdhsa_user_sgpr_kernarg_segment_ptr 1
		.amdhsa_user_sgpr_dispatch_id 0
		.amdhsa_user_sgpr_kernarg_preload_length 0
		.amdhsa_user_sgpr_kernarg_preload_offset 0
		.amdhsa_user_sgpr_private_segment_size 0
		.amdhsa_uses_dynamic_stack 0
		.amdhsa_enable_private_segment 0
		.amdhsa_system_sgpr_workgroup_id_x 1
		.amdhsa_system_sgpr_workgroup_id_y 0
		.amdhsa_system_sgpr_workgroup_id_z 0
		.amdhsa_system_sgpr_workgroup_info 0
		.amdhsa_system_vgpr_workitem_id 0
		.amdhsa_next_free_vgpr 1
		.amdhsa_next_free_sgpr 0
		.amdhsa_accum_offset 4
		.amdhsa_reserve_vcc 0
		.amdhsa_float_round_mode_32 0
		.amdhsa_float_round_mode_16_64 0
		.amdhsa_float_denorm_mode_32 3
		.amdhsa_float_denorm_mode_16_64 3
		.amdhsa_dx10_clamp 1
		.amdhsa_ieee_mode 1
		.amdhsa_fp16_overflow 0
		.amdhsa_tg_split 0
		.amdhsa_exception_fp_ieee_invalid_op 0
		.amdhsa_exception_fp_denorm_src 0
		.amdhsa_exception_fp_ieee_div_zero 0
		.amdhsa_exception_fp_ieee_overflow 0
		.amdhsa_exception_fp_ieee_underflow 0
		.amdhsa_exception_fp_ieee_inexact 0
		.amdhsa_exception_int_div_zero 0
	.end_amdhsa_kernel
	.section	.text._ZN7rocprim17ROCPRIM_400000_NS6detail17trampoline_kernelINS0_14default_configENS1_20scan_config_selectorIN3c107complexIfEEEEZZNS1_9scan_implILNS1_25lookback_scan_determinismE0ELb0ELb0ES3_PKS7_PS7_S7_ZZZN2at6native31launch_logcumsumexp_cuda_kernelERKNSE_10TensorBaseESI_lENKUlvE_clEvENKUlvE2_clEvEUlS7_S7_E_S7_EEDaPvRmT3_T4_T5_mT6_P12ihipStream_tbENKUlT_T0_E_clISt17integral_constantIbLb0EESZ_EEDaSU_SV_EUlSU_E_NS1_11comp_targetILNS1_3genE2ELNS1_11target_archE906ELNS1_3gpuE6ELNS1_3repE0EEENS1_30default_config_static_selectorELNS0_4arch9wavefront6targetE1EEEvT1_,"axG",@progbits,_ZN7rocprim17ROCPRIM_400000_NS6detail17trampoline_kernelINS0_14default_configENS1_20scan_config_selectorIN3c107complexIfEEEEZZNS1_9scan_implILNS1_25lookback_scan_determinismE0ELb0ELb0ES3_PKS7_PS7_S7_ZZZN2at6native31launch_logcumsumexp_cuda_kernelERKNSE_10TensorBaseESI_lENKUlvE_clEvENKUlvE2_clEvEUlS7_S7_E_S7_EEDaPvRmT3_T4_T5_mT6_P12ihipStream_tbENKUlT_T0_E_clISt17integral_constantIbLb0EESZ_EEDaSU_SV_EUlSU_E_NS1_11comp_targetILNS1_3genE2ELNS1_11target_archE906ELNS1_3gpuE6ELNS1_3repE0EEENS1_30default_config_static_selectorELNS0_4arch9wavefront6targetE1EEEvT1_,comdat
.Lfunc_end268:
	.size	_ZN7rocprim17ROCPRIM_400000_NS6detail17trampoline_kernelINS0_14default_configENS1_20scan_config_selectorIN3c107complexIfEEEEZZNS1_9scan_implILNS1_25lookback_scan_determinismE0ELb0ELb0ES3_PKS7_PS7_S7_ZZZN2at6native31launch_logcumsumexp_cuda_kernelERKNSE_10TensorBaseESI_lENKUlvE_clEvENKUlvE2_clEvEUlS7_S7_E_S7_EEDaPvRmT3_T4_T5_mT6_P12ihipStream_tbENKUlT_T0_E_clISt17integral_constantIbLb0EESZ_EEDaSU_SV_EUlSU_E_NS1_11comp_targetILNS1_3genE2ELNS1_11target_archE906ELNS1_3gpuE6ELNS1_3repE0EEENS1_30default_config_static_selectorELNS0_4arch9wavefront6targetE1EEEvT1_, .Lfunc_end268-_ZN7rocprim17ROCPRIM_400000_NS6detail17trampoline_kernelINS0_14default_configENS1_20scan_config_selectorIN3c107complexIfEEEEZZNS1_9scan_implILNS1_25lookback_scan_determinismE0ELb0ELb0ES3_PKS7_PS7_S7_ZZZN2at6native31launch_logcumsumexp_cuda_kernelERKNSE_10TensorBaseESI_lENKUlvE_clEvENKUlvE2_clEvEUlS7_S7_E_S7_EEDaPvRmT3_T4_T5_mT6_P12ihipStream_tbENKUlT_T0_E_clISt17integral_constantIbLb0EESZ_EEDaSU_SV_EUlSU_E_NS1_11comp_targetILNS1_3genE2ELNS1_11target_archE906ELNS1_3gpuE6ELNS1_3repE0EEENS1_30default_config_static_selectorELNS0_4arch9wavefront6targetE1EEEvT1_
                                        ; -- End function
	.set _ZN7rocprim17ROCPRIM_400000_NS6detail17trampoline_kernelINS0_14default_configENS1_20scan_config_selectorIN3c107complexIfEEEEZZNS1_9scan_implILNS1_25lookback_scan_determinismE0ELb0ELb0ES3_PKS7_PS7_S7_ZZZN2at6native31launch_logcumsumexp_cuda_kernelERKNSE_10TensorBaseESI_lENKUlvE_clEvENKUlvE2_clEvEUlS7_S7_E_S7_EEDaPvRmT3_T4_T5_mT6_P12ihipStream_tbENKUlT_T0_E_clISt17integral_constantIbLb0EESZ_EEDaSU_SV_EUlSU_E_NS1_11comp_targetILNS1_3genE2ELNS1_11target_archE906ELNS1_3gpuE6ELNS1_3repE0EEENS1_30default_config_static_selectorELNS0_4arch9wavefront6targetE1EEEvT1_.num_vgpr, 0
	.set _ZN7rocprim17ROCPRIM_400000_NS6detail17trampoline_kernelINS0_14default_configENS1_20scan_config_selectorIN3c107complexIfEEEEZZNS1_9scan_implILNS1_25lookback_scan_determinismE0ELb0ELb0ES3_PKS7_PS7_S7_ZZZN2at6native31launch_logcumsumexp_cuda_kernelERKNSE_10TensorBaseESI_lENKUlvE_clEvENKUlvE2_clEvEUlS7_S7_E_S7_EEDaPvRmT3_T4_T5_mT6_P12ihipStream_tbENKUlT_T0_E_clISt17integral_constantIbLb0EESZ_EEDaSU_SV_EUlSU_E_NS1_11comp_targetILNS1_3genE2ELNS1_11target_archE906ELNS1_3gpuE6ELNS1_3repE0EEENS1_30default_config_static_selectorELNS0_4arch9wavefront6targetE1EEEvT1_.num_agpr, 0
	.set _ZN7rocprim17ROCPRIM_400000_NS6detail17trampoline_kernelINS0_14default_configENS1_20scan_config_selectorIN3c107complexIfEEEEZZNS1_9scan_implILNS1_25lookback_scan_determinismE0ELb0ELb0ES3_PKS7_PS7_S7_ZZZN2at6native31launch_logcumsumexp_cuda_kernelERKNSE_10TensorBaseESI_lENKUlvE_clEvENKUlvE2_clEvEUlS7_S7_E_S7_EEDaPvRmT3_T4_T5_mT6_P12ihipStream_tbENKUlT_T0_E_clISt17integral_constantIbLb0EESZ_EEDaSU_SV_EUlSU_E_NS1_11comp_targetILNS1_3genE2ELNS1_11target_archE906ELNS1_3gpuE6ELNS1_3repE0EEENS1_30default_config_static_selectorELNS0_4arch9wavefront6targetE1EEEvT1_.numbered_sgpr, 0
	.set _ZN7rocprim17ROCPRIM_400000_NS6detail17trampoline_kernelINS0_14default_configENS1_20scan_config_selectorIN3c107complexIfEEEEZZNS1_9scan_implILNS1_25lookback_scan_determinismE0ELb0ELb0ES3_PKS7_PS7_S7_ZZZN2at6native31launch_logcumsumexp_cuda_kernelERKNSE_10TensorBaseESI_lENKUlvE_clEvENKUlvE2_clEvEUlS7_S7_E_S7_EEDaPvRmT3_T4_T5_mT6_P12ihipStream_tbENKUlT_T0_E_clISt17integral_constantIbLb0EESZ_EEDaSU_SV_EUlSU_E_NS1_11comp_targetILNS1_3genE2ELNS1_11target_archE906ELNS1_3gpuE6ELNS1_3repE0EEENS1_30default_config_static_selectorELNS0_4arch9wavefront6targetE1EEEvT1_.num_named_barrier, 0
	.set _ZN7rocprim17ROCPRIM_400000_NS6detail17trampoline_kernelINS0_14default_configENS1_20scan_config_selectorIN3c107complexIfEEEEZZNS1_9scan_implILNS1_25lookback_scan_determinismE0ELb0ELb0ES3_PKS7_PS7_S7_ZZZN2at6native31launch_logcumsumexp_cuda_kernelERKNSE_10TensorBaseESI_lENKUlvE_clEvENKUlvE2_clEvEUlS7_S7_E_S7_EEDaPvRmT3_T4_T5_mT6_P12ihipStream_tbENKUlT_T0_E_clISt17integral_constantIbLb0EESZ_EEDaSU_SV_EUlSU_E_NS1_11comp_targetILNS1_3genE2ELNS1_11target_archE906ELNS1_3gpuE6ELNS1_3repE0EEENS1_30default_config_static_selectorELNS0_4arch9wavefront6targetE1EEEvT1_.private_seg_size, 0
	.set _ZN7rocprim17ROCPRIM_400000_NS6detail17trampoline_kernelINS0_14default_configENS1_20scan_config_selectorIN3c107complexIfEEEEZZNS1_9scan_implILNS1_25lookback_scan_determinismE0ELb0ELb0ES3_PKS7_PS7_S7_ZZZN2at6native31launch_logcumsumexp_cuda_kernelERKNSE_10TensorBaseESI_lENKUlvE_clEvENKUlvE2_clEvEUlS7_S7_E_S7_EEDaPvRmT3_T4_T5_mT6_P12ihipStream_tbENKUlT_T0_E_clISt17integral_constantIbLb0EESZ_EEDaSU_SV_EUlSU_E_NS1_11comp_targetILNS1_3genE2ELNS1_11target_archE906ELNS1_3gpuE6ELNS1_3repE0EEENS1_30default_config_static_selectorELNS0_4arch9wavefront6targetE1EEEvT1_.uses_vcc, 0
	.set _ZN7rocprim17ROCPRIM_400000_NS6detail17trampoline_kernelINS0_14default_configENS1_20scan_config_selectorIN3c107complexIfEEEEZZNS1_9scan_implILNS1_25lookback_scan_determinismE0ELb0ELb0ES3_PKS7_PS7_S7_ZZZN2at6native31launch_logcumsumexp_cuda_kernelERKNSE_10TensorBaseESI_lENKUlvE_clEvENKUlvE2_clEvEUlS7_S7_E_S7_EEDaPvRmT3_T4_T5_mT6_P12ihipStream_tbENKUlT_T0_E_clISt17integral_constantIbLb0EESZ_EEDaSU_SV_EUlSU_E_NS1_11comp_targetILNS1_3genE2ELNS1_11target_archE906ELNS1_3gpuE6ELNS1_3repE0EEENS1_30default_config_static_selectorELNS0_4arch9wavefront6targetE1EEEvT1_.uses_flat_scratch, 0
	.set _ZN7rocprim17ROCPRIM_400000_NS6detail17trampoline_kernelINS0_14default_configENS1_20scan_config_selectorIN3c107complexIfEEEEZZNS1_9scan_implILNS1_25lookback_scan_determinismE0ELb0ELb0ES3_PKS7_PS7_S7_ZZZN2at6native31launch_logcumsumexp_cuda_kernelERKNSE_10TensorBaseESI_lENKUlvE_clEvENKUlvE2_clEvEUlS7_S7_E_S7_EEDaPvRmT3_T4_T5_mT6_P12ihipStream_tbENKUlT_T0_E_clISt17integral_constantIbLb0EESZ_EEDaSU_SV_EUlSU_E_NS1_11comp_targetILNS1_3genE2ELNS1_11target_archE906ELNS1_3gpuE6ELNS1_3repE0EEENS1_30default_config_static_selectorELNS0_4arch9wavefront6targetE1EEEvT1_.has_dyn_sized_stack, 0
	.set _ZN7rocprim17ROCPRIM_400000_NS6detail17trampoline_kernelINS0_14default_configENS1_20scan_config_selectorIN3c107complexIfEEEEZZNS1_9scan_implILNS1_25lookback_scan_determinismE0ELb0ELb0ES3_PKS7_PS7_S7_ZZZN2at6native31launch_logcumsumexp_cuda_kernelERKNSE_10TensorBaseESI_lENKUlvE_clEvENKUlvE2_clEvEUlS7_S7_E_S7_EEDaPvRmT3_T4_T5_mT6_P12ihipStream_tbENKUlT_T0_E_clISt17integral_constantIbLb0EESZ_EEDaSU_SV_EUlSU_E_NS1_11comp_targetILNS1_3genE2ELNS1_11target_archE906ELNS1_3gpuE6ELNS1_3repE0EEENS1_30default_config_static_selectorELNS0_4arch9wavefront6targetE1EEEvT1_.has_recursion, 0
	.set _ZN7rocprim17ROCPRIM_400000_NS6detail17trampoline_kernelINS0_14default_configENS1_20scan_config_selectorIN3c107complexIfEEEEZZNS1_9scan_implILNS1_25lookback_scan_determinismE0ELb0ELb0ES3_PKS7_PS7_S7_ZZZN2at6native31launch_logcumsumexp_cuda_kernelERKNSE_10TensorBaseESI_lENKUlvE_clEvENKUlvE2_clEvEUlS7_S7_E_S7_EEDaPvRmT3_T4_T5_mT6_P12ihipStream_tbENKUlT_T0_E_clISt17integral_constantIbLb0EESZ_EEDaSU_SV_EUlSU_E_NS1_11comp_targetILNS1_3genE2ELNS1_11target_archE906ELNS1_3gpuE6ELNS1_3repE0EEENS1_30default_config_static_selectorELNS0_4arch9wavefront6targetE1EEEvT1_.has_indirect_call, 0
	.section	.AMDGPU.csdata,"",@progbits
; Kernel info:
; codeLenInByte = 0
; TotalNumSgprs: 6
; NumVgprs: 0
; NumAgprs: 0
; TotalNumVgprs: 0
; ScratchSize: 0
; MemoryBound: 0
; FloatMode: 240
; IeeeMode: 1
; LDSByteSize: 0 bytes/workgroup (compile time only)
; SGPRBlocks: 0
; VGPRBlocks: 0
; NumSGPRsForWavesPerEU: 6
; NumVGPRsForWavesPerEU: 1
; AccumOffset: 4
; Occupancy: 8
; WaveLimiterHint : 0
; COMPUTE_PGM_RSRC2:SCRATCH_EN: 0
; COMPUTE_PGM_RSRC2:USER_SGPR: 2
; COMPUTE_PGM_RSRC2:TRAP_HANDLER: 0
; COMPUTE_PGM_RSRC2:TGID_X_EN: 1
; COMPUTE_PGM_RSRC2:TGID_Y_EN: 0
; COMPUTE_PGM_RSRC2:TGID_Z_EN: 0
; COMPUTE_PGM_RSRC2:TIDIG_COMP_CNT: 0
; COMPUTE_PGM_RSRC3_GFX90A:ACCUM_OFFSET: 0
; COMPUTE_PGM_RSRC3_GFX90A:TG_SPLIT: 0
	.section	.text._ZN7rocprim17ROCPRIM_400000_NS6detail17trampoline_kernelINS0_14default_configENS1_20scan_config_selectorIN3c107complexIfEEEEZZNS1_9scan_implILNS1_25lookback_scan_determinismE0ELb0ELb0ES3_PKS7_PS7_S7_ZZZN2at6native31launch_logcumsumexp_cuda_kernelERKNSE_10TensorBaseESI_lENKUlvE_clEvENKUlvE2_clEvEUlS7_S7_E_S7_EEDaPvRmT3_T4_T5_mT6_P12ihipStream_tbENKUlT_T0_E_clISt17integral_constantIbLb0EESZ_EEDaSU_SV_EUlSU_E_NS1_11comp_targetILNS1_3genE10ELNS1_11target_archE1201ELNS1_3gpuE5ELNS1_3repE0EEENS1_30default_config_static_selectorELNS0_4arch9wavefront6targetE1EEEvT1_,"axG",@progbits,_ZN7rocprim17ROCPRIM_400000_NS6detail17trampoline_kernelINS0_14default_configENS1_20scan_config_selectorIN3c107complexIfEEEEZZNS1_9scan_implILNS1_25lookback_scan_determinismE0ELb0ELb0ES3_PKS7_PS7_S7_ZZZN2at6native31launch_logcumsumexp_cuda_kernelERKNSE_10TensorBaseESI_lENKUlvE_clEvENKUlvE2_clEvEUlS7_S7_E_S7_EEDaPvRmT3_T4_T5_mT6_P12ihipStream_tbENKUlT_T0_E_clISt17integral_constantIbLb0EESZ_EEDaSU_SV_EUlSU_E_NS1_11comp_targetILNS1_3genE10ELNS1_11target_archE1201ELNS1_3gpuE5ELNS1_3repE0EEENS1_30default_config_static_selectorELNS0_4arch9wavefront6targetE1EEEvT1_,comdat
	.globl	_ZN7rocprim17ROCPRIM_400000_NS6detail17trampoline_kernelINS0_14default_configENS1_20scan_config_selectorIN3c107complexIfEEEEZZNS1_9scan_implILNS1_25lookback_scan_determinismE0ELb0ELb0ES3_PKS7_PS7_S7_ZZZN2at6native31launch_logcumsumexp_cuda_kernelERKNSE_10TensorBaseESI_lENKUlvE_clEvENKUlvE2_clEvEUlS7_S7_E_S7_EEDaPvRmT3_T4_T5_mT6_P12ihipStream_tbENKUlT_T0_E_clISt17integral_constantIbLb0EESZ_EEDaSU_SV_EUlSU_E_NS1_11comp_targetILNS1_3genE10ELNS1_11target_archE1201ELNS1_3gpuE5ELNS1_3repE0EEENS1_30default_config_static_selectorELNS0_4arch9wavefront6targetE1EEEvT1_ ; -- Begin function _ZN7rocprim17ROCPRIM_400000_NS6detail17trampoline_kernelINS0_14default_configENS1_20scan_config_selectorIN3c107complexIfEEEEZZNS1_9scan_implILNS1_25lookback_scan_determinismE0ELb0ELb0ES3_PKS7_PS7_S7_ZZZN2at6native31launch_logcumsumexp_cuda_kernelERKNSE_10TensorBaseESI_lENKUlvE_clEvENKUlvE2_clEvEUlS7_S7_E_S7_EEDaPvRmT3_T4_T5_mT6_P12ihipStream_tbENKUlT_T0_E_clISt17integral_constantIbLb0EESZ_EEDaSU_SV_EUlSU_E_NS1_11comp_targetILNS1_3genE10ELNS1_11target_archE1201ELNS1_3gpuE5ELNS1_3repE0EEENS1_30default_config_static_selectorELNS0_4arch9wavefront6targetE1EEEvT1_
	.p2align	8
	.type	_ZN7rocprim17ROCPRIM_400000_NS6detail17trampoline_kernelINS0_14default_configENS1_20scan_config_selectorIN3c107complexIfEEEEZZNS1_9scan_implILNS1_25lookback_scan_determinismE0ELb0ELb0ES3_PKS7_PS7_S7_ZZZN2at6native31launch_logcumsumexp_cuda_kernelERKNSE_10TensorBaseESI_lENKUlvE_clEvENKUlvE2_clEvEUlS7_S7_E_S7_EEDaPvRmT3_T4_T5_mT6_P12ihipStream_tbENKUlT_T0_E_clISt17integral_constantIbLb0EESZ_EEDaSU_SV_EUlSU_E_NS1_11comp_targetILNS1_3genE10ELNS1_11target_archE1201ELNS1_3gpuE5ELNS1_3repE0EEENS1_30default_config_static_selectorELNS0_4arch9wavefront6targetE1EEEvT1_,@function
_ZN7rocprim17ROCPRIM_400000_NS6detail17trampoline_kernelINS0_14default_configENS1_20scan_config_selectorIN3c107complexIfEEEEZZNS1_9scan_implILNS1_25lookback_scan_determinismE0ELb0ELb0ES3_PKS7_PS7_S7_ZZZN2at6native31launch_logcumsumexp_cuda_kernelERKNSE_10TensorBaseESI_lENKUlvE_clEvENKUlvE2_clEvEUlS7_S7_E_S7_EEDaPvRmT3_T4_T5_mT6_P12ihipStream_tbENKUlT_T0_E_clISt17integral_constantIbLb0EESZ_EEDaSU_SV_EUlSU_E_NS1_11comp_targetILNS1_3genE10ELNS1_11target_archE1201ELNS1_3gpuE5ELNS1_3repE0EEENS1_30default_config_static_selectorELNS0_4arch9wavefront6targetE1EEEvT1_: ; @_ZN7rocprim17ROCPRIM_400000_NS6detail17trampoline_kernelINS0_14default_configENS1_20scan_config_selectorIN3c107complexIfEEEEZZNS1_9scan_implILNS1_25lookback_scan_determinismE0ELb0ELb0ES3_PKS7_PS7_S7_ZZZN2at6native31launch_logcumsumexp_cuda_kernelERKNSE_10TensorBaseESI_lENKUlvE_clEvENKUlvE2_clEvEUlS7_S7_E_S7_EEDaPvRmT3_T4_T5_mT6_P12ihipStream_tbENKUlT_T0_E_clISt17integral_constantIbLb0EESZ_EEDaSU_SV_EUlSU_E_NS1_11comp_targetILNS1_3genE10ELNS1_11target_archE1201ELNS1_3gpuE5ELNS1_3repE0EEENS1_30default_config_static_selectorELNS0_4arch9wavefront6targetE1EEEvT1_
; %bb.0:
	.section	.rodata,"a",@progbits
	.p2align	6, 0x0
	.amdhsa_kernel _ZN7rocprim17ROCPRIM_400000_NS6detail17trampoline_kernelINS0_14default_configENS1_20scan_config_selectorIN3c107complexIfEEEEZZNS1_9scan_implILNS1_25lookback_scan_determinismE0ELb0ELb0ES3_PKS7_PS7_S7_ZZZN2at6native31launch_logcumsumexp_cuda_kernelERKNSE_10TensorBaseESI_lENKUlvE_clEvENKUlvE2_clEvEUlS7_S7_E_S7_EEDaPvRmT3_T4_T5_mT6_P12ihipStream_tbENKUlT_T0_E_clISt17integral_constantIbLb0EESZ_EEDaSU_SV_EUlSU_E_NS1_11comp_targetILNS1_3genE10ELNS1_11target_archE1201ELNS1_3gpuE5ELNS1_3repE0EEENS1_30default_config_static_selectorELNS0_4arch9wavefront6targetE1EEEvT1_
		.amdhsa_group_segment_fixed_size 0
		.amdhsa_private_segment_fixed_size 0
		.amdhsa_kernarg_size 104
		.amdhsa_user_sgpr_count 2
		.amdhsa_user_sgpr_dispatch_ptr 0
		.amdhsa_user_sgpr_queue_ptr 0
		.amdhsa_user_sgpr_kernarg_segment_ptr 1
		.amdhsa_user_sgpr_dispatch_id 0
		.amdhsa_user_sgpr_kernarg_preload_length 0
		.amdhsa_user_sgpr_kernarg_preload_offset 0
		.amdhsa_user_sgpr_private_segment_size 0
		.amdhsa_uses_dynamic_stack 0
		.amdhsa_enable_private_segment 0
		.amdhsa_system_sgpr_workgroup_id_x 1
		.amdhsa_system_sgpr_workgroup_id_y 0
		.amdhsa_system_sgpr_workgroup_id_z 0
		.amdhsa_system_sgpr_workgroup_info 0
		.amdhsa_system_vgpr_workitem_id 0
		.amdhsa_next_free_vgpr 1
		.amdhsa_next_free_sgpr 0
		.amdhsa_accum_offset 4
		.amdhsa_reserve_vcc 0
		.amdhsa_float_round_mode_32 0
		.amdhsa_float_round_mode_16_64 0
		.amdhsa_float_denorm_mode_32 3
		.amdhsa_float_denorm_mode_16_64 3
		.amdhsa_dx10_clamp 1
		.amdhsa_ieee_mode 1
		.amdhsa_fp16_overflow 0
		.amdhsa_tg_split 0
		.amdhsa_exception_fp_ieee_invalid_op 0
		.amdhsa_exception_fp_denorm_src 0
		.amdhsa_exception_fp_ieee_div_zero 0
		.amdhsa_exception_fp_ieee_overflow 0
		.amdhsa_exception_fp_ieee_underflow 0
		.amdhsa_exception_fp_ieee_inexact 0
		.amdhsa_exception_int_div_zero 0
	.end_amdhsa_kernel
	.section	.text._ZN7rocprim17ROCPRIM_400000_NS6detail17trampoline_kernelINS0_14default_configENS1_20scan_config_selectorIN3c107complexIfEEEEZZNS1_9scan_implILNS1_25lookback_scan_determinismE0ELb0ELb0ES3_PKS7_PS7_S7_ZZZN2at6native31launch_logcumsumexp_cuda_kernelERKNSE_10TensorBaseESI_lENKUlvE_clEvENKUlvE2_clEvEUlS7_S7_E_S7_EEDaPvRmT3_T4_T5_mT6_P12ihipStream_tbENKUlT_T0_E_clISt17integral_constantIbLb0EESZ_EEDaSU_SV_EUlSU_E_NS1_11comp_targetILNS1_3genE10ELNS1_11target_archE1201ELNS1_3gpuE5ELNS1_3repE0EEENS1_30default_config_static_selectorELNS0_4arch9wavefront6targetE1EEEvT1_,"axG",@progbits,_ZN7rocprim17ROCPRIM_400000_NS6detail17trampoline_kernelINS0_14default_configENS1_20scan_config_selectorIN3c107complexIfEEEEZZNS1_9scan_implILNS1_25lookback_scan_determinismE0ELb0ELb0ES3_PKS7_PS7_S7_ZZZN2at6native31launch_logcumsumexp_cuda_kernelERKNSE_10TensorBaseESI_lENKUlvE_clEvENKUlvE2_clEvEUlS7_S7_E_S7_EEDaPvRmT3_T4_T5_mT6_P12ihipStream_tbENKUlT_T0_E_clISt17integral_constantIbLb0EESZ_EEDaSU_SV_EUlSU_E_NS1_11comp_targetILNS1_3genE10ELNS1_11target_archE1201ELNS1_3gpuE5ELNS1_3repE0EEENS1_30default_config_static_selectorELNS0_4arch9wavefront6targetE1EEEvT1_,comdat
.Lfunc_end269:
	.size	_ZN7rocprim17ROCPRIM_400000_NS6detail17trampoline_kernelINS0_14default_configENS1_20scan_config_selectorIN3c107complexIfEEEEZZNS1_9scan_implILNS1_25lookback_scan_determinismE0ELb0ELb0ES3_PKS7_PS7_S7_ZZZN2at6native31launch_logcumsumexp_cuda_kernelERKNSE_10TensorBaseESI_lENKUlvE_clEvENKUlvE2_clEvEUlS7_S7_E_S7_EEDaPvRmT3_T4_T5_mT6_P12ihipStream_tbENKUlT_T0_E_clISt17integral_constantIbLb0EESZ_EEDaSU_SV_EUlSU_E_NS1_11comp_targetILNS1_3genE10ELNS1_11target_archE1201ELNS1_3gpuE5ELNS1_3repE0EEENS1_30default_config_static_selectorELNS0_4arch9wavefront6targetE1EEEvT1_, .Lfunc_end269-_ZN7rocprim17ROCPRIM_400000_NS6detail17trampoline_kernelINS0_14default_configENS1_20scan_config_selectorIN3c107complexIfEEEEZZNS1_9scan_implILNS1_25lookback_scan_determinismE0ELb0ELb0ES3_PKS7_PS7_S7_ZZZN2at6native31launch_logcumsumexp_cuda_kernelERKNSE_10TensorBaseESI_lENKUlvE_clEvENKUlvE2_clEvEUlS7_S7_E_S7_EEDaPvRmT3_T4_T5_mT6_P12ihipStream_tbENKUlT_T0_E_clISt17integral_constantIbLb0EESZ_EEDaSU_SV_EUlSU_E_NS1_11comp_targetILNS1_3genE10ELNS1_11target_archE1201ELNS1_3gpuE5ELNS1_3repE0EEENS1_30default_config_static_selectorELNS0_4arch9wavefront6targetE1EEEvT1_
                                        ; -- End function
	.set _ZN7rocprim17ROCPRIM_400000_NS6detail17trampoline_kernelINS0_14default_configENS1_20scan_config_selectorIN3c107complexIfEEEEZZNS1_9scan_implILNS1_25lookback_scan_determinismE0ELb0ELb0ES3_PKS7_PS7_S7_ZZZN2at6native31launch_logcumsumexp_cuda_kernelERKNSE_10TensorBaseESI_lENKUlvE_clEvENKUlvE2_clEvEUlS7_S7_E_S7_EEDaPvRmT3_T4_T5_mT6_P12ihipStream_tbENKUlT_T0_E_clISt17integral_constantIbLb0EESZ_EEDaSU_SV_EUlSU_E_NS1_11comp_targetILNS1_3genE10ELNS1_11target_archE1201ELNS1_3gpuE5ELNS1_3repE0EEENS1_30default_config_static_selectorELNS0_4arch9wavefront6targetE1EEEvT1_.num_vgpr, 0
	.set _ZN7rocprim17ROCPRIM_400000_NS6detail17trampoline_kernelINS0_14default_configENS1_20scan_config_selectorIN3c107complexIfEEEEZZNS1_9scan_implILNS1_25lookback_scan_determinismE0ELb0ELb0ES3_PKS7_PS7_S7_ZZZN2at6native31launch_logcumsumexp_cuda_kernelERKNSE_10TensorBaseESI_lENKUlvE_clEvENKUlvE2_clEvEUlS7_S7_E_S7_EEDaPvRmT3_T4_T5_mT6_P12ihipStream_tbENKUlT_T0_E_clISt17integral_constantIbLb0EESZ_EEDaSU_SV_EUlSU_E_NS1_11comp_targetILNS1_3genE10ELNS1_11target_archE1201ELNS1_3gpuE5ELNS1_3repE0EEENS1_30default_config_static_selectorELNS0_4arch9wavefront6targetE1EEEvT1_.num_agpr, 0
	.set _ZN7rocprim17ROCPRIM_400000_NS6detail17trampoline_kernelINS0_14default_configENS1_20scan_config_selectorIN3c107complexIfEEEEZZNS1_9scan_implILNS1_25lookback_scan_determinismE0ELb0ELb0ES3_PKS7_PS7_S7_ZZZN2at6native31launch_logcumsumexp_cuda_kernelERKNSE_10TensorBaseESI_lENKUlvE_clEvENKUlvE2_clEvEUlS7_S7_E_S7_EEDaPvRmT3_T4_T5_mT6_P12ihipStream_tbENKUlT_T0_E_clISt17integral_constantIbLb0EESZ_EEDaSU_SV_EUlSU_E_NS1_11comp_targetILNS1_3genE10ELNS1_11target_archE1201ELNS1_3gpuE5ELNS1_3repE0EEENS1_30default_config_static_selectorELNS0_4arch9wavefront6targetE1EEEvT1_.numbered_sgpr, 0
	.set _ZN7rocprim17ROCPRIM_400000_NS6detail17trampoline_kernelINS0_14default_configENS1_20scan_config_selectorIN3c107complexIfEEEEZZNS1_9scan_implILNS1_25lookback_scan_determinismE0ELb0ELb0ES3_PKS7_PS7_S7_ZZZN2at6native31launch_logcumsumexp_cuda_kernelERKNSE_10TensorBaseESI_lENKUlvE_clEvENKUlvE2_clEvEUlS7_S7_E_S7_EEDaPvRmT3_T4_T5_mT6_P12ihipStream_tbENKUlT_T0_E_clISt17integral_constantIbLb0EESZ_EEDaSU_SV_EUlSU_E_NS1_11comp_targetILNS1_3genE10ELNS1_11target_archE1201ELNS1_3gpuE5ELNS1_3repE0EEENS1_30default_config_static_selectorELNS0_4arch9wavefront6targetE1EEEvT1_.num_named_barrier, 0
	.set _ZN7rocprim17ROCPRIM_400000_NS6detail17trampoline_kernelINS0_14default_configENS1_20scan_config_selectorIN3c107complexIfEEEEZZNS1_9scan_implILNS1_25lookback_scan_determinismE0ELb0ELb0ES3_PKS7_PS7_S7_ZZZN2at6native31launch_logcumsumexp_cuda_kernelERKNSE_10TensorBaseESI_lENKUlvE_clEvENKUlvE2_clEvEUlS7_S7_E_S7_EEDaPvRmT3_T4_T5_mT6_P12ihipStream_tbENKUlT_T0_E_clISt17integral_constantIbLb0EESZ_EEDaSU_SV_EUlSU_E_NS1_11comp_targetILNS1_3genE10ELNS1_11target_archE1201ELNS1_3gpuE5ELNS1_3repE0EEENS1_30default_config_static_selectorELNS0_4arch9wavefront6targetE1EEEvT1_.private_seg_size, 0
	.set _ZN7rocprim17ROCPRIM_400000_NS6detail17trampoline_kernelINS0_14default_configENS1_20scan_config_selectorIN3c107complexIfEEEEZZNS1_9scan_implILNS1_25lookback_scan_determinismE0ELb0ELb0ES3_PKS7_PS7_S7_ZZZN2at6native31launch_logcumsumexp_cuda_kernelERKNSE_10TensorBaseESI_lENKUlvE_clEvENKUlvE2_clEvEUlS7_S7_E_S7_EEDaPvRmT3_T4_T5_mT6_P12ihipStream_tbENKUlT_T0_E_clISt17integral_constantIbLb0EESZ_EEDaSU_SV_EUlSU_E_NS1_11comp_targetILNS1_3genE10ELNS1_11target_archE1201ELNS1_3gpuE5ELNS1_3repE0EEENS1_30default_config_static_selectorELNS0_4arch9wavefront6targetE1EEEvT1_.uses_vcc, 0
	.set _ZN7rocprim17ROCPRIM_400000_NS6detail17trampoline_kernelINS0_14default_configENS1_20scan_config_selectorIN3c107complexIfEEEEZZNS1_9scan_implILNS1_25lookback_scan_determinismE0ELb0ELb0ES3_PKS7_PS7_S7_ZZZN2at6native31launch_logcumsumexp_cuda_kernelERKNSE_10TensorBaseESI_lENKUlvE_clEvENKUlvE2_clEvEUlS7_S7_E_S7_EEDaPvRmT3_T4_T5_mT6_P12ihipStream_tbENKUlT_T0_E_clISt17integral_constantIbLb0EESZ_EEDaSU_SV_EUlSU_E_NS1_11comp_targetILNS1_3genE10ELNS1_11target_archE1201ELNS1_3gpuE5ELNS1_3repE0EEENS1_30default_config_static_selectorELNS0_4arch9wavefront6targetE1EEEvT1_.uses_flat_scratch, 0
	.set _ZN7rocprim17ROCPRIM_400000_NS6detail17trampoline_kernelINS0_14default_configENS1_20scan_config_selectorIN3c107complexIfEEEEZZNS1_9scan_implILNS1_25lookback_scan_determinismE0ELb0ELb0ES3_PKS7_PS7_S7_ZZZN2at6native31launch_logcumsumexp_cuda_kernelERKNSE_10TensorBaseESI_lENKUlvE_clEvENKUlvE2_clEvEUlS7_S7_E_S7_EEDaPvRmT3_T4_T5_mT6_P12ihipStream_tbENKUlT_T0_E_clISt17integral_constantIbLb0EESZ_EEDaSU_SV_EUlSU_E_NS1_11comp_targetILNS1_3genE10ELNS1_11target_archE1201ELNS1_3gpuE5ELNS1_3repE0EEENS1_30default_config_static_selectorELNS0_4arch9wavefront6targetE1EEEvT1_.has_dyn_sized_stack, 0
	.set _ZN7rocprim17ROCPRIM_400000_NS6detail17trampoline_kernelINS0_14default_configENS1_20scan_config_selectorIN3c107complexIfEEEEZZNS1_9scan_implILNS1_25lookback_scan_determinismE0ELb0ELb0ES3_PKS7_PS7_S7_ZZZN2at6native31launch_logcumsumexp_cuda_kernelERKNSE_10TensorBaseESI_lENKUlvE_clEvENKUlvE2_clEvEUlS7_S7_E_S7_EEDaPvRmT3_T4_T5_mT6_P12ihipStream_tbENKUlT_T0_E_clISt17integral_constantIbLb0EESZ_EEDaSU_SV_EUlSU_E_NS1_11comp_targetILNS1_3genE10ELNS1_11target_archE1201ELNS1_3gpuE5ELNS1_3repE0EEENS1_30default_config_static_selectorELNS0_4arch9wavefront6targetE1EEEvT1_.has_recursion, 0
	.set _ZN7rocprim17ROCPRIM_400000_NS6detail17trampoline_kernelINS0_14default_configENS1_20scan_config_selectorIN3c107complexIfEEEEZZNS1_9scan_implILNS1_25lookback_scan_determinismE0ELb0ELb0ES3_PKS7_PS7_S7_ZZZN2at6native31launch_logcumsumexp_cuda_kernelERKNSE_10TensorBaseESI_lENKUlvE_clEvENKUlvE2_clEvEUlS7_S7_E_S7_EEDaPvRmT3_T4_T5_mT6_P12ihipStream_tbENKUlT_T0_E_clISt17integral_constantIbLb0EESZ_EEDaSU_SV_EUlSU_E_NS1_11comp_targetILNS1_3genE10ELNS1_11target_archE1201ELNS1_3gpuE5ELNS1_3repE0EEENS1_30default_config_static_selectorELNS0_4arch9wavefront6targetE1EEEvT1_.has_indirect_call, 0
	.section	.AMDGPU.csdata,"",@progbits
; Kernel info:
; codeLenInByte = 0
; TotalNumSgprs: 6
; NumVgprs: 0
; NumAgprs: 0
; TotalNumVgprs: 0
; ScratchSize: 0
; MemoryBound: 0
; FloatMode: 240
; IeeeMode: 1
; LDSByteSize: 0 bytes/workgroup (compile time only)
; SGPRBlocks: 0
; VGPRBlocks: 0
; NumSGPRsForWavesPerEU: 6
; NumVGPRsForWavesPerEU: 1
; AccumOffset: 4
; Occupancy: 8
; WaveLimiterHint : 0
; COMPUTE_PGM_RSRC2:SCRATCH_EN: 0
; COMPUTE_PGM_RSRC2:USER_SGPR: 2
; COMPUTE_PGM_RSRC2:TRAP_HANDLER: 0
; COMPUTE_PGM_RSRC2:TGID_X_EN: 1
; COMPUTE_PGM_RSRC2:TGID_Y_EN: 0
; COMPUTE_PGM_RSRC2:TGID_Z_EN: 0
; COMPUTE_PGM_RSRC2:TIDIG_COMP_CNT: 0
; COMPUTE_PGM_RSRC3_GFX90A:ACCUM_OFFSET: 0
; COMPUTE_PGM_RSRC3_GFX90A:TG_SPLIT: 0
	.section	.text._ZN7rocprim17ROCPRIM_400000_NS6detail17trampoline_kernelINS0_14default_configENS1_20scan_config_selectorIN3c107complexIfEEEEZZNS1_9scan_implILNS1_25lookback_scan_determinismE0ELb0ELb0ES3_PKS7_PS7_S7_ZZZN2at6native31launch_logcumsumexp_cuda_kernelERKNSE_10TensorBaseESI_lENKUlvE_clEvENKUlvE2_clEvEUlS7_S7_E_S7_EEDaPvRmT3_T4_T5_mT6_P12ihipStream_tbENKUlT_T0_E_clISt17integral_constantIbLb0EESZ_EEDaSU_SV_EUlSU_E_NS1_11comp_targetILNS1_3genE10ELNS1_11target_archE1200ELNS1_3gpuE4ELNS1_3repE0EEENS1_30default_config_static_selectorELNS0_4arch9wavefront6targetE1EEEvT1_,"axG",@progbits,_ZN7rocprim17ROCPRIM_400000_NS6detail17trampoline_kernelINS0_14default_configENS1_20scan_config_selectorIN3c107complexIfEEEEZZNS1_9scan_implILNS1_25lookback_scan_determinismE0ELb0ELb0ES3_PKS7_PS7_S7_ZZZN2at6native31launch_logcumsumexp_cuda_kernelERKNSE_10TensorBaseESI_lENKUlvE_clEvENKUlvE2_clEvEUlS7_S7_E_S7_EEDaPvRmT3_T4_T5_mT6_P12ihipStream_tbENKUlT_T0_E_clISt17integral_constantIbLb0EESZ_EEDaSU_SV_EUlSU_E_NS1_11comp_targetILNS1_3genE10ELNS1_11target_archE1200ELNS1_3gpuE4ELNS1_3repE0EEENS1_30default_config_static_selectorELNS0_4arch9wavefront6targetE1EEEvT1_,comdat
	.globl	_ZN7rocprim17ROCPRIM_400000_NS6detail17trampoline_kernelINS0_14default_configENS1_20scan_config_selectorIN3c107complexIfEEEEZZNS1_9scan_implILNS1_25lookback_scan_determinismE0ELb0ELb0ES3_PKS7_PS7_S7_ZZZN2at6native31launch_logcumsumexp_cuda_kernelERKNSE_10TensorBaseESI_lENKUlvE_clEvENKUlvE2_clEvEUlS7_S7_E_S7_EEDaPvRmT3_T4_T5_mT6_P12ihipStream_tbENKUlT_T0_E_clISt17integral_constantIbLb0EESZ_EEDaSU_SV_EUlSU_E_NS1_11comp_targetILNS1_3genE10ELNS1_11target_archE1200ELNS1_3gpuE4ELNS1_3repE0EEENS1_30default_config_static_selectorELNS0_4arch9wavefront6targetE1EEEvT1_ ; -- Begin function _ZN7rocprim17ROCPRIM_400000_NS6detail17trampoline_kernelINS0_14default_configENS1_20scan_config_selectorIN3c107complexIfEEEEZZNS1_9scan_implILNS1_25lookback_scan_determinismE0ELb0ELb0ES3_PKS7_PS7_S7_ZZZN2at6native31launch_logcumsumexp_cuda_kernelERKNSE_10TensorBaseESI_lENKUlvE_clEvENKUlvE2_clEvEUlS7_S7_E_S7_EEDaPvRmT3_T4_T5_mT6_P12ihipStream_tbENKUlT_T0_E_clISt17integral_constantIbLb0EESZ_EEDaSU_SV_EUlSU_E_NS1_11comp_targetILNS1_3genE10ELNS1_11target_archE1200ELNS1_3gpuE4ELNS1_3repE0EEENS1_30default_config_static_selectorELNS0_4arch9wavefront6targetE1EEEvT1_
	.p2align	8
	.type	_ZN7rocprim17ROCPRIM_400000_NS6detail17trampoline_kernelINS0_14default_configENS1_20scan_config_selectorIN3c107complexIfEEEEZZNS1_9scan_implILNS1_25lookback_scan_determinismE0ELb0ELb0ES3_PKS7_PS7_S7_ZZZN2at6native31launch_logcumsumexp_cuda_kernelERKNSE_10TensorBaseESI_lENKUlvE_clEvENKUlvE2_clEvEUlS7_S7_E_S7_EEDaPvRmT3_T4_T5_mT6_P12ihipStream_tbENKUlT_T0_E_clISt17integral_constantIbLb0EESZ_EEDaSU_SV_EUlSU_E_NS1_11comp_targetILNS1_3genE10ELNS1_11target_archE1200ELNS1_3gpuE4ELNS1_3repE0EEENS1_30default_config_static_selectorELNS0_4arch9wavefront6targetE1EEEvT1_,@function
_ZN7rocprim17ROCPRIM_400000_NS6detail17trampoline_kernelINS0_14default_configENS1_20scan_config_selectorIN3c107complexIfEEEEZZNS1_9scan_implILNS1_25lookback_scan_determinismE0ELb0ELb0ES3_PKS7_PS7_S7_ZZZN2at6native31launch_logcumsumexp_cuda_kernelERKNSE_10TensorBaseESI_lENKUlvE_clEvENKUlvE2_clEvEUlS7_S7_E_S7_EEDaPvRmT3_T4_T5_mT6_P12ihipStream_tbENKUlT_T0_E_clISt17integral_constantIbLb0EESZ_EEDaSU_SV_EUlSU_E_NS1_11comp_targetILNS1_3genE10ELNS1_11target_archE1200ELNS1_3gpuE4ELNS1_3repE0EEENS1_30default_config_static_selectorELNS0_4arch9wavefront6targetE1EEEvT1_: ; @_ZN7rocprim17ROCPRIM_400000_NS6detail17trampoline_kernelINS0_14default_configENS1_20scan_config_selectorIN3c107complexIfEEEEZZNS1_9scan_implILNS1_25lookback_scan_determinismE0ELb0ELb0ES3_PKS7_PS7_S7_ZZZN2at6native31launch_logcumsumexp_cuda_kernelERKNSE_10TensorBaseESI_lENKUlvE_clEvENKUlvE2_clEvEUlS7_S7_E_S7_EEDaPvRmT3_T4_T5_mT6_P12ihipStream_tbENKUlT_T0_E_clISt17integral_constantIbLb0EESZ_EEDaSU_SV_EUlSU_E_NS1_11comp_targetILNS1_3genE10ELNS1_11target_archE1200ELNS1_3gpuE4ELNS1_3repE0EEENS1_30default_config_static_selectorELNS0_4arch9wavefront6targetE1EEEvT1_
; %bb.0:
	.section	.rodata,"a",@progbits
	.p2align	6, 0x0
	.amdhsa_kernel _ZN7rocprim17ROCPRIM_400000_NS6detail17trampoline_kernelINS0_14default_configENS1_20scan_config_selectorIN3c107complexIfEEEEZZNS1_9scan_implILNS1_25lookback_scan_determinismE0ELb0ELb0ES3_PKS7_PS7_S7_ZZZN2at6native31launch_logcumsumexp_cuda_kernelERKNSE_10TensorBaseESI_lENKUlvE_clEvENKUlvE2_clEvEUlS7_S7_E_S7_EEDaPvRmT3_T4_T5_mT6_P12ihipStream_tbENKUlT_T0_E_clISt17integral_constantIbLb0EESZ_EEDaSU_SV_EUlSU_E_NS1_11comp_targetILNS1_3genE10ELNS1_11target_archE1200ELNS1_3gpuE4ELNS1_3repE0EEENS1_30default_config_static_selectorELNS0_4arch9wavefront6targetE1EEEvT1_
		.amdhsa_group_segment_fixed_size 0
		.amdhsa_private_segment_fixed_size 0
		.amdhsa_kernarg_size 104
		.amdhsa_user_sgpr_count 2
		.amdhsa_user_sgpr_dispatch_ptr 0
		.amdhsa_user_sgpr_queue_ptr 0
		.amdhsa_user_sgpr_kernarg_segment_ptr 1
		.amdhsa_user_sgpr_dispatch_id 0
		.amdhsa_user_sgpr_kernarg_preload_length 0
		.amdhsa_user_sgpr_kernarg_preload_offset 0
		.amdhsa_user_sgpr_private_segment_size 0
		.amdhsa_uses_dynamic_stack 0
		.amdhsa_enable_private_segment 0
		.amdhsa_system_sgpr_workgroup_id_x 1
		.amdhsa_system_sgpr_workgroup_id_y 0
		.amdhsa_system_sgpr_workgroup_id_z 0
		.amdhsa_system_sgpr_workgroup_info 0
		.amdhsa_system_vgpr_workitem_id 0
		.amdhsa_next_free_vgpr 1
		.amdhsa_next_free_sgpr 0
		.amdhsa_accum_offset 4
		.amdhsa_reserve_vcc 0
		.amdhsa_float_round_mode_32 0
		.amdhsa_float_round_mode_16_64 0
		.amdhsa_float_denorm_mode_32 3
		.amdhsa_float_denorm_mode_16_64 3
		.amdhsa_dx10_clamp 1
		.amdhsa_ieee_mode 1
		.amdhsa_fp16_overflow 0
		.amdhsa_tg_split 0
		.amdhsa_exception_fp_ieee_invalid_op 0
		.amdhsa_exception_fp_denorm_src 0
		.amdhsa_exception_fp_ieee_div_zero 0
		.amdhsa_exception_fp_ieee_overflow 0
		.amdhsa_exception_fp_ieee_underflow 0
		.amdhsa_exception_fp_ieee_inexact 0
		.amdhsa_exception_int_div_zero 0
	.end_amdhsa_kernel
	.section	.text._ZN7rocprim17ROCPRIM_400000_NS6detail17trampoline_kernelINS0_14default_configENS1_20scan_config_selectorIN3c107complexIfEEEEZZNS1_9scan_implILNS1_25lookback_scan_determinismE0ELb0ELb0ES3_PKS7_PS7_S7_ZZZN2at6native31launch_logcumsumexp_cuda_kernelERKNSE_10TensorBaseESI_lENKUlvE_clEvENKUlvE2_clEvEUlS7_S7_E_S7_EEDaPvRmT3_T4_T5_mT6_P12ihipStream_tbENKUlT_T0_E_clISt17integral_constantIbLb0EESZ_EEDaSU_SV_EUlSU_E_NS1_11comp_targetILNS1_3genE10ELNS1_11target_archE1200ELNS1_3gpuE4ELNS1_3repE0EEENS1_30default_config_static_selectorELNS0_4arch9wavefront6targetE1EEEvT1_,"axG",@progbits,_ZN7rocprim17ROCPRIM_400000_NS6detail17trampoline_kernelINS0_14default_configENS1_20scan_config_selectorIN3c107complexIfEEEEZZNS1_9scan_implILNS1_25lookback_scan_determinismE0ELb0ELb0ES3_PKS7_PS7_S7_ZZZN2at6native31launch_logcumsumexp_cuda_kernelERKNSE_10TensorBaseESI_lENKUlvE_clEvENKUlvE2_clEvEUlS7_S7_E_S7_EEDaPvRmT3_T4_T5_mT6_P12ihipStream_tbENKUlT_T0_E_clISt17integral_constantIbLb0EESZ_EEDaSU_SV_EUlSU_E_NS1_11comp_targetILNS1_3genE10ELNS1_11target_archE1200ELNS1_3gpuE4ELNS1_3repE0EEENS1_30default_config_static_selectorELNS0_4arch9wavefront6targetE1EEEvT1_,comdat
.Lfunc_end270:
	.size	_ZN7rocprim17ROCPRIM_400000_NS6detail17trampoline_kernelINS0_14default_configENS1_20scan_config_selectorIN3c107complexIfEEEEZZNS1_9scan_implILNS1_25lookback_scan_determinismE0ELb0ELb0ES3_PKS7_PS7_S7_ZZZN2at6native31launch_logcumsumexp_cuda_kernelERKNSE_10TensorBaseESI_lENKUlvE_clEvENKUlvE2_clEvEUlS7_S7_E_S7_EEDaPvRmT3_T4_T5_mT6_P12ihipStream_tbENKUlT_T0_E_clISt17integral_constantIbLb0EESZ_EEDaSU_SV_EUlSU_E_NS1_11comp_targetILNS1_3genE10ELNS1_11target_archE1200ELNS1_3gpuE4ELNS1_3repE0EEENS1_30default_config_static_selectorELNS0_4arch9wavefront6targetE1EEEvT1_, .Lfunc_end270-_ZN7rocprim17ROCPRIM_400000_NS6detail17trampoline_kernelINS0_14default_configENS1_20scan_config_selectorIN3c107complexIfEEEEZZNS1_9scan_implILNS1_25lookback_scan_determinismE0ELb0ELb0ES3_PKS7_PS7_S7_ZZZN2at6native31launch_logcumsumexp_cuda_kernelERKNSE_10TensorBaseESI_lENKUlvE_clEvENKUlvE2_clEvEUlS7_S7_E_S7_EEDaPvRmT3_T4_T5_mT6_P12ihipStream_tbENKUlT_T0_E_clISt17integral_constantIbLb0EESZ_EEDaSU_SV_EUlSU_E_NS1_11comp_targetILNS1_3genE10ELNS1_11target_archE1200ELNS1_3gpuE4ELNS1_3repE0EEENS1_30default_config_static_selectorELNS0_4arch9wavefront6targetE1EEEvT1_
                                        ; -- End function
	.set _ZN7rocprim17ROCPRIM_400000_NS6detail17trampoline_kernelINS0_14default_configENS1_20scan_config_selectorIN3c107complexIfEEEEZZNS1_9scan_implILNS1_25lookback_scan_determinismE0ELb0ELb0ES3_PKS7_PS7_S7_ZZZN2at6native31launch_logcumsumexp_cuda_kernelERKNSE_10TensorBaseESI_lENKUlvE_clEvENKUlvE2_clEvEUlS7_S7_E_S7_EEDaPvRmT3_T4_T5_mT6_P12ihipStream_tbENKUlT_T0_E_clISt17integral_constantIbLb0EESZ_EEDaSU_SV_EUlSU_E_NS1_11comp_targetILNS1_3genE10ELNS1_11target_archE1200ELNS1_3gpuE4ELNS1_3repE0EEENS1_30default_config_static_selectorELNS0_4arch9wavefront6targetE1EEEvT1_.num_vgpr, 0
	.set _ZN7rocprim17ROCPRIM_400000_NS6detail17trampoline_kernelINS0_14default_configENS1_20scan_config_selectorIN3c107complexIfEEEEZZNS1_9scan_implILNS1_25lookback_scan_determinismE0ELb0ELb0ES3_PKS7_PS7_S7_ZZZN2at6native31launch_logcumsumexp_cuda_kernelERKNSE_10TensorBaseESI_lENKUlvE_clEvENKUlvE2_clEvEUlS7_S7_E_S7_EEDaPvRmT3_T4_T5_mT6_P12ihipStream_tbENKUlT_T0_E_clISt17integral_constantIbLb0EESZ_EEDaSU_SV_EUlSU_E_NS1_11comp_targetILNS1_3genE10ELNS1_11target_archE1200ELNS1_3gpuE4ELNS1_3repE0EEENS1_30default_config_static_selectorELNS0_4arch9wavefront6targetE1EEEvT1_.num_agpr, 0
	.set _ZN7rocprim17ROCPRIM_400000_NS6detail17trampoline_kernelINS0_14default_configENS1_20scan_config_selectorIN3c107complexIfEEEEZZNS1_9scan_implILNS1_25lookback_scan_determinismE0ELb0ELb0ES3_PKS7_PS7_S7_ZZZN2at6native31launch_logcumsumexp_cuda_kernelERKNSE_10TensorBaseESI_lENKUlvE_clEvENKUlvE2_clEvEUlS7_S7_E_S7_EEDaPvRmT3_T4_T5_mT6_P12ihipStream_tbENKUlT_T0_E_clISt17integral_constantIbLb0EESZ_EEDaSU_SV_EUlSU_E_NS1_11comp_targetILNS1_3genE10ELNS1_11target_archE1200ELNS1_3gpuE4ELNS1_3repE0EEENS1_30default_config_static_selectorELNS0_4arch9wavefront6targetE1EEEvT1_.numbered_sgpr, 0
	.set _ZN7rocprim17ROCPRIM_400000_NS6detail17trampoline_kernelINS0_14default_configENS1_20scan_config_selectorIN3c107complexIfEEEEZZNS1_9scan_implILNS1_25lookback_scan_determinismE0ELb0ELb0ES3_PKS7_PS7_S7_ZZZN2at6native31launch_logcumsumexp_cuda_kernelERKNSE_10TensorBaseESI_lENKUlvE_clEvENKUlvE2_clEvEUlS7_S7_E_S7_EEDaPvRmT3_T4_T5_mT6_P12ihipStream_tbENKUlT_T0_E_clISt17integral_constantIbLb0EESZ_EEDaSU_SV_EUlSU_E_NS1_11comp_targetILNS1_3genE10ELNS1_11target_archE1200ELNS1_3gpuE4ELNS1_3repE0EEENS1_30default_config_static_selectorELNS0_4arch9wavefront6targetE1EEEvT1_.num_named_barrier, 0
	.set _ZN7rocprim17ROCPRIM_400000_NS6detail17trampoline_kernelINS0_14default_configENS1_20scan_config_selectorIN3c107complexIfEEEEZZNS1_9scan_implILNS1_25lookback_scan_determinismE0ELb0ELb0ES3_PKS7_PS7_S7_ZZZN2at6native31launch_logcumsumexp_cuda_kernelERKNSE_10TensorBaseESI_lENKUlvE_clEvENKUlvE2_clEvEUlS7_S7_E_S7_EEDaPvRmT3_T4_T5_mT6_P12ihipStream_tbENKUlT_T0_E_clISt17integral_constantIbLb0EESZ_EEDaSU_SV_EUlSU_E_NS1_11comp_targetILNS1_3genE10ELNS1_11target_archE1200ELNS1_3gpuE4ELNS1_3repE0EEENS1_30default_config_static_selectorELNS0_4arch9wavefront6targetE1EEEvT1_.private_seg_size, 0
	.set _ZN7rocprim17ROCPRIM_400000_NS6detail17trampoline_kernelINS0_14default_configENS1_20scan_config_selectorIN3c107complexIfEEEEZZNS1_9scan_implILNS1_25lookback_scan_determinismE0ELb0ELb0ES3_PKS7_PS7_S7_ZZZN2at6native31launch_logcumsumexp_cuda_kernelERKNSE_10TensorBaseESI_lENKUlvE_clEvENKUlvE2_clEvEUlS7_S7_E_S7_EEDaPvRmT3_T4_T5_mT6_P12ihipStream_tbENKUlT_T0_E_clISt17integral_constantIbLb0EESZ_EEDaSU_SV_EUlSU_E_NS1_11comp_targetILNS1_3genE10ELNS1_11target_archE1200ELNS1_3gpuE4ELNS1_3repE0EEENS1_30default_config_static_selectorELNS0_4arch9wavefront6targetE1EEEvT1_.uses_vcc, 0
	.set _ZN7rocprim17ROCPRIM_400000_NS6detail17trampoline_kernelINS0_14default_configENS1_20scan_config_selectorIN3c107complexIfEEEEZZNS1_9scan_implILNS1_25lookback_scan_determinismE0ELb0ELb0ES3_PKS7_PS7_S7_ZZZN2at6native31launch_logcumsumexp_cuda_kernelERKNSE_10TensorBaseESI_lENKUlvE_clEvENKUlvE2_clEvEUlS7_S7_E_S7_EEDaPvRmT3_T4_T5_mT6_P12ihipStream_tbENKUlT_T0_E_clISt17integral_constantIbLb0EESZ_EEDaSU_SV_EUlSU_E_NS1_11comp_targetILNS1_3genE10ELNS1_11target_archE1200ELNS1_3gpuE4ELNS1_3repE0EEENS1_30default_config_static_selectorELNS0_4arch9wavefront6targetE1EEEvT1_.uses_flat_scratch, 0
	.set _ZN7rocprim17ROCPRIM_400000_NS6detail17trampoline_kernelINS0_14default_configENS1_20scan_config_selectorIN3c107complexIfEEEEZZNS1_9scan_implILNS1_25lookback_scan_determinismE0ELb0ELb0ES3_PKS7_PS7_S7_ZZZN2at6native31launch_logcumsumexp_cuda_kernelERKNSE_10TensorBaseESI_lENKUlvE_clEvENKUlvE2_clEvEUlS7_S7_E_S7_EEDaPvRmT3_T4_T5_mT6_P12ihipStream_tbENKUlT_T0_E_clISt17integral_constantIbLb0EESZ_EEDaSU_SV_EUlSU_E_NS1_11comp_targetILNS1_3genE10ELNS1_11target_archE1200ELNS1_3gpuE4ELNS1_3repE0EEENS1_30default_config_static_selectorELNS0_4arch9wavefront6targetE1EEEvT1_.has_dyn_sized_stack, 0
	.set _ZN7rocprim17ROCPRIM_400000_NS6detail17trampoline_kernelINS0_14default_configENS1_20scan_config_selectorIN3c107complexIfEEEEZZNS1_9scan_implILNS1_25lookback_scan_determinismE0ELb0ELb0ES3_PKS7_PS7_S7_ZZZN2at6native31launch_logcumsumexp_cuda_kernelERKNSE_10TensorBaseESI_lENKUlvE_clEvENKUlvE2_clEvEUlS7_S7_E_S7_EEDaPvRmT3_T4_T5_mT6_P12ihipStream_tbENKUlT_T0_E_clISt17integral_constantIbLb0EESZ_EEDaSU_SV_EUlSU_E_NS1_11comp_targetILNS1_3genE10ELNS1_11target_archE1200ELNS1_3gpuE4ELNS1_3repE0EEENS1_30default_config_static_selectorELNS0_4arch9wavefront6targetE1EEEvT1_.has_recursion, 0
	.set _ZN7rocprim17ROCPRIM_400000_NS6detail17trampoline_kernelINS0_14default_configENS1_20scan_config_selectorIN3c107complexIfEEEEZZNS1_9scan_implILNS1_25lookback_scan_determinismE0ELb0ELb0ES3_PKS7_PS7_S7_ZZZN2at6native31launch_logcumsumexp_cuda_kernelERKNSE_10TensorBaseESI_lENKUlvE_clEvENKUlvE2_clEvEUlS7_S7_E_S7_EEDaPvRmT3_T4_T5_mT6_P12ihipStream_tbENKUlT_T0_E_clISt17integral_constantIbLb0EESZ_EEDaSU_SV_EUlSU_E_NS1_11comp_targetILNS1_3genE10ELNS1_11target_archE1200ELNS1_3gpuE4ELNS1_3repE0EEENS1_30default_config_static_selectorELNS0_4arch9wavefront6targetE1EEEvT1_.has_indirect_call, 0
	.section	.AMDGPU.csdata,"",@progbits
; Kernel info:
; codeLenInByte = 0
; TotalNumSgprs: 6
; NumVgprs: 0
; NumAgprs: 0
; TotalNumVgprs: 0
; ScratchSize: 0
; MemoryBound: 0
; FloatMode: 240
; IeeeMode: 1
; LDSByteSize: 0 bytes/workgroup (compile time only)
; SGPRBlocks: 0
; VGPRBlocks: 0
; NumSGPRsForWavesPerEU: 6
; NumVGPRsForWavesPerEU: 1
; AccumOffset: 4
; Occupancy: 8
; WaveLimiterHint : 0
; COMPUTE_PGM_RSRC2:SCRATCH_EN: 0
; COMPUTE_PGM_RSRC2:USER_SGPR: 2
; COMPUTE_PGM_RSRC2:TRAP_HANDLER: 0
; COMPUTE_PGM_RSRC2:TGID_X_EN: 1
; COMPUTE_PGM_RSRC2:TGID_Y_EN: 0
; COMPUTE_PGM_RSRC2:TGID_Z_EN: 0
; COMPUTE_PGM_RSRC2:TIDIG_COMP_CNT: 0
; COMPUTE_PGM_RSRC3_GFX90A:ACCUM_OFFSET: 0
; COMPUTE_PGM_RSRC3_GFX90A:TG_SPLIT: 0
	.section	.text._ZN7rocprim17ROCPRIM_400000_NS6detail17trampoline_kernelINS0_14default_configENS1_20scan_config_selectorIN3c107complexIfEEEEZZNS1_9scan_implILNS1_25lookback_scan_determinismE0ELb0ELb0ES3_PKS7_PS7_S7_ZZZN2at6native31launch_logcumsumexp_cuda_kernelERKNSE_10TensorBaseESI_lENKUlvE_clEvENKUlvE2_clEvEUlS7_S7_E_S7_EEDaPvRmT3_T4_T5_mT6_P12ihipStream_tbENKUlT_T0_E_clISt17integral_constantIbLb0EESZ_EEDaSU_SV_EUlSU_E_NS1_11comp_targetILNS1_3genE9ELNS1_11target_archE1100ELNS1_3gpuE3ELNS1_3repE0EEENS1_30default_config_static_selectorELNS0_4arch9wavefront6targetE1EEEvT1_,"axG",@progbits,_ZN7rocprim17ROCPRIM_400000_NS6detail17trampoline_kernelINS0_14default_configENS1_20scan_config_selectorIN3c107complexIfEEEEZZNS1_9scan_implILNS1_25lookback_scan_determinismE0ELb0ELb0ES3_PKS7_PS7_S7_ZZZN2at6native31launch_logcumsumexp_cuda_kernelERKNSE_10TensorBaseESI_lENKUlvE_clEvENKUlvE2_clEvEUlS7_S7_E_S7_EEDaPvRmT3_T4_T5_mT6_P12ihipStream_tbENKUlT_T0_E_clISt17integral_constantIbLb0EESZ_EEDaSU_SV_EUlSU_E_NS1_11comp_targetILNS1_3genE9ELNS1_11target_archE1100ELNS1_3gpuE3ELNS1_3repE0EEENS1_30default_config_static_selectorELNS0_4arch9wavefront6targetE1EEEvT1_,comdat
	.globl	_ZN7rocprim17ROCPRIM_400000_NS6detail17trampoline_kernelINS0_14default_configENS1_20scan_config_selectorIN3c107complexIfEEEEZZNS1_9scan_implILNS1_25lookback_scan_determinismE0ELb0ELb0ES3_PKS7_PS7_S7_ZZZN2at6native31launch_logcumsumexp_cuda_kernelERKNSE_10TensorBaseESI_lENKUlvE_clEvENKUlvE2_clEvEUlS7_S7_E_S7_EEDaPvRmT3_T4_T5_mT6_P12ihipStream_tbENKUlT_T0_E_clISt17integral_constantIbLb0EESZ_EEDaSU_SV_EUlSU_E_NS1_11comp_targetILNS1_3genE9ELNS1_11target_archE1100ELNS1_3gpuE3ELNS1_3repE0EEENS1_30default_config_static_selectorELNS0_4arch9wavefront6targetE1EEEvT1_ ; -- Begin function _ZN7rocprim17ROCPRIM_400000_NS6detail17trampoline_kernelINS0_14default_configENS1_20scan_config_selectorIN3c107complexIfEEEEZZNS1_9scan_implILNS1_25lookback_scan_determinismE0ELb0ELb0ES3_PKS7_PS7_S7_ZZZN2at6native31launch_logcumsumexp_cuda_kernelERKNSE_10TensorBaseESI_lENKUlvE_clEvENKUlvE2_clEvEUlS7_S7_E_S7_EEDaPvRmT3_T4_T5_mT6_P12ihipStream_tbENKUlT_T0_E_clISt17integral_constantIbLb0EESZ_EEDaSU_SV_EUlSU_E_NS1_11comp_targetILNS1_3genE9ELNS1_11target_archE1100ELNS1_3gpuE3ELNS1_3repE0EEENS1_30default_config_static_selectorELNS0_4arch9wavefront6targetE1EEEvT1_
	.p2align	8
	.type	_ZN7rocprim17ROCPRIM_400000_NS6detail17trampoline_kernelINS0_14default_configENS1_20scan_config_selectorIN3c107complexIfEEEEZZNS1_9scan_implILNS1_25lookback_scan_determinismE0ELb0ELb0ES3_PKS7_PS7_S7_ZZZN2at6native31launch_logcumsumexp_cuda_kernelERKNSE_10TensorBaseESI_lENKUlvE_clEvENKUlvE2_clEvEUlS7_S7_E_S7_EEDaPvRmT3_T4_T5_mT6_P12ihipStream_tbENKUlT_T0_E_clISt17integral_constantIbLb0EESZ_EEDaSU_SV_EUlSU_E_NS1_11comp_targetILNS1_3genE9ELNS1_11target_archE1100ELNS1_3gpuE3ELNS1_3repE0EEENS1_30default_config_static_selectorELNS0_4arch9wavefront6targetE1EEEvT1_,@function
_ZN7rocprim17ROCPRIM_400000_NS6detail17trampoline_kernelINS0_14default_configENS1_20scan_config_selectorIN3c107complexIfEEEEZZNS1_9scan_implILNS1_25lookback_scan_determinismE0ELb0ELb0ES3_PKS7_PS7_S7_ZZZN2at6native31launch_logcumsumexp_cuda_kernelERKNSE_10TensorBaseESI_lENKUlvE_clEvENKUlvE2_clEvEUlS7_S7_E_S7_EEDaPvRmT3_T4_T5_mT6_P12ihipStream_tbENKUlT_T0_E_clISt17integral_constantIbLb0EESZ_EEDaSU_SV_EUlSU_E_NS1_11comp_targetILNS1_3genE9ELNS1_11target_archE1100ELNS1_3gpuE3ELNS1_3repE0EEENS1_30default_config_static_selectorELNS0_4arch9wavefront6targetE1EEEvT1_: ; @_ZN7rocprim17ROCPRIM_400000_NS6detail17trampoline_kernelINS0_14default_configENS1_20scan_config_selectorIN3c107complexIfEEEEZZNS1_9scan_implILNS1_25lookback_scan_determinismE0ELb0ELb0ES3_PKS7_PS7_S7_ZZZN2at6native31launch_logcumsumexp_cuda_kernelERKNSE_10TensorBaseESI_lENKUlvE_clEvENKUlvE2_clEvEUlS7_S7_E_S7_EEDaPvRmT3_T4_T5_mT6_P12ihipStream_tbENKUlT_T0_E_clISt17integral_constantIbLb0EESZ_EEDaSU_SV_EUlSU_E_NS1_11comp_targetILNS1_3genE9ELNS1_11target_archE1100ELNS1_3gpuE3ELNS1_3repE0EEENS1_30default_config_static_selectorELNS0_4arch9wavefront6targetE1EEEvT1_
; %bb.0:
	.section	.rodata,"a",@progbits
	.p2align	6, 0x0
	.amdhsa_kernel _ZN7rocprim17ROCPRIM_400000_NS6detail17trampoline_kernelINS0_14default_configENS1_20scan_config_selectorIN3c107complexIfEEEEZZNS1_9scan_implILNS1_25lookback_scan_determinismE0ELb0ELb0ES3_PKS7_PS7_S7_ZZZN2at6native31launch_logcumsumexp_cuda_kernelERKNSE_10TensorBaseESI_lENKUlvE_clEvENKUlvE2_clEvEUlS7_S7_E_S7_EEDaPvRmT3_T4_T5_mT6_P12ihipStream_tbENKUlT_T0_E_clISt17integral_constantIbLb0EESZ_EEDaSU_SV_EUlSU_E_NS1_11comp_targetILNS1_3genE9ELNS1_11target_archE1100ELNS1_3gpuE3ELNS1_3repE0EEENS1_30default_config_static_selectorELNS0_4arch9wavefront6targetE1EEEvT1_
		.amdhsa_group_segment_fixed_size 0
		.amdhsa_private_segment_fixed_size 0
		.amdhsa_kernarg_size 104
		.amdhsa_user_sgpr_count 2
		.amdhsa_user_sgpr_dispatch_ptr 0
		.amdhsa_user_sgpr_queue_ptr 0
		.amdhsa_user_sgpr_kernarg_segment_ptr 1
		.amdhsa_user_sgpr_dispatch_id 0
		.amdhsa_user_sgpr_kernarg_preload_length 0
		.amdhsa_user_sgpr_kernarg_preload_offset 0
		.amdhsa_user_sgpr_private_segment_size 0
		.amdhsa_uses_dynamic_stack 0
		.amdhsa_enable_private_segment 0
		.amdhsa_system_sgpr_workgroup_id_x 1
		.amdhsa_system_sgpr_workgroup_id_y 0
		.amdhsa_system_sgpr_workgroup_id_z 0
		.amdhsa_system_sgpr_workgroup_info 0
		.amdhsa_system_vgpr_workitem_id 0
		.amdhsa_next_free_vgpr 1
		.amdhsa_next_free_sgpr 0
		.amdhsa_accum_offset 4
		.amdhsa_reserve_vcc 0
		.amdhsa_float_round_mode_32 0
		.amdhsa_float_round_mode_16_64 0
		.amdhsa_float_denorm_mode_32 3
		.amdhsa_float_denorm_mode_16_64 3
		.amdhsa_dx10_clamp 1
		.amdhsa_ieee_mode 1
		.amdhsa_fp16_overflow 0
		.amdhsa_tg_split 0
		.amdhsa_exception_fp_ieee_invalid_op 0
		.amdhsa_exception_fp_denorm_src 0
		.amdhsa_exception_fp_ieee_div_zero 0
		.amdhsa_exception_fp_ieee_overflow 0
		.amdhsa_exception_fp_ieee_underflow 0
		.amdhsa_exception_fp_ieee_inexact 0
		.amdhsa_exception_int_div_zero 0
	.end_amdhsa_kernel
	.section	.text._ZN7rocprim17ROCPRIM_400000_NS6detail17trampoline_kernelINS0_14default_configENS1_20scan_config_selectorIN3c107complexIfEEEEZZNS1_9scan_implILNS1_25lookback_scan_determinismE0ELb0ELb0ES3_PKS7_PS7_S7_ZZZN2at6native31launch_logcumsumexp_cuda_kernelERKNSE_10TensorBaseESI_lENKUlvE_clEvENKUlvE2_clEvEUlS7_S7_E_S7_EEDaPvRmT3_T4_T5_mT6_P12ihipStream_tbENKUlT_T0_E_clISt17integral_constantIbLb0EESZ_EEDaSU_SV_EUlSU_E_NS1_11comp_targetILNS1_3genE9ELNS1_11target_archE1100ELNS1_3gpuE3ELNS1_3repE0EEENS1_30default_config_static_selectorELNS0_4arch9wavefront6targetE1EEEvT1_,"axG",@progbits,_ZN7rocprim17ROCPRIM_400000_NS6detail17trampoline_kernelINS0_14default_configENS1_20scan_config_selectorIN3c107complexIfEEEEZZNS1_9scan_implILNS1_25lookback_scan_determinismE0ELb0ELb0ES3_PKS7_PS7_S7_ZZZN2at6native31launch_logcumsumexp_cuda_kernelERKNSE_10TensorBaseESI_lENKUlvE_clEvENKUlvE2_clEvEUlS7_S7_E_S7_EEDaPvRmT3_T4_T5_mT6_P12ihipStream_tbENKUlT_T0_E_clISt17integral_constantIbLb0EESZ_EEDaSU_SV_EUlSU_E_NS1_11comp_targetILNS1_3genE9ELNS1_11target_archE1100ELNS1_3gpuE3ELNS1_3repE0EEENS1_30default_config_static_selectorELNS0_4arch9wavefront6targetE1EEEvT1_,comdat
.Lfunc_end271:
	.size	_ZN7rocprim17ROCPRIM_400000_NS6detail17trampoline_kernelINS0_14default_configENS1_20scan_config_selectorIN3c107complexIfEEEEZZNS1_9scan_implILNS1_25lookback_scan_determinismE0ELb0ELb0ES3_PKS7_PS7_S7_ZZZN2at6native31launch_logcumsumexp_cuda_kernelERKNSE_10TensorBaseESI_lENKUlvE_clEvENKUlvE2_clEvEUlS7_S7_E_S7_EEDaPvRmT3_T4_T5_mT6_P12ihipStream_tbENKUlT_T0_E_clISt17integral_constantIbLb0EESZ_EEDaSU_SV_EUlSU_E_NS1_11comp_targetILNS1_3genE9ELNS1_11target_archE1100ELNS1_3gpuE3ELNS1_3repE0EEENS1_30default_config_static_selectorELNS0_4arch9wavefront6targetE1EEEvT1_, .Lfunc_end271-_ZN7rocprim17ROCPRIM_400000_NS6detail17trampoline_kernelINS0_14default_configENS1_20scan_config_selectorIN3c107complexIfEEEEZZNS1_9scan_implILNS1_25lookback_scan_determinismE0ELb0ELb0ES3_PKS7_PS7_S7_ZZZN2at6native31launch_logcumsumexp_cuda_kernelERKNSE_10TensorBaseESI_lENKUlvE_clEvENKUlvE2_clEvEUlS7_S7_E_S7_EEDaPvRmT3_T4_T5_mT6_P12ihipStream_tbENKUlT_T0_E_clISt17integral_constantIbLb0EESZ_EEDaSU_SV_EUlSU_E_NS1_11comp_targetILNS1_3genE9ELNS1_11target_archE1100ELNS1_3gpuE3ELNS1_3repE0EEENS1_30default_config_static_selectorELNS0_4arch9wavefront6targetE1EEEvT1_
                                        ; -- End function
	.set _ZN7rocprim17ROCPRIM_400000_NS6detail17trampoline_kernelINS0_14default_configENS1_20scan_config_selectorIN3c107complexIfEEEEZZNS1_9scan_implILNS1_25lookback_scan_determinismE0ELb0ELb0ES3_PKS7_PS7_S7_ZZZN2at6native31launch_logcumsumexp_cuda_kernelERKNSE_10TensorBaseESI_lENKUlvE_clEvENKUlvE2_clEvEUlS7_S7_E_S7_EEDaPvRmT3_T4_T5_mT6_P12ihipStream_tbENKUlT_T0_E_clISt17integral_constantIbLb0EESZ_EEDaSU_SV_EUlSU_E_NS1_11comp_targetILNS1_3genE9ELNS1_11target_archE1100ELNS1_3gpuE3ELNS1_3repE0EEENS1_30default_config_static_selectorELNS0_4arch9wavefront6targetE1EEEvT1_.num_vgpr, 0
	.set _ZN7rocprim17ROCPRIM_400000_NS6detail17trampoline_kernelINS0_14default_configENS1_20scan_config_selectorIN3c107complexIfEEEEZZNS1_9scan_implILNS1_25lookback_scan_determinismE0ELb0ELb0ES3_PKS7_PS7_S7_ZZZN2at6native31launch_logcumsumexp_cuda_kernelERKNSE_10TensorBaseESI_lENKUlvE_clEvENKUlvE2_clEvEUlS7_S7_E_S7_EEDaPvRmT3_T4_T5_mT6_P12ihipStream_tbENKUlT_T0_E_clISt17integral_constantIbLb0EESZ_EEDaSU_SV_EUlSU_E_NS1_11comp_targetILNS1_3genE9ELNS1_11target_archE1100ELNS1_3gpuE3ELNS1_3repE0EEENS1_30default_config_static_selectorELNS0_4arch9wavefront6targetE1EEEvT1_.num_agpr, 0
	.set _ZN7rocprim17ROCPRIM_400000_NS6detail17trampoline_kernelINS0_14default_configENS1_20scan_config_selectorIN3c107complexIfEEEEZZNS1_9scan_implILNS1_25lookback_scan_determinismE0ELb0ELb0ES3_PKS7_PS7_S7_ZZZN2at6native31launch_logcumsumexp_cuda_kernelERKNSE_10TensorBaseESI_lENKUlvE_clEvENKUlvE2_clEvEUlS7_S7_E_S7_EEDaPvRmT3_T4_T5_mT6_P12ihipStream_tbENKUlT_T0_E_clISt17integral_constantIbLb0EESZ_EEDaSU_SV_EUlSU_E_NS1_11comp_targetILNS1_3genE9ELNS1_11target_archE1100ELNS1_3gpuE3ELNS1_3repE0EEENS1_30default_config_static_selectorELNS0_4arch9wavefront6targetE1EEEvT1_.numbered_sgpr, 0
	.set _ZN7rocprim17ROCPRIM_400000_NS6detail17trampoline_kernelINS0_14default_configENS1_20scan_config_selectorIN3c107complexIfEEEEZZNS1_9scan_implILNS1_25lookback_scan_determinismE0ELb0ELb0ES3_PKS7_PS7_S7_ZZZN2at6native31launch_logcumsumexp_cuda_kernelERKNSE_10TensorBaseESI_lENKUlvE_clEvENKUlvE2_clEvEUlS7_S7_E_S7_EEDaPvRmT3_T4_T5_mT6_P12ihipStream_tbENKUlT_T0_E_clISt17integral_constantIbLb0EESZ_EEDaSU_SV_EUlSU_E_NS1_11comp_targetILNS1_3genE9ELNS1_11target_archE1100ELNS1_3gpuE3ELNS1_3repE0EEENS1_30default_config_static_selectorELNS0_4arch9wavefront6targetE1EEEvT1_.num_named_barrier, 0
	.set _ZN7rocprim17ROCPRIM_400000_NS6detail17trampoline_kernelINS0_14default_configENS1_20scan_config_selectorIN3c107complexIfEEEEZZNS1_9scan_implILNS1_25lookback_scan_determinismE0ELb0ELb0ES3_PKS7_PS7_S7_ZZZN2at6native31launch_logcumsumexp_cuda_kernelERKNSE_10TensorBaseESI_lENKUlvE_clEvENKUlvE2_clEvEUlS7_S7_E_S7_EEDaPvRmT3_T4_T5_mT6_P12ihipStream_tbENKUlT_T0_E_clISt17integral_constantIbLb0EESZ_EEDaSU_SV_EUlSU_E_NS1_11comp_targetILNS1_3genE9ELNS1_11target_archE1100ELNS1_3gpuE3ELNS1_3repE0EEENS1_30default_config_static_selectorELNS0_4arch9wavefront6targetE1EEEvT1_.private_seg_size, 0
	.set _ZN7rocprim17ROCPRIM_400000_NS6detail17trampoline_kernelINS0_14default_configENS1_20scan_config_selectorIN3c107complexIfEEEEZZNS1_9scan_implILNS1_25lookback_scan_determinismE0ELb0ELb0ES3_PKS7_PS7_S7_ZZZN2at6native31launch_logcumsumexp_cuda_kernelERKNSE_10TensorBaseESI_lENKUlvE_clEvENKUlvE2_clEvEUlS7_S7_E_S7_EEDaPvRmT3_T4_T5_mT6_P12ihipStream_tbENKUlT_T0_E_clISt17integral_constantIbLb0EESZ_EEDaSU_SV_EUlSU_E_NS1_11comp_targetILNS1_3genE9ELNS1_11target_archE1100ELNS1_3gpuE3ELNS1_3repE0EEENS1_30default_config_static_selectorELNS0_4arch9wavefront6targetE1EEEvT1_.uses_vcc, 0
	.set _ZN7rocprim17ROCPRIM_400000_NS6detail17trampoline_kernelINS0_14default_configENS1_20scan_config_selectorIN3c107complexIfEEEEZZNS1_9scan_implILNS1_25lookback_scan_determinismE0ELb0ELb0ES3_PKS7_PS7_S7_ZZZN2at6native31launch_logcumsumexp_cuda_kernelERKNSE_10TensorBaseESI_lENKUlvE_clEvENKUlvE2_clEvEUlS7_S7_E_S7_EEDaPvRmT3_T4_T5_mT6_P12ihipStream_tbENKUlT_T0_E_clISt17integral_constantIbLb0EESZ_EEDaSU_SV_EUlSU_E_NS1_11comp_targetILNS1_3genE9ELNS1_11target_archE1100ELNS1_3gpuE3ELNS1_3repE0EEENS1_30default_config_static_selectorELNS0_4arch9wavefront6targetE1EEEvT1_.uses_flat_scratch, 0
	.set _ZN7rocprim17ROCPRIM_400000_NS6detail17trampoline_kernelINS0_14default_configENS1_20scan_config_selectorIN3c107complexIfEEEEZZNS1_9scan_implILNS1_25lookback_scan_determinismE0ELb0ELb0ES3_PKS7_PS7_S7_ZZZN2at6native31launch_logcumsumexp_cuda_kernelERKNSE_10TensorBaseESI_lENKUlvE_clEvENKUlvE2_clEvEUlS7_S7_E_S7_EEDaPvRmT3_T4_T5_mT6_P12ihipStream_tbENKUlT_T0_E_clISt17integral_constantIbLb0EESZ_EEDaSU_SV_EUlSU_E_NS1_11comp_targetILNS1_3genE9ELNS1_11target_archE1100ELNS1_3gpuE3ELNS1_3repE0EEENS1_30default_config_static_selectorELNS0_4arch9wavefront6targetE1EEEvT1_.has_dyn_sized_stack, 0
	.set _ZN7rocprim17ROCPRIM_400000_NS6detail17trampoline_kernelINS0_14default_configENS1_20scan_config_selectorIN3c107complexIfEEEEZZNS1_9scan_implILNS1_25lookback_scan_determinismE0ELb0ELb0ES3_PKS7_PS7_S7_ZZZN2at6native31launch_logcumsumexp_cuda_kernelERKNSE_10TensorBaseESI_lENKUlvE_clEvENKUlvE2_clEvEUlS7_S7_E_S7_EEDaPvRmT3_T4_T5_mT6_P12ihipStream_tbENKUlT_T0_E_clISt17integral_constantIbLb0EESZ_EEDaSU_SV_EUlSU_E_NS1_11comp_targetILNS1_3genE9ELNS1_11target_archE1100ELNS1_3gpuE3ELNS1_3repE0EEENS1_30default_config_static_selectorELNS0_4arch9wavefront6targetE1EEEvT1_.has_recursion, 0
	.set _ZN7rocprim17ROCPRIM_400000_NS6detail17trampoline_kernelINS0_14default_configENS1_20scan_config_selectorIN3c107complexIfEEEEZZNS1_9scan_implILNS1_25lookback_scan_determinismE0ELb0ELb0ES3_PKS7_PS7_S7_ZZZN2at6native31launch_logcumsumexp_cuda_kernelERKNSE_10TensorBaseESI_lENKUlvE_clEvENKUlvE2_clEvEUlS7_S7_E_S7_EEDaPvRmT3_T4_T5_mT6_P12ihipStream_tbENKUlT_T0_E_clISt17integral_constantIbLb0EESZ_EEDaSU_SV_EUlSU_E_NS1_11comp_targetILNS1_3genE9ELNS1_11target_archE1100ELNS1_3gpuE3ELNS1_3repE0EEENS1_30default_config_static_selectorELNS0_4arch9wavefront6targetE1EEEvT1_.has_indirect_call, 0
	.section	.AMDGPU.csdata,"",@progbits
; Kernel info:
; codeLenInByte = 0
; TotalNumSgprs: 6
; NumVgprs: 0
; NumAgprs: 0
; TotalNumVgprs: 0
; ScratchSize: 0
; MemoryBound: 0
; FloatMode: 240
; IeeeMode: 1
; LDSByteSize: 0 bytes/workgroup (compile time only)
; SGPRBlocks: 0
; VGPRBlocks: 0
; NumSGPRsForWavesPerEU: 6
; NumVGPRsForWavesPerEU: 1
; AccumOffset: 4
; Occupancy: 8
; WaveLimiterHint : 0
; COMPUTE_PGM_RSRC2:SCRATCH_EN: 0
; COMPUTE_PGM_RSRC2:USER_SGPR: 2
; COMPUTE_PGM_RSRC2:TRAP_HANDLER: 0
; COMPUTE_PGM_RSRC2:TGID_X_EN: 1
; COMPUTE_PGM_RSRC2:TGID_Y_EN: 0
; COMPUTE_PGM_RSRC2:TGID_Z_EN: 0
; COMPUTE_PGM_RSRC2:TIDIG_COMP_CNT: 0
; COMPUTE_PGM_RSRC3_GFX90A:ACCUM_OFFSET: 0
; COMPUTE_PGM_RSRC3_GFX90A:TG_SPLIT: 0
	.section	.text._ZN7rocprim17ROCPRIM_400000_NS6detail17trampoline_kernelINS0_14default_configENS1_20scan_config_selectorIN3c107complexIfEEEEZZNS1_9scan_implILNS1_25lookback_scan_determinismE0ELb0ELb0ES3_PKS7_PS7_S7_ZZZN2at6native31launch_logcumsumexp_cuda_kernelERKNSE_10TensorBaseESI_lENKUlvE_clEvENKUlvE2_clEvEUlS7_S7_E_S7_EEDaPvRmT3_T4_T5_mT6_P12ihipStream_tbENKUlT_T0_E_clISt17integral_constantIbLb0EESZ_EEDaSU_SV_EUlSU_E_NS1_11comp_targetILNS1_3genE8ELNS1_11target_archE1030ELNS1_3gpuE2ELNS1_3repE0EEENS1_30default_config_static_selectorELNS0_4arch9wavefront6targetE1EEEvT1_,"axG",@progbits,_ZN7rocprim17ROCPRIM_400000_NS6detail17trampoline_kernelINS0_14default_configENS1_20scan_config_selectorIN3c107complexIfEEEEZZNS1_9scan_implILNS1_25lookback_scan_determinismE0ELb0ELb0ES3_PKS7_PS7_S7_ZZZN2at6native31launch_logcumsumexp_cuda_kernelERKNSE_10TensorBaseESI_lENKUlvE_clEvENKUlvE2_clEvEUlS7_S7_E_S7_EEDaPvRmT3_T4_T5_mT6_P12ihipStream_tbENKUlT_T0_E_clISt17integral_constantIbLb0EESZ_EEDaSU_SV_EUlSU_E_NS1_11comp_targetILNS1_3genE8ELNS1_11target_archE1030ELNS1_3gpuE2ELNS1_3repE0EEENS1_30default_config_static_selectorELNS0_4arch9wavefront6targetE1EEEvT1_,comdat
	.globl	_ZN7rocprim17ROCPRIM_400000_NS6detail17trampoline_kernelINS0_14default_configENS1_20scan_config_selectorIN3c107complexIfEEEEZZNS1_9scan_implILNS1_25lookback_scan_determinismE0ELb0ELb0ES3_PKS7_PS7_S7_ZZZN2at6native31launch_logcumsumexp_cuda_kernelERKNSE_10TensorBaseESI_lENKUlvE_clEvENKUlvE2_clEvEUlS7_S7_E_S7_EEDaPvRmT3_T4_T5_mT6_P12ihipStream_tbENKUlT_T0_E_clISt17integral_constantIbLb0EESZ_EEDaSU_SV_EUlSU_E_NS1_11comp_targetILNS1_3genE8ELNS1_11target_archE1030ELNS1_3gpuE2ELNS1_3repE0EEENS1_30default_config_static_selectorELNS0_4arch9wavefront6targetE1EEEvT1_ ; -- Begin function _ZN7rocprim17ROCPRIM_400000_NS6detail17trampoline_kernelINS0_14default_configENS1_20scan_config_selectorIN3c107complexIfEEEEZZNS1_9scan_implILNS1_25lookback_scan_determinismE0ELb0ELb0ES3_PKS7_PS7_S7_ZZZN2at6native31launch_logcumsumexp_cuda_kernelERKNSE_10TensorBaseESI_lENKUlvE_clEvENKUlvE2_clEvEUlS7_S7_E_S7_EEDaPvRmT3_T4_T5_mT6_P12ihipStream_tbENKUlT_T0_E_clISt17integral_constantIbLb0EESZ_EEDaSU_SV_EUlSU_E_NS1_11comp_targetILNS1_3genE8ELNS1_11target_archE1030ELNS1_3gpuE2ELNS1_3repE0EEENS1_30default_config_static_selectorELNS0_4arch9wavefront6targetE1EEEvT1_
	.p2align	8
	.type	_ZN7rocprim17ROCPRIM_400000_NS6detail17trampoline_kernelINS0_14default_configENS1_20scan_config_selectorIN3c107complexIfEEEEZZNS1_9scan_implILNS1_25lookback_scan_determinismE0ELb0ELb0ES3_PKS7_PS7_S7_ZZZN2at6native31launch_logcumsumexp_cuda_kernelERKNSE_10TensorBaseESI_lENKUlvE_clEvENKUlvE2_clEvEUlS7_S7_E_S7_EEDaPvRmT3_T4_T5_mT6_P12ihipStream_tbENKUlT_T0_E_clISt17integral_constantIbLb0EESZ_EEDaSU_SV_EUlSU_E_NS1_11comp_targetILNS1_3genE8ELNS1_11target_archE1030ELNS1_3gpuE2ELNS1_3repE0EEENS1_30default_config_static_selectorELNS0_4arch9wavefront6targetE1EEEvT1_,@function
_ZN7rocprim17ROCPRIM_400000_NS6detail17trampoline_kernelINS0_14default_configENS1_20scan_config_selectorIN3c107complexIfEEEEZZNS1_9scan_implILNS1_25lookback_scan_determinismE0ELb0ELb0ES3_PKS7_PS7_S7_ZZZN2at6native31launch_logcumsumexp_cuda_kernelERKNSE_10TensorBaseESI_lENKUlvE_clEvENKUlvE2_clEvEUlS7_S7_E_S7_EEDaPvRmT3_T4_T5_mT6_P12ihipStream_tbENKUlT_T0_E_clISt17integral_constantIbLb0EESZ_EEDaSU_SV_EUlSU_E_NS1_11comp_targetILNS1_3genE8ELNS1_11target_archE1030ELNS1_3gpuE2ELNS1_3repE0EEENS1_30default_config_static_selectorELNS0_4arch9wavefront6targetE1EEEvT1_: ; @_ZN7rocprim17ROCPRIM_400000_NS6detail17trampoline_kernelINS0_14default_configENS1_20scan_config_selectorIN3c107complexIfEEEEZZNS1_9scan_implILNS1_25lookback_scan_determinismE0ELb0ELb0ES3_PKS7_PS7_S7_ZZZN2at6native31launch_logcumsumexp_cuda_kernelERKNSE_10TensorBaseESI_lENKUlvE_clEvENKUlvE2_clEvEUlS7_S7_E_S7_EEDaPvRmT3_T4_T5_mT6_P12ihipStream_tbENKUlT_T0_E_clISt17integral_constantIbLb0EESZ_EEDaSU_SV_EUlSU_E_NS1_11comp_targetILNS1_3genE8ELNS1_11target_archE1030ELNS1_3gpuE2ELNS1_3repE0EEENS1_30default_config_static_selectorELNS0_4arch9wavefront6targetE1EEEvT1_
; %bb.0:
	.section	.rodata,"a",@progbits
	.p2align	6, 0x0
	.amdhsa_kernel _ZN7rocprim17ROCPRIM_400000_NS6detail17trampoline_kernelINS0_14default_configENS1_20scan_config_selectorIN3c107complexIfEEEEZZNS1_9scan_implILNS1_25lookback_scan_determinismE0ELb0ELb0ES3_PKS7_PS7_S7_ZZZN2at6native31launch_logcumsumexp_cuda_kernelERKNSE_10TensorBaseESI_lENKUlvE_clEvENKUlvE2_clEvEUlS7_S7_E_S7_EEDaPvRmT3_T4_T5_mT6_P12ihipStream_tbENKUlT_T0_E_clISt17integral_constantIbLb0EESZ_EEDaSU_SV_EUlSU_E_NS1_11comp_targetILNS1_3genE8ELNS1_11target_archE1030ELNS1_3gpuE2ELNS1_3repE0EEENS1_30default_config_static_selectorELNS0_4arch9wavefront6targetE1EEEvT1_
		.amdhsa_group_segment_fixed_size 0
		.amdhsa_private_segment_fixed_size 0
		.amdhsa_kernarg_size 104
		.amdhsa_user_sgpr_count 2
		.amdhsa_user_sgpr_dispatch_ptr 0
		.amdhsa_user_sgpr_queue_ptr 0
		.amdhsa_user_sgpr_kernarg_segment_ptr 1
		.amdhsa_user_sgpr_dispatch_id 0
		.amdhsa_user_sgpr_kernarg_preload_length 0
		.amdhsa_user_sgpr_kernarg_preload_offset 0
		.amdhsa_user_sgpr_private_segment_size 0
		.amdhsa_uses_dynamic_stack 0
		.amdhsa_enable_private_segment 0
		.amdhsa_system_sgpr_workgroup_id_x 1
		.amdhsa_system_sgpr_workgroup_id_y 0
		.amdhsa_system_sgpr_workgroup_id_z 0
		.amdhsa_system_sgpr_workgroup_info 0
		.amdhsa_system_vgpr_workitem_id 0
		.amdhsa_next_free_vgpr 1
		.amdhsa_next_free_sgpr 0
		.amdhsa_accum_offset 4
		.amdhsa_reserve_vcc 0
		.amdhsa_float_round_mode_32 0
		.amdhsa_float_round_mode_16_64 0
		.amdhsa_float_denorm_mode_32 3
		.amdhsa_float_denorm_mode_16_64 3
		.amdhsa_dx10_clamp 1
		.amdhsa_ieee_mode 1
		.amdhsa_fp16_overflow 0
		.amdhsa_tg_split 0
		.amdhsa_exception_fp_ieee_invalid_op 0
		.amdhsa_exception_fp_denorm_src 0
		.amdhsa_exception_fp_ieee_div_zero 0
		.amdhsa_exception_fp_ieee_overflow 0
		.amdhsa_exception_fp_ieee_underflow 0
		.amdhsa_exception_fp_ieee_inexact 0
		.amdhsa_exception_int_div_zero 0
	.end_amdhsa_kernel
	.section	.text._ZN7rocprim17ROCPRIM_400000_NS6detail17trampoline_kernelINS0_14default_configENS1_20scan_config_selectorIN3c107complexIfEEEEZZNS1_9scan_implILNS1_25lookback_scan_determinismE0ELb0ELb0ES3_PKS7_PS7_S7_ZZZN2at6native31launch_logcumsumexp_cuda_kernelERKNSE_10TensorBaseESI_lENKUlvE_clEvENKUlvE2_clEvEUlS7_S7_E_S7_EEDaPvRmT3_T4_T5_mT6_P12ihipStream_tbENKUlT_T0_E_clISt17integral_constantIbLb0EESZ_EEDaSU_SV_EUlSU_E_NS1_11comp_targetILNS1_3genE8ELNS1_11target_archE1030ELNS1_3gpuE2ELNS1_3repE0EEENS1_30default_config_static_selectorELNS0_4arch9wavefront6targetE1EEEvT1_,"axG",@progbits,_ZN7rocprim17ROCPRIM_400000_NS6detail17trampoline_kernelINS0_14default_configENS1_20scan_config_selectorIN3c107complexIfEEEEZZNS1_9scan_implILNS1_25lookback_scan_determinismE0ELb0ELb0ES3_PKS7_PS7_S7_ZZZN2at6native31launch_logcumsumexp_cuda_kernelERKNSE_10TensorBaseESI_lENKUlvE_clEvENKUlvE2_clEvEUlS7_S7_E_S7_EEDaPvRmT3_T4_T5_mT6_P12ihipStream_tbENKUlT_T0_E_clISt17integral_constantIbLb0EESZ_EEDaSU_SV_EUlSU_E_NS1_11comp_targetILNS1_3genE8ELNS1_11target_archE1030ELNS1_3gpuE2ELNS1_3repE0EEENS1_30default_config_static_selectorELNS0_4arch9wavefront6targetE1EEEvT1_,comdat
.Lfunc_end272:
	.size	_ZN7rocprim17ROCPRIM_400000_NS6detail17trampoline_kernelINS0_14default_configENS1_20scan_config_selectorIN3c107complexIfEEEEZZNS1_9scan_implILNS1_25lookback_scan_determinismE0ELb0ELb0ES3_PKS7_PS7_S7_ZZZN2at6native31launch_logcumsumexp_cuda_kernelERKNSE_10TensorBaseESI_lENKUlvE_clEvENKUlvE2_clEvEUlS7_S7_E_S7_EEDaPvRmT3_T4_T5_mT6_P12ihipStream_tbENKUlT_T0_E_clISt17integral_constantIbLb0EESZ_EEDaSU_SV_EUlSU_E_NS1_11comp_targetILNS1_3genE8ELNS1_11target_archE1030ELNS1_3gpuE2ELNS1_3repE0EEENS1_30default_config_static_selectorELNS0_4arch9wavefront6targetE1EEEvT1_, .Lfunc_end272-_ZN7rocprim17ROCPRIM_400000_NS6detail17trampoline_kernelINS0_14default_configENS1_20scan_config_selectorIN3c107complexIfEEEEZZNS1_9scan_implILNS1_25lookback_scan_determinismE0ELb0ELb0ES3_PKS7_PS7_S7_ZZZN2at6native31launch_logcumsumexp_cuda_kernelERKNSE_10TensorBaseESI_lENKUlvE_clEvENKUlvE2_clEvEUlS7_S7_E_S7_EEDaPvRmT3_T4_T5_mT6_P12ihipStream_tbENKUlT_T0_E_clISt17integral_constantIbLb0EESZ_EEDaSU_SV_EUlSU_E_NS1_11comp_targetILNS1_3genE8ELNS1_11target_archE1030ELNS1_3gpuE2ELNS1_3repE0EEENS1_30default_config_static_selectorELNS0_4arch9wavefront6targetE1EEEvT1_
                                        ; -- End function
	.set _ZN7rocprim17ROCPRIM_400000_NS6detail17trampoline_kernelINS0_14default_configENS1_20scan_config_selectorIN3c107complexIfEEEEZZNS1_9scan_implILNS1_25lookback_scan_determinismE0ELb0ELb0ES3_PKS7_PS7_S7_ZZZN2at6native31launch_logcumsumexp_cuda_kernelERKNSE_10TensorBaseESI_lENKUlvE_clEvENKUlvE2_clEvEUlS7_S7_E_S7_EEDaPvRmT3_T4_T5_mT6_P12ihipStream_tbENKUlT_T0_E_clISt17integral_constantIbLb0EESZ_EEDaSU_SV_EUlSU_E_NS1_11comp_targetILNS1_3genE8ELNS1_11target_archE1030ELNS1_3gpuE2ELNS1_3repE0EEENS1_30default_config_static_selectorELNS0_4arch9wavefront6targetE1EEEvT1_.num_vgpr, 0
	.set _ZN7rocprim17ROCPRIM_400000_NS6detail17trampoline_kernelINS0_14default_configENS1_20scan_config_selectorIN3c107complexIfEEEEZZNS1_9scan_implILNS1_25lookback_scan_determinismE0ELb0ELb0ES3_PKS7_PS7_S7_ZZZN2at6native31launch_logcumsumexp_cuda_kernelERKNSE_10TensorBaseESI_lENKUlvE_clEvENKUlvE2_clEvEUlS7_S7_E_S7_EEDaPvRmT3_T4_T5_mT6_P12ihipStream_tbENKUlT_T0_E_clISt17integral_constantIbLb0EESZ_EEDaSU_SV_EUlSU_E_NS1_11comp_targetILNS1_3genE8ELNS1_11target_archE1030ELNS1_3gpuE2ELNS1_3repE0EEENS1_30default_config_static_selectorELNS0_4arch9wavefront6targetE1EEEvT1_.num_agpr, 0
	.set _ZN7rocprim17ROCPRIM_400000_NS6detail17trampoline_kernelINS0_14default_configENS1_20scan_config_selectorIN3c107complexIfEEEEZZNS1_9scan_implILNS1_25lookback_scan_determinismE0ELb0ELb0ES3_PKS7_PS7_S7_ZZZN2at6native31launch_logcumsumexp_cuda_kernelERKNSE_10TensorBaseESI_lENKUlvE_clEvENKUlvE2_clEvEUlS7_S7_E_S7_EEDaPvRmT3_T4_T5_mT6_P12ihipStream_tbENKUlT_T0_E_clISt17integral_constantIbLb0EESZ_EEDaSU_SV_EUlSU_E_NS1_11comp_targetILNS1_3genE8ELNS1_11target_archE1030ELNS1_3gpuE2ELNS1_3repE0EEENS1_30default_config_static_selectorELNS0_4arch9wavefront6targetE1EEEvT1_.numbered_sgpr, 0
	.set _ZN7rocprim17ROCPRIM_400000_NS6detail17trampoline_kernelINS0_14default_configENS1_20scan_config_selectorIN3c107complexIfEEEEZZNS1_9scan_implILNS1_25lookback_scan_determinismE0ELb0ELb0ES3_PKS7_PS7_S7_ZZZN2at6native31launch_logcumsumexp_cuda_kernelERKNSE_10TensorBaseESI_lENKUlvE_clEvENKUlvE2_clEvEUlS7_S7_E_S7_EEDaPvRmT3_T4_T5_mT6_P12ihipStream_tbENKUlT_T0_E_clISt17integral_constantIbLb0EESZ_EEDaSU_SV_EUlSU_E_NS1_11comp_targetILNS1_3genE8ELNS1_11target_archE1030ELNS1_3gpuE2ELNS1_3repE0EEENS1_30default_config_static_selectorELNS0_4arch9wavefront6targetE1EEEvT1_.num_named_barrier, 0
	.set _ZN7rocprim17ROCPRIM_400000_NS6detail17trampoline_kernelINS0_14default_configENS1_20scan_config_selectorIN3c107complexIfEEEEZZNS1_9scan_implILNS1_25lookback_scan_determinismE0ELb0ELb0ES3_PKS7_PS7_S7_ZZZN2at6native31launch_logcumsumexp_cuda_kernelERKNSE_10TensorBaseESI_lENKUlvE_clEvENKUlvE2_clEvEUlS7_S7_E_S7_EEDaPvRmT3_T4_T5_mT6_P12ihipStream_tbENKUlT_T0_E_clISt17integral_constantIbLb0EESZ_EEDaSU_SV_EUlSU_E_NS1_11comp_targetILNS1_3genE8ELNS1_11target_archE1030ELNS1_3gpuE2ELNS1_3repE0EEENS1_30default_config_static_selectorELNS0_4arch9wavefront6targetE1EEEvT1_.private_seg_size, 0
	.set _ZN7rocprim17ROCPRIM_400000_NS6detail17trampoline_kernelINS0_14default_configENS1_20scan_config_selectorIN3c107complexIfEEEEZZNS1_9scan_implILNS1_25lookback_scan_determinismE0ELb0ELb0ES3_PKS7_PS7_S7_ZZZN2at6native31launch_logcumsumexp_cuda_kernelERKNSE_10TensorBaseESI_lENKUlvE_clEvENKUlvE2_clEvEUlS7_S7_E_S7_EEDaPvRmT3_T4_T5_mT6_P12ihipStream_tbENKUlT_T0_E_clISt17integral_constantIbLb0EESZ_EEDaSU_SV_EUlSU_E_NS1_11comp_targetILNS1_3genE8ELNS1_11target_archE1030ELNS1_3gpuE2ELNS1_3repE0EEENS1_30default_config_static_selectorELNS0_4arch9wavefront6targetE1EEEvT1_.uses_vcc, 0
	.set _ZN7rocprim17ROCPRIM_400000_NS6detail17trampoline_kernelINS0_14default_configENS1_20scan_config_selectorIN3c107complexIfEEEEZZNS1_9scan_implILNS1_25lookback_scan_determinismE0ELb0ELb0ES3_PKS7_PS7_S7_ZZZN2at6native31launch_logcumsumexp_cuda_kernelERKNSE_10TensorBaseESI_lENKUlvE_clEvENKUlvE2_clEvEUlS7_S7_E_S7_EEDaPvRmT3_T4_T5_mT6_P12ihipStream_tbENKUlT_T0_E_clISt17integral_constantIbLb0EESZ_EEDaSU_SV_EUlSU_E_NS1_11comp_targetILNS1_3genE8ELNS1_11target_archE1030ELNS1_3gpuE2ELNS1_3repE0EEENS1_30default_config_static_selectorELNS0_4arch9wavefront6targetE1EEEvT1_.uses_flat_scratch, 0
	.set _ZN7rocprim17ROCPRIM_400000_NS6detail17trampoline_kernelINS0_14default_configENS1_20scan_config_selectorIN3c107complexIfEEEEZZNS1_9scan_implILNS1_25lookback_scan_determinismE0ELb0ELb0ES3_PKS7_PS7_S7_ZZZN2at6native31launch_logcumsumexp_cuda_kernelERKNSE_10TensorBaseESI_lENKUlvE_clEvENKUlvE2_clEvEUlS7_S7_E_S7_EEDaPvRmT3_T4_T5_mT6_P12ihipStream_tbENKUlT_T0_E_clISt17integral_constantIbLb0EESZ_EEDaSU_SV_EUlSU_E_NS1_11comp_targetILNS1_3genE8ELNS1_11target_archE1030ELNS1_3gpuE2ELNS1_3repE0EEENS1_30default_config_static_selectorELNS0_4arch9wavefront6targetE1EEEvT1_.has_dyn_sized_stack, 0
	.set _ZN7rocprim17ROCPRIM_400000_NS6detail17trampoline_kernelINS0_14default_configENS1_20scan_config_selectorIN3c107complexIfEEEEZZNS1_9scan_implILNS1_25lookback_scan_determinismE0ELb0ELb0ES3_PKS7_PS7_S7_ZZZN2at6native31launch_logcumsumexp_cuda_kernelERKNSE_10TensorBaseESI_lENKUlvE_clEvENKUlvE2_clEvEUlS7_S7_E_S7_EEDaPvRmT3_T4_T5_mT6_P12ihipStream_tbENKUlT_T0_E_clISt17integral_constantIbLb0EESZ_EEDaSU_SV_EUlSU_E_NS1_11comp_targetILNS1_3genE8ELNS1_11target_archE1030ELNS1_3gpuE2ELNS1_3repE0EEENS1_30default_config_static_selectorELNS0_4arch9wavefront6targetE1EEEvT1_.has_recursion, 0
	.set _ZN7rocprim17ROCPRIM_400000_NS6detail17trampoline_kernelINS0_14default_configENS1_20scan_config_selectorIN3c107complexIfEEEEZZNS1_9scan_implILNS1_25lookback_scan_determinismE0ELb0ELb0ES3_PKS7_PS7_S7_ZZZN2at6native31launch_logcumsumexp_cuda_kernelERKNSE_10TensorBaseESI_lENKUlvE_clEvENKUlvE2_clEvEUlS7_S7_E_S7_EEDaPvRmT3_T4_T5_mT6_P12ihipStream_tbENKUlT_T0_E_clISt17integral_constantIbLb0EESZ_EEDaSU_SV_EUlSU_E_NS1_11comp_targetILNS1_3genE8ELNS1_11target_archE1030ELNS1_3gpuE2ELNS1_3repE0EEENS1_30default_config_static_selectorELNS0_4arch9wavefront6targetE1EEEvT1_.has_indirect_call, 0
	.section	.AMDGPU.csdata,"",@progbits
; Kernel info:
; codeLenInByte = 0
; TotalNumSgprs: 6
; NumVgprs: 0
; NumAgprs: 0
; TotalNumVgprs: 0
; ScratchSize: 0
; MemoryBound: 0
; FloatMode: 240
; IeeeMode: 1
; LDSByteSize: 0 bytes/workgroup (compile time only)
; SGPRBlocks: 0
; VGPRBlocks: 0
; NumSGPRsForWavesPerEU: 6
; NumVGPRsForWavesPerEU: 1
; AccumOffset: 4
; Occupancy: 8
; WaveLimiterHint : 0
; COMPUTE_PGM_RSRC2:SCRATCH_EN: 0
; COMPUTE_PGM_RSRC2:USER_SGPR: 2
; COMPUTE_PGM_RSRC2:TRAP_HANDLER: 0
; COMPUTE_PGM_RSRC2:TGID_X_EN: 1
; COMPUTE_PGM_RSRC2:TGID_Y_EN: 0
; COMPUTE_PGM_RSRC2:TGID_Z_EN: 0
; COMPUTE_PGM_RSRC2:TIDIG_COMP_CNT: 0
; COMPUTE_PGM_RSRC3_GFX90A:ACCUM_OFFSET: 0
; COMPUTE_PGM_RSRC3_GFX90A:TG_SPLIT: 0
	.section	.text._ZN7rocprim17ROCPRIM_400000_NS6detail17trampoline_kernelINS0_14default_configENS1_25transform_config_selectorIN3c107complexIfEELb1EEEZNS1_14transform_implILb1ES3_S8_PS7_SA_NS0_8identityIS7_EEEE10hipError_tT2_T3_mT4_P12ihipStream_tbEUlT_E_NS1_11comp_targetILNS1_3genE0ELNS1_11target_archE4294967295ELNS1_3gpuE0ELNS1_3repE0EEENS1_30default_config_static_selectorELNS0_4arch9wavefront6targetE1EEEvT1_,"axG",@progbits,_ZN7rocprim17ROCPRIM_400000_NS6detail17trampoline_kernelINS0_14default_configENS1_25transform_config_selectorIN3c107complexIfEELb1EEEZNS1_14transform_implILb1ES3_S8_PS7_SA_NS0_8identityIS7_EEEE10hipError_tT2_T3_mT4_P12ihipStream_tbEUlT_E_NS1_11comp_targetILNS1_3genE0ELNS1_11target_archE4294967295ELNS1_3gpuE0ELNS1_3repE0EEENS1_30default_config_static_selectorELNS0_4arch9wavefront6targetE1EEEvT1_,comdat
	.protected	_ZN7rocprim17ROCPRIM_400000_NS6detail17trampoline_kernelINS0_14default_configENS1_25transform_config_selectorIN3c107complexIfEELb1EEEZNS1_14transform_implILb1ES3_S8_PS7_SA_NS0_8identityIS7_EEEE10hipError_tT2_T3_mT4_P12ihipStream_tbEUlT_E_NS1_11comp_targetILNS1_3genE0ELNS1_11target_archE4294967295ELNS1_3gpuE0ELNS1_3repE0EEENS1_30default_config_static_selectorELNS0_4arch9wavefront6targetE1EEEvT1_ ; -- Begin function _ZN7rocprim17ROCPRIM_400000_NS6detail17trampoline_kernelINS0_14default_configENS1_25transform_config_selectorIN3c107complexIfEELb1EEEZNS1_14transform_implILb1ES3_S8_PS7_SA_NS0_8identityIS7_EEEE10hipError_tT2_T3_mT4_P12ihipStream_tbEUlT_E_NS1_11comp_targetILNS1_3genE0ELNS1_11target_archE4294967295ELNS1_3gpuE0ELNS1_3repE0EEENS1_30default_config_static_selectorELNS0_4arch9wavefront6targetE1EEEvT1_
	.globl	_ZN7rocprim17ROCPRIM_400000_NS6detail17trampoline_kernelINS0_14default_configENS1_25transform_config_selectorIN3c107complexIfEELb1EEEZNS1_14transform_implILb1ES3_S8_PS7_SA_NS0_8identityIS7_EEEE10hipError_tT2_T3_mT4_P12ihipStream_tbEUlT_E_NS1_11comp_targetILNS1_3genE0ELNS1_11target_archE4294967295ELNS1_3gpuE0ELNS1_3repE0EEENS1_30default_config_static_selectorELNS0_4arch9wavefront6targetE1EEEvT1_
	.p2align	8
	.type	_ZN7rocprim17ROCPRIM_400000_NS6detail17trampoline_kernelINS0_14default_configENS1_25transform_config_selectorIN3c107complexIfEELb1EEEZNS1_14transform_implILb1ES3_S8_PS7_SA_NS0_8identityIS7_EEEE10hipError_tT2_T3_mT4_P12ihipStream_tbEUlT_E_NS1_11comp_targetILNS1_3genE0ELNS1_11target_archE4294967295ELNS1_3gpuE0ELNS1_3repE0EEENS1_30default_config_static_selectorELNS0_4arch9wavefront6targetE1EEEvT1_,@function
_ZN7rocprim17ROCPRIM_400000_NS6detail17trampoline_kernelINS0_14default_configENS1_25transform_config_selectorIN3c107complexIfEELb1EEEZNS1_14transform_implILb1ES3_S8_PS7_SA_NS0_8identityIS7_EEEE10hipError_tT2_T3_mT4_P12ihipStream_tbEUlT_E_NS1_11comp_targetILNS1_3genE0ELNS1_11target_archE4294967295ELNS1_3gpuE0ELNS1_3repE0EEENS1_30default_config_static_selectorELNS0_4arch9wavefront6targetE1EEEvT1_: ; @_ZN7rocprim17ROCPRIM_400000_NS6detail17trampoline_kernelINS0_14default_configENS1_25transform_config_selectorIN3c107complexIfEELb1EEEZNS1_14transform_implILb1ES3_S8_PS7_SA_NS0_8identityIS7_EEEE10hipError_tT2_T3_mT4_P12ihipStream_tbEUlT_E_NS1_11comp_targetILNS1_3genE0ELNS1_11target_archE4294967295ELNS1_3gpuE0ELNS1_3repE0EEENS1_30default_config_static_selectorELNS0_4arch9wavefront6targetE1EEEvT1_
; %bb.0:
	s_load_dword s3, s[0:1], 0x28
	s_load_dword s5, s[0:1], 0x10
	s_lshl_b32 s4, s2, 7
	s_waitcnt lgkmcnt(0)
	s_add_i32 s3, s3, -1
	s_cmp_lg_u32 s2, s3
	s_cselect_b64 s[2:3], -1, 0
	s_sub_i32 s5, s5, s4
	v_cmp_gt_u32_e32 vcc, s5, v0
	s_or_b64 s[2:3], vcc, s[2:3]
	s_and_saveexec_b64 s[6:7], s[2:3]
	s_cbranch_execz .LBB273_2
; %bb.1:
	s_load_dwordx4 s[8:11], s[0:1], 0x0
	s_load_dwordx2 s[2:3], s[0:1], 0x18
	s_mov_b32 s5, 0
	v_lshlrev_b32_e32 v2, 3, v0
	s_waitcnt lgkmcnt(0)
	s_lshl_b64 s[0:1], s[10:11], 3
	s_add_u32 s6, s8, s0
	s_addc_u32 s7, s9, s1
	s_lshl_b64 s[4:5], s[4:5], 3
	s_add_u32 s6, s6, s4
	s_addc_u32 s7, s7, s5
	global_load_dwordx2 v[0:1], v2, s[6:7]
	s_add_u32 s0, s2, s0
	s_addc_u32 s1, s3, s1
	s_add_u32 s0, s0, s4
	s_addc_u32 s1, s1, s5
	s_waitcnt vmcnt(0)
	global_store_dwordx2 v2, v[0:1], s[0:1]
.LBB273_2:
	s_endpgm
	.section	.rodata,"a",@progbits
	.p2align	6, 0x0
	.amdhsa_kernel _ZN7rocprim17ROCPRIM_400000_NS6detail17trampoline_kernelINS0_14default_configENS1_25transform_config_selectorIN3c107complexIfEELb1EEEZNS1_14transform_implILb1ES3_S8_PS7_SA_NS0_8identityIS7_EEEE10hipError_tT2_T3_mT4_P12ihipStream_tbEUlT_E_NS1_11comp_targetILNS1_3genE0ELNS1_11target_archE4294967295ELNS1_3gpuE0ELNS1_3repE0EEENS1_30default_config_static_selectorELNS0_4arch9wavefront6targetE1EEEvT1_
		.amdhsa_group_segment_fixed_size 0
		.amdhsa_private_segment_fixed_size 0
		.amdhsa_kernarg_size 296
		.amdhsa_user_sgpr_count 2
		.amdhsa_user_sgpr_dispatch_ptr 0
		.amdhsa_user_sgpr_queue_ptr 0
		.amdhsa_user_sgpr_kernarg_segment_ptr 1
		.amdhsa_user_sgpr_dispatch_id 0
		.amdhsa_user_sgpr_kernarg_preload_length 0
		.amdhsa_user_sgpr_kernarg_preload_offset 0
		.amdhsa_user_sgpr_private_segment_size 0
		.amdhsa_uses_dynamic_stack 0
		.amdhsa_enable_private_segment 0
		.amdhsa_system_sgpr_workgroup_id_x 1
		.amdhsa_system_sgpr_workgroup_id_y 0
		.amdhsa_system_sgpr_workgroup_id_z 0
		.amdhsa_system_sgpr_workgroup_info 0
		.amdhsa_system_vgpr_workitem_id 0
		.amdhsa_next_free_vgpr 3
		.amdhsa_next_free_sgpr 12
		.amdhsa_accum_offset 4
		.amdhsa_reserve_vcc 1
		.amdhsa_float_round_mode_32 0
		.amdhsa_float_round_mode_16_64 0
		.amdhsa_float_denorm_mode_32 3
		.amdhsa_float_denorm_mode_16_64 3
		.amdhsa_dx10_clamp 1
		.amdhsa_ieee_mode 1
		.amdhsa_fp16_overflow 0
		.amdhsa_tg_split 0
		.amdhsa_exception_fp_ieee_invalid_op 0
		.amdhsa_exception_fp_denorm_src 0
		.amdhsa_exception_fp_ieee_div_zero 0
		.amdhsa_exception_fp_ieee_overflow 0
		.amdhsa_exception_fp_ieee_underflow 0
		.amdhsa_exception_fp_ieee_inexact 0
		.amdhsa_exception_int_div_zero 0
	.end_amdhsa_kernel
	.section	.text._ZN7rocprim17ROCPRIM_400000_NS6detail17trampoline_kernelINS0_14default_configENS1_25transform_config_selectorIN3c107complexIfEELb1EEEZNS1_14transform_implILb1ES3_S8_PS7_SA_NS0_8identityIS7_EEEE10hipError_tT2_T3_mT4_P12ihipStream_tbEUlT_E_NS1_11comp_targetILNS1_3genE0ELNS1_11target_archE4294967295ELNS1_3gpuE0ELNS1_3repE0EEENS1_30default_config_static_selectorELNS0_4arch9wavefront6targetE1EEEvT1_,"axG",@progbits,_ZN7rocprim17ROCPRIM_400000_NS6detail17trampoline_kernelINS0_14default_configENS1_25transform_config_selectorIN3c107complexIfEELb1EEEZNS1_14transform_implILb1ES3_S8_PS7_SA_NS0_8identityIS7_EEEE10hipError_tT2_T3_mT4_P12ihipStream_tbEUlT_E_NS1_11comp_targetILNS1_3genE0ELNS1_11target_archE4294967295ELNS1_3gpuE0ELNS1_3repE0EEENS1_30default_config_static_selectorELNS0_4arch9wavefront6targetE1EEEvT1_,comdat
.Lfunc_end273:
	.size	_ZN7rocprim17ROCPRIM_400000_NS6detail17trampoline_kernelINS0_14default_configENS1_25transform_config_selectorIN3c107complexIfEELb1EEEZNS1_14transform_implILb1ES3_S8_PS7_SA_NS0_8identityIS7_EEEE10hipError_tT2_T3_mT4_P12ihipStream_tbEUlT_E_NS1_11comp_targetILNS1_3genE0ELNS1_11target_archE4294967295ELNS1_3gpuE0ELNS1_3repE0EEENS1_30default_config_static_selectorELNS0_4arch9wavefront6targetE1EEEvT1_, .Lfunc_end273-_ZN7rocprim17ROCPRIM_400000_NS6detail17trampoline_kernelINS0_14default_configENS1_25transform_config_selectorIN3c107complexIfEELb1EEEZNS1_14transform_implILb1ES3_S8_PS7_SA_NS0_8identityIS7_EEEE10hipError_tT2_T3_mT4_P12ihipStream_tbEUlT_E_NS1_11comp_targetILNS1_3genE0ELNS1_11target_archE4294967295ELNS1_3gpuE0ELNS1_3repE0EEENS1_30default_config_static_selectorELNS0_4arch9wavefront6targetE1EEEvT1_
                                        ; -- End function
	.set _ZN7rocprim17ROCPRIM_400000_NS6detail17trampoline_kernelINS0_14default_configENS1_25transform_config_selectorIN3c107complexIfEELb1EEEZNS1_14transform_implILb1ES3_S8_PS7_SA_NS0_8identityIS7_EEEE10hipError_tT2_T3_mT4_P12ihipStream_tbEUlT_E_NS1_11comp_targetILNS1_3genE0ELNS1_11target_archE4294967295ELNS1_3gpuE0ELNS1_3repE0EEENS1_30default_config_static_selectorELNS0_4arch9wavefront6targetE1EEEvT1_.num_vgpr, 3
	.set _ZN7rocprim17ROCPRIM_400000_NS6detail17trampoline_kernelINS0_14default_configENS1_25transform_config_selectorIN3c107complexIfEELb1EEEZNS1_14transform_implILb1ES3_S8_PS7_SA_NS0_8identityIS7_EEEE10hipError_tT2_T3_mT4_P12ihipStream_tbEUlT_E_NS1_11comp_targetILNS1_3genE0ELNS1_11target_archE4294967295ELNS1_3gpuE0ELNS1_3repE0EEENS1_30default_config_static_selectorELNS0_4arch9wavefront6targetE1EEEvT1_.num_agpr, 0
	.set _ZN7rocprim17ROCPRIM_400000_NS6detail17trampoline_kernelINS0_14default_configENS1_25transform_config_selectorIN3c107complexIfEELb1EEEZNS1_14transform_implILb1ES3_S8_PS7_SA_NS0_8identityIS7_EEEE10hipError_tT2_T3_mT4_P12ihipStream_tbEUlT_E_NS1_11comp_targetILNS1_3genE0ELNS1_11target_archE4294967295ELNS1_3gpuE0ELNS1_3repE0EEENS1_30default_config_static_selectorELNS0_4arch9wavefront6targetE1EEEvT1_.numbered_sgpr, 12
	.set _ZN7rocprim17ROCPRIM_400000_NS6detail17trampoline_kernelINS0_14default_configENS1_25transform_config_selectorIN3c107complexIfEELb1EEEZNS1_14transform_implILb1ES3_S8_PS7_SA_NS0_8identityIS7_EEEE10hipError_tT2_T3_mT4_P12ihipStream_tbEUlT_E_NS1_11comp_targetILNS1_3genE0ELNS1_11target_archE4294967295ELNS1_3gpuE0ELNS1_3repE0EEENS1_30default_config_static_selectorELNS0_4arch9wavefront6targetE1EEEvT1_.num_named_barrier, 0
	.set _ZN7rocprim17ROCPRIM_400000_NS6detail17trampoline_kernelINS0_14default_configENS1_25transform_config_selectorIN3c107complexIfEELb1EEEZNS1_14transform_implILb1ES3_S8_PS7_SA_NS0_8identityIS7_EEEE10hipError_tT2_T3_mT4_P12ihipStream_tbEUlT_E_NS1_11comp_targetILNS1_3genE0ELNS1_11target_archE4294967295ELNS1_3gpuE0ELNS1_3repE0EEENS1_30default_config_static_selectorELNS0_4arch9wavefront6targetE1EEEvT1_.private_seg_size, 0
	.set _ZN7rocprim17ROCPRIM_400000_NS6detail17trampoline_kernelINS0_14default_configENS1_25transform_config_selectorIN3c107complexIfEELb1EEEZNS1_14transform_implILb1ES3_S8_PS7_SA_NS0_8identityIS7_EEEE10hipError_tT2_T3_mT4_P12ihipStream_tbEUlT_E_NS1_11comp_targetILNS1_3genE0ELNS1_11target_archE4294967295ELNS1_3gpuE0ELNS1_3repE0EEENS1_30default_config_static_selectorELNS0_4arch9wavefront6targetE1EEEvT1_.uses_vcc, 1
	.set _ZN7rocprim17ROCPRIM_400000_NS6detail17trampoline_kernelINS0_14default_configENS1_25transform_config_selectorIN3c107complexIfEELb1EEEZNS1_14transform_implILb1ES3_S8_PS7_SA_NS0_8identityIS7_EEEE10hipError_tT2_T3_mT4_P12ihipStream_tbEUlT_E_NS1_11comp_targetILNS1_3genE0ELNS1_11target_archE4294967295ELNS1_3gpuE0ELNS1_3repE0EEENS1_30default_config_static_selectorELNS0_4arch9wavefront6targetE1EEEvT1_.uses_flat_scratch, 0
	.set _ZN7rocprim17ROCPRIM_400000_NS6detail17trampoline_kernelINS0_14default_configENS1_25transform_config_selectorIN3c107complexIfEELb1EEEZNS1_14transform_implILb1ES3_S8_PS7_SA_NS0_8identityIS7_EEEE10hipError_tT2_T3_mT4_P12ihipStream_tbEUlT_E_NS1_11comp_targetILNS1_3genE0ELNS1_11target_archE4294967295ELNS1_3gpuE0ELNS1_3repE0EEENS1_30default_config_static_selectorELNS0_4arch9wavefront6targetE1EEEvT1_.has_dyn_sized_stack, 0
	.set _ZN7rocprim17ROCPRIM_400000_NS6detail17trampoline_kernelINS0_14default_configENS1_25transform_config_selectorIN3c107complexIfEELb1EEEZNS1_14transform_implILb1ES3_S8_PS7_SA_NS0_8identityIS7_EEEE10hipError_tT2_T3_mT4_P12ihipStream_tbEUlT_E_NS1_11comp_targetILNS1_3genE0ELNS1_11target_archE4294967295ELNS1_3gpuE0ELNS1_3repE0EEENS1_30default_config_static_selectorELNS0_4arch9wavefront6targetE1EEEvT1_.has_recursion, 0
	.set _ZN7rocprim17ROCPRIM_400000_NS6detail17trampoline_kernelINS0_14default_configENS1_25transform_config_selectorIN3c107complexIfEELb1EEEZNS1_14transform_implILb1ES3_S8_PS7_SA_NS0_8identityIS7_EEEE10hipError_tT2_T3_mT4_P12ihipStream_tbEUlT_E_NS1_11comp_targetILNS1_3genE0ELNS1_11target_archE4294967295ELNS1_3gpuE0ELNS1_3repE0EEENS1_30default_config_static_selectorELNS0_4arch9wavefront6targetE1EEEvT1_.has_indirect_call, 0
	.section	.AMDGPU.csdata,"",@progbits
; Kernel info:
; codeLenInByte = 148
; TotalNumSgprs: 18
; NumVgprs: 3
; NumAgprs: 0
; TotalNumVgprs: 3
; ScratchSize: 0
; MemoryBound: 0
; FloatMode: 240
; IeeeMode: 1
; LDSByteSize: 0 bytes/workgroup (compile time only)
; SGPRBlocks: 2
; VGPRBlocks: 0
; NumSGPRsForWavesPerEU: 18
; NumVGPRsForWavesPerEU: 3
; AccumOffset: 4
; Occupancy: 8
; WaveLimiterHint : 0
; COMPUTE_PGM_RSRC2:SCRATCH_EN: 0
; COMPUTE_PGM_RSRC2:USER_SGPR: 2
; COMPUTE_PGM_RSRC2:TRAP_HANDLER: 0
; COMPUTE_PGM_RSRC2:TGID_X_EN: 1
; COMPUTE_PGM_RSRC2:TGID_Y_EN: 0
; COMPUTE_PGM_RSRC2:TGID_Z_EN: 0
; COMPUTE_PGM_RSRC2:TIDIG_COMP_CNT: 0
; COMPUTE_PGM_RSRC3_GFX90A:ACCUM_OFFSET: 0
; COMPUTE_PGM_RSRC3_GFX90A:TG_SPLIT: 0
	.section	.text._ZN7rocprim17ROCPRIM_400000_NS6detail17trampoline_kernelINS0_14default_configENS1_25transform_config_selectorIN3c107complexIfEELb1EEEZNS1_14transform_implILb1ES3_S8_PS7_SA_NS0_8identityIS7_EEEE10hipError_tT2_T3_mT4_P12ihipStream_tbEUlT_E_NS1_11comp_targetILNS1_3genE10ELNS1_11target_archE1201ELNS1_3gpuE5ELNS1_3repE0EEENS1_30default_config_static_selectorELNS0_4arch9wavefront6targetE1EEEvT1_,"axG",@progbits,_ZN7rocprim17ROCPRIM_400000_NS6detail17trampoline_kernelINS0_14default_configENS1_25transform_config_selectorIN3c107complexIfEELb1EEEZNS1_14transform_implILb1ES3_S8_PS7_SA_NS0_8identityIS7_EEEE10hipError_tT2_T3_mT4_P12ihipStream_tbEUlT_E_NS1_11comp_targetILNS1_3genE10ELNS1_11target_archE1201ELNS1_3gpuE5ELNS1_3repE0EEENS1_30default_config_static_selectorELNS0_4arch9wavefront6targetE1EEEvT1_,comdat
	.protected	_ZN7rocprim17ROCPRIM_400000_NS6detail17trampoline_kernelINS0_14default_configENS1_25transform_config_selectorIN3c107complexIfEELb1EEEZNS1_14transform_implILb1ES3_S8_PS7_SA_NS0_8identityIS7_EEEE10hipError_tT2_T3_mT4_P12ihipStream_tbEUlT_E_NS1_11comp_targetILNS1_3genE10ELNS1_11target_archE1201ELNS1_3gpuE5ELNS1_3repE0EEENS1_30default_config_static_selectorELNS0_4arch9wavefront6targetE1EEEvT1_ ; -- Begin function _ZN7rocprim17ROCPRIM_400000_NS6detail17trampoline_kernelINS0_14default_configENS1_25transform_config_selectorIN3c107complexIfEELb1EEEZNS1_14transform_implILb1ES3_S8_PS7_SA_NS0_8identityIS7_EEEE10hipError_tT2_T3_mT4_P12ihipStream_tbEUlT_E_NS1_11comp_targetILNS1_3genE10ELNS1_11target_archE1201ELNS1_3gpuE5ELNS1_3repE0EEENS1_30default_config_static_selectorELNS0_4arch9wavefront6targetE1EEEvT1_
	.globl	_ZN7rocprim17ROCPRIM_400000_NS6detail17trampoline_kernelINS0_14default_configENS1_25transform_config_selectorIN3c107complexIfEELb1EEEZNS1_14transform_implILb1ES3_S8_PS7_SA_NS0_8identityIS7_EEEE10hipError_tT2_T3_mT4_P12ihipStream_tbEUlT_E_NS1_11comp_targetILNS1_3genE10ELNS1_11target_archE1201ELNS1_3gpuE5ELNS1_3repE0EEENS1_30default_config_static_selectorELNS0_4arch9wavefront6targetE1EEEvT1_
	.p2align	8
	.type	_ZN7rocprim17ROCPRIM_400000_NS6detail17trampoline_kernelINS0_14default_configENS1_25transform_config_selectorIN3c107complexIfEELb1EEEZNS1_14transform_implILb1ES3_S8_PS7_SA_NS0_8identityIS7_EEEE10hipError_tT2_T3_mT4_P12ihipStream_tbEUlT_E_NS1_11comp_targetILNS1_3genE10ELNS1_11target_archE1201ELNS1_3gpuE5ELNS1_3repE0EEENS1_30default_config_static_selectorELNS0_4arch9wavefront6targetE1EEEvT1_,@function
_ZN7rocprim17ROCPRIM_400000_NS6detail17trampoline_kernelINS0_14default_configENS1_25transform_config_selectorIN3c107complexIfEELb1EEEZNS1_14transform_implILb1ES3_S8_PS7_SA_NS0_8identityIS7_EEEE10hipError_tT2_T3_mT4_P12ihipStream_tbEUlT_E_NS1_11comp_targetILNS1_3genE10ELNS1_11target_archE1201ELNS1_3gpuE5ELNS1_3repE0EEENS1_30default_config_static_selectorELNS0_4arch9wavefront6targetE1EEEvT1_: ; @_ZN7rocprim17ROCPRIM_400000_NS6detail17trampoline_kernelINS0_14default_configENS1_25transform_config_selectorIN3c107complexIfEELb1EEEZNS1_14transform_implILb1ES3_S8_PS7_SA_NS0_8identityIS7_EEEE10hipError_tT2_T3_mT4_P12ihipStream_tbEUlT_E_NS1_11comp_targetILNS1_3genE10ELNS1_11target_archE1201ELNS1_3gpuE5ELNS1_3repE0EEENS1_30default_config_static_selectorELNS0_4arch9wavefront6targetE1EEEvT1_
; %bb.0:
	.section	.rodata,"a",@progbits
	.p2align	6, 0x0
	.amdhsa_kernel _ZN7rocprim17ROCPRIM_400000_NS6detail17trampoline_kernelINS0_14default_configENS1_25transform_config_selectorIN3c107complexIfEELb1EEEZNS1_14transform_implILb1ES3_S8_PS7_SA_NS0_8identityIS7_EEEE10hipError_tT2_T3_mT4_P12ihipStream_tbEUlT_E_NS1_11comp_targetILNS1_3genE10ELNS1_11target_archE1201ELNS1_3gpuE5ELNS1_3repE0EEENS1_30default_config_static_selectorELNS0_4arch9wavefront6targetE1EEEvT1_
		.amdhsa_group_segment_fixed_size 0
		.amdhsa_private_segment_fixed_size 0
		.amdhsa_kernarg_size 40
		.amdhsa_user_sgpr_count 2
		.amdhsa_user_sgpr_dispatch_ptr 0
		.amdhsa_user_sgpr_queue_ptr 0
		.amdhsa_user_sgpr_kernarg_segment_ptr 1
		.amdhsa_user_sgpr_dispatch_id 0
		.amdhsa_user_sgpr_kernarg_preload_length 0
		.amdhsa_user_sgpr_kernarg_preload_offset 0
		.amdhsa_user_sgpr_private_segment_size 0
		.amdhsa_uses_dynamic_stack 0
		.amdhsa_enable_private_segment 0
		.amdhsa_system_sgpr_workgroup_id_x 1
		.amdhsa_system_sgpr_workgroup_id_y 0
		.amdhsa_system_sgpr_workgroup_id_z 0
		.amdhsa_system_sgpr_workgroup_info 0
		.amdhsa_system_vgpr_workitem_id 0
		.amdhsa_next_free_vgpr 1
		.amdhsa_next_free_sgpr 0
		.amdhsa_accum_offset 4
		.amdhsa_reserve_vcc 0
		.amdhsa_float_round_mode_32 0
		.amdhsa_float_round_mode_16_64 0
		.amdhsa_float_denorm_mode_32 3
		.amdhsa_float_denorm_mode_16_64 3
		.amdhsa_dx10_clamp 1
		.amdhsa_ieee_mode 1
		.amdhsa_fp16_overflow 0
		.amdhsa_tg_split 0
		.amdhsa_exception_fp_ieee_invalid_op 0
		.amdhsa_exception_fp_denorm_src 0
		.amdhsa_exception_fp_ieee_div_zero 0
		.amdhsa_exception_fp_ieee_overflow 0
		.amdhsa_exception_fp_ieee_underflow 0
		.amdhsa_exception_fp_ieee_inexact 0
		.amdhsa_exception_int_div_zero 0
	.end_amdhsa_kernel
	.section	.text._ZN7rocprim17ROCPRIM_400000_NS6detail17trampoline_kernelINS0_14default_configENS1_25transform_config_selectorIN3c107complexIfEELb1EEEZNS1_14transform_implILb1ES3_S8_PS7_SA_NS0_8identityIS7_EEEE10hipError_tT2_T3_mT4_P12ihipStream_tbEUlT_E_NS1_11comp_targetILNS1_3genE10ELNS1_11target_archE1201ELNS1_3gpuE5ELNS1_3repE0EEENS1_30default_config_static_selectorELNS0_4arch9wavefront6targetE1EEEvT1_,"axG",@progbits,_ZN7rocprim17ROCPRIM_400000_NS6detail17trampoline_kernelINS0_14default_configENS1_25transform_config_selectorIN3c107complexIfEELb1EEEZNS1_14transform_implILb1ES3_S8_PS7_SA_NS0_8identityIS7_EEEE10hipError_tT2_T3_mT4_P12ihipStream_tbEUlT_E_NS1_11comp_targetILNS1_3genE10ELNS1_11target_archE1201ELNS1_3gpuE5ELNS1_3repE0EEENS1_30default_config_static_selectorELNS0_4arch9wavefront6targetE1EEEvT1_,comdat
.Lfunc_end274:
	.size	_ZN7rocprim17ROCPRIM_400000_NS6detail17trampoline_kernelINS0_14default_configENS1_25transform_config_selectorIN3c107complexIfEELb1EEEZNS1_14transform_implILb1ES3_S8_PS7_SA_NS0_8identityIS7_EEEE10hipError_tT2_T3_mT4_P12ihipStream_tbEUlT_E_NS1_11comp_targetILNS1_3genE10ELNS1_11target_archE1201ELNS1_3gpuE5ELNS1_3repE0EEENS1_30default_config_static_selectorELNS0_4arch9wavefront6targetE1EEEvT1_, .Lfunc_end274-_ZN7rocprim17ROCPRIM_400000_NS6detail17trampoline_kernelINS0_14default_configENS1_25transform_config_selectorIN3c107complexIfEELb1EEEZNS1_14transform_implILb1ES3_S8_PS7_SA_NS0_8identityIS7_EEEE10hipError_tT2_T3_mT4_P12ihipStream_tbEUlT_E_NS1_11comp_targetILNS1_3genE10ELNS1_11target_archE1201ELNS1_3gpuE5ELNS1_3repE0EEENS1_30default_config_static_selectorELNS0_4arch9wavefront6targetE1EEEvT1_
                                        ; -- End function
	.set _ZN7rocprim17ROCPRIM_400000_NS6detail17trampoline_kernelINS0_14default_configENS1_25transform_config_selectorIN3c107complexIfEELb1EEEZNS1_14transform_implILb1ES3_S8_PS7_SA_NS0_8identityIS7_EEEE10hipError_tT2_T3_mT4_P12ihipStream_tbEUlT_E_NS1_11comp_targetILNS1_3genE10ELNS1_11target_archE1201ELNS1_3gpuE5ELNS1_3repE0EEENS1_30default_config_static_selectorELNS0_4arch9wavefront6targetE1EEEvT1_.num_vgpr, 0
	.set _ZN7rocprim17ROCPRIM_400000_NS6detail17trampoline_kernelINS0_14default_configENS1_25transform_config_selectorIN3c107complexIfEELb1EEEZNS1_14transform_implILb1ES3_S8_PS7_SA_NS0_8identityIS7_EEEE10hipError_tT2_T3_mT4_P12ihipStream_tbEUlT_E_NS1_11comp_targetILNS1_3genE10ELNS1_11target_archE1201ELNS1_3gpuE5ELNS1_3repE0EEENS1_30default_config_static_selectorELNS0_4arch9wavefront6targetE1EEEvT1_.num_agpr, 0
	.set _ZN7rocprim17ROCPRIM_400000_NS6detail17trampoline_kernelINS0_14default_configENS1_25transform_config_selectorIN3c107complexIfEELb1EEEZNS1_14transform_implILb1ES3_S8_PS7_SA_NS0_8identityIS7_EEEE10hipError_tT2_T3_mT4_P12ihipStream_tbEUlT_E_NS1_11comp_targetILNS1_3genE10ELNS1_11target_archE1201ELNS1_3gpuE5ELNS1_3repE0EEENS1_30default_config_static_selectorELNS0_4arch9wavefront6targetE1EEEvT1_.numbered_sgpr, 0
	.set _ZN7rocprim17ROCPRIM_400000_NS6detail17trampoline_kernelINS0_14default_configENS1_25transform_config_selectorIN3c107complexIfEELb1EEEZNS1_14transform_implILb1ES3_S8_PS7_SA_NS0_8identityIS7_EEEE10hipError_tT2_T3_mT4_P12ihipStream_tbEUlT_E_NS1_11comp_targetILNS1_3genE10ELNS1_11target_archE1201ELNS1_3gpuE5ELNS1_3repE0EEENS1_30default_config_static_selectorELNS0_4arch9wavefront6targetE1EEEvT1_.num_named_barrier, 0
	.set _ZN7rocprim17ROCPRIM_400000_NS6detail17trampoline_kernelINS0_14default_configENS1_25transform_config_selectorIN3c107complexIfEELb1EEEZNS1_14transform_implILb1ES3_S8_PS7_SA_NS0_8identityIS7_EEEE10hipError_tT2_T3_mT4_P12ihipStream_tbEUlT_E_NS1_11comp_targetILNS1_3genE10ELNS1_11target_archE1201ELNS1_3gpuE5ELNS1_3repE0EEENS1_30default_config_static_selectorELNS0_4arch9wavefront6targetE1EEEvT1_.private_seg_size, 0
	.set _ZN7rocprim17ROCPRIM_400000_NS6detail17trampoline_kernelINS0_14default_configENS1_25transform_config_selectorIN3c107complexIfEELb1EEEZNS1_14transform_implILb1ES3_S8_PS7_SA_NS0_8identityIS7_EEEE10hipError_tT2_T3_mT4_P12ihipStream_tbEUlT_E_NS1_11comp_targetILNS1_3genE10ELNS1_11target_archE1201ELNS1_3gpuE5ELNS1_3repE0EEENS1_30default_config_static_selectorELNS0_4arch9wavefront6targetE1EEEvT1_.uses_vcc, 0
	.set _ZN7rocprim17ROCPRIM_400000_NS6detail17trampoline_kernelINS0_14default_configENS1_25transform_config_selectorIN3c107complexIfEELb1EEEZNS1_14transform_implILb1ES3_S8_PS7_SA_NS0_8identityIS7_EEEE10hipError_tT2_T3_mT4_P12ihipStream_tbEUlT_E_NS1_11comp_targetILNS1_3genE10ELNS1_11target_archE1201ELNS1_3gpuE5ELNS1_3repE0EEENS1_30default_config_static_selectorELNS0_4arch9wavefront6targetE1EEEvT1_.uses_flat_scratch, 0
	.set _ZN7rocprim17ROCPRIM_400000_NS6detail17trampoline_kernelINS0_14default_configENS1_25transform_config_selectorIN3c107complexIfEELb1EEEZNS1_14transform_implILb1ES3_S8_PS7_SA_NS0_8identityIS7_EEEE10hipError_tT2_T3_mT4_P12ihipStream_tbEUlT_E_NS1_11comp_targetILNS1_3genE10ELNS1_11target_archE1201ELNS1_3gpuE5ELNS1_3repE0EEENS1_30default_config_static_selectorELNS0_4arch9wavefront6targetE1EEEvT1_.has_dyn_sized_stack, 0
	.set _ZN7rocprim17ROCPRIM_400000_NS6detail17trampoline_kernelINS0_14default_configENS1_25transform_config_selectorIN3c107complexIfEELb1EEEZNS1_14transform_implILb1ES3_S8_PS7_SA_NS0_8identityIS7_EEEE10hipError_tT2_T3_mT4_P12ihipStream_tbEUlT_E_NS1_11comp_targetILNS1_3genE10ELNS1_11target_archE1201ELNS1_3gpuE5ELNS1_3repE0EEENS1_30default_config_static_selectorELNS0_4arch9wavefront6targetE1EEEvT1_.has_recursion, 0
	.set _ZN7rocprim17ROCPRIM_400000_NS6detail17trampoline_kernelINS0_14default_configENS1_25transform_config_selectorIN3c107complexIfEELb1EEEZNS1_14transform_implILb1ES3_S8_PS7_SA_NS0_8identityIS7_EEEE10hipError_tT2_T3_mT4_P12ihipStream_tbEUlT_E_NS1_11comp_targetILNS1_3genE10ELNS1_11target_archE1201ELNS1_3gpuE5ELNS1_3repE0EEENS1_30default_config_static_selectorELNS0_4arch9wavefront6targetE1EEEvT1_.has_indirect_call, 0
	.section	.AMDGPU.csdata,"",@progbits
; Kernel info:
; codeLenInByte = 0
; TotalNumSgprs: 6
; NumVgprs: 0
; NumAgprs: 0
; TotalNumVgprs: 0
; ScratchSize: 0
; MemoryBound: 0
; FloatMode: 240
; IeeeMode: 1
; LDSByteSize: 0 bytes/workgroup (compile time only)
; SGPRBlocks: 0
; VGPRBlocks: 0
; NumSGPRsForWavesPerEU: 6
; NumVGPRsForWavesPerEU: 1
; AccumOffset: 4
; Occupancy: 8
; WaveLimiterHint : 0
; COMPUTE_PGM_RSRC2:SCRATCH_EN: 0
; COMPUTE_PGM_RSRC2:USER_SGPR: 2
; COMPUTE_PGM_RSRC2:TRAP_HANDLER: 0
; COMPUTE_PGM_RSRC2:TGID_X_EN: 1
; COMPUTE_PGM_RSRC2:TGID_Y_EN: 0
; COMPUTE_PGM_RSRC2:TGID_Z_EN: 0
; COMPUTE_PGM_RSRC2:TIDIG_COMP_CNT: 0
; COMPUTE_PGM_RSRC3_GFX90A:ACCUM_OFFSET: 0
; COMPUTE_PGM_RSRC3_GFX90A:TG_SPLIT: 0
	.section	.text._ZN7rocprim17ROCPRIM_400000_NS6detail17trampoline_kernelINS0_14default_configENS1_25transform_config_selectorIN3c107complexIfEELb1EEEZNS1_14transform_implILb1ES3_S8_PS7_SA_NS0_8identityIS7_EEEE10hipError_tT2_T3_mT4_P12ihipStream_tbEUlT_E_NS1_11comp_targetILNS1_3genE5ELNS1_11target_archE942ELNS1_3gpuE9ELNS1_3repE0EEENS1_30default_config_static_selectorELNS0_4arch9wavefront6targetE1EEEvT1_,"axG",@progbits,_ZN7rocprim17ROCPRIM_400000_NS6detail17trampoline_kernelINS0_14default_configENS1_25transform_config_selectorIN3c107complexIfEELb1EEEZNS1_14transform_implILb1ES3_S8_PS7_SA_NS0_8identityIS7_EEEE10hipError_tT2_T3_mT4_P12ihipStream_tbEUlT_E_NS1_11comp_targetILNS1_3genE5ELNS1_11target_archE942ELNS1_3gpuE9ELNS1_3repE0EEENS1_30default_config_static_selectorELNS0_4arch9wavefront6targetE1EEEvT1_,comdat
	.protected	_ZN7rocprim17ROCPRIM_400000_NS6detail17trampoline_kernelINS0_14default_configENS1_25transform_config_selectorIN3c107complexIfEELb1EEEZNS1_14transform_implILb1ES3_S8_PS7_SA_NS0_8identityIS7_EEEE10hipError_tT2_T3_mT4_P12ihipStream_tbEUlT_E_NS1_11comp_targetILNS1_3genE5ELNS1_11target_archE942ELNS1_3gpuE9ELNS1_3repE0EEENS1_30default_config_static_selectorELNS0_4arch9wavefront6targetE1EEEvT1_ ; -- Begin function _ZN7rocprim17ROCPRIM_400000_NS6detail17trampoline_kernelINS0_14default_configENS1_25transform_config_selectorIN3c107complexIfEELb1EEEZNS1_14transform_implILb1ES3_S8_PS7_SA_NS0_8identityIS7_EEEE10hipError_tT2_T3_mT4_P12ihipStream_tbEUlT_E_NS1_11comp_targetILNS1_3genE5ELNS1_11target_archE942ELNS1_3gpuE9ELNS1_3repE0EEENS1_30default_config_static_selectorELNS0_4arch9wavefront6targetE1EEEvT1_
	.globl	_ZN7rocprim17ROCPRIM_400000_NS6detail17trampoline_kernelINS0_14default_configENS1_25transform_config_selectorIN3c107complexIfEELb1EEEZNS1_14transform_implILb1ES3_S8_PS7_SA_NS0_8identityIS7_EEEE10hipError_tT2_T3_mT4_P12ihipStream_tbEUlT_E_NS1_11comp_targetILNS1_3genE5ELNS1_11target_archE942ELNS1_3gpuE9ELNS1_3repE0EEENS1_30default_config_static_selectorELNS0_4arch9wavefront6targetE1EEEvT1_
	.p2align	8
	.type	_ZN7rocprim17ROCPRIM_400000_NS6detail17trampoline_kernelINS0_14default_configENS1_25transform_config_selectorIN3c107complexIfEELb1EEEZNS1_14transform_implILb1ES3_S8_PS7_SA_NS0_8identityIS7_EEEE10hipError_tT2_T3_mT4_P12ihipStream_tbEUlT_E_NS1_11comp_targetILNS1_3genE5ELNS1_11target_archE942ELNS1_3gpuE9ELNS1_3repE0EEENS1_30default_config_static_selectorELNS0_4arch9wavefront6targetE1EEEvT1_,@function
_ZN7rocprim17ROCPRIM_400000_NS6detail17trampoline_kernelINS0_14default_configENS1_25transform_config_selectorIN3c107complexIfEELb1EEEZNS1_14transform_implILb1ES3_S8_PS7_SA_NS0_8identityIS7_EEEE10hipError_tT2_T3_mT4_P12ihipStream_tbEUlT_E_NS1_11comp_targetILNS1_3genE5ELNS1_11target_archE942ELNS1_3gpuE9ELNS1_3repE0EEENS1_30default_config_static_selectorELNS0_4arch9wavefront6targetE1EEEvT1_: ; @_ZN7rocprim17ROCPRIM_400000_NS6detail17trampoline_kernelINS0_14default_configENS1_25transform_config_selectorIN3c107complexIfEELb1EEEZNS1_14transform_implILb1ES3_S8_PS7_SA_NS0_8identityIS7_EEEE10hipError_tT2_T3_mT4_P12ihipStream_tbEUlT_E_NS1_11comp_targetILNS1_3genE5ELNS1_11target_archE942ELNS1_3gpuE9ELNS1_3repE0EEENS1_30default_config_static_selectorELNS0_4arch9wavefront6targetE1EEEvT1_
; %bb.0:
	.section	.rodata,"a",@progbits
	.p2align	6, 0x0
	.amdhsa_kernel _ZN7rocprim17ROCPRIM_400000_NS6detail17trampoline_kernelINS0_14default_configENS1_25transform_config_selectorIN3c107complexIfEELb1EEEZNS1_14transform_implILb1ES3_S8_PS7_SA_NS0_8identityIS7_EEEE10hipError_tT2_T3_mT4_P12ihipStream_tbEUlT_E_NS1_11comp_targetILNS1_3genE5ELNS1_11target_archE942ELNS1_3gpuE9ELNS1_3repE0EEENS1_30default_config_static_selectorELNS0_4arch9wavefront6targetE1EEEvT1_
		.amdhsa_group_segment_fixed_size 0
		.amdhsa_private_segment_fixed_size 0
		.amdhsa_kernarg_size 40
		.amdhsa_user_sgpr_count 2
		.amdhsa_user_sgpr_dispatch_ptr 0
		.amdhsa_user_sgpr_queue_ptr 0
		.amdhsa_user_sgpr_kernarg_segment_ptr 1
		.amdhsa_user_sgpr_dispatch_id 0
		.amdhsa_user_sgpr_kernarg_preload_length 0
		.amdhsa_user_sgpr_kernarg_preload_offset 0
		.amdhsa_user_sgpr_private_segment_size 0
		.amdhsa_uses_dynamic_stack 0
		.amdhsa_enable_private_segment 0
		.amdhsa_system_sgpr_workgroup_id_x 1
		.amdhsa_system_sgpr_workgroup_id_y 0
		.amdhsa_system_sgpr_workgroup_id_z 0
		.amdhsa_system_sgpr_workgroup_info 0
		.amdhsa_system_vgpr_workitem_id 0
		.amdhsa_next_free_vgpr 1
		.amdhsa_next_free_sgpr 0
		.amdhsa_accum_offset 4
		.amdhsa_reserve_vcc 0
		.amdhsa_float_round_mode_32 0
		.amdhsa_float_round_mode_16_64 0
		.amdhsa_float_denorm_mode_32 3
		.amdhsa_float_denorm_mode_16_64 3
		.amdhsa_dx10_clamp 1
		.amdhsa_ieee_mode 1
		.amdhsa_fp16_overflow 0
		.amdhsa_tg_split 0
		.amdhsa_exception_fp_ieee_invalid_op 0
		.amdhsa_exception_fp_denorm_src 0
		.amdhsa_exception_fp_ieee_div_zero 0
		.amdhsa_exception_fp_ieee_overflow 0
		.amdhsa_exception_fp_ieee_underflow 0
		.amdhsa_exception_fp_ieee_inexact 0
		.amdhsa_exception_int_div_zero 0
	.end_amdhsa_kernel
	.section	.text._ZN7rocprim17ROCPRIM_400000_NS6detail17trampoline_kernelINS0_14default_configENS1_25transform_config_selectorIN3c107complexIfEELb1EEEZNS1_14transform_implILb1ES3_S8_PS7_SA_NS0_8identityIS7_EEEE10hipError_tT2_T3_mT4_P12ihipStream_tbEUlT_E_NS1_11comp_targetILNS1_3genE5ELNS1_11target_archE942ELNS1_3gpuE9ELNS1_3repE0EEENS1_30default_config_static_selectorELNS0_4arch9wavefront6targetE1EEEvT1_,"axG",@progbits,_ZN7rocprim17ROCPRIM_400000_NS6detail17trampoline_kernelINS0_14default_configENS1_25transform_config_selectorIN3c107complexIfEELb1EEEZNS1_14transform_implILb1ES3_S8_PS7_SA_NS0_8identityIS7_EEEE10hipError_tT2_T3_mT4_P12ihipStream_tbEUlT_E_NS1_11comp_targetILNS1_3genE5ELNS1_11target_archE942ELNS1_3gpuE9ELNS1_3repE0EEENS1_30default_config_static_selectorELNS0_4arch9wavefront6targetE1EEEvT1_,comdat
.Lfunc_end275:
	.size	_ZN7rocprim17ROCPRIM_400000_NS6detail17trampoline_kernelINS0_14default_configENS1_25transform_config_selectorIN3c107complexIfEELb1EEEZNS1_14transform_implILb1ES3_S8_PS7_SA_NS0_8identityIS7_EEEE10hipError_tT2_T3_mT4_P12ihipStream_tbEUlT_E_NS1_11comp_targetILNS1_3genE5ELNS1_11target_archE942ELNS1_3gpuE9ELNS1_3repE0EEENS1_30default_config_static_selectorELNS0_4arch9wavefront6targetE1EEEvT1_, .Lfunc_end275-_ZN7rocprim17ROCPRIM_400000_NS6detail17trampoline_kernelINS0_14default_configENS1_25transform_config_selectorIN3c107complexIfEELb1EEEZNS1_14transform_implILb1ES3_S8_PS7_SA_NS0_8identityIS7_EEEE10hipError_tT2_T3_mT4_P12ihipStream_tbEUlT_E_NS1_11comp_targetILNS1_3genE5ELNS1_11target_archE942ELNS1_3gpuE9ELNS1_3repE0EEENS1_30default_config_static_selectorELNS0_4arch9wavefront6targetE1EEEvT1_
                                        ; -- End function
	.set _ZN7rocprim17ROCPRIM_400000_NS6detail17trampoline_kernelINS0_14default_configENS1_25transform_config_selectorIN3c107complexIfEELb1EEEZNS1_14transform_implILb1ES3_S8_PS7_SA_NS0_8identityIS7_EEEE10hipError_tT2_T3_mT4_P12ihipStream_tbEUlT_E_NS1_11comp_targetILNS1_3genE5ELNS1_11target_archE942ELNS1_3gpuE9ELNS1_3repE0EEENS1_30default_config_static_selectorELNS0_4arch9wavefront6targetE1EEEvT1_.num_vgpr, 0
	.set _ZN7rocprim17ROCPRIM_400000_NS6detail17trampoline_kernelINS0_14default_configENS1_25transform_config_selectorIN3c107complexIfEELb1EEEZNS1_14transform_implILb1ES3_S8_PS7_SA_NS0_8identityIS7_EEEE10hipError_tT2_T3_mT4_P12ihipStream_tbEUlT_E_NS1_11comp_targetILNS1_3genE5ELNS1_11target_archE942ELNS1_3gpuE9ELNS1_3repE0EEENS1_30default_config_static_selectorELNS0_4arch9wavefront6targetE1EEEvT1_.num_agpr, 0
	.set _ZN7rocprim17ROCPRIM_400000_NS6detail17trampoline_kernelINS0_14default_configENS1_25transform_config_selectorIN3c107complexIfEELb1EEEZNS1_14transform_implILb1ES3_S8_PS7_SA_NS0_8identityIS7_EEEE10hipError_tT2_T3_mT4_P12ihipStream_tbEUlT_E_NS1_11comp_targetILNS1_3genE5ELNS1_11target_archE942ELNS1_3gpuE9ELNS1_3repE0EEENS1_30default_config_static_selectorELNS0_4arch9wavefront6targetE1EEEvT1_.numbered_sgpr, 0
	.set _ZN7rocprim17ROCPRIM_400000_NS6detail17trampoline_kernelINS0_14default_configENS1_25transform_config_selectorIN3c107complexIfEELb1EEEZNS1_14transform_implILb1ES3_S8_PS7_SA_NS0_8identityIS7_EEEE10hipError_tT2_T3_mT4_P12ihipStream_tbEUlT_E_NS1_11comp_targetILNS1_3genE5ELNS1_11target_archE942ELNS1_3gpuE9ELNS1_3repE0EEENS1_30default_config_static_selectorELNS0_4arch9wavefront6targetE1EEEvT1_.num_named_barrier, 0
	.set _ZN7rocprim17ROCPRIM_400000_NS6detail17trampoline_kernelINS0_14default_configENS1_25transform_config_selectorIN3c107complexIfEELb1EEEZNS1_14transform_implILb1ES3_S8_PS7_SA_NS0_8identityIS7_EEEE10hipError_tT2_T3_mT4_P12ihipStream_tbEUlT_E_NS1_11comp_targetILNS1_3genE5ELNS1_11target_archE942ELNS1_3gpuE9ELNS1_3repE0EEENS1_30default_config_static_selectorELNS0_4arch9wavefront6targetE1EEEvT1_.private_seg_size, 0
	.set _ZN7rocprim17ROCPRIM_400000_NS6detail17trampoline_kernelINS0_14default_configENS1_25transform_config_selectorIN3c107complexIfEELb1EEEZNS1_14transform_implILb1ES3_S8_PS7_SA_NS0_8identityIS7_EEEE10hipError_tT2_T3_mT4_P12ihipStream_tbEUlT_E_NS1_11comp_targetILNS1_3genE5ELNS1_11target_archE942ELNS1_3gpuE9ELNS1_3repE0EEENS1_30default_config_static_selectorELNS0_4arch9wavefront6targetE1EEEvT1_.uses_vcc, 0
	.set _ZN7rocprim17ROCPRIM_400000_NS6detail17trampoline_kernelINS0_14default_configENS1_25transform_config_selectorIN3c107complexIfEELb1EEEZNS1_14transform_implILb1ES3_S8_PS7_SA_NS0_8identityIS7_EEEE10hipError_tT2_T3_mT4_P12ihipStream_tbEUlT_E_NS1_11comp_targetILNS1_3genE5ELNS1_11target_archE942ELNS1_3gpuE9ELNS1_3repE0EEENS1_30default_config_static_selectorELNS0_4arch9wavefront6targetE1EEEvT1_.uses_flat_scratch, 0
	.set _ZN7rocprim17ROCPRIM_400000_NS6detail17trampoline_kernelINS0_14default_configENS1_25transform_config_selectorIN3c107complexIfEELb1EEEZNS1_14transform_implILb1ES3_S8_PS7_SA_NS0_8identityIS7_EEEE10hipError_tT2_T3_mT4_P12ihipStream_tbEUlT_E_NS1_11comp_targetILNS1_3genE5ELNS1_11target_archE942ELNS1_3gpuE9ELNS1_3repE0EEENS1_30default_config_static_selectorELNS0_4arch9wavefront6targetE1EEEvT1_.has_dyn_sized_stack, 0
	.set _ZN7rocprim17ROCPRIM_400000_NS6detail17trampoline_kernelINS0_14default_configENS1_25transform_config_selectorIN3c107complexIfEELb1EEEZNS1_14transform_implILb1ES3_S8_PS7_SA_NS0_8identityIS7_EEEE10hipError_tT2_T3_mT4_P12ihipStream_tbEUlT_E_NS1_11comp_targetILNS1_3genE5ELNS1_11target_archE942ELNS1_3gpuE9ELNS1_3repE0EEENS1_30default_config_static_selectorELNS0_4arch9wavefront6targetE1EEEvT1_.has_recursion, 0
	.set _ZN7rocprim17ROCPRIM_400000_NS6detail17trampoline_kernelINS0_14default_configENS1_25transform_config_selectorIN3c107complexIfEELb1EEEZNS1_14transform_implILb1ES3_S8_PS7_SA_NS0_8identityIS7_EEEE10hipError_tT2_T3_mT4_P12ihipStream_tbEUlT_E_NS1_11comp_targetILNS1_3genE5ELNS1_11target_archE942ELNS1_3gpuE9ELNS1_3repE0EEENS1_30default_config_static_selectorELNS0_4arch9wavefront6targetE1EEEvT1_.has_indirect_call, 0
	.section	.AMDGPU.csdata,"",@progbits
; Kernel info:
; codeLenInByte = 0
; TotalNumSgprs: 6
; NumVgprs: 0
; NumAgprs: 0
; TotalNumVgprs: 0
; ScratchSize: 0
; MemoryBound: 0
; FloatMode: 240
; IeeeMode: 1
; LDSByteSize: 0 bytes/workgroup (compile time only)
; SGPRBlocks: 0
; VGPRBlocks: 0
; NumSGPRsForWavesPerEU: 6
; NumVGPRsForWavesPerEU: 1
; AccumOffset: 4
; Occupancy: 8
; WaveLimiterHint : 0
; COMPUTE_PGM_RSRC2:SCRATCH_EN: 0
; COMPUTE_PGM_RSRC2:USER_SGPR: 2
; COMPUTE_PGM_RSRC2:TRAP_HANDLER: 0
; COMPUTE_PGM_RSRC2:TGID_X_EN: 1
; COMPUTE_PGM_RSRC2:TGID_Y_EN: 0
; COMPUTE_PGM_RSRC2:TGID_Z_EN: 0
; COMPUTE_PGM_RSRC2:TIDIG_COMP_CNT: 0
; COMPUTE_PGM_RSRC3_GFX90A:ACCUM_OFFSET: 0
; COMPUTE_PGM_RSRC3_GFX90A:TG_SPLIT: 0
	.section	.text._ZN7rocprim17ROCPRIM_400000_NS6detail17trampoline_kernelINS0_14default_configENS1_25transform_config_selectorIN3c107complexIfEELb1EEEZNS1_14transform_implILb1ES3_S8_PS7_SA_NS0_8identityIS7_EEEE10hipError_tT2_T3_mT4_P12ihipStream_tbEUlT_E_NS1_11comp_targetILNS1_3genE4ELNS1_11target_archE910ELNS1_3gpuE8ELNS1_3repE0EEENS1_30default_config_static_selectorELNS0_4arch9wavefront6targetE1EEEvT1_,"axG",@progbits,_ZN7rocprim17ROCPRIM_400000_NS6detail17trampoline_kernelINS0_14default_configENS1_25transform_config_selectorIN3c107complexIfEELb1EEEZNS1_14transform_implILb1ES3_S8_PS7_SA_NS0_8identityIS7_EEEE10hipError_tT2_T3_mT4_P12ihipStream_tbEUlT_E_NS1_11comp_targetILNS1_3genE4ELNS1_11target_archE910ELNS1_3gpuE8ELNS1_3repE0EEENS1_30default_config_static_selectorELNS0_4arch9wavefront6targetE1EEEvT1_,comdat
	.protected	_ZN7rocprim17ROCPRIM_400000_NS6detail17trampoline_kernelINS0_14default_configENS1_25transform_config_selectorIN3c107complexIfEELb1EEEZNS1_14transform_implILb1ES3_S8_PS7_SA_NS0_8identityIS7_EEEE10hipError_tT2_T3_mT4_P12ihipStream_tbEUlT_E_NS1_11comp_targetILNS1_3genE4ELNS1_11target_archE910ELNS1_3gpuE8ELNS1_3repE0EEENS1_30default_config_static_selectorELNS0_4arch9wavefront6targetE1EEEvT1_ ; -- Begin function _ZN7rocprim17ROCPRIM_400000_NS6detail17trampoline_kernelINS0_14default_configENS1_25transform_config_selectorIN3c107complexIfEELb1EEEZNS1_14transform_implILb1ES3_S8_PS7_SA_NS0_8identityIS7_EEEE10hipError_tT2_T3_mT4_P12ihipStream_tbEUlT_E_NS1_11comp_targetILNS1_3genE4ELNS1_11target_archE910ELNS1_3gpuE8ELNS1_3repE0EEENS1_30default_config_static_selectorELNS0_4arch9wavefront6targetE1EEEvT1_
	.globl	_ZN7rocprim17ROCPRIM_400000_NS6detail17trampoline_kernelINS0_14default_configENS1_25transform_config_selectorIN3c107complexIfEELb1EEEZNS1_14transform_implILb1ES3_S8_PS7_SA_NS0_8identityIS7_EEEE10hipError_tT2_T3_mT4_P12ihipStream_tbEUlT_E_NS1_11comp_targetILNS1_3genE4ELNS1_11target_archE910ELNS1_3gpuE8ELNS1_3repE0EEENS1_30default_config_static_selectorELNS0_4arch9wavefront6targetE1EEEvT1_
	.p2align	8
	.type	_ZN7rocprim17ROCPRIM_400000_NS6detail17trampoline_kernelINS0_14default_configENS1_25transform_config_selectorIN3c107complexIfEELb1EEEZNS1_14transform_implILb1ES3_S8_PS7_SA_NS0_8identityIS7_EEEE10hipError_tT2_T3_mT4_P12ihipStream_tbEUlT_E_NS1_11comp_targetILNS1_3genE4ELNS1_11target_archE910ELNS1_3gpuE8ELNS1_3repE0EEENS1_30default_config_static_selectorELNS0_4arch9wavefront6targetE1EEEvT1_,@function
_ZN7rocprim17ROCPRIM_400000_NS6detail17trampoline_kernelINS0_14default_configENS1_25transform_config_selectorIN3c107complexIfEELb1EEEZNS1_14transform_implILb1ES3_S8_PS7_SA_NS0_8identityIS7_EEEE10hipError_tT2_T3_mT4_P12ihipStream_tbEUlT_E_NS1_11comp_targetILNS1_3genE4ELNS1_11target_archE910ELNS1_3gpuE8ELNS1_3repE0EEENS1_30default_config_static_selectorELNS0_4arch9wavefront6targetE1EEEvT1_: ; @_ZN7rocprim17ROCPRIM_400000_NS6detail17trampoline_kernelINS0_14default_configENS1_25transform_config_selectorIN3c107complexIfEELb1EEEZNS1_14transform_implILb1ES3_S8_PS7_SA_NS0_8identityIS7_EEEE10hipError_tT2_T3_mT4_P12ihipStream_tbEUlT_E_NS1_11comp_targetILNS1_3genE4ELNS1_11target_archE910ELNS1_3gpuE8ELNS1_3repE0EEENS1_30default_config_static_selectorELNS0_4arch9wavefront6targetE1EEEvT1_
; %bb.0:
	.section	.rodata,"a",@progbits
	.p2align	6, 0x0
	.amdhsa_kernel _ZN7rocprim17ROCPRIM_400000_NS6detail17trampoline_kernelINS0_14default_configENS1_25transform_config_selectorIN3c107complexIfEELb1EEEZNS1_14transform_implILb1ES3_S8_PS7_SA_NS0_8identityIS7_EEEE10hipError_tT2_T3_mT4_P12ihipStream_tbEUlT_E_NS1_11comp_targetILNS1_3genE4ELNS1_11target_archE910ELNS1_3gpuE8ELNS1_3repE0EEENS1_30default_config_static_selectorELNS0_4arch9wavefront6targetE1EEEvT1_
		.amdhsa_group_segment_fixed_size 0
		.amdhsa_private_segment_fixed_size 0
		.amdhsa_kernarg_size 40
		.amdhsa_user_sgpr_count 2
		.amdhsa_user_sgpr_dispatch_ptr 0
		.amdhsa_user_sgpr_queue_ptr 0
		.amdhsa_user_sgpr_kernarg_segment_ptr 1
		.amdhsa_user_sgpr_dispatch_id 0
		.amdhsa_user_sgpr_kernarg_preload_length 0
		.amdhsa_user_sgpr_kernarg_preload_offset 0
		.amdhsa_user_sgpr_private_segment_size 0
		.amdhsa_uses_dynamic_stack 0
		.amdhsa_enable_private_segment 0
		.amdhsa_system_sgpr_workgroup_id_x 1
		.amdhsa_system_sgpr_workgroup_id_y 0
		.amdhsa_system_sgpr_workgroup_id_z 0
		.amdhsa_system_sgpr_workgroup_info 0
		.amdhsa_system_vgpr_workitem_id 0
		.amdhsa_next_free_vgpr 1
		.amdhsa_next_free_sgpr 0
		.amdhsa_accum_offset 4
		.amdhsa_reserve_vcc 0
		.amdhsa_float_round_mode_32 0
		.amdhsa_float_round_mode_16_64 0
		.amdhsa_float_denorm_mode_32 3
		.amdhsa_float_denorm_mode_16_64 3
		.amdhsa_dx10_clamp 1
		.amdhsa_ieee_mode 1
		.amdhsa_fp16_overflow 0
		.amdhsa_tg_split 0
		.amdhsa_exception_fp_ieee_invalid_op 0
		.amdhsa_exception_fp_denorm_src 0
		.amdhsa_exception_fp_ieee_div_zero 0
		.amdhsa_exception_fp_ieee_overflow 0
		.amdhsa_exception_fp_ieee_underflow 0
		.amdhsa_exception_fp_ieee_inexact 0
		.amdhsa_exception_int_div_zero 0
	.end_amdhsa_kernel
	.section	.text._ZN7rocprim17ROCPRIM_400000_NS6detail17trampoline_kernelINS0_14default_configENS1_25transform_config_selectorIN3c107complexIfEELb1EEEZNS1_14transform_implILb1ES3_S8_PS7_SA_NS0_8identityIS7_EEEE10hipError_tT2_T3_mT4_P12ihipStream_tbEUlT_E_NS1_11comp_targetILNS1_3genE4ELNS1_11target_archE910ELNS1_3gpuE8ELNS1_3repE0EEENS1_30default_config_static_selectorELNS0_4arch9wavefront6targetE1EEEvT1_,"axG",@progbits,_ZN7rocprim17ROCPRIM_400000_NS6detail17trampoline_kernelINS0_14default_configENS1_25transform_config_selectorIN3c107complexIfEELb1EEEZNS1_14transform_implILb1ES3_S8_PS7_SA_NS0_8identityIS7_EEEE10hipError_tT2_T3_mT4_P12ihipStream_tbEUlT_E_NS1_11comp_targetILNS1_3genE4ELNS1_11target_archE910ELNS1_3gpuE8ELNS1_3repE0EEENS1_30default_config_static_selectorELNS0_4arch9wavefront6targetE1EEEvT1_,comdat
.Lfunc_end276:
	.size	_ZN7rocprim17ROCPRIM_400000_NS6detail17trampoline_kernelINS0_14default_configENS1_25transform_config_selectorIN3c107complexIfEELb1EEEZNS1_14transform_implILb1ES3_S8_PS7_SA_NS0_8identityIS7_EEEE10hipError_tT2_T3_mT4_P12ihipStream_tbEUlT_E_NS1_11comp_targetILNS1_3genE4ELNS1_11target_archE910ELNS1_3gpuE8ELNS1_3repE0EEENS1_30default_config_static_selectorELNS0_4arch9wavefront6targetE1EEEvT1_, .Lfunc_end276-_ZN7rocprim17ROCPRIM_400000_NS6detail17trampoline_kernelINS0_14default_configENS1_25transform_config_selectorIN3c107complexIfEELb1EEEZNS1_14transform_implILb1ES3_S8_PS7_SA_NS0_8identityIS7_EEEE10hipError_tT2_T3_mT4_P12ihipStream_tbEUlT_E_NS1_11comp_targetILNS1_3genE4ELNS1_11target_archE910ELNS1_3gpuE8ELNS1_3repE0EEENS1_30default_config_static_selectorELNS0_4arch9wavefront6targetE1EEEvT1_
                                        ; -- End function
	.set _ZN7rocprim17ROCPRIM_400000_NS6detail17trampoline_kernelINS0_14default_configENS1_25transform_config_selectorIN3c107complexIfEELb1EEEZNS1_14transform_implILb1ES3_S8_PS7_SA_NS0_8identityIS7_EEEE10hipError_tT2_T3_mT4_P12ihipStream_tbEUlT_E_NS1_11comp_targetILNS1_3genE4ELNS1_11target_archE910ELNS1_3gpuE8ELNS1_3repE0EEENS1_30default_config_static_selectorELNS0_4arch9wavefront6targetE1EEEvT1_.num_vgpr, 0
	.set _ZN7rocprim17ROCPRIM_400000_NS6detail17trampoline_kernelINS0_14default_configENS1_25transform_config_selectorIN3c107complexIfEELb1EEEZNS1_14transform_implILb1ES3_S8_PS7_SA_NS0_8identityIS7_EEEE10hipError_tT2_T3_mT4_P12ihipStream_tbEUlT_E_NS1_11comp_targetILNS1_3genE4ELNS1_11target_archE910ELNS1_3gpuE8ELNS1_3repE0EEENS1_30default_config_static_selectorELNS0_4arch9wavefront6targetE1EEEvT1_.num_agpr, 0
	.set _ZN7rocprim17ROCPRIM_400000_NS6detail17trampoline_kernelINS0_14default_configENS1_25transform_config_selectorIN3c107complexIfEELb1EEEZNS1_14transform_implILb1ES3_S8_PS7_SA_NS0_8identityIS7_EEEE10hipError_tT2_T3_mT4_P12ihipStream_tbEUlT_E_NS1_11comp_targetILNS1_3genE4ELNS1_11target_archE910ELNS1_3gpuE8ELNS1_3repE0EEENS1_30default_config_static_selectorELNS0_4arch9wavefront6targetE1EEEvT1_.numbered_sgpr, 0
	.set _ZN7rocprim17ROCPRIM_400000_NS6detail17trampoline_kernelINS0_14default_configENS1_25transform_config_selectorIN3c107complexIfEELb1EEEZNS1_14transform_implILb1ES3_S8_PS7_SA_NS0_8identityIS7_EEEE10hipError_tT2_T3_mT4_P12ihipStream_tbEUlT_E_NS1_11comp_targetILNS1_3genE4ELNS1_11target_archE910ELNS1_3gpuE8ELNS1_3repE0EEENS1_30default_config_static_selectorELNS0_4arch9wavefront6targetE1EEEvT1_.num_named_barrier, 0
	.set _ZN7rocprim17ROCPRIM_400000_NS6detail17trampoline_kernelINS0_14default_configENS1_25transform_config_selectorIN3c107complexIfEELb1EEEZNS1_14transform_implILb1ES3_S8_PS7_SA_NS0_8identityIS7_EEEE10hipError_tT2_T3_mT4_P12ihipStream_tbEUlT_E_NS1_11comp_targetILNS1_3genE4ELNS1_11target_archE910ELNS1_3gpuE8ELNS1_3repE0EEENS1_30default_config_static_selectorELNS0_4arch9wavefront6targetE1EEEvT1_.private_seg_size, 0
	.set _ZN7rocprim17ROCPRIM_400000_NS6detail17trampoline_kernelINS0_14default_configENS1_25transform_config_selectorIN3c107complexIfEELb1EEEZNS1_14transform_implILb1ES3_S8_PS7_SA_NS0_8identityIS7_EEEE10hipError_tT2_T3_mT4_P12ihipStream_tbEUlT_E_NS1_11comp_targetILNS1_3genE4ELNS1_11target_archE910ELNS1_3gpuE8ELNS1_3repE0EEENS1_30default_config_static_selectorELNS0_4arch9wavefront6targetE1EEEvT1_.uses_vcc, 0
	.set _ZN7rocprim17ROCPRIM_400000_NS6detail17trampoline_kernelINS0_14default_configENS1_25transform_config_selectorIN3c107complexIfEELb1EEEZNS1_14transform_implILb1ES3_S8_PS7_SA_NS0_8identityIS7_EEEE10hipError_tT2_T3_mT4_P12ihipStream_tbEUlT_E_NS1_11comp_targetILNS1_3genE4ELNS1_11target_archE910ELNS1_3gpuE8ELNS1_3repE0EEENS1_30default_config_static_selectorELNS0_4arch9wavefront6targetE1EEEvT1_.uses_flat_scratch, 0
	.set _ZN7rocprim17ROCPRIM_400000_NS6detail17trampoline_kernelINS0_14default_configENS1_25transform_config_selectorIN3c107complexIfEELb1EEEZNS1_14transform_implILb1ES3_S8_PS7_SA_NS0_8identityIS7_EEEE10hipError_tT2_T3_mT4_P12ihipStream_tbEUlT_E_NS1_11comp_targetILNS1_3genE4ELNS1_11target_archE910ELNS1_3gpuE8ELNS1_3repE0EEENS1_30default_config_static_selectorELNS0_4arch9wavefront6targetE1EEEvT1_.has_dyn_sized_stack, 0
	.set _ZN7rocprim17ROCPRIM_400000_NS6detail17trampoline_kernelINS0_14default_configENS1_25transform_config_selectorIN3c107complexIfEELb1EEEZNS1_14transform_implILb1ES3_S8_PS7_SA_NS0_8identityIS7_EEEE10hipError_tT2_T3_mT4_P12ihipStream_tbEUlT_E_NS1_11comp_targetILNS1_3genE4ELNS1_11target_archE910ELNS1_3gpuE8ELNS1_3repE0EEENS1_30default_config_static_selectorELNS0_4arch9wavefront6targetE1EEEvT1_.has_recursion, 0
	.set _ZN7rocprim17ROCPRIM_400000_NS6detail17trampoline_kernelINS0_14default_configENS1_25transform_config_selectorIN3c107complexIfEELb1EEEZNS1_14transform_implILb1ES3_S8_PS7_SA_NS0_8identityIS7_EEEE10hipError_tT2_T3_mT4_P12ihipStream_tbEUlT_E_NS1_11comp_targetILNS1_3genE4ELNS1_11target_archE910ELNS1_3gpuE8ELNS1_3repE0EEENS1_30default_config_static_selectorELNS0_4arch9wavefront6targetE1EEEvT1_.has_indirect_call, 0
	.section	.AMDGPU.csdata,"",@progbits
; Kernel info:
; codeLenInByte = 0
; TotalNumSgprs: 6
; NumVgprs: 0
; NumAgprs: 0
; TotalNumVgprs: 0
; ScratchSize: 0
; MemoryBound: 0
; FloatMode: 240
; IeeeMode: 1
; LDSByteSize: 0 bytes/workgroup (compile time only)
; SGPRBlocks: 0
; VGPRBlocks: 0
; NumSGPRsForWavesPerEU: 6
; NumVGPRsForWavesPerEU: 1
; AccumOffset: 4
; Occupancy: 8
; WaveLimiterHint : 0
; COMPUTE_PGM_RSRC2:SCRATCH_EN: 0
; COMPUTE_PGM_RSRC2:USER_SGPR: 2
; COMPUTE_PGM_RSRC2:TRAP_HANDLER: 0
; COMPUTE_PGM_RSRC2:TGID_X_EN: 1
; COMPUTE_PGM_RSRC2:TGID_Y_EN: 0
; COMPUTE_PGM_RSRC2:TGID_Z_EN: 0
; COMPUTE_PGM_RSRC2:TIDIG_COMP_CNT: 0
; COMPUTE_PGM_RSRC3_GFX90A:ACCUM_OFFSET: 0
; COMPUTE_PGM_RSRC3_GFX90A:TG_SPLIT: 0
	.section	.text._ZN7rocprim17ROCPRIM_400000_NS6detail17trampoline_kernelINS0_14default_configENS1_25transform_config_selectorIN3c107complexIfEELb1EEEZNS1_14transform_implILb1ES3_S8_PS7_SA_NS0_8identityIS7_EEEE10hipError_tT2_T3_mT4_P12ihipStream_tbEUlT_E_NS1_11comp_targetILNS1_3genE3ELNS1_11target_archE908ELNS1_3gpuE7ELNS1_3repE0EEENS1_30default_config_static_selectorELNS0_4arch9wavefront6targetE1EEEvT1_,"axG",@progbits,_ZN7rocprim17ROCPRIM_400000_NS6detail17trampoline_kernelINS0_14default_configENS1_25transform_config_selectorIN3c107complexIfEELb1EEEZNS1_14transform_implILb1ES3_S8_PS7_SA_NS0_8identityIS7_EEEE10hipError_tT2_T3_mT4_P12ihipStream_tbEUlT_E_NS1_11comp_targetILNS1_3genE3ELNS1_11target_archE908ELNS1_3gpuE7ELNS1_3repE0EEENS1_30default_config_static_selectorELNS0_4arch9wavefront6targetE1EEEvT1_,comdat
	.protected	_ZN7rocprim17ROCPRIM_400000_NS6detail17trampoline_kernelINS0_14default_configENS1_25transform_config_selectorIN3c107complexIfEELb1EEEZNS1_14transform_implILb1ES3_S8_PS7_SA_NS0_8identityIS7_EEEE10hipError_tT2_T3_mT4_P12ihipStream_tbEUlT_E_NS1_11comp_targetILNS1_3genE3ELNS1_11target_archE908ELNS1_3gpuE7ELNS1_3repE0EEENS1_30default_config_static_selectorELNS0_4arch9wavefront6targetE1EEEvT1_ ; -- Begin function _ZN7rocprim17ROCPRIM_400000_NS6detail17trampoline_kernelINS0_14default_configENS1_25transform_config_selectorIN3c107complexIfEELb1EEEZNS1_14transform_implILb1ES3_S8_PS7_SA_NS0_8identityIS7_EEEE10hipError_tT2_T3_mT4_P12ihipStream_tbEUlT_E_NS1_11comp_targetILNS1_3genE3ELNS1_11target_archE908ELNS1_3gpuE7ELNS1_3repE0EEENS1_30default_config_static_selectorELNS0_4arch9wavefront6targetE1EEEvT1_
	.globl	_ZN7rocprim17ROCPRIM_400000_NS6detail17trampoline_kernelINS0_14default_configENS1_25transform_config_selectorIN3c107complexIfEELb1EEEZNS1_14transform_implILb1ES3_S8_PS7_SA_NS0_8identityIS7_EEEE10hipError_tT2_T3_mT4_P12ihipStream_tbEUlT_E_NS1_11comp_targetILNS1_3genE3ELNS1_11target_archE908ELNS1_3gpuE7ELNS1_3repE0EEENS1_30default_config_static_selectorELNS0_4arch9wavefront6targetE1EEEvT1_
	.p2align	8
	.type	_ZN7rocprim17ROCPRIM_400000_NS6detail17trampoline_kernelINS0_14default_configENS1_25transform_config_selectorIN3c107complexIfEELb1EEEZNS1_14transform_implILb1ES3_S8_PS7_SA_NS0_8identityIS7_EEEE10hipError_tT2_T3_mT4_P12ihipStream_tbEUlT_E_NS1_11comp_targetILNS1_3genE3ELNS1_11target_archE908ELNS1_3gpuE7ELNS1_3repE0EEENS1_30default_config_static_selectorELNS0_4arch9wavefront6targetE1EEEvT1_,@function
_ZN7rocprim17ROCPRIM_400000_NS6detail17trampoline_kernelINS0_14default_configENS1_25transform_config_selectorIN3c107complexIfEELb1EEEZNS1_14transform_implILb1ES3_S8_PS7_SA_NS0_8identityIS7_EEEE10hipError_tT2_T3_mT4_P12ihipStream_tbEUlT_E_NS1_11comp_targetILNS1_3genE3ELNS1_11target_archE908ELNS1_3gpuE7ELNS1_3repE0EEENS1_30default_config_static_selectorELNS0_4arch9wavefront6targetE1EEEvT1_: ; @_ZN7rocprim17ROCPRIM_400000_NS6detail17trampoline_kernelINS0_14default_configENS1_25transform_config_selectorIN3c107complexIfEELb1EEEZNS1_14transform_implILb1ES3_S8_PS7_SA_NS0_8identityIS7_EEEE10hipError_tT2_T3_mT4_P12ihipStream_tbEUlT_E_NS1_11comp_targetILNS1_3genE3ELNS1_11target_archE908ELNS1_3gpuE7ELNS1_3repE0EEENS1_30default_config_static_selectorELNS0_4arch9wavefront6targetE1EEEvT1_
; %bb.0:
	.section	.rodata,"a",@progbits
	.p2align	6, 0x0
	.amdhsa_kernel _ZN7rocprim17ROCPRIM_400000_NS6detail17trampoline_kernelINS0_14default_configENS1_25transform_config_selectorIN3c107complexIfEELb1EEEZNS1_14transform_implILb1ES3_S8_PS7_SA_NS0_8identityIS7_EEEE10hipError_tT2_T3_mT4_P12ihipStream_tbEUlT_E_NS1_11comp_targetILNS1_3genE3ELNS1_11target_archE908ELNS1_3gpuE7ELNS1_3repE0EEENS1_30default_config_static_selectorELNS0_4arch9wavefront6targetE1EEEvT1_
		.amdhsa_group_segment_fixed_size 0
		.amdhsa_private_segment_fixed_size 0
		.amdhsa_kernarg_size 40
		.amdhsa_user_sgpr_count 2
		.amdhsa_user_sgpr_dispatch_ptr 0
		.amdhsa_user_sgpr_queue_ptr 0
		.amdhsa_user_sgpr_kernarg_segment_ptr 1
		.amdhsa_user_sgpr_dispatch_id 0
		.amdhsa_user_sgpr_kernarg_preload_length 0
		.amdhsa_user_sgpr_kernarg_preload_offset 0
		.amdhsa_user_sgpr_private_segment_size 0
		.amdhsa_uses_dynamic_stack 0
		.amdhsa_enable_private_segment 0
		.amdhsa_system_sgpr_workgroup_id_x 1
		.amdhsa_system_sgpr_workgroup_id_y 0
		.amdhsa_system_sgpr_workgroup_id_z 0
		.amdhsa_system_sgpr_workgroup_info 0
		.amdhsa_system_vgpr_workitem_id 0
		.amdhsa_next_free_vgpr 1
		.amdhsa_next_free_sgpr 0
		.amdhsa_accum_offset 4
		.amdhsa_reserve_vcc 0
		.amdhsa_float_round_mode_32 0
		.amdhsa_float_round_mode_16_64 0
		.amdhsa_float_denorm_mode_32 3
		.amdhsa_float_denorm_mode_16_64 3
		.amdhsa_dx10_clamp 1
		.amdhsa_ieee_mode 1
		.amdhsa_fp16_overflow 0
		.amdhsa_tg_split 0
		.amdhsa_exception_fp_ieee_invalid_op 0
		.amdhsa_exception_fp_denorm_src 0
		.amdhsa_exception_fp_ieee_div_zero 0
		.amdhsa_exception_fp_ieee_overflow 0
		.amdhsa_exception_fp_ieee_underflow 0
		.amdhsa_exception_fp_ieee_inexact 0
		.amdhsa_exception_int_div_zero 0
	.end_amdhsa_kernel
	.section	.text._ZN7rocprim17ROCPRIM_400000_NS6detail17trampoline_kernelINS0_14default_configENS1_25transform_config_selectorIN3c107complexIfEELb1EEEZNS1_14transform_implILb1ES3_S8_PS7_SA_NS0_8identityIS7_EEEE10hipError_tT2_T3_mT4_P12ihipStream_tbEUlT_E_NS1_11comp_targetILNS1_3genE3ELNS1_11target_archE908ELNS1_3gpuE7ELNS1_3repE0EEENS1_30default_config_static_selectorELNS0_4arch9wavefront6targetE1EEEvT1_,"axG",@progbits,_ZN7rocprim17ROCPRIM_400000_NS6detail17trampoline_kernelINS0_14default_configENS1_25transform_config_selectorIN3c107complexIfEELb1EEEZNS1_14transform_implILb1ES3_S8_PS7_SA_NS0_8identityIS7_EEEE10hipError_tT2_T3_mT4_P12ihipStream_tbEUlT_E_NS1_11comp_targetILNS1_3genE3ELNS1_11target_archE908ELNS1_3gpuE7ELNS1_3repE0EEENS1_30default_config_static_selectorELNS0_4arch9wavefront6targetE1EEEvT1_,comdat
.Lfunc_end277:
	.size	_ZN7rocprim17ROCPRIM_400000_NS6detail17trampoline_kernelINS0_14default_configENS1_25transform_config_selectorIN3c107complexIfEELb1EEEZNS1_14transform_implILb1ES3_S8_PS7_SA_NS0_8identityIS7_EEEE10hipError_tT2_T3_mT4_P12ihipStream_tbEUlT_E_NS1_11comp_targetILNS1_3genE3ELNS1_11target_archE908ELNS1_3gpuE7ELNS1_3repE0EEENS1_30default_config_static_selectorELNS0_4arch9wavefront6targetE1EEEvT1_, .Lfunc_end277-_ZN7rocprim17ROCPRIM_400000_NS6detail17trampoline_kernelINS0_14default_configENS1_25transform_config_selectorIN3c107complexIfEELb1EEEZNS1_14transform_implILb1ES3_S8_PS7_SA_NS0_8identityIS7_EEEE10hipError_tT2_T3_mT4_P12ihipStream_tbEUlT_E_NS1_11comp_targetILNS1_3genE3ELNS1_11target_archE908ELNS1_3gpuE7ELNS1_3repE0EEENS1_30default_config_static_selectorELNS0_4arch9wavefront6targetE1EEEvT1_
                                        ; -- End function
	.set _ZN7rocprim17ROCPRIM_400000_NS6detail17trampoline_kernelINS0_14default_configENS1_25transform_config_selectorIN3c107complexIfEELb1EEEZNS1_14transform_implILb1ES3_S8_PS7_SA_NS0_8identityIS7_EEEE10hipError_tT2_T3_mT4_P12ihipStream_tbEUlT_E_NS1_11comp_targetILNS1_3genE3ELNS1_11target_archE908ELNS1_3gpuE7ELNS1_3repE0EEENS1_30default_config_static_selectorELNS0_4arch9wavefront6targetE1EEEvT1_.num_vgpr, 0
	.set _ZN7rocprim17ROCPRIM_400000_NS6detail17trampoline_kernelINS0_14default_configENS1_25transform_config_selectorIN3c107complexIfEELb1EEEZNS1_14transform_implILb1ES3_S8_PS7_SA_NS0_8identityIS7_EEEE10hipError_tT2_T3_mT4_P12ihipStream_tbEUlT_E_NS1_11comp_targetILNS1_3genE3ELNS1_11target_archE908ELNS1_3gpuE7ELNS1_3repE0EEENS1_30default_config_static_selectorELNS0_4arch9wavefront6targetE1EEEvT1_.num_agpr, 0
	.set _ZN7rocprim17ROCPRIM_400000_NS6detail17trampoline_kernelINS0_14default_configENS1_25transform_config_selectorIN3c107complexIfEELb1EEEZNS1_14transform_implILb1ES3_S8_PS7_SA_NS0_8identityIS7_EEEE10hipError_tT2_T3_mT4_P12ihipStream_tbEUlT_E_NS1_11comp_targetILNS1_3genE3ELNS1_11target_archE908ELNS1_3gpuE7ELNS1_3repE0EEENS1_30default_config_static_selectorELNS0_4arch9wavefront6targetE1EEEvT1_.numbered_sgpr, 0
	.set _ZN7rocprim17ROCPRIM_400000_NS6detail17trampoline_kernelINS0_14default_configENS1_25transform_config_selectorIN3c107complexIfEELb1EEEZNS1_14transform_implILb1ES3_S8_PS7_SA_NS0_8identityIS7_EEEE10hipError_tT2_T3_mT4_P12ihipStream_tbEUlT_E_NS1_11comp_targetILNS1_3genE3ELNS1_11target_archE908ELNS1_3gpuE7ELNS1_3repE0EEENS1_30default_config_static_selectorELNS0_4arch9wavefront6targetE1EEEvT1_.num_named_barrier, 0
	.set _ZN7rocprim17ROCPRIM_400000_NS6detail17trampoline_kernelINS0_14default_configENS1_25transform_config_selectorIN3c107complexIfEELb1EEEZNS1_14transform_implILb1ES3_S8_PS7_SA_NS0_8identityIS7_EEEE10hipError_tT2_T3_mT4_P12ihipStream_tbEUlT_E_NS1_11comp_targetILNS1_3genE3ELNS1_11target_archE908ELNS1_3gpuE7ELNS1_3repE0EEENS1_30default_config_static_selectorELNS0_4arch9wavefront6targetE1EEEvT1_.private_seg_size, 0
	.set _ZN7rocprim17ROCPRIM_400000_NS6detail17trampoline_kernelINS0_14default_configENS1_25transform_config_selectorIN3c107complexIfEELb1EEEZNS1_14transform_implILb1ES3_S8_PS7_SA_NS0_8identityIS7_EEEE10hipError_tT2_T3_mT4_P12ihipStream_tbEUlT_E_NS1_11comp_targetILNS1_3genE3ELNS1_11target_archE908ELNS1_3gpuE7ELNS1_3repE0EEENS1_30default_config_static_selectorELNS0_4arch9wavefront6targetE1EEEvT1_.uses_vcc, 0
	.set _ZN7rocprim17ROCPRIM_400000_NS6detail17trampoline_kernelINS0_14default_configENS1_25transform_config_selectorIN3c107complexIfEELb1EEEZNS1_14transform_implILb1ES3_S8_PS7_SA_NS0_8identityIS7_EEEE10hipError_tT2_T3_mT4_P12ihipStream_tbEUlT_E_NS1_11comp_targetILNS1_3genE3ELNS1_11target_archE908ELNS1_3gpuE7ELNS1_3repE0EEENS1_30default_config_static_selectorELNS0_4arch9wavefront6targetE1EEEvT1_.uses_flat_scratch, 0
	.set _ZN7rocprim17ROCPRIM_400000_NS6detail17trampoline_kernelINS0_14default_configENS1_25transform_config_selectorIN3c107complexIfEELb1EEEZNS1_14transform_implILb1ES3_S8_PS7_SA_NS0_8identityIS7_EEEE10hipError_tT2_T3_mT4_P12ihipStream_tbEUlT_E_NS1_11comp_targetILNS1_3genE3ELNS1_11target_archE908ELNS1_3gpuE7ELNS1_3repE0EEENS1_30default_config_static_selectorELNS0_4arch9wavefront6targetE1EEEvT1_.has_dyn_sized_stack, 0
	.set _ZN7rocprim17ROCPRIM_400000_NS6detail17trampoline_kernelINS0_14default_configENS1_25transform_config_selectorIN3c107complexIfEELb1EEEZNS1_14transform_implILb1ES3_S8_PS7_SA_NS0_8identityIS7_EEEE10hipError_tT2_T3_mT4_P12ihipStream_tbEUlT_E_NS1_11comp_targetILNS1_3genE3ELNS1_11target_archE908ELNS1_3gpuE7ELNS1_3repE0EEENS1_30default_config_static_selectorELNS0_4arch9wavefront6targetE1EEEvT1_.has_recursion, 0
	.set _ZN7rocprim17ROCPRIM_400000_NS6detail17trampoline_kernelINS0_14default_configENS1_25transform_config_selectorIN3c107complexIfEELb1EEEZNS1_14transform_implILb1ES3_S8_PS7_SA_NS0_8identityIS7_EEEE10hipError_tT2_T3_mT4_P12ihipStream_tbEUlT_E_NS1_11comp_targetILNS1_3genE3ELNS1_11target_archE908ELNS1_3gpuE7ELNS1_3repE0EEENS1_30default_config_static_selectorELNS0_4arch9wavefront6targetE1EEEvT1_.has_indirect_call, 0
	.section	.AMDGPU.csdata,"",@progbits
; Kernel info:
; codeLenInByte = 0
; TotalNumSgprs: 6
; NumVgprs: 0
; NumAgprs: 0
; TotalNumVgprs: 0
; ScratchSize: 0
; MemoryBound: 0
; FloatMode: 240
; IeeeMode: 1
; LDSByteSize: 0 bytes/workgroup (compile time only)
; SGPRBlocks: 0
; VGPRBlocks: 0
; NumSGPRsForWavesPerEU: 6
; NumVGPRsForWavesPerEU: 1
; AccumOffset: 4
; Occupancy: 8
; WaveLimiterHint : 0
; COMPUTE_PGM_RSRC2:SCRATCH_EN: 0
; COMPUTE_PGM_RSRC2:USER_SGPR: 2
; COMPUTE_PGM_RSRC2:TRAP_HANDLER: 0
; COMPUTE_PGM_RSRC2:TGID_X_EN: 1
; COMPUTE_PGM_RSRC2:TGID_Y_EN: 0
; COMPUTE_PGM_RSRC2:TGID_Z_EN: 0
; COMPUTE_PGM_RSRC2:TIDIG_COMP_CNT: 0
; COMPUTE_PGM_RSRC3_GFX90A:ACCUM_OFFSET: 0
; COMPUTE_PGM_RSRC3_GFX90A:TG_SPLIT: 0
	.section	.text._ZN7rocprim17ROCPRIM_400000_NS6detail17trampoline_kernelINS0_14default_configENS1_25transform_config_selectorIN3c107complexIfEELb1EEEZNS1_14transform_implILb1ES3_S8_PS7_SA_NS0_8identityIS7_EEEE10hipError_tT2_T3_mT4_P12ihipStream_tbEUlT_E_NS1_11comp_targetILNS1_3genE2ELNS1_11target_archE906ELNS1_3gpuE6ELNS1_3repE0EEENS1_30default_config_static_selectorELNS0_4arch9wavefront6targetE1EEEvT1_,"axG",@progbits,_ZN7rocprim17ROCPRIM_400000_NS6detail17trampoline_kernelINS0_14default_configENS1_25transform_config_selectorIN3c107complexIfEELb1EEEZNS1_14transform_implILb1ES3_S8_PS7_SA_NS0_8identityIS7_EEEE10hipError_tT2_T3_mT4_P12ihipStream_tbEUlT_E_NS1_11comp_targetILNS1_3genE2ELNS1_11target_archE906ELNS1_3gpuE6ELNS1_3repE0EEENS1_30default_config_static_selectorELNS0_4arch9wavefront6targetE1EEEvT1_,comdat
	.protected	_ZN7rocprim17ROCPRIM_400000_NS6detail17trampoline_kernelINS0_14default_configENS1_25transform_config_selectorIN3c107complexIfEELb1EEEZNS1_14transform_implILb1ES3_S8_PS7_SA_NS0_8identityIS7_EEEE10hipError_tT2_T3_mT4_P12ihipStream_tbEUlT_E_NS1_11comp_targetILNS1_3genE2ELNS1_11target_archE906ELNS1_3gpuE6ELNS1_3repE0EEENS1_30default_config_static_selectorELNS0_4arch9wavefront6targetE1EEEvT1_ ; -- Begin function _ZN7rocprim17ROCPRIM_400000_NS6detail17trampoline_kernelINS0_14default_configENS1_25transform_config_selectorIN3c107complexIfEELb1EEEZNS1_14transform_implILb1ES3_S8_PS7_SA_NS0_8identityIS7_EEEE10hipError_tT2_T3_mT4_P12ihipStream_tbEUlT_E_NS1_11comp_targetILNS1_3genE2ELNS1_11target_archE906ELNS1_3gpuE6ELNS1_3repE0EEENS1_30default_config_static_selectorELNS0_4arch9wavefront6targetE1EEEvT1_
	.globl	_ZN7rocprim17ROCPRIM_400000_NS6detail17trampoline_kernelINS0_14default_configENS1_25transform_config_selectorIN3c107complexIfEELb1EEEZNS1_14transform_implILb1ES3_S8_PS7_SA_NS0_8identityIS7_EEEE10hipError_tT2_T3_mT4_P12ihipStream_tbEUlT_E_NS1_11comp_targetILNS1_3genE2ELNS1_11target_archE906ELNS1_3gpuE6ELNS1_3repE0EEENS1_30default_config_static_selectorELNS0_4arch9wavefront6targetE1EEEvT1_
	.p2align	8
	.type	_ZN7rocprim17ROCPRIM_400000_NS6detail17trampoline_kernelINS0_14default_configENS1_25transform_config_selectorIN3c107complexIfEELb1EEEZNS1_14transform_implILb1ES3_S8_PS7_SA_NS0_8identityIS7_EEEE10hipError_tT2_T3_mT4_P12ihipStream_tbEUlT_E_NS1_11comp_targetILNS1_3genE2ELNS1_11target_archE906ELNS1_3gpuE6ELNS1_3repE0EEENS1_30default_config_static_selectorELNS0_4arch9wavefront6targetE1EEEvT1_,@function
_ZN7rocprim17ROCPRIM_400000_NS6detail17trampoline_kernelINS0_14default_configENS1_25transform_config_selectorIN3c107complexIfEELb1EEEZNS1_14transform_implILb1ES3_S8_PS7_SA_NS0_8identityIS7_EEEE10hipError_tT2_T3_mT4_P12ihipStream_tbEUlT_E_NS1_11comp_targetILNS1_3genE2ELNS1_11target_archE906ELNS1_3gpuE6ELNS1_3repE0EEENS1_30default_config_static_selectorELNS0_4arch9wavefront6targetE1EEEvT1_: ; @_ZN7rocprim17ROCPRIM_400000_NS6detail17trampoline_kernelINS0_14default_configENS1_25transform_config_selectorIN3c107complexIfEELb1EEEZNS1_14transform_implILb1ES3_S8_PS7_SA_NS0_8identityIS7_EEEE10hipError_tT2_T3_mT4_P12ihipStream_tbEUlT_E_NS1_11comp_targetILNS1_3genE2ELNS1_11target_archE906ELNS1_3gpuE6ELNS1_3repE0EEENS1_30default_config_static_selectorELNS0_4arch9wavefront6targetE1EEEvT1_
; %bb.0:
	.section	.rodata,"a",@progbits
	.p2align	6, 0x0
	.amdhsa_kernel _ZN7rocprim17ROCPRIM_400000_NS6detail17trampoline_kernelINS0_14default_configENS1_25transform_config_selectorIN3c107complexIfEELb1EEEZNS1_14transform_implILb1ES3_S8_PS7_SA_NS0_8identityIS7_EEEE10hipError_tT2_T3_mT4_P12ihipStream_tbEUlT_E_NS1_11comp_targetILNS1_3genE2ELNS1_11target_archE906ELNS1_3gpuE6ELNS1_3repE0EEENS1_30default_config_static_selectorELNS0_4arch9wavefront6targetE1EEEvT1_
		.amdhsa_group_segment_fixed_size 0
		.amdhsa_private_segment_fixed_size 0
		.amdhsa_kernarg_size 40
		.amdhsa_user_sgpr_count 2
		.amdhsa_user_sgpr_dispatch_ptr 0
		.amdhsa_user_sgpr_queue_ptr 0
		.amdhsa_user_sgpr_kernarg_segment_ptr 1
		.amdhsa_user_sgpr_dispatch_id 0
		.amdhsa_user_sgpr_kernarg_preload_length 0
		.amdhsa_user_sgpr_kernarg_preload_offset 0
		.amdhsa_user_sgpr_private_segment_size 0
		.amdhsa_uses_dynamic_stack 0
		.amdhsa_enable_private_segment 0
		.amdhsa_system_sgpr_workgroup_id_x 1
		.amdhsa_system_sgpr_workgroup_id_y 0
		.amdhsa_system_sgpr_workgroup_id_z 0
		.amdhsa_system_sgpr_workgroup_info 0
		.amdhsa_system_vgpr_workitem_id 0
		.amdhsa_next_free_vgpr 1
		.amdhsa_next_free_sgpr 0
		.amdhsa_accum_offset 4
		.amdhsa_reserve_vcc 0
		.amdhsa_float_round_mode_32 0
		.amdhsa_float_round_mode_16_64 0
		.amdhsa_float_denorm_mode_32 3
		.amdhsa_float_denorm_mode_16_64 3
		.amdhsa_dx10_clamp 1
		.amdhsa_ieee_mode 1
		.amdhsa_fp16_overflow 0
		.amdhsa_tg_split 0
		.amdhsa_exception_fp_ieee_invalid_op 0
		.amdhsa_exception_fp_denorm_src 0
		.amdhsa_exception_fp_ieee_div_zero 0
		.amdhsa_exception_fp_ieee_overflow 0
		.amdhsa_exception_fp_ieee_underflow 0
		.amdhsa_exception_fp_ieee_inexact 0
		.amdhsa_exception_int_div_zero 0
	.end_amdhsa_kernel
	.section	.text._ZN7rocprim17ROCPRIM_400000_NS6detail17trampoline_kernelINS0_14default_configENS1_25transform_config_selectorIN3c107complexIfEELb1EEEZNS1_14transform_implILb1ES3_S8_PS7_SA_NS0_8identityIS7_EEEE10hipError_tT2_T3_mT4_P12ihipStream_tbEUlT_E_NS1_11comp_targetILNS1_3genE2ELNS1_11target_archE906ELNS1_3gpuE6ELNS1_3repE0EEENS1_30default_config_static_selectorELNS0_4arch9wavefront6targetE1EEEvT1_,"axG",@progbits,_ZN7rocprim17ROCPRIM_400000_NS6detail17trampoline_kernelINS0_14default_configENS1_25transform_config_selectorIN3c107complexIfEELb1EEEZNS1_14transform_implILb1ES3_S8_PS7_SA_NS0_8identityIS7_EEEE10hipError_tT2_T3_mT4_P12ihipStream_tbEUlT_E_NS1_11comp_targetILNS1_3genE2ELNS1_11target_archE906ELNS1_3gpuE6ELNS1_3repE0EEENS1_30default_config_static_selectorELNS0_4arch9wavefront6targetE1EEEvT1_,comdat
.Lfunc_end278:
	.size	_ZN7rocprim17ROCPRIM_400000_NS6detail17trampoline_kernelINS0_14default_configENS1_25transform_config_selectorIN3c107complexIfEELb1EEEZNS1_14transform_implILb1ES3_S8_PS7_SA_NS0_8identityIS7_EEEE10hipError_tT2_T3_mT4_P12ihipStream_tbEUlT_E_NS1_11comp_targetILNS1_3genE2ELNS1_11target_archE906ELNS1_3gpuE6ELNS1_3repE0EEENS1_30default_config_static_selectorELNS0_4arch9wavefront6targetE1EEEvT1_, .Lfunc_end278-_ZN7rocprim17ROCPRIM_400000_NS6detail17trampoline_kernelINS0_14default_configENS1_25transform_config_selectorIN3c107complexIfEELb1EEEZNS1_14transform_implILb1ES3_S8_PS7_SA_NS0_8identityIS7_EEEE10hipError_tT2_T3_mT4_P12ihipStream_tbEUlT_E_NS1_11comp_targetILNS1_3genE2ELNS1_11target_archE906ELNS1_3gpuE6ELNS1_3repE0EEENS1_30default_config_static_selectorELNS0_4arch9wavefront6targetE1EEEvT1_
                                        ; -- End function
	.set _ZN7rocprim17ROCPRIM_400000_NS6detail17trampoline_kernelINS0_14default_configENS1_25transform_config_selectorIN3c107complexIfEELb1EEEZNS1_14transform_implILb1ES3_S8_PS7_SA_NS0_8identityIS7_EEEE10hipError_tT2_T3_mT4_P12ihipStream_tbEUlT_E_NS1_11comp_targetILNS1_3genE2ELNS1_11target_archE906ELNS1_3gpuE6ELNS1_3repE0EEENS1_30default_config_static_selectorELNS0_4arch9wavefront6targetE1EEEvT1_.num_vgpr, 0
	.set _ZN7rocprim17ROCPRIM_400000_NS6detail17trampoline_kernelINS0_14default_configENS1_25transform_config_selectorIN3c107complexIfEELb1EEEZNS1_14transform_implILb1ES3_S8_PS7_SA_NS0_8identityIS7_EEEE10hipError_tT2_T3_mT4_P12ihipStream_tbEUlT_E_NS1_11comp_targetILNS1_3genE2ELNS1_11target_archE906ELNS1_3gpuE6ELNS1_3repE0EEENS1_30default_config_static_selectorELNS0_4arch9wavefront6targetE1EEEvT1_.num_agpr, 0
	.set _ZN7rocprim17ROCPRIM_400000_NS6detail17trampoline_kernelINS0_14default_configENS1_25transform_config_selectorIN3c107complexIfEELb1EEEZNS1_14transform_implILb1ES3_S8_PS7_SA_NS0_8identityIS7_EEEE10hipError_tT2_T3_mT4_P12ihipStream_tbEUlT_E_NS1_11comp_targetILNS1_3genE2ELNS1_11target_archE906ELNS1_3gpuE6ELNS1_3repE0EEENS1_30default_config_static_selectorELNS0_4arch9wavefront6targetE1EEEvT1_.numbered_sgpr, 0
	.set _ZN7rocprim17ROCPRIM_400000_NS6detail17trampoline_kernelINS0_14default_configENS1_25transform_config_selectorIN3c107complexIfEELb1EEEZNS1_14transform_implILb1ES3_S8_PS7_SA_NS0_8identityIS7_EEEE10hipError_tT2_T3_mT4_P12ihipStream_tbEUlT_E_NS1_11comp_targetILNS1_3genE2ELNS1_11target_archE906ELNS1_3gpuE6ELNS1_3repE0EEENS1_30default_config_static_selectorELNS0_4arch9wavefront6targetE1EEEvT1_.num_named_barrier, 0
	.set _ZN7rocprim17ROCPRIM_400000_NS6detail17trampoline_kernelINS0_14default_configENS1_25transform_config_selectorIN3c107complexIfEELb1EEEZNS1_14transform_implILb1ES3_S8_PS7_SA_NS0_8identityIS7_EEEE10hipError_tT2_T3_mT4_P12ihipStream_tbEUlT_E_NS1_11comp_targetILNS1_3genE2ELNS1_11target_archE906ELNS1_3gpuE6ELNS1_3repE0EEENS1_30default_config_static_selectorELNS0_4arch9wavefront6targetE1EEEvT1_.private_seg_size, 0
	.set _ZN7rocprim17ROCPRIM_400000_NS6detail17trampoline_kernelINS0_14default_configENS1_25transform_config_selectorIN3c107complexIfEELb1EEEZNS1_14transform_implILb1ES3_S8_PS7_SA_NS0_8identityIS7_EEEE10hipError_tT2_T3_mT4_P12ihipStream_tbEUlT_E_NS1_11comp_targetILNS1_3genE2ELNS1_11target_archE906ELNS1_3gpuE6ELNS1_3repE0EEENS1_30default_config_static_selectorELNS0_4arch9wavefront6targetE1EEEvT1_.uses_vcc, 0
	.set _ZN7rocprim17ROCPRIM_400000_NS6detail17trampoline_kernelINS0_14default_configENS1_25transform_config_selectorIN3c107complexIfEELb1EEEZNS1_14transform_implILb1ES3_S8_PS7_SA_NS0_8identityIS7_EEEE10hipError_tT2_T3_mT4_P12ihipStream_tbEUlT_E_NS1_11comp_targetILNS1_3genE2ELNS1_11target_archE906ELNS1_3gpuE6ELNS1_3repE0EEENS1_30default_config_static_selectorELNS0_4arch9wavefront6targetE1EEEvT1_.uses_flat_scratch, 0
	.set _ZN7rocprim17ROCPRIM_400000_NS6detail17trampoline_kernelINS0_14default_configENS1_25transform_config_selectorIN3c107complexIfEELb1EEEZNS1_14transform_implILb1ES3_S8_PS7_SA_NS0_8identityIS7_EEEE10hipError_tT2_T3_mT4_P12ihipStream_tbEUlT_E_NS1_11comp_targetILNS1_3genE2ELNS1_11target_archE906ELNS1_3gpuE6ELNS1_3repE0EEENS1_30default_config_static_selectorELNS0_4arch9wavefront6targetE1EEEvT1_.has_dyn_sized_stack, 0
	.set _ZN7rocprim17ROCPRIM_400000_NS6detail17trampoline_kernelINS0_14default_configENS1_25transform_config_selectorIN3c107complexIfEELb1EEEZNS1_14transform_implILb1ES3_S8_PS7_SA_NS0_8identityIS7_EEEE10hipError_tT2_T3_mT4_P12ihipStream_tbEUlT_E_NS1_11comp_targetILNS1_3genE2ELNS1_11target_archE906ELNS1_3gpuE6ELNS1_3repE0EEENS1_30default_config_static_selectorELNS0_4arch9wavefront6targetE1EEEvT1_.has_recursion, 0
	.set _ZN7rocprim17ROCPRIM_400000_NS6detail17trampoline_kernelINS0_14default_configENS1_25transform_config_selectorIN3c107complexIfEELb1EEEZNS1_14transform_implILb1ES3_S8_PS7_SA_NS0_8identityIS7_EEEE10hipError_tT2_T3_mT4_P12ihipStream_tbEUlT_E_NS1_11comp_targetILNS1_3genE2ELNS1_11target_archE906ELNS1_3gpuE6ELNS1_3repE0EEENS1_30default_config_static_selectorELNS0_4arch9wavefront6targetE1EEEvT1_.has_indirect_call, 0
	.section	.AMDGPU.csdata,"",@progbits
; Kernel info:
; codeLenInByte = 0
; TotalNumSgprs: 6
; NumVgprs: 0
; NumAgprs: 0
; TotalNumVgprs: 0
; ScratchSize: 0
; MemoryBound: 0
; FloatMode: 240
; IeeeMode: 1
; LDSByteSize: 0 bytes/workgroup (compile time only)
; SGPRBlocks: 0
; VGPRBlocks: 0
; NumSGPRsForWavesPerEU: 6
; NumVGPRsForWavesPerEU: 1
; AccumOffset: 4
; Occupancy: 8
; WaveLimiterHint : 0
; COMPUTE_PGM_RSRC2:SCRATCH_EN: 0
; COMPUTE_PGM_RSRC2:USER_SGPR: 2
; COMPUTE_PGM_RSRC2:TRAP_HANDLER: 0
; COMPUTE_PGM_RSRC2:TGID_X_EN: 1
; COMPUTE_PGM_RSRC2:TGID_Y_EN: 0
; COMPUTE_PGM_RSRC2:TGID_Z_EN: 0
; COMPUTE_PGM_RSRC2:TIDIG_COMP_CNT: 0
; COMPUTE_PGM_RSRC3_GFX90A:ACCUM_OFFSET: 0
; COMPUTE_PGM_RSRC3_GFX90A:TG_SPLIT: 0
	.section	.text._ZN7rocprim17ROCPRIM_400000_NS6detail17trampoline_kernelINS0_14default_configENS1_25transform_config_selectorIN3c107complexIfEELb1EEEZNS1_14transform_implILb1ES3_S8_PS7_SA_NS0_8identityIS7_EEEE10hipError_tT2_T3_mT4_P12ihipStream_tbEUlT_E_NS1_11comp_targetILNS1_3genE9ELNS1_11target_archE1100ELNS1_3gpuE3ELNS1_3repE0EEENS1_30default_config_static_selectorELNS0_4arch9wavefront6targetE1EEEvT1_,"axG",@progbits,_ZN7rocprim17ROCPRIM_400000_NS6detail17trampoline_kernelINS0_14default_configENS1_25transform_config_selectorIN3c107complexIfEELb1EEEZNS1_14transform_implILb1ES3_S8_PS7_SA_NS0_8identityIS7_EEEE10hipError_tT2_T3_mT4_P12ihipStream_tbEUlT_E_NS1_11comp_targetILNS1_3genE9ELNS1_11target_archE1100ELNS1_3gpuE3ELNS1_3repE0EEENS1_30default_config_static_selectorELNS0_4arch9wavefront6targetE1EEEvT1_,comdat
	.protected	_ZN7rocprim17ROCPRIM_400000_NS6detail17trampoline_kernelINS0_14default_configENS1_25transform_config_selectorIN3c107complexIfEELb1EEEZNS1_14transform_implILb1ES3_S8_PS7_SA_NS0_8identityIS7_EEEE10hipError_tT2_T3_mT4_P12ihipStream_tbEUlT_E_NS1_11comp_targetILNS1_3genE9ELNS1_11target_archE1100ELNS1_3gpuE3ELNS1_3repE0EEENS1_30default_config_static_selectorELNS0_4arch9wavefront6targetE1EEEvT1_ ; -- Begin function _ZN7rocprim17ROCPRIM_400000_NS6detail17trampoline_kernelINS0_14default_configENS1_25transform_config_selectorIN3c107complexIfEELb1EEEZNS1_14transform_implILb1ES3_S8_PS7_SA_NS0_8identityIS7_EEEE10hipError_tT2_T3_mT4_P12ihipStream_tbEUlT_E_NS1_11comp_targetILNS1_3genE9ELNS1_11target_archE1100ELNS1_3gpuE3ELNS1_3repE0EEENS1_30default_config_static_selectorELNS0_4arch9wavefront6targetE1EEEvT1_
	.globl	_ZN7rocprim17ROCPRIM_400000_NS6detail17trampoline_kernelINS0_14default_configENS1_25transform_config_selectorIN3c107complexIfEELb1EEEZNS1_14transform_implILb1ES3_S8_PS7_SA_NS0_8identityIS7_EEEE10hipError_tT2_T3_mT4_P12ihipStream_tbEUlT_E_NS1_11comp_targetILNS1_3genE9ELNS1_11target_archE1100ELNS1_3gpuE3ELNS1_3repE0EEENS1_30default_config_static_selectorELNS0_4arch9wavefront6targetE1EEEvT1_
	.p2align	8
	.type	_ZN7rocprim17ROCPRIM_400000_NS6detail17trampoline_kernelINS0_14default_configENS1_25transform_config_selectorIN3c107complexIfEELb1EEEZNS1_14transform_implILb1ES3_S8_PS7_SA_NS0_8identityIS7_EEEE10hipError_tT2_T3_mT4_P12ihipStream_tbEUlT_E_NS1_11comp_targetILNS1_3genE9ELNS1_11target_archE1100ELNS1_3gpuE3ELNS1_3repE0EEENS1_30default_config_static_selectorELNS0_4arch9wavefront6targetE1EEEvT1_,@function
_ZN7rocprim17ROCPRIM_400000_NS6detail17trampoline_kernelINS0_14default_configENS1_25transform_config_selectorIN3c107complexIfEELb1EEEZNS1_14transform_implILb1ES3_S8_PS7_SA_NS0_8identityIS7_EEEE10hipError_tT2_T3_mT4_P12ihipStream_tbEUlT_E_NS1_11comp_targetILNS1_3genE9ELNS1_11target_archE1100ELNS1_3gpuE3ELNS1_3repE0EEENS1_30default_config_static_selectorELNS0_4arch9wavefront6targetE1EEEvT1_: ; @_ZN7rocprim17ROCPRIM_400000_NS6detail17trampoline_kernelINS0_14default_configENS1_25transform_config_selectorIN3c107complexIfEELb1EEEZNS1_14transform_implILb1ES3_S8_PS7_SA_NS0_8identityIS7_EEEE10hipError_tT2_T3_mT4_P12ihipStream_tbEUlT_E_NS1_11comp_targetILNS1_3genE9ELNS1_11target_archE1100ELNS1_3gpuE3ELNS1_3repE0EEENS1_30default_config_static_selectorELNS0_4arch9wavefront6targetE1EEEvT1_
; %bb.0:
	.section	.rodata,"a",@progbits
	.p2align	6, 0x0
	.amdhsa_kernel _ZN7rocprim17ROCPRIM_400000_NS6detail17trampoline_kernelINS0_14default_configENS1_25transform_config_selectorIN3c107complexIfEELb1EEEZNS1_14transform_implILb1ES3_S8_PS7_SA_NS0_8identityIS7_EEEE10hipError_tT2_T3_mT4_P12ihipStream_tbEUlT_E_NS1_11comp_targetILNS1_3genE9ELNS1_11target_archE1100ELNS1_3gpuE3ELNS1_3repE0EEENS1_30default_config_static_selectorELNS0_4arch9wavefront6targetE1EEEvT1_
		.amdhsa_group_segment_fixed_size 0
		.amdhsa_private_segment_fixed_size 0
		.amdhsa_kernarg_size 40
		.amdhsa_user_sgpr_count 2
		.amdhsa_user_sgpr_dispatch_ptr 0
		.amdhsa_user_sgpr_queue_ptr 0
		.amdhsa_user_sgpr_kernarg_segment_ptr 1
		.amdhsa_user_sgpr_dispatch_id 0
		.amdhsa_user_sgpr_kernarg_preload_length 0
		.amdhsa_user_sgpr_kernarg_preload_offset 0
		.amdhsa_user_sgpr_private_segment_size 0
		.amdhsa_uses_dynamic_stack 0
		.amdhsa_enable_private_segment 0
		.amdhsa_system_sgpr_workgroup_id_x 1
		.amdhsa_system_sgpr_workgroup_id_y 0
		.amdhsa_system_sgpr_workgroup_id_z 0
		.amdhsa_system_sgpr_workgroup_info 0
		.amdhsa_system_vgpr_workitem_id 0
		.amdhsa_next_free_vgpr 1
		.amdhsa_next_free_sgpr 0
		.amdhsa_accum_offset 4
		.amdhsa_reserve_vcc 0
		.amdhsa_float_round_mode_32 0
		.amdhsa_float_round_mode_16_64 0
		.amdhsa_float_denorm_mode_32 3
		.amdhsa_float_denorm_mode_16_64 3
		.amdhsa_dx10_clamp 1
		.amdhsa_ieee_mode 1
		.amdhsa_fp16_overflow 0
		.amdhsa_tg_split 0
		.amdhsa_exception_fp_ieee_invalid_op 0
		.amdhsa_exception_fp_denorm_src 0
		.amdhsa_exception_fp_ieee_div_zero 0
		.amdhsa_exception_fp_ieee_overflow 0
		.amdhsa_exception_fp_ieee_underflow 0
		.amdhsa_exception_fp_ieee_inexact 0
		.amdhsa_exception_int_div_zero 0
	.end_amdhsa_kernel
	.section	.text._ZN7rocprim17ROCPRIM_400000_NS6detail17trampoline_kernelINS0_14default_configENS1_25transform_config_selectorIN3c107complexIfEELb1EEEZNS1_14transform_implILb1ES3_S8_PS7_SA_NS0_8identityIS7_EEEE10hipError_tT2_T3_mT4_P12ihipStream_tbEUlT_E_NS1_11comp_targetILNS1_3genE9ELNS1_11target_archE1100ELNS1_3gpuE3ELNS1_3repE0EEENS1_30default_config_static_selectorELNS0_4arch9wavefront6targetE1EEEvT1_,"axG",@progbits,_ZN7rocprim17ROCPRIM_400000_NS6detail17trampoline_kernelINS0_14default_configENS1_25transform_config_selectorIN3c107complexIfEELb1EEEZNS1_14transform_implILb1ES3_S8_PS7_SA_NS0_8identityIS7_EEEE10hipError_tT2_T3_mT4_P12ihipStream_tbEUlT_E_NS1_11comp_targetILNS1_3genE9ELNS1_11target_archE1100ELNS1_3gpuE3ELNS1_3repE0EEENS1_30default_config_static_selectorELNS0_4arch9wavefront6targetE1EEEvT1_,comdat
.Lfunc_end279:
	.size	_ZN7rocprim17ROCPRIM_400000_NS6detail17trampoline_kernelINS0_14default_configENS1_25transform_config_selectorIN3c107complexIfEELb1EEEZNS1_14transform_implILb1ES3_S8_PS7_SA_NS0_8identityIS7_EEEE10hipError_tT2_T3_mT4_P12ihipStream_tbEUlT_E_NS1_11comp_targetILNS1_3genE9ELNS1_11target_archE1100ELNS1_3gpuE3ELNS1_3repE0EEENS1_30default_config_static_selectorELNS0_4arch9wavefront6targetE1EEEvT1_, .Lfunc_end279-_ZN7rocprim17ROCPRIM_400000_NS6detail17trampoline_kernelINS0_14default_configENS1_25transform_config_selectorIN3c107complexIfEELb1EEEZNS1_14transform_implILb1ES3_S8_PS7_SA_NS0_8identityIS7_EEEE10hipError_tT2_T3_mT4_P12ihipStream_tbEUlT_E_NS1_11comp_targetILNS1_3genE9ELNS1_11target_archE1100ELNS1_3gpuE3ELNS1_3repE0EEENS1_30default_config_static_selectorELNS0_4arch9wavefront6targetE1EEEvT1_
                                        ; -- End function
	.set _ZN7rocprim17ROCPRIM_400000_NS6detail17trampoline_kernelINS0_14default_configENS1_25transform_config_selectorIN3c107complexIfEELb1EEEZNS1_14transform_implILb1ES3_S8_PS7_SA_NS0_8identityIS7_EEEE10hipError_tT2_T3_mT4_P12ihipStream_tbEUlT_E_NS1_11comp_targetILNS1_3genE9ELNS1_11target_archE1100ELNS1_3gpuE3ELNS1_3repE0EEENS1_30default_config_static_selectorELNS0_4arch9wavefront6targetE1EEEvT1_.num_vgpr, 0
	.set _ZN7rocprim17ROCPRIM_400000_NS6detail17trampoline_kernelINS0_14default_configENS1_25transform_config_selectorIN3c107complexIfEELb1EEEZNS1_14transform_implILb1ES3_S8_PS7_SA_NS0_8identityIS7_EEEE10hipError_tT2_T3_mT4_P12ihipStream_tbEUlT_E_NS1_11comp_targetILNS1_3genE9ELNS1_11target_archE1100ELNS1_3gpuE3ELNS1_3repE0EEENS1_30default_config_static_selectorELNS0_4arch9wavefront6targetE1EEEvT1_.num_agpr, 0
	.set _ZN7rocprim17ROCPRIM_400000_NS6detail17trampoline_kernelINS0_14default_configENS1_25transform_config_selectorIN3c107complexIfEELb1EEEZNS1_14transform_implILb1ES3_S8_PS7_SA_NS0_8identityIS7_EEEE10hipError_tT2_T3_mT4_P12ihipStream_tbEUlT_E_NS1_11comp_targetILNS1_3genE9ELNS1_11target_archE1100ELNS1_3gpuE3ELNS1_3repE0EEENS1_30default_config_static_selectorELNS0_4arch9wavefront6targetE1EEEvT1_.numbered_sgpr, 0
	.set _ZN7rocprim17ROCPRIM_400000_NS6detail17trampoline_kernelINS0_14default_configENS1_25transform_config_selectorIN3c107complexIfEELb1EEEZNS1_14transform_implILb1ES3_S8_PS7_SA_NS0_8identityIS7_EEEE10hipError_tT2_T3_mT4_P12ihipStream_tbEUlT_E_NS1_11comp_targetILNS1_3genE9ELNS1_11target_archE1100ELNS1_3gpuE3ELNS1_3repE0EEENS1_30default_config_static_selectorELNS0_4arch9wavefront6targetE1EEEvT1_.num_named_barrier, 0
	.set _ZN7rocprim17ROCPRIM_400000_NS6detail17trampoline_kernelINS0_14default_configENS1_25transform_config_selectorIN3c107complexIfEELb1EEEZNS1_14transform_implILb1ES3_S8_PS7_SA_NS0_8identityIS7_EEEE10hipError_tT2_T3_mT4_P12ihipStream_tbEUlT_E_NS1_11comp_targetILNS1_3genE9ELNS1_11target_archE1100ELNS1_3gpuE3ELNS1_3repE0EEENS1_30default_config_static_selectorELNS0_4arch9wavefront6targetE1EEEvT1_.private_seg_size, 0
	.set _ZN7rocprim17ROCPRIM_400000_NS6detail17trampoline_kernelINS0_14default_configENS1_25transform_config_selectorIN3c107complexIfEELb1EEEZNS1_14transform_implILb1ES3_S8_PS7_SA_NS0_8identityIS7_EEEE10hipError_tT2_T3_mT4_P12ihipStream_tbEUlT_E_NS1_11comp_targetILNS1_3genE9ELNS1_11target_archE1100ELNS1_3gpuE3ELNS1_3repE0EEENS1_30default_config_static_selectorELNS0_4arch9wavefront6targetE1EEEvT1_.uses_vcc, 0
	.set _ZN7rocprim17ROCPRIM_400000_NS6detail17trampoline_kernelINS0_14default_configENS1_25transform_config_selectorIN3c107complexIfEELb1EEEZNS1_14transform_implILb1ES3_S8_PS7_SA_NS0_8identityIS7_EEEE10hipError_tT2_T3_mT4_P12ihipStream_tbEUlT_E_NS1_11comp_targetILNS1_3genE9ELNS1_11target_archE1100ELNS1_3gpuE3ELNS1_3repE0EEENS1_30default_config_static_selectorELNS0_4arch9wavefront6targetE1EEEvT1_.uses_flat_scratch, 0
	.set _ZN7rocprim17ROCPRIM_400000_NS6detail17trampoline_kernelINS0_14default_configENS1_25transform_config_selectorIN3c107complexIfEELb1EEEZNS1_14transform_implILb1ES3_S8_PS7_SA_NS0_8identityIS7_EEEE10hipError_tT2_T3_mT4_P12ihipStream_tbEUlT_E_NS1_11comp_targetILNS1_3genE9ELNS1_11target_archE1100ELNS1_3gpuE3ELNS1_3repE0EEENS1_30default_config_static_selectorELNS0_4arch9wavefront6targetE1EEEvT1_.has_dyn_sized_stack, 0
	.set _ZN7rocprim17ROCPRIM_400000_NS6detail17trampoline_kernelINS0_14default_configENS1_25transform_config_selectorIN3c107complexIfEELb1EEEZNS1_14transform_implILb1ES3_S8_PS7_SA_NS0_8identityIS7_EEEE10hipError_tT2_T3_mT4_P12ihipStream_tbEUlT_E_NS1_11comp_targetILNS1_3genE9ELNS1_11target_archE1100ELNS1_3gpuE3ELNS1_3repE0EEENS1_30default_config_static_selectorELNS0_4arch9wavefront6targetE1EEEvT1_.has_recursion, 0
	.set _ZN7rocprim17ROCPRIM_400000_NS6detail17trampoline_kernelINS0_14default_configENS1_25transform_config_selectorIN3c107complexIfEELb1EEEZNS1_14transform_implILb1ES3_S8_PS7_SA_NS0_8identityIS7_EEEE10hipError_tT2_T3_mT4_P12ihipStream_tbEUlT_E_NS1_11comp_targetILNS1_3genE9ELNS1_11target_archE1100ELNS1_3gpuE3ELNS1_3repE0EEENS1_30default_config_static_selectorELNS0_4arch9wavefront6targetE1EEEvT1_.has_indirect_call, 0
	.section	.AMDGPU.csdata,"",@progbits
; Kernel info:
; codeLenInByte = 0
; TotalNumSgprs: 6
; NumVgprs: 0
; NumAgprs: 0
; TotalNumVgprs: 0
; ScratchSize: 0
; MemoryBound: 0
; FloatMode: 240
; IeeeMode: 1
; LDSByteSize: 0 bytes/workgroup (compile time only)
; SGPRBlocks: 0
; VGPRBlocks: 0
; NumSGPRsForWavesPerEU: 6
; NumVGPRsForWavesPerEU: 1
; AccumOffset: 4
; Occupancy: 8
; WaveLimiterHint : 0
; COMPUTE_PGM_RSRC2:SCRATCH_EN: 0
; COMPUTE_PGM_RSRC2:USER_SGPR: 2
; COMPUTE_PGM_RSRC2:TRAP_HANDLER: 0
; COMPUTE_PGM_RSRC2:TGID_X_EN: 1
; COMPUTE_PGM_RSRC2:TGID_Y_EN: 0
; COMPUTE_PGM_RSRC2:TGID_Z_EN: 0
; COMPUTE_PGM_RSRC2:TIDIG_COMP_CNT: 0
; COMPUTE_PGM_RSRC3_GFX90A:ACCUM_OFFSET: 0
; COMPUTE_PGM_RSRC3_GFX90A:TG_SPLIT: 0
	.section	.text._ZN7rocprim17ROCPRIM_400000_NS6detail17trampoline_kernelINS0_14default_configENS1_25transform_config_selectorIN3c107complexIfEELb1EEEZNS1_14transform_implILb1ES3_S8_PS7_SA_NS0_8identityIS7_EEEE10hipError_tT2_T3_mT4_P12ihipStream_tbEUlT_E_NS1_11comp_targetILNS1_3genE8ELNS1_11target_archE1030ELNS1_3gpuE2ELNS1_3repE0EEENS1_30default_config_static_selectorELNS0_4arch9wavefront6targetE1EEEvT1_,"axG",@progbits,_ZN7rocprim17ROCPRIM_400000_NS6detail17trampoline_kernelINS0_14default_configENS1_25transform_config_selectorIN3c107complexIfEELb1EEEZNS1_14transform_implILb1ES3_S8_PS7_SA_NS0_8identityIS7_EEEE10hipError_tT2_T3_mT4_P12ihipStream_tbEUlT_E_NS1_11comp_targetILNS1_3genE8ELNS1_11target_archE1030ELNS1_3gpuE2ELNS1_3repE0EEENS1_30default_config_static_selectorELNS0_4arch9wavefront6targetE1EEEvT1_,comdat
	.protected	_ZN7rocprim17ROCPRIM_400000_NS6detail17trampoline_kernelINS0_14default_configENS1_25transform_config_selectorIN3c107complexIfEELb1EEEZNS1_14transform_implILb1ES3_S8_PS7_SA_NS0_8identityIS7_EEEE10hipError_tT2_T3_mT4_P12ihipStream_tbEUlT_E_NS1_11comp_targetILNS1_3genE8ELNS1_11target_archE1030ELNS1_3gpuE2ELNS1_3repE0EEENS1_30default_config_static_selectorELNS0_4arch9wavefront6targetE1EEEvT1_ ; -- Begin function _ZN7rocprim17ROCPRIM_400000_NS6detail17trampoline_kernelINS0_14default_configENS1_25transform_config_selectorIN3c107complexIfEELb1EEEZNS1_14transform_implILb1ES3_S8_PS7_SA_NS0_8identityIS7_EEEE10hipError_tT2_T3_mT4_P12ihipStream_tbEUlT_E_NS1_11comp_targetILNS1_3genE8ELNS1_11target_archE1030ELNS1_3gpuE2ELNS1_3repE0EEENS1_30default_config_static_selectorELNS0_4arch9wavefront6targetE1EEEvT1_
	.globl	_ZN7rocprim17ROCPRIM_400000_NS6detail17trampoline_kernelINS0_14default_configENS1_25transform_config_selectorIN3c107complexIfEELb1EEEZNS1_14transform_implILb1ES3_S8_PS7_SA_NS0_8identityIS7_EEEE10hipError_tT2_T3_mT4_P12ihipStream_tbEUlT_E_NS1_11comp_targetILNS1_3genE8ELNS1_11target_archE1030ELNS1_3gpuE2ELNS1_3repE0EEENS1_30default_config_static_selectorELNS0_4arch9wavefront6targetE1EEEvT1_
	.p2align	8
	.type	_ZN7rocprim17ROCPRIM_400000_NS6detail17trampoline_kernelINS0_14default_configENS1_25transform_config_selectorIN3c107complexIfEELb1EEEZNS1_14transform_implILb1ES3_S8_PS7_SA_NS0_8identityIS7_EEEE10hipError_tT2_T3_mT4_P12ihipStream_tbEUlT_E_NS1_11comp_targetILNS1_3genE8ELNS1_11target_archE1030ELNS1_3gpuE2ELNS1_3repE0EEENS1_30default_config_static_selectorELNS0_4arch9wavefront6targetE1EEEvT1_,@function
_ZN7rocprim17ROCPRIM_400000_NS6detail17trampoline_kernelINS0_14default_configENS1_25transform_config_selectorIN3c107complexIfEELb1EEEZNS1_14transform_implILb1ES3_S8_PS7_SA_NS0_8identityIS7_EEEE10hipError_tT2_T3_mT4_P12ihipStream_tbEUlT_E_NS1_11comp_targetILNS1_3genE8ELNS1_11target_archE1030ELNS1_3gpuE2ELNS1_3repE0EEENS1_30default_config_static_selectorELNS0_4arch9wavefront6targetE1EEEvT1_: ; @_ZN7rocprim17ROCPRIM_400000_NS6detail17trampoline_kernelINS0_14default_configENS1_25transform_config_selectorIN3c107complexIfEELb1EEEZNS1_14transform_implILb1ES3_S8_PS7_SA_NS0_8identityIS7_EEEE10hipError_tT2_T3_mT4_P12ihipStream_tbEUlT_E_NS1_11comp_targetILNS1_3genE8ELNS1_11target_archE1030ELNS1_3gpuE2ELNS1_3repE0EEENS1_30default_config_static_selectorELNS0_4arch9wavefront6targetE1EEEvT1_
; %bb.0:
	.section	.rodata,"a",@progbits
	.p2align	6, 0x0
	.amdhsa_kernel _ZN7rocprim17ROCPRIM_400000_NS6detail17trampoline_kernelINS0_14default_configENS1_25transform_config_selectorIN3c107complexIfEELb1EEEZNS1_14transform_implILb1ES3_S8_PS7_SA_NS0_8identityIS7_EEEE10hipError_tT2_T3_mT4_P12ihipStream_tbEUlT_E_NS1_11comp_targetILNS1_3genE8ELNS1_11target_archE1030ELNS1_3gpuE2ELNS1_3repE0EEENS1_30default_config_static_selectorELNS0_4arch9wavefront6targetE1EEEvT1_
		.amdhsa_group_segment_fixed_size 0
		.amdhsa_private_segment_fixed_size 0
		.amdhsa_kernarg_size 40
		.amdhsa_user_sgpr_count 2
		.amdhsa_user_sgpr_dispatch_ptr 0
		.amdhsa_user_sgpr_queue_ptr 0
		.amdhsa_user_sgpr_kernarg_segment_ptr 1
		.amdhsa_user_sgpr_dispatch_id 0
		.amdhsa_user_sgpr_kernarg_preload_length 0
		.amdhsa_user_sgpr_kernarg_preload_offset 0
		.amdhsa_user_sgpr_private_segment_size 0
		.amdhsa_uses_dynamic_stack 0
		.amdhsa_enable_private_segment 0
		.amdhsa_system_sgpr_workgroup_id_x 1
		.amdhsa_system_sgpr_workgroup_id_y 0
		.amdhsa_system_sgpr_workgroup_id_z 0
		.amdhsa_system_sgpr_workgroup_info 0
		.amdhsa_system_vgpr_workitem_id 0
		.amdhsa_next_free_vgpr 1
		.amdhsa_next_free_sgpr 0
		.amdhsa_accum_offset 4
		.amdhsa_reserve_vcc 0
		.amdhsa_float_round_mode_32 0
		.amdhsa_float_round_mode_16_64 0
		.amdhsa_float_denorm_mode_32 3
		.amdhsa_float_denorm_mode_16_64 3
		.amdhsa_dx10_clamp 1
		.amdhsa_ieee_mode 1
		.amdhsa_fp16_overflow 0
		.amdhsa_tg_split 0
		.amdhsa_exception_fp_ieee_invalid_op 0
		.amdhsa_exception_fp_denorm_src 0
		.amdhsa_exception_fp_ieee_div_zero 0
		.amdhsa_exception_fp_ieee_overflow 0
		.amdhsa_exception_fp_ieee_underflow 0
		.amdhsa_exception_fp_ieee_inexact 0
		.amdhsa_exception_int_div_zero 0
	.end_amdhsa_kernel
	.section	.text._ZN7rocprim17ROCPRIM_400000_NS6detail17trampoline_kernelINS0_14default_configENS1_25transform_config_selectorIN3c107complexIfEELb1EEEZNS1_14transform_implILb1ES3_S8_PS7_SA_NS0_8identityIS7_EEEE10hipError_tT2_T3_mT4_P12ihipStream_tbEUlT_E_NS1_11comp_targetILNS1_3genE8ELNS1_11target_archE1030ELNS1_3gpuE2ELNS1_3repE0EEENS1_30default_config_static_selectorELNS0_4arch9wavefront6targetE1EEEvT1_,"axG",@progbits,_ZN7rocprim17ROCPRIM_400000_NS6detail17trampoline_kernelINS0_14default_configENS1_25transform_config_selectorIN3c107complexIfEELb1EEEZNS1_14transform_implILb1ES3_S8_PS7_SA_NS0_8identityIS7_EEEE10hipError_tT2_T3_mT4_P12ihipStream_tbEUlT_E_NS1_11comp_targetILNS1_3genE8ELNS1_11target_archE1030ELNS1_3gpuE2ELNS1_3repE0EEENS1_30default_config_static_selectorELNS0_4arch9wavefront6targetE1EEEvT1_,comdat
.Lfunc_end280:
	.size	_ZN7rocprim17ROCPRIM_400000_NS6detail17trampoline_kernelINS0_14default_configENS1_25transform_config_selectorIN3c107complexIfEELb1EEEZNS1_14transform_implILb1ES3_S8_PS7_SA_NS0_8identityIS7_EEEE10hipError_tT2_T3_mT4_P12ihipStream_tbEUlT_E_NS1_11comp_targetILNS1_3genE8ELNS1_11target_archE1030ELNS1_3gpuE2ELNS1_3repE0EEENS1_30default_config_static_selectorELNS0_4arch9wavefront6targetE1EEEvT1_, .Lfunc_end280-_ZN7rocprim17ROCPRIM_400000_NS6detail17trampoline_kernelINS0_14default_configENS1_25transform_config_selectorIN3c107complexIfEELb1EEEZNS1_14transform_implILb1ES3_S8_PS7_SA_NS0_8identityIS7_EEEE10hipError_tT2_T3_mT4_P12ihipStream_tbEUlT_E_NS1_11comp_targetILNS1_3genE8ELNS1_11target_archE1030ELNS1_3gpuE2ELNS1_3repE0EEENS1_30default_config_static_selectorELNS0_4arch9wavefront6targetE1EEEvT1_
                                        ; -- End function
	.set _ZN7rocprim17ROCPRIM_400000_NS6detail17trampoline_kernelINS0_14default_configENS1_25transform_config_selectorIN3c107complexIfEELb1EEEZNS1_14transform_implILb1ES3_S8_PS7_SA_NS0_8identityIS7_EEEE10hipError_tT2_T3_mT4_P12ihipStream_tbEUlT_E_NS1_11comp_targetILNS1_3genE8ELNS1_11target_archE1030ELNS1_3gpuE2ELNS1_3repE0EEENS1_30default_config_static_selectorELNS0_4arch9wavefront6targetE1EEEvT1_.num_vgpr, 0
	.set _ZN7rocprim17ROCPRIM_400000_NS6detail17trampoline_kernelINS0_14default_configENS1_25transform_config_selectorIN3c107complexIfEELb1EEEZNS1_14transform_implILb1ES3_S8_PS7_SA_NS0_8identityIS7_EEEE10hipError_tT2_T3_mT4_P12ihipStream_tbEUlT_E_NS1_11comp_targetILNS1_3genE8ELNS1_11target_archE1030ELNS1_3gpuE2ELNS1_3repE0EEENS1_30default_config_static_selectorELNS0_4arch9wavefront6targetE1EEEvT1_.num_agpr, 0
	.set _ZN7rocprim17ROCPRIM_400000_NS6detail17trampoline_kernelINS0_14default_configENS1_25transform_config_selectorIN3c107complexIfEELb1EEEZNS1_14transform_implILb1ES3_S8_PS7_SA_NS0_8identityIS7_EEEE10hipError_tT2_T3_mT4_P12ihipStream_tbEUlT_E_NS1_11comp_targetILNS1_3genE8ELNS1_11target_archE1030ELNS1_3gpuE2ELNS1_3repE0EEENS1_30default_config_static_selectorELNS0_4arch9wavefront6targetE1EEEvT1_.numbered_sgpr, 0
	.set _ZN7rocprim17ROCPRIM_400000_NS6detail17trampoline_kernelINS0_14default_configENS1_25transform_config_selectorIN3c107complexIfEELb1EEEZNS1_14transform_implILb1ES3_S8_PS7_SA_NS0_8identityIS7_EEEE10hipError_tT2_T3_mT4_P12ihipStream_tbEUlT_E_NS1_11comp_targetILNS1_3genE8ELNS1_11target_archE1030ELNS1_3gpuE2ELNS1_3repE0EEENS1_30default_config_static_selectorELNS0_4arch9wavefront6targetE1EEEvT1_.num_named_barrier, 0
	.set _ZN7rocprim17ROCPRIM_400000_NS6detail17trampoline_kernelINS0_14default_configENS1_25transform_config_selectorIN3c107complexIfEELb1EEEZNS1_14transform_implILb1ES3_S8_PS7_SA_NS0_8identityIS7_EEEE10hipError_tT2_T3_mT4_P12ihipStream_tbEUlT_E_NS1_11comp_targetILNS1_3genE8ELNS1_11target_archE1030ELNS1_3gpuE2ELNS1_3repE0EEENS1_30default_config_static_selectorELNS0_4arch9wavefront6targetE1EEEvT1_.private_seg_size, 0
	.set _ZN7rocprim17ROCPRIM_400000_NS6detail17trampoline_kernelINS0_14default_configENS1_25transform_config_selectorIN3c107complexIfEELb1EEEZNS1_14transform_implILb1ES3_S8_PS7_SA_NS0_8identityIS7_EEEE10hipError_tT2_T3_mT4_P12ihipStream_tbEUlT_E_NS1_11comp_targetILNS1_3genE8ELNS1_11target_archE1030ELNS1_3gpuE2ELNS1_3repE0EEENS1_30default_config_static_selectorELNS0_4arch9wavefront6targetE1EEEvT1_.uses_vcc, 0
	.set _ZN7rocprim17ROCPRIM_400000_NS6detail17trampoline_kernelINS0_14default_configENS1_25transform_config_selectorIN3c107complexIfEELb1EEEZNS1_14transform_implILb1ES3_S8_PS7_SA_NS0_8identityIS7_EEEE10hipError_tT2_T3_mT4_P12ihipStream_tbEUlT_E_NS1_11comp_targetILNS1_3genE8ELNS1_11target_archE1030ELNS1_3gpuE2ELNS1_3repE0EEENS1_30default_config_static_selectorELNS0_4arch9wavefront6targetE1EEEvT1_.uses_flat_scratch, 0
	.set _ZN7rocprim17ROCPRIM_400000_NS6detail17trampoline_kernelINS0_14default_configENS1_25transform_config_selectorIN3c107complexIfEELb1EEEZNS1_14transform_implILb1ES3_S8_PS7_SA_NS0_8identityIS7_EEEE10hipError_tT2_T3_mT4_P12ihipStream_tbEUlT_E_NS1_11comp_targetILNS1_3genE8ELNS1_11target_archE1030ELNS1_3gpuE2ELNS1_3repE0EEENS1_30default_config_static_selectorELNS0_4arch9wavefront6targetE1EEEvT1_.has_dyn_sized_stack, 0
	.set _ZN7rocprim17ROCPRIM_400000_NS6detail17trampoline_kernelINS0_14default_configENS1_25transform_config_selectorIN3c107complexIfEELb1EEEZNS1_14transform_implILb1ES3_S8_PS7_SA_NS0_8identityIS7_EEEE10hipError_tT2_T3_mT4_P12ihipStream_tbEUlT_E_NS1_11comp_targetILNS1_3genE8ELNS1_11target_archE1030ELNS1_3gpuE2ELNS1_3repE0EEENS1_30default_config_static_selectorELNS0_4arch9wavefront6targetE1EEEvT1_.has_recursion, 0
	.set _ZN7rocprim17ROCPRIM_400000_NS6detail17trampoline_kernelINS0_14default_configENS1_25transform_config_selectorIN3c107complexIfEELb1EEEZNS1_14transform_implILb1ES3_S8_PS7_SA_NS0_8identityIS7_EEEE10hipError_tT2_T3_mT4_P12ihipStream_tbEUlT_E_NS1_11comp_targetILNS1_3genE8ELNS1_11target_archE1030ELNS1_3gpuE2ELNS1_3repE0EEENS1_30default_config_static_selectorELNS0_4arch9wavefront6targetE1EEEvT1_.has_indirect_call, 0
	.section	.AMDGPU.csdata,"",@progbits
; Kernel info:
; codeLenInByte = 0
; TotalNumSgprs: 6
; NumVgprs: 0
; NumAgprs: 0
; TotalNumVgprs: 0
; ScratchSize: 0
; MemoryBound: 0
; FloatMode: 240
; IeeeMode: 1
; LDSByteSize: 0 bytes/workgroup (compile time only)
; SGPRBlocks: 0
; VGPRBlocks: 0
; NumSGPRsForWavesPerEU: 6
; NumVGPRsForWavesPerEU: 1
; AccumOffset: 4
; Occupancy: 8
; WaveLimiterHint : 0
; COMPUTE_PGM_RSRC2:SCRATCH_EN: 0
; COMPUTE_PGM_RSRC2:USER_SGPR: 2
; COMPUTE_PGM_RSRC2:TRAP_HANDLER: 0
; COMPUTE_PGM_RSRC2:TGID_X_EN: 1
; COMPUTE_PGM_RSRC2:TGID_Y_EN: 0
; COMPUTE_PGM_RSRC2:TGID_Z_EN: 0
; COMPUTE_PGM_RSRC2:TIDIG_COMP_CNT: 0
; COMPUTE_PGM_RSRC3_GFX90A:ACCUM_OFFSET: 0
; COMPUTE_PGM_RSRC3_GFX90A:TG_SPLIT: 0
	.section	.text._ZN7rocprim17ROCPRIM_400000_NS6detail17trampoline_kernelINS0_14default_configENS1_20scan_config_selectorIN3c107complexIfEEEEZZNS1_9scan_implILNS1_25lookback_scan_determinismE0ELb0ELb0ES3_PKS7_PS7_S7_ZZZN2at6native31launch_logcumsumexp_cuda_kernelERKNSE_10TensorBaseESI_lENKUlvE_clEvENKUlvE2_clEvEUlS7_S7_E_S7_EEDaPvRmT3_T4_T5_mT6_P12ihipStream_tbENKUlT_T0_E_clISt17integral_constantIbLb0EESZ_EEDaSU_SV_EUlSU_E0_NS1_11comp_targetILNS1_3genE0ELNS1_11target_archE4294967295ELNS1_3gpuE0ELNS1_3repE0EEENS1_30default_config_static_selectorELNS0_4arch9wavefront6targetE1EEEvT1_,"axG",@progbits,_ZN7rocprim17ROCPRIM_400000_NS6detail17trampoline_kernelINS0_14default_configENS1_20scan_config_selectorIN3c107complexIfEEEEZZNS1_9scan_implILNS1_25lookback_scan_determinismE0ELb0ELb0ES3_PKS7_PS7_S7_ZZZN2at6native31launch_logcumsumexp_cuda_kernelERKNSE_10TensorBaseESI_lENKUlvE_clEvENKUlvE2_clEvEUlS7_S7_E_S7_EEDaPvRmT3_T4_T5_mT6_P12ihipStream_tbENKUlT_T0_E_clISt17integral_constantIbLb0EESZ_EEDaSU_SV_EUlSU_E0_NS1_11comp_targetILNS1_3genE0ELNS1_11target_archE4294967295ELNS1_3gpuE0ELNS1_3repE0EEENS1_30default_config_static_selectorELNS0_4arch9wavefront6targetE1EEEvT1_,comdat
	.globl	_ZN7rocprim17ROCPRIM_400000_NS6detail17trampoline_kernelINS0_14default_configENS1_20scan_config_selectorIN3c107complexIfEEEEZZNS1_9scan_implILNS1_25lookback_scan_determinismE0ELb0ELb0ES3_PKS7_PS7_S7_ZZZN2at6native31launch_logcumsumexp_cuda_kernelERKNSE_10TensorBaseESI_lENKUlvE_clEvENKUlvE2_clEvEUlS7_S7_E_S7_EEDaPvRmT3_T4_T5_mT6_P12ihipStream_tbENKUlT_T0_E_clISt17integral_constantIbLb0EESZ_EEDaSU_SV_EUlSU_E0_NS1_11comp_targetILNS1_3genE0ELNS1_11target_archE4294967295ELNS1_3gpuE0ELNS1_3repE0EEENS1_30default_config_static_selectorELNS0_4arch9wavefront6targetE1EEEvT1_ ; -- Begin function _ZN7rocprim17ROCPRIM_400000_NS6detail17trampoline_kernelINS0_14default_configENS1_20scan_config_selectorIN3c107complexIfEEEEZZNS1_9scan_implILNS1_25lookback_scan_determinismE0ELb0ELb0ES3_PKS7_PS7_S7_ZZZN2at6native31launch_logcumsumexp_cuda_kernelERKNSE_10TensorBaseESI_lENKUlvE_clEvENKUlvE2_clEvEUlS7_S7_E_S7_EEDaPvRmT3_T4_T5_mT6_P12ihipStream_tbENKUlT_T0_E_clISt17integral_constantIbLb0EESZ_EEDaSU_SV_EUlSU_E0_NS1_11comp_targetILNS1_3genE0ELNS1_11target_archE4294967295ELNS1_3gpuE0ELNS1_3repE0EEENS1_30default_config_static_selectorELNS0_4arch9wavefront6targetE1EEEvT1_
	.p2align	8
	.type	_ZN7rocprim17ROCPRIM_400000_NS6detail17trampoline_kernelINS0_14default_configENS1_20scan_config_selectorIN3c107complexIfEEEEZZNS1_9scan_implILNS1_25lookback_scan_determinismE0ELb0ELb0ES3_PKS7_PS7_S7_ZZZN2at6native31launch_logcumsumexp_cuda_kernelERKNSE_10TensorBaseESI_lENKUlvE_clEvENKUlvE2_clEvEUlS7_S7_E_S7_EEDaPvRmT3_T4_T5_mT6_P12ihipStream_tbENKUlT_T0_E_clISt17integral_constantIbLb0EESZ_EEDaSU_SV_EUlSU_E0_NS1_11comp_targetILNS1_3genE0ELNS1_11target_archE4294967295ELNS1_3gpuE0ELNS1_3repE0EEENS1_30default_config_static_selectorELNS0_4arch9wavefront6targetE1EEEvT1_,@function
_ZN7rocprim17ROCPRIM_400000_NS6detail17trampoline_kernelINS0_14default_configENS1_20scan_config_selectorIN3c107complexIfEEEEZZNS1_9scan_implILNS1_25lookback_scan_determinismE0ELb0ELb0ES3_PKS7_PS7_S7_ZZZN2at6native31launch_logcumsumexp_cuda_kernelERKNSE_10TensorBaseESI_lENKUlvE_clEvENKUlvE2_clEvEUlS7_S7_E_S7_EEDaPvRmT3_T4_T5_mT6_P12ihipStream_tbENKUlT_T0_E_clISt17integral_constantIbLb0EESZ_EEDaSU_SV_EUlSU_E0_NS1_11comp_targetILNS1_3genE0ELNS1_11target_archE4294967295ELNS1_3gpuE0ELNS1_3repE0EEENS1_30default_config_static_selectorELNS0_4arch9wavefront6targetE1EEEvT1_: ; @_ZN7rocprim17ROCPRIM_400000_NS6detail17trampoline_kernelINS0_14default_configENS1_20scan_config_selectorIN3c107complexIfEEEEZZNS1_9scan_implILNS1_25lookback_scan_determinismE0ELb0ELb0ES3_PKS7_PS7_S7_ZZZN2at6native31launch_logcumsumexp_cuda_kernelERKNSE_10TensorBaseESI_lENKUlvE_clEvENKUlvE2_clEvEUlS7_S7_E_S7_EEDaPvRmT3_T4_T5_mT6_P12ihipStream_tbENKUlT_T0_E_clISt17integral_constantIbLb0EESZ_EEDaSU_SV_EUlSU_E0_NS1_11comp_targetILNS1_3genE0ELNS1_11target_archE4294967295ELNS1_3gpuE0ELNS1_3repE0EEENS1_30default_config_static_selectorELNS0_4arch9wavefront6targetE1EEEvT1_
; %bb.0:
	s_mov_b64 s[28:29], s[0:1]
	s_load_dwordx4 s[0:3], s[28:29], 0x0
	v_mov_b32_e32 v27, v0
	v_lshlrev_b32_e32 v54, 3, v27
	s_mov_b32 s32, 0
	s_waitcnt lgkmcnt(0)
	s_load_dwordx2 s[4:5], s[0:1], 0x0
	v_cmp_gt_u32_e64 s[16:17], s2, v27
	s_waitcnt lgkmcnt(0)
	v_mov_b64_e32 v[0:1], s[4:5]
	s_and_saveexec_b64 s[6:7], s[16:17]
	s_cbranch_execz .LBB281_2
; %bb.1:
	global_load_dwordx2 v[0:1], v54, s[0:1]
.LBB281_2:
	s_or_b64 exec, exec, s[6:7]
	v_or_b32_e32 v2, 0x100, v27
	v_cmp_gt_u32_e64 s[18:19], s2, v2
	v_mov_b64_e32 v[2:3], s[4:5]
	s_and_saveexec_b64 s[6:7], s[18:19]
	s_cbranch_execz .LBB281_4
; %bb.3:
	global_load_dwordx2 v[2:3], v54, s[0:1] offset:2048
.LBB281_4:
	s_or_b64 exec, exec, s[6:7]
	v_or_b32_e32 v6, 0x200, v27
	v_cmp_gt_u32_e64 s[20:21], s2, v6
	v_mov_b64_e32 v[4:5], s[4:5]
	s_and_saveexec_b64 s[6:7], s[20:21]
	s_cbranch_execz .LBB281_6
; %bb.5:
	v_lshlrev_b32_e32 v4, 3, v6
	global_load_dwordx2 v[4:5], v4, s[0:1]
.LBB281_6:
	s_or_b64 exec, exec, s[6:7]
	v_or_b32_e32 v8, 0x300, v27
	v_cmp_gt_u32_e64 s[22:23], s2, v8
	v_mov_b64_e32 v[6:7], s[4:5]
	s_and_saveexec_b64 s[6:7], s[22:23]
	s_cbranch_execz .LBB281_8
; %bb.7:
	v_lshlrev_b32_e32 v6, 3, v8
	global_load_dwordx2 v[6:7], v6, s[0:1]
.LBB281_8:
	s_or_b64 exec, exec, s[6:7]
	v_or_b32_e32 v10, 0x400, v27
	v_cmp_gt_u32_e64 s[24:25], s2, v10
	v_mov_b64_e32 v[8:9], s[4:5]
	s_and_saveexec_b64 s[6:7], s[24:25]
	s_cbranch_execz .LBB281_10
; %bb.9:
	v_lshlrev_b32_e32 v8, 3, v10
	global_load_dwordx2 v[8:9], v8, s[0:1]
.LBB281_10:
	s_or_b64 exec, exec, s[6:7]
	v_or_b32_e32 v12, 0x500, v27
	v_cmp_gt_u32_e64 s[26:27], s2, v12
	v_mov_b64_e32 v[10:11], s[4:5]
	s_and_saveexec_b64 s[2:3], s[26:27]
	s_cbranch_execz .LBB281_12
; %bb.11:
	v_lshlrev_b32_e32 v10, 3, v12
	global_load_dwordx2 v[10:11], v10, s[0:1]
.LBB281_12:
	s_or_b64 exec, exec, s[2:3]
	s_waitcnt vmcnt(0)
	ds_write2st64_b64 v54, v[0:1], v[2:3] offset1:4
	ds_write2st64_b64 v54, v[4:5], v[6:7] offset0:8 offset1:12
	ds_write2st64_b64 v54, v[8:9], v[10:11] offset0:16 offset1:20
	v_mad_u32_u24 v0, v27, 40, v54
	s_waitcnt lgkmcnt(0)
	s_barrier
	ds_read_b128 v[32:35], v0
	ds_read_b128 v[48:51], v0 offset:16
	ds_read_b128 v[40:43], v0 offset:32
	s_getpc_b64 s[34:35]
	s_add_u32 s34, s34, _ZZZZN2at6native31launch_logcumsumexp_cuda_kernelERKNS_10TensorBaseES3_lENKUlvE_clEvENKUlvE2_clEvENKUlN3c107complexIfEES8_E_clES8_S8_@rel32@lo+4
	s_addc_u32 s35, s35, _ZZZZN2at6native31launch_logcumsumexp_cuda_kernelERKNS_10TensorBaseES3_lENKUlvE_clEvENKUlvE2_clEvENKUlN3c107complexIfEES8_E_clES8_S8_@rel32@hi+12
	s_waitcnt lgkmcnt(0)
	v_mov_b32_e32 v0, v32
	v_mov_b32_e32 v1, v33
	;; [unrolled: 1-line block ×4, first 2 shown]
	s_barrier
	s_swappc_b64 s[30:31], s[34:35]
	v_mov_b32_e32 v2, v48
	v_mov_b32_e32 v3, v49
	v_mov_b32_e32 v52, v0
	v_mov_b32_e32 v53, v1
	s_swappc_b64 s[30:31], s[34:35]
	v_mov_b32_e32 v2, v50
	v_mov_b32_e32 v3, v51
	v_mov_b32_e32 v36, v0
	v_mov_b32_e32 v37, v1
	;; [unrolled: 5-line block ×4, first 2 shown]
	s_swappc_b64 s[30:31], s[34:35]
	v_mov_b32_e32 v31, v0
	v_mbcnt_lo_u32_b32 v0, -1, 0
	v_mov_b32_e32 v30, v1
	v_mbcnt_hi_u32_b32 v55, -1, v0
	v_and_b32_e32 v28, 15, v55
	v_mov_b32_e32 v46, v31
	v_mov_b32_e32 v47, v30
	v_mov_b32_dpp v0, v31 row_shr:1 row_mask:0xf bank_mask:0xf
	v_mov_b32_dpp v1, v30 row_shr:1 row_mask:0xf bank_mask:0xf
	v_cmp_ne_u32_e32 vcc, 0, v28
	v_mov_b64_e32 v[2:3], v[46:47]
	s_and_saveexec_b64 s[36:37], vcc
	s_cbranch_execz .LBB281_14
; %bb.13:
	v_mov_b32_e32 v2, v31
	v_mov_b32_e32 v3, v30
	s_swappc_b64 s[30:31], s[34:35]
	v_mov_b32_e32 v2, v0
	v_mov_b32_e32 v3, v1
	;; [unrolled: 1-line block ×4, first 2 shown]
.LBB281_14:
	s_or_b64 exec, exec, s[36:37]
	v_mov_b32_dpp v0, v31 row_shr:2 row_mask:0xf bank_mask:0xf
	v_mov_b32_dpp v1, v30 row_shr:2 row_mask:0xf bank_mask:0xf
	v_cmp_lt_u32_e32 vcc, 1, v28
	s_and_saveexec_b64 s[34:35], vcc
	s_cbranch_execz .LBB281_16
; %bb.15:
	s_getpc_b64 s[0:1]
	s_add_u32 s0, s0, _ZZZZN2at6native31launch_logcumsumexp_cuda_kernelERKNS_10TensorBaseES3_lENKUlvE_clEvENKUlvE2_clEvENKUlN3c107complexIfEES8_E_clES8_S8_@rel32@lo+4
	s_addc_u32 s1, s1, _ZZZZN2at6native31launch_logcumsumexp_cuda_kernelERKNS_10TensorBaseES3_lENKUlvE_clEvENKUlvE2_clEvENKUlN3c107complexIfEES8_E_clES8_S8_@rel32@hi+12
	v_mov_b32_e32 v2, v31
	v_mov_b32_e32 v3, v30
	s_swappc_b64 s[30:31], s[0:1]
	v_mov_b32_e32 v2, v0
	v_mov_b32_e32 v3, v1
	;; [unrolled: 1-line block ×4, first 2 shown]
.LBB281_16:
	s_or_b64 exec, exec, s[34:35]
	s_nop 0
	v_mov_b32_dpp v0, v31 row_shr:4 row_mask:0xf bank_mask:0xf
	v_mov_b32_dpp v1, v30 row_shr:4 row_mask:0xf bank_mask:0xf
	v_cmp_lt_u32_e32 vcc, 3, v28
	s_and_saveexec_b64 s[34:35], vcc
	s_cbranch_execz .LBB281_18
; %bb.17:
	s_getpc_b64 s[0:1]
	s_add_u32 s0, s0, _ZZZZN2at6native31launch_logcumsumexp_cuda_kernelERKNS_10TensorBaseES3_lENKUlvE_clEvENKUlvE2_clEvENKUlN3c107complexIfEES8_E_clES8_S8_@rel32@lo+4
	s_addc_u32 s1, s1, _ZZZZN2at6native31launch_logcumsumexp_cuda_kernelERKNS_10TensorBaseES3_lENKUlvE_clEvENKUlvE2_clEvENKUlN3c107complexIfEES8_E_clES8_S8_@rel32@hi+12
	v_mov_b32_e32 v2, v31
	v_mov_b32_e32 v3, v30
	s_swappc_b64 s[30:31], s[0:1]
	v_mov_b32_e32 v2, v0
	v_mov_b32_e32 v3, v1
	;; [unrolled: 1-line block ×4, first 2 shown]
.LBB281_18:
	s_or_b64 exec, exec, s[34:35]
	s_nop 0
	v_mov_b32_dpp v0, v31 row_shr:8 row_mask:0xf bank_mask:0xf
	v_mov_b32_dpp v1, v30 row_shr:8 row_mask:0xf bank_mask:0xf
	v_cmp_lt_u32_e32 vcc, 7, v28
	s_and_saveexec_b64 s[34:35], vcc
	s_cbranch_execz .LBB281_20
; %bb.19:
	s_getpc_b64 s[0:1]
	s_add_u32 s0, s0, _ZZZZN2at6native31launch_logcumsumexp_cuda_kernelERKNS_10TensorBaseES3_lENKUlvE_clEvENKUlvE2_clEvENKUlN3c107complexIfEES8_E_clES8_S8_@rel32@lo+4
	s_addc_u32 s1, s1, _ZZZZN2at6native31launch_logcumsumexp_cuda_kernelERKNS_10TensorBaseES3_lENKUlvE_clEvENKUlvE2_clEvENKUlN3c107complexIfEES8_E_clES8_S8_@rel32@hi+12
	v_mov_b32_e32 v2, v31
	v_mov_b32_e32 v3, v30
	s_swappc_b64 s[30:31], s[0:1]
	v_mov_b32_e32 v2, v0
	v_mov_b32_e32 v3, v1
	;; [unrolled: 1-line block ×4, first 2 shown]
.LBB281_20:
	s_or_b64 exec, exec, s[34:35]
	v_and_b32_e32 v4, 16, v55
	v_mov_b32_dpp v0, v31 row_bcast:15 row_mask:0xf bank_mask:0xf
	v_mov_b32_dpp v1, v30 row_bcast:15 row_mask:0xf bank_mask:0xf
	v_cmp_ne_u32_e32 vcc, 0, v4
	s_and_saveexec_b64 s[34:35], vcc
	s_cbranch_execz .LBB281_22
; %bb.21:
	s_getpc_b64 s[0:1]
	s_add_u32 s0, s0, _ZZZZN2at6native31launch_logcumsumexp_cuda_kernelERKNS_10TensorBaseES3_lENKUlvE_clEvENKUlvE2_clEvENKUlN3c107complexIfEES8_E_clES8_S8_@rel32@lo+4
	s_addc_u32 s1, s1, _ZZZZN2at6native31launch_logcumsumexp_cuda_kernelERKNS_10TensorBaseES3_lENKUlvE_clEvENKUlvE2_clEvENKUlN3c107complexIfEES8_E_clES8_S8_@rel32@hi+12
	v_mov_b32_e32 v2, v31
	v_mov_b32_e32 v3, v30
	s_swappc_b64 s[30:31], s[0:1]
	v_mov_b32_e32 v2, v0
	v_mov_b32_e32 v3, v1
	;; [unrolled: 1-line block ×4, first 2 shown]
.LBB281_22:
	s_or_b64 exec, exec, s[34:35]
	s_nop 0
	v_mov_b32_dpp v0, v31 row_bcast:31 row_mask:0xf bank_mask:0xf
	v_mov_b32_dpp v1, v30 row_bcast:31 row_mask:0xf bank_mask:0xf
	v_cmp_lt_u32_e32 vcc, 31, v55
	s_and_saveexec_b64 s[34:35], vcc
	s_cbranch_execz .LBB281_24
; %bb.23:
	s_getpc_b64 s[0:1]
	s_add_u32 s0, s0, _ZZZZN2at6native31launch_logcumsumexp_cuda_kernelERKNS_10TensorBaseES3_lENKUlvE_clEvENKUlvE2_clEvENKUlN3c107complexIfEES8_E_clES8_S8_@rel32@lo+4
	s_addc_u32 s1, s1, _ZZZZN2at6native31launch_logcumsumexp_cuda_kernelERKNS_10TensorBaseES3_lENKUlvE_clEvENKUlvE2_clEvENKUlN3c107complexIfEES8_E_clES8_S8_@rel32@hi+12
	v_mov_b32_e32 v2, v31
	v_mov_b32_e32 v3, v30
	s_swappc_b64 s[30:31], s[0:1]
	v_mov_b32_e32 v2, v0
	v_mov_b32_e32 v3, v1
	;; [unrolled: 1-line block ×4, first 2 shown]
.LBB281_24:
	s_or_b64 exec, exec, s[34:35]
	v_or_b32_e32 v0, 63, v27
	v_lshrrev_b32_e32 v57, 6, v27
	v_cmp_eq_u32_e32 vcc, v27, v0
	s_and_saveexec_b64 s[0:1], vcc
; %bb.25:
	v_lshlrev_b32_e32 v0, 3, v57
	ds_write_b64 v0, v[2:3]
; %bb.26:
	s_or_b64 exec, exec, s[0:1]
	v_cmp_gt_u32_e32 vcc, 4, v27
	s_waitcnt lgkmcnt(0)
	s_barrier
	s_and_saveexec_b64 s[34:35], vcc
	s_cbranch_execz .LBB281_32
; %bb.27:
	ds_read_b64 v[2:3], v54
	v_and_b32_e32 v28, 3, v55
	v_cmp_ne_u32_e32 vcc, 0, v28
	s_waitcnt lgkmcnt(0)
	v_mov_b32_dpp v0, v2 row_shr:1 row_mask:0xf bank_mask:0xf
	v_mov_b32_dpp v1, v3 row_shr:1 row_mask:0xf bank_mask:0xf
	s_and_saveexec_b64 s[36:37], vcc
	s_cbranch_execz .LBB281_29
; %bb.28:
	s_getpc_b64 s[0:1]
	s_add_u32 s0, s0, _ZZZZN2at6native31launch_logcumsumexp_cuda_kernelERKNS_10TensorBaseES3_lENKUlvE_clEvENKUlvE2_clEvENKUlN3c107complexIfEES8_E_clES8_S8_@rel32@lo+4
	s_addc_u32 s1, s1, _ZZZZN2at6native31launch_logcumsumexp_cuda_kernelERKNS_10TensorBaseES3_lENKUlvE_clEvENKUlvE2_clEvENKUlN3c107complexIfEES8_E_clES8_S8_@rel32@hi+12
	s_swappc_b64 s[30:31], s[0:1]
	v_mov_b32_e32 v2, v0
	v_mov_b32_e32 v3, v1
.LBB281_29:
	s_or_b64 exec, exec, s[36:37]
	v_mov_b32_dpp v0, v2 row_shr:2 row_mask:0xf bank_mask:0xf
	v_mov_b32_dpp v1, v3 row_shr:2 row_mask:0xf bank_mask:0xf
	v_cmp_lt_u32_e32 vcc, 1, v28
	s_and_saveexec_b64 s[36:37], vcc
	s_cbranch_execz .LBB281_31
; %bb.30:
	s_getpc_b64 s[0:1]
	s_add_u32 s0, s0, _ZZZZN2at6native31launch_logcumsumexp_cuda_kernelERKNS_10TensorBaseES3_lENKUlvE_clEvENKUlvE2_clEvENKUlN3c107complexIfEES8_E_clES8_S8_@rel32@lo+4
	s_addc_u32 s1, s1, _ZZZZN2at6native31launch_logcumsumexp_cuda_kernelERKNS_10TensorBaseES3_lENKUlvE_clEvENKUlvE2_clEvENKUlN3c107complexIfEES8_E_clES8_S8_@rel32@hi+12
	s_swappc_b64 s[30:31], s[0:1]
	v_mov_b32_e32 v2, v0
	v_mov_b32_e32 v3, v1
.LBB281_31:
	s_or_b64 exec, exec, s[36:37]
	ds_write_b64 v54, v[2:3]
.LBB281_32:
	s_or_b64 exec, exec, s[34:35]
	s_load_dwordx2 s[28:29], s[28:29], 0x20
	v_mul_u32_u24_e32 v56, 40, v27
	v_cmp_lt_u32_e32 vcc, 63, v27
	v_mov_b32_e32 v28, 0
	v_mov_b32_e32 v29, 0
	s_waitcnt lgkmcnt(0)
	s_barrier
	s_and_saveexec_b64 s[34:35], vcc
	s_cbranch_execz .LBB281_34
; %bb.33:
	v_lshl_add_u32 v0, v57, 3, -8
	ds_read_b64 v[28:29], v0
	s_getpc_b64 s[0:1]
	s_add_u32 s0, s0, _ZZZZN2at6native31launch_logcumsumexp_cuda_kernelERKNS_10TensorBaseES3_lENKUlvE_clEvENKUlvE2_clEvENKUlN3c107complexIfEES8_E_clES8_S8_@rel32@lo+4
	s_addc_u32 s1, s1, _ZZZZN2at6native31launch_logcumsumexp_cuda_kernelERKNS_10TensorBaseES3_lENKUlvE_clEvENKUlvE2_clEvENKUlN3c107complexIfEES8_E_clES8_S8_@rel32@hi+12
	v_mov_b32_e32 v2, v31
	v_mov_b32_e32 v3, v30
	s_waitcnt lgkmcnt(0)
	v_mov_b32_e32 v0, v28
	v_mov_b32_e32 v1, v29
	s_swappc_b64 s[30:31], s[0:1]
	v_mov_b32_e32 v31, v0
	v_mov_b32_e32 v30, v1
.LBB281_34:
	s_or_b64 exec, exec, s[34:35]
	v_add_u32_e32 v0, -1, v55
	v_and_b32_e32 v1, 64, v55
	v_cmp_lt_i32_e32 vcc, v0, v1
	s_nop 1
	v_cndmask_b32_e32 v0, v0, v55, vcc
	v_lshlrev_b32_e32 v1, 2, v0
	ds_bpermute_b32 v0, v1, v31
	ds_bpermute_b32 v1, v1, v30
	v_cmp_ne_u32_e32 vcc, 0, v27
	s_and_saveexec_b64 s[0:1], vcc
	s_xor_b64 s[34:35], exec, s[0:1]
	s_cbranch_execz .LBB281_36
; %bb.35:
	v_cmp_eq_u32_e32 vcc, 0, v55
	s_getpc_b64 s[36:37]
	s_add_u32 s36, s36, _ZZZZN2at6native31launch_logcumsumexp_cuda_kernelERKNS_10TensorBaseES3_lENKUlvE_clEvENKUlvE2_clEvENKUlN3c107complexIfEES8_E_clES8_S8_@rel32@lo+4
	s_addc_u32 s37, s37, _ZZZZN2at6native31launch_logcumsumexp_cuda_kernelERKNS_10TensorBaseES3_lENKUlvE_clEvENKUlvE2_clEvENKUlN3c107complexIfEES8_E_clES8_S8_@rel32@hi+12
	s_waitcnt lgkmcnt(1)
	v_cndmask_b32_e32 v0, v0, v28, vcc
	s_waitcnt lgkmcnt(0)
	v_cndmask_b32_e32 v1, v1, v29, vcc
	v_mov_b32_e32 v2, v32
	v_mov_b32_e32 v3, v33
	s_swappc_b64 s[30:31], s[36:37]
	v_mov_b32_e32 v2, v34
	v_mov_b32_e32 v3, v35
	;; [unrolled: 1-line block ×4, first 2 shown]
	;;#ASMSTART
	;;#ASMEND
	s_swappc_b64 s[30:31], s[36:37]
	v_mov_b32_e32 v2, v48
	v_mov_b32_e32 v3, v49
	v_mov_b32_e32 v34, v0
	v_mov_b32_e32 v35, v1
	s_swappc_b64 s[30:31], s[36:37]
	v_mov_b32_e32 v2, v50
	v_mov_b32_e32 v3, v51
	v_mov_b32_e32 v36, v0
	v_mov_b32_e32 v37, v1
	;; [unrolled: 5-line block ×4, first 2 shown]
	s_swappc_b64 s[30:31], s[36:37]
	v_mov_b32_e32 v46, v0
	v_mov_b32_e32 v47, v1
                                        ; implicit-def: $vgpr52
                                        ; implicit-def: $vgpr53
.LBB281_36:
	s_andn2_saveexec_b64 s[0:1], s[34:35]
; %bb.37:
	v_mov_b32_e32 v34, v52
	v_mov_b32_e32 v35, v53
; %bb.38:
	s_or_b64 exec, exec, s[0:1]
	s_waitcnt lgkmcnt(1)
	v_add_u32_e32 v0, v54, v56
	s_waitcnt lgkmcnt(0)
	s_barrier
	ds_write_b128 v0, v[32:35]
	ds_write_b128 v0, v[36:39] offset:16
	ds_write_b128 v0, v[44:47] offset:32
	s_waitcnt lgkmcnt(0)
	s_barrier
	ds_read2st64_b64 v[4:7], v54 offset0:4 offset1:8
	ds_read2st64_b64 v[0:3], v54 offset0:12 offset1:16
	ds_read_b64 v[8:9], v54 offset:10240
	v_mov_b32_e32 v55, 0
	v_lshl_add_u64 v[10:11], s[28:29], 0, v[54:55]
	s_and_saveexec_b64 s[0:1], s[16:17]
	s_cbranch_execnz .LBB281_45
; %bb.39:
	s_or_b64 exec, exec, s[0:1]
	s_and_saveexec_b64 s[0:1], s[18:19]
	s_cbranch_execnz .LBB281_46
.LBB281_40:
	s_or_b64 exec, exec, s[0:1]
	s_and_saveexec_b64 s[0:1], s[20:21]
	s_cbranch_execnz .LBB281_47
.LBB281_41:
	s_or_b64 exec, exec, s[0:1]
	s_and_saveexec_b64 s[0:1], s[22:23]
	s_cbranch_execnz .LBB281_48
.LBB281_42:
	s_or_b64 exec, exec, s[0:1]
	s_and_saveexec_b64 s[0:1], s[24:25]
	s_cbranch_execnz .LBB281_49
.LBB281_43:
	s_or_b64 exec, exec, s[0:1]
	s_and_saveexec_b64 s[0:1], s[26:27]
	s_cbranch_execnz .LBB281_50
.LBB281_44:
	s_endpgm
.LBB281_45:
	ds_read_b64 v[12:13], v54
	s_waitcnt lgkmcnt(0)
	global_store_dwordx2 v[10:11], v[12:13], off
	s_or_b64 exec, exec, s[0:1]
	s_and_saveexec_b64 s[0:1], s[18:19]
	s_cbranch_execz .LBB281_40
.LBB281_46:
	s_waitcnt lgkmcnt(2)
	global_store_dwordx2 v[10:11], v[4:5], off offset:2048
	s_or_b64 exec, exec, s[0:1]
	s_and_saveexec_b64 s[0:1], s[20:21]
	s_cbranch_execz .LBB281_41
.LBB281_47:
	s_waitcnt lgkmcnt(2)
	v_add_co_u32_e32 v4, vcc, 0x1000, v10
	s_nop 1
	v_addc_co_u32_e32 v5, vcc, 0, v11, vcc
	global_store_dwordx2 v[4:5], v[6:7], off
	s_or_b64 exec, exec, s[0:1]
	s_and_saveexec_b64 s[0:1], s[22:23]
	s_cbranch_execz .LBB281_42
.LBB281_48:
	s_waitcnt lgkmcnt(2)
	v_add_co_u32_e32 v4, vcc, 0x1000, v10
	s_nop 1
	v_addc_co_u32_e32 v5, vcc, 0, v11, vcc
	s_waitcnt lgkmcnt(1)
	global_store_dwordx2 v[4:5], v[0:1], off offset:2048
	s_or_b64 exec, exec, s[0:1]
	s_and_saveexec_b64 s[0:1], s[24:25]
	s_cbranch_execz .LBB281_43
.LBB281_49:
	s_waitcnt lgkmcnt(1)
	v_add_co_u32_e32 v0, vcc, 0x2000, v10
	s_nop 1
	v_addc_co_u32_e32 v1, vcc, 0, v11, vcc
	global_store_dwordx2 v[0:1], v[2:3], off
	s_or_b64 exec, exec, s[0:1]
	s_and_saveexec_b64 s[0:1], s[26:27]
	s_cbranch_execz .LBB281_44
.LBB281_50:
	s_waitcnt lgkmcnt(1)
	v_add_co_u32_e32 v0, vcc, 0x2000, v10
	s_nop 1
	v_addc_co_u32_e32 v1, vcc, 0, v11, vcc
	s_waitcnt lgkmcnt(0)
	global_store_dwordx2 v[0:1], v[8:9], off offset:2048
	s_endpgm
	.section	.rodata,"a",@progbits
	.p2align	6, 0x0
	.amdhsa_kernel _ZN7rocprim17ROCPRIM_400000_NS6detail17trampoline_kernelINS0_14default_configENS1_20scan_config_selectorIN3c107complexIfEEEEZZNS1_9scan_implILNS1_25lookback_scan_determinismE0ELb0ELb0ES3_PKS7_PS7_S7_ZZZN2at6native31launch_logcumsumexp_cuda_kernelERKNSE_10TensorBaseESI_lENKUlvE_clEvENKUlvE2_clEvEUlS7_S7_E_S7_EEDaPvRmT3_T4_T5_mT6_P12ihipStream_tbENKUlT_T0_E_clISt17integral_constantIbLb0EESZ_EEDaSU_SV_EUlSU_E0_NS1_11comp_targetILNS1_3genE0ELNS1_11target_archE4294967295ELNS1_3gpuE0ELNS1_3repE0EEENS1_30default_config_static_selectorELNS0_4arch9wavefront6targetE1EEEvT1_
		.amdhsa_group_segment_fixed_size 12288
		.amdhsa_private_segment_fixed_size 0
		.amdhsa_kernarg_size 40
		.amdhsa_user_sgpr_count 2
		.amdhsa_user_sgpr_dispatch_ptr 0
		.amdhsa_user_sgpr_queue_ptr 0
		.amdhsa_user_sgpr_kernarg_segment_ptr 1
		.amdhsa_user_sgpr_dispatch_id 0
		.amdhsa_user_sgpr_kernarg_preload_length 0
		.amdhsa_user_sgpr_kernarg_preload_offset 0
		.amdhsa_user_sgpr_private_segment_size 0
		.amdhsa_uses_dynamic_stack 0
		.amdhsa_enable_private_segment 0
		.amdhsa_system_sgpr_workgroup_id_x 1
		.amdhsa_system_sgpr_workgroup_id_y 0
		.amdhsa_system_sgpr_workgroup_id_z 0
		.amdhsa_system_sgpr_workgroup_info 0
		.amdhsa_system_vgpr_workitem_id 0
		.amdhsa_next_free_vgpr 58
		.amdhsa_next_free_sgpr 38
		.amdhsa_accum_offset 60
		.amdhsa_reserve_vcc 1
		.amdhsa_float_round_mode_32 0
		.amdhsa_float_round_mode_16_64 0
		.amdhsa_float_denorm_mode_32 3
		.amdhsa_float_denorm_mode_16_64 3
		.amdhsa_dx10_clamp 1
		.amdhsa_ieee_mode 1
		.amdhsa_fp16_overflow 0
		.amdhsa_tg_split 0
		.amdhsa_exception_fp_ieee_invalid_op 0
		.amdhsa_exception_fp_denorm_src 0
		.amdhsa_exception_fp_ieee_div_zero 0
		.amdhsa_exception_fp_ieee_overflow 0
		.amdhsa_exception_fp_ieee_underflow 0
		.amdhsa_exception_fp_ieee_inexact 0
		.amdhsa_exception_int_div_zero 0
	.end_amdhsa_kernel
	.section	.text._ZN7rocprim17ROCPRIM_400000_NS6detail17trampoline_kernelINS0_14default_configENS1_20scan_config_selectorIN3c107complexIfEEEEZZNS1_9scan_implILNS1_25lookback_scan_determinismE0ELb0ELb0ES3_PKS7_PS7_S7_ZZZN2at6native31launch_logcumsumexp_cuda_kernelERKNSE_10TensorBaseESI_lENKUlvE_clEvENKUlvE2_clEvEUlS7_S7_E_S7_EEDaPvRmT3_T4_T5_mT6_P12ihipStream_tbENKUlT_T0_E_clISt17integral_constantIbLb0EESZ_EEDaSU_SV_EUlSU_E0_NS1_11comp_targetILNS1_3genE0ELNS1_11target_archE4294967295ELNS1_3gpuE0ELNS1_3repE0EEENS1_30default_config_static_selectorELNS0_4arch9wavefront6targetE1EEEvT1_,"axG",@progbits,_ZN7rocprim17ROCPRIM_400000_NS6detail17trampoline_kernelINS0_14default_configENS1_20scan_config_selectorIN3c107complexIfEEEEZZNS1_9scan_implILNS1_25lookback_scan_determinismE0ELb0ELb0ES3_PKS7_PS7_S7_ZZZN2at6native31launch_logcumsumexp_cuda_kernelERKNSE_10TensorBaseESI_lENKUlvE_clEvENKUlvE2_clEvEUlS7_S7_E_S7_EEDaPvRmT3_T4_T5_mT6_P12ihipStream_tbENKUlT_T0_E_clISt17integral_constantIbLb0EESZ_EEDaSU_SV_EUlSU_E0_NS1_11comp_targetILNS1_3genE0ELNS1_11target_archE4294967295ELNS1_3gpuE0ELNS1_3repE0EEENS1_30default_config_static_selectorELNS0_4arch9wavefront6targetE1EEEvT1_,comdat
.Lfunc_end281:
	.size	_ZN7rocprim17ROCPRIM_400000_NS6detail17trampoline_kernelINS0_14default_configENS1_20scan_config_selectorIN3c107complexIfEEEEZZNS1_9scan_implILNS1_25lookback_scan_determinismE0ELb0ELb0ES3_PKS7_PS7_S7_ZZZN2at6native31launch_logcumsumexp_cuda_kernelERKNSE_10TensorBaseESI_lENKUlvE_clEvENKUlvE2_clEvEUlS7_S7_E_S7_EEDaPvRmT3_T4_T5_mT6_P12ihipStream_tbENKUlT_T0_E_clISt17integral_constantIbLb0EESZ_EEDaSU_SV_EUlSU_E0_NS1_11comp_targetILNS1_3genE0ELNS1_11target_archE4294967295ELNS1_3gpuE0ELNS1_3repE0EEENS1_30default_config_static_selectorELNS0_4arch9wavefront6targetE1EEEvT1_, .Lfunc_end281-_ZN7rocprim17ROCPRIM_400000_NS6detail17trampoline_kernelINS0_14default_configENS1_20scan_config_selectorIN3c107complexIfEEEEZZNS1_9scan_implILNS1_25lookback_scan_determinismE0ELb0ELb0ES3_PKS7_PS7_S7_ZZZN2at6native31launch_logcumsumexp_cuda_kernelERKNSE_10TensorBaseESI_lENKUlvE_clEvENKUlvE2_clEvEUlS7_S7_E_S7_EEDaPvRmT3_T4_T5_mT6_P12ihipStream_tbENKUlT_T0_E_clISt17integral_constantIbLb0EESZ_EEDaSU_SV_EUlSU_E0_NS1_11comp_targetILNS1_3genE0ELNS1_11target_archE4294967295ELNS1_3gpuE0ELNS1_3repE0EEENS1_30default_config_static_selectorELNS0_4arch9wavefront6targetE1EEEvT1_
                                        ; -- End function
	.set _ZN7rocprim17ROCPRIM_400000_NS6detail17trampoline_kernelINS0_14default_configENS1_20scan_config_selectorIN3c107complexIfEEEEZZNS1_9scan_implILNS1_25lookback_scan_determinismE0ELb0ELb0ES3_PKS7_PS7_S7_ZZZN2at6native31launch_logcumsumexp_cuda_kernelERKNSE_10TensorBaseESI_lENKUlvE_clEvENKUlvE2_clEvEUlS7_S7_E_S7_EEDaPvRmT3_T4_T5_mT6_P12ihipStream_tbENKUlT_T0_E_clISt17integral_constantIbLb0EESZ_EEDaSU_SV_EUlSU_E0_NS1_11comp_targetILNS1_3genE0ELNS1_11target_archE4294967295ELNS1_3gpuE0ELNS1_3repE0EEENS1_30default_config_static_selectorELNS0_4arch9wavefront6targetE1EEEvT1_.num_vgpr, max(58, .L_ZZZZN2at6native31launch_logcumsumexp_cuda_kernelERKNS_10TensorBaseES3_lENKUlvE_clEvENKUlvE2_clEvENKUlN3c107complexIfEES8_E_clES8_S8_.num_vgpr)
	.set _ZN7rocprim17ROCPRIM_400000_NS6detail17trampoline_kernelINS0_14default_configENS1_20scan_config_selectorIN3c107complexIfEEEEZZNS1_9scan_implILNS1_25lookback_scan_determinismE0ELb0ELb0ES3_PKS7_PS7_S7_ZZZN2at6native31launch_logcumsumexp_cuda_kernelERKNSE_10TensorBaseESI_lENKUlvE_clEvENKUlvE2_clEvEUlS7_S7_E_S7_EEDaPvRmT3_T4_T5_mT6_P12ihipStream_tbENKUlT_T0_E_clISt17integral_constantIbLb0EESZ_EEDaSU_SV_EUlSU_E0_NS1_11comp_targetILNS1_3genE0ELNS1_11target_archE4294967295ELNS1_3gpuE0ELNS1_3repE0EEENS1_30default_config_static_selectorELNS0_4arch9wavefront6targetE1EEEvT1_.num_agpr, max(0, .L_ZZZZN2at6native31launch_logcumsumexp_cuda_kernelERKNS_10TensorBaseES3_lENKUlvE_clEvENKUlvE2_clEvENKUlN3c107complexIfEES8_E_clES8_S8_.num_agpr)
	.set _ZN7rocprim17ROCPRIM_400000_NS6detail17trampoline_kernelINS0_14default_configENS1_20scan_config_selectorIN3c107complexIfEEEEZZNS1_9scan_implILNS1_25lookback_scan_determinismE0ELb0ELb0ES3_PKS7_PS7_S7_ZZZN2at6native31launch_logcumsumexp_cuda_kernelERKNSE_10TensorBaseESI_lENKUlvE_clEvENKUlvE2_clEvEUlS7_S7_E_S7_EEDaPvRmT3_T4_T5_mT6_P12ihipStream_tbENKUlT_T0_E_clISt17integral_constantIbLb0EESZ_EEDaSU_SV_EUlSU_E0_NS1_11comp_targetILNS1_3genE0ELNS1_11target_archE4294967295ELNS1_3gpuE0ELNS1_3repE0EEENS1_30default_config_static_selectorELNS0_4arch9wavefront6targetE1EEEvT1_.numbered_sgpr, max(38, .L_ZZZZN2at6native31launch_logcumsumexp_cuda_kernelERKNS_10TensorBaseES3_lENKUlvE_clEvENKUlvE2_clEvENKUlN3c107complexIfEES8_E_clES8_S8_.numbered_sgpr)
	.set _ZN7rocprim17ROCPRIM_400000_NS6detail17trampoline_kernelINS0_14default_configENS1_20scan_config_selectorIN3c107complexIfEEEEZZNS1_9scan_implILNS1_25lookback_scan_determinismE0ELb0ELb0ES3_PKS7_PS7_S7_ZZZN2at6native31launch_logcumsumexp_cuda_kernelERKNSE_10TensorBaseESI_lENKUlvE_clEvENKUlvE2_clEvEUlS7_S7_E_S7_EEDaPvRmT3_T4_T5_mT6_P12ihipStream_tbENKUlT_T0_E_clISt17integral_constantIbLb0EESZ_EEDaSU_SV_EUlSU_E0_NS1_11comp_targetILNS1_3genE0ELNS1_11target_archE4294967295ELNS1_3gpuE0ELNS1_3repE0EEENS1_30default_config_static_selectorELNS0_4arch9wavefront6targetE1EEEvT1_.num_named_barrier, max(0, .L_ZZZZN2at6native31launch_logcumsumexp_cuda_kernelERKNS_10TensorBaseES3_lENKUlvE_clEvENKUlvE2_clEvENKUlN3c107complexIfEES8_E_clES8_S8_.num_named_barrier)
	.set _ZN7rocprim17ROCPRIM_400000_NS6detail17trampoline_kernelINS0_14default_configENS1_20scan_config_selectorIN3c107complexIfEEEEZZNS1_9scan_implILNS1_25lookback_scan_determinismE0ELb0ELb0ES3_PKS7_PS7_S7_ZZZN2at6native31launch_logcumsumexp_cuda_kernelERKNSE_10TensorBaseESI_lENKUlvE_clEvENKUlvE2_clEvEUlS7_S7_E_S7_EEDaPvRmT3_T4_T5_mT6_P12ihipStream_tbENKUlT_T0_E_clISt17integral_constantIbLb0EESZ_EEDaSU_SV_EUlSU_E0_NS1_11comp_targetILNS1_3genE0ELNS1_11target_archE4294967295ELNS1_3gpuE0ELNS1_3repE0EEENS1_30default_config_static_selectorELNS0_4arch9wavefront6targetE1EEEvT1_.private_seg_size, 0+max(.L_ZZZZN2at6native31launch_logcumsumexp_cuda_kernelERKNS_10TensorBaseES3_lENKUlvE_clEvENKUlvE2_clEvENKUlN3c107complexIfEES8_E_clES8_S8_.private_seg_size)
	.set _ZN7rocprim17ROCPRIM_400000_NS6detail17trampoline_kernelINS0_14default_configENS1_20scan_config_selectorIN3c107complexIfEEEEZZNS1_9scan_implILNS1_25lookback_scan_determinismE0ELb0ELb0ES3_PKS7_PS7_S7_ZZZN2at6native31launch_logcumsumexp_cuda_kernelERKNSE_10TensorBaseESI_lENKUlvE_clEvENKUlvE2_clEvEUlS7_S7_E_S7_EEDaPvRmT3_T4_T5_mT6_P12ihipStream_tbENKUlT_T0_E_clISt17integral_constantIbLb0EESZ_EEDaSU_SV_EUlSU_E0_NS1_11comp_targetILNS1_3genE0ELNS1_11target_archE4294967295ELNS1_3gpuE0ELNS1_3repE0EEENS1_30default_config_static_selectorELNS0_4arch9wavefront6targetE1EEEvT1_.uses_vcc, or(1, .L_ZZZZN2at6native31launch_logcumsumexp_cuda_kernelERKNS_10TensorBaseES3_lENKUlvE_clEvENKUlvE2_clEvENKUlN3c107complexIfEES8_E_clES8_S8_.uses_vcc)
	.set _ZN7rocprim17ROCPRIM_400000_NS6detail17trampoline_kernelINS0_14default_configENS1_20scan_config_selectorIN3c107complexIfEEEEZZNS1_9scan_implILNS1_25lookback_scan_determinismE0ELb0ELb0ES3_PKS7_PS7_S7_ZZZN2at6native31launch_logcumsumexp_cuda_kernelERKNSE_10TensorBaseESI_lENKUlvE_clEvENKUlvE2_clEvEUlS7_S7_E_S7_EEDaPvRmT3_T4_T5_mT6_P12ihipStream_tbENKUlT_T0_E_clISt17integral_constantIbLb0EESZ_EEDaSU_SV_EUlSU_E0_NS1_11comp_targetILNS1_3genE0ELNS1_11target_archE4294967295ELNS1_3gpuE0ELNS1_3repE0EEENS1_30default_config_static_selectorELNS0_4arch9wavefront6targetE1EEEvT1_.uses_flat_scratch, or(0, .L_ZZZZN2at6native31launch_logcumsumexp_cuda_kernelERKNS_10TensorBaseES3_lENKUlvE_clEvENKUlvE2_clEvENKUlN3c107complexIfEES8_E_clES8_S8_.uses_flat_scratch)
	.set _ZN7rocprim17ROCPRIM_400000_NS6detail17trampoline_kernelINS0_14default_configENS1_20scan_config_selectorIN3c107complexIfEEEEZZNS1_9scan_implILNS1_25lookback_scan_determinismE0ELb0ELb0ES3_PKS7_PS7_S7_ZZZN2at6native31launch_logcumsumexp_cuda_kernelERKNSE_10TensorBaseESI_lENKUlvE_clEvENKUlvE2_clEvEUlS7_S7_E_S7_EEDaPvRmT3_T4_T5_mT6_P12ihipStream_tbENKUlT_T0_E_clISt17integral_constantIbLb0EESZ_EEDaSU_SV_EUlSU_E0_NS1_11comp_targetILNS1_3genE0ELNS1_11target_archE4294967295ELNS1_3gpuE0ELNS1_3repE0EEENS1_30default_config_static_selectorELNS0_4arch9wavefront6targetE1EEEvT1_.has_dyn_sized_stack, or(0, .L_ZZZZN2at6native31launch_logcumsumexp_cuda_kernelERKNS_10TensorBaseES3_lENKUlvE_clEvENKUlvE2_clEvENKUlN3c107complexIfEES8_E_clES8_S8_.has_dyn_sized_stack)
	.set _ZN7rocprim17ROCPRIM_400000_NS6detail17trampoline_kernelINS0_14default_configENS1_20scan_config_selectorIN3c107complexIfEEEEZZNS1_9scan_implILNS1_25lookback_scan_determinismE0ELb0ELb0ES3_PKS7_PS7_S7_ZZZN2at6native31launch_logcumsumexp_cuda_kernelERKNSE_10TensorBaseESI_lENKUlvE_clEvENKUlvE2_clEvEUlS7_S7_E_S7_EEDaPvRmT3_T4_T5_mT6_P12ihipStream_tbENKUlT_T0_E_clISt17integral_constantIbLb0EESZ_EEDaSU_SV_EUlSU_E0_NS1_11comp_targetILNS1_3genE0ELNS1_11target_archE4294967295ELNS1_3gpuE0ELNS1_3repE0EEENS1_30default_config_static_selectorELNS0_4arch9wavefront6targetE1EEEvT1_.has_recursion, or(0, .L_ZZZZN2at6native31launch_logcumsumexp_cuda_kernelERKNS_10TensorBaseES3_lENKUlvE_clEvENKUlvE2_clEvENKUlN3c107complexIfEES8_E_clES8_S8_.has_recursion)
	.set _ZN7rocprim17ROCPRIM_400000_NS6detail17trampoline_kernelINS0_14default_configENS1_20scan_config_selectorIN3c107complexIfEEEEZZNS1_9scan_implILNS1_25lookback_scan_determinismE0ELb0ELb0ES3_PKS7_PS7_S7_ZZZN2at6native31launch_logcumsumexp_cuda_kernelERKNSE_10TensorBaseESI_lENKUlvE_clEvENKUlvE2_clEvEUlS7_S7_E_S7_EEDaPvRmT3_T4_T5_mT6_P12ihipStream_tbENKUlT_T0_E_clISt17integral_constantIbLb0EESZ_EEDaSU_SV_EUlSU_E0_NS1_11comp_targetILNS1_3genE0ELNS1_11target_archE4294967295ELNS1_3gpuE0ELNS1_3repE0EEENS1_30default_config_static_selectorELNS0_4arch9wavefront6targetE1EEEvT1_.has_indirect_call, or(0, .L_ZZZZN2at6native31launch_logcumsumexp_cuda_kernelERKNS_10TensorBaseES3_lENKUlvE_clEvENKUlvE2_clEvENKUlN3c107complexIfEES8_E_clES8_S8_.has_indirect_call)
	.section	.AMDGPU.csdata,"",@progbits
; Kernel info:
; codeLenInByte = 1924
; TotalNumSgprs: 44
; NumVgprs: 58
; NumAgprs: 0
; TotalNumVgprs: 58
; ScratchSize: 0
; MemoryBound: 0
; FloatMode: 240
; IeeeMode: 1
; LDSByteSize: 12288 bytes/workgroup (compile time only)
; SGPRBlocks: 5
; VGPRBlocks: 7
; NumSGPRsForWavesPerEU: 44
; NumVGPRsForWavesPerEU: 58
; AccumOffset: 60
; Occupancy: 8
; WaveLimiterHint : 0
; COMPUTE_PGM_RSRC2:SCRATCH_EN: 0
; COMPUTE_PGM_RSRC2:USER_SGPR: 2
; COMPUTE_PGM_RSRC2:TRAP_HANDLER: 0
; COMPUTE_PGM_RSRC2:TGID_X_EN: 1
; COMPUTE_PGM_RSRC2:TGID_Y_EN: 0
; COMPUTE_PGM_RSRC2:TGID_Z_EN: 0
; COMPUTE_PGM_RSRC2:TIDIG_COMP_CNT: 0
; COMPUTE_PGM_RSRC3_GFX90A:ACCUM_OFFSET: 14
; COMPUTE_PGM_RSRC3_GFX90A:TG_SPLIT: 0
	.section	.text._ZN7rocprim17ROCPRIM_400000_NS6detail17trampoline_kernelINS0_14default_configENS1_20scan_config_selectorIN3c107complexIfEEEEZZNS1_9scan_implILNS1_25lookback_scan_determinismE0ELb0ELb0ES3_PKS7_PS7_S7_ZZZN2at6native31launch_logcumsumexp_cuda_kernelERKNSE_10TensorBaseESI_lENKUlvE_clEvENKUlvE2_clEvEUlS7_S7_E_S7_EEDaPvRmT3_T4_T5_mT6_P12ihipStream_tbENKUlT_T0_E_clISt17integral_constantIbLb0EESZ_EEDaSU_SV_EUlSU_E0_NS1_11comp_targetILNS1_3genE5ELNS1_11target_archE942ELNS1_3gpuE9ELNS1_3repE0EEENS1_30default_config_static_selectorELNS0_4arch9wavefront6targetE1EEEvT1_,"axG",@progbits,_ZN7rocprim17ROCPRIM_400000_NS6detail17trampoline_kernelINS0_14default_configENS1_20scan_config_selectorIN3c107complexIfEEEEZZNS1_9scan_implILNS1_25lookback_scan_determinismE0ELb0ELb0ES3_PKS7_PS7_S7_ZZZN2at6native31launch_logcumsumexp_cuda_kernelERKNSE_10TensorBaseESI_lENKUlvE_clEvENKUlvE2_clEvEUlS7_S7_E_S7_EEDaPvRmT3_T4_T5_mT6_P12ihipStream_tbENKUlT_T0_E_clISt17integral_constantIbLb0EESZ_EEDaSU_SV_EUlSU_E0_NS1_11comp_targetILNS1_3genE5ELNS1_11target_archE942ELNS1_3gpuE9ELNS1_3repE0EEENS1_30default_config_static_selectorELNS0_4arch9wavefront6targetE1EEEvT1_,comdat
	.globl	_ZN7rocprim17ROCPRIM_400000_NS6detail17trampoline_kernelINS0_14default_configENS1_20scan_config_selectorIN3c107complexIfEEEEZZNS1_9scan_implILNS1_25lookback_scan_determinismE0ELb0ELb0ES3_PKS7_PS7_S7_ZZZN2at6native31launch_logcumsumexp_cuda_kernelERKNSE_10TensorBaseESI_lENKUlvE_clEvENKUlvE2_clEvEUlS7_S7_E_S7_EEDaPvRmT3_T4_T5_mT6_P12ihipStream_tbENKUlT_T0_E_clISt17integral_constantIbLb0EESZ_EEDaSU_SV_EUlSU_E0_NS1_11comp_targetILNS1_3genE5ELNS1_11target_archE942ELNS1_3gpuE9ELNS1_3repE0EEENS1_30default_config_static_selectorELNS0_4arch9wavefront6targetE1EEEvT1_ ; -- Begin function _ZN7rocprim17ROCPRIM_400000_NS6detail17trampoline_kernelINS0_14default_configENS1_20scan_config_selectorIN3c107complexIfEEEEZZNS1_9scan_implILNS1_25lookback_scan_determinismE0ELb0ELb0ES3_PKS7_PS7_S7_ZZZN2at6native31launch_logcumsumexp_cuda_kernelERKNSE_10TensorBaseESI_lENKUlvE_clEvENKUlvE2_clEvEUlS7_S7_E_S7_EEDaPvRmT3_T4_T5_mT6_P12ihipStream_tbENKUlT_T0_E_clISt17integral_constantIbLb0EESZ_EEDaSU_SV_EUlSU_E0_NS1_11comp_targetILNS1_3genE5ELNS1_11target_archE942ELNS1_3gpuE9ELNS1_3repE0EEENS1_30default_config_static_selectorELNS0_4arch9wavefront6targetE1EEEvT1_
	.p2align	8
	.type	_ZN7rocprim17ROCPRIM_400000_NS6detail17trampoline_kernelINS0_14default_configENS1_20scan_config_selectorIN3c107complexIfEEEEZZNS1_9scan_implILNS1_25lookback_scan_determinismE0ELb0ELb0ES3_PKS7_PS7_S7_ZZZN2at6native31launch_logcumsumexp_cuda_kernelERKNSE_10TensorBaseESI_lENKUlvE_clEvENKUlvE2_clEvEUlS7_S7_E_S7_EEDaPvRmT3_T4_T5_mT6_P12ihipStream_tbENKUlT_T0_E_clISt17integral_constantIbLb0EESZ_EEDaSU_SV_EUlSU_E0_NS1_11comp_targetILNS1_3genE5ELNS1_11target_archE942ELNS1_3gpuE9ELNS1_3repE0EEENS1_30default_config_static_selectorELNS0_4arch9wavefront6targetE1EEEvT1_,@function
_ZN7rocprim17ROCPRIM_400000_NS6detail17trampoline_kernelINS0_14default_configENS1_20scan_config_selectorIN3c107complexIfEEEEZZNS1_9scan_implILNS1_25lookback_scan_determinismE0ELb0ELb0ES3_PKS7_PS7_S7_ZZZN2at6native31launch_logcumsumexp_cuda_kernelERKNSE_10TensorBaseESI_lENKUlvE_clEvENKUlvE2_clEvEUlS7_S7_E_S7_EEDaPvRmT3_T4_T5_mT6_P12ihipStream_tbENKUlT_T0_E_clISt17integral_constantIbLb0EESZ_EEDaSU_SV_EUlSU_E0_NS1_11comp_targetILNS1_3genE5ELNS1_11target_archE942ELNS1_3gpuE9ELNS1_3repE0EEENS1_30default_config_static_selectorELNS0_4arch9wavefront6targetE1EEEvT1_: ; @_ZN7rocprim17ROCPRIM_400000_NS6detail17trampoline_kernelINS0_14default_configENS1_20scan_config_selectorIN3c107complexIfEEEEZZNS1_9scan_implILNS1_25lookback_scan_determinismE0ELb0ELb0ES3_PKS7_PS7_S7_ZZZN2at6native31launch_logcumsumexp_cuda_kernelERKNSE_10TensorBaseESI_lENKUlvE_clEvENKUlvE2_clEvEUlS7_S7_E_S7_EEDaPvRmT3_T4_T5_mT6_P12ihipStream_tbENKUlT_T0_E_clISt17integral_constantIbLb0EESZ_EEDaSU_SV_EUlSU_E0_NS1_11comp_targetILNS1_3genE5ELNS1_11target_archE942ELNS1_3gpuE9ELNS1_3repE0EEENS1_30default_config_static_selectorELNS0_4arch9wavefront6targetE1EEEvT1_
; %bb.0:
	.section	.rodata,"a",@progbits
	.p2align	6, 0x0
	.amdhsa_kernel _ZN7rocprim17ROCPRIM_400000_NS6detail17trampoline_kernelINS0_14default_configENS1_20scan_config_selectorIN3c107complexIfEEEEZZNS1_9scan_implILNS1_25lookback_scan_determinismE0ELb0ELb0ES3_PKS7_PS7_S7_ZZZN2at6native31launch_logcumsumexp_cuda_kernelERKNSE_10TensorBaseESI_lENKUlvE_clEvENKUlvE2_clEvEUlS7_S7_E_S7_EEDaPvRmT3_T4_T5_mT6_P12ihipStream_tbENKUlT_T0_E_clISt17integral_constantIbLb0EESZ_EEDaSU_SV_EUlSU_E0_NS1_11comp_targetILNS1_3genE5ELNS1_11target_archE942ELNS1_3gpuE9ELNS1_3repE0EEENS1_30default_config_static_selectorELNS0_4arch9wavefront6targetE1EEEvT1_
		.amdhsa_group_segment_fixed_size 0
		.amdhsa_private_segment_fixed_size 0
		.amdhsa_kernarg_size 40
		.amdhsa_user_sgpr_count 2
		.amdhsa_user_sgpr_dispatch_ptr 0
		.amdhsa_user_sgpr_queue_ptr 0
		.amdhsa_user_sgpr_kernarg_segment_ptr 1
		.amdhsa_user_sgpr_dispatch_id 0
		.amdhsa_user_sgpr_kernarg_preload_length 0
		.amdhsa_user_sgpr_kernarg_preload_offset 0
		.amdhsa_user_sgpr_private_segment_size 0
		.amdhsa_uses_dynamic_stack 0
		.amdhsa_enable_private_segment 0
		.amdhsa_system_sgpr_workgroup_id_x 1
		.amdhsa_system_sgpr_workgroup_id_y 0
		.amdhsa_system_sgpr_workgroup_id_z 0
		.amdhsa_system_sgpr_workgroup_info 0
		.amdhsa_system_vgpr_workitem_id 0
		.amdhsa_next_free_vgpr 1
		.amdhsa_next_free_sgpr 0
		.amdhsa_accum_offset 4
		.amdhsa_reserve_vcc 0
		.amdhsa_float_round_mode_32 0
		.amdhsa_float_round_mode_16_64 0
		.amdhsa_float_denorm_mode_32 3
		.amdhsa_float_denorm_mode_16_64 3
		.amdhsa_dx10_clamp 1
		.amdhsa_ieee_mode 1
		.amdhsa_fp16_overflow 0
		.amdhsa_tg_split 0
		.amdhsa_exception_fp_ieee_invalid_op 0
		.amdhsa_exception_fp_denorm_src 0
		.amdhsa_exception_fp_ieee_div_zero 0
		.amdhsa_exception_fp_ieee_overflow 0
		.amdhsa_exception_fp_ieee_underflow 0
		.amdhsa_exception_fp_ieee_inexact 0
		.amdhsa_exception_int_div_zero 0
	.end_amdhsa_kernel
	.section	.text._ZN7rocprim17ROCPRIM_400000_NS6detail17trampoline_kernelINS0_14default_configENS1_20scan_config_selectorIN3c107complexIfEEEEZZNS1_9scan_implILNS1_25lookback_scan_determinismE0ELb0ELb0ES3_PKS7_PS7_S7_ZZZN2at6native31launch_logcumsumexp_cuda_kernelERKNSE_10TensorBaseESI_lENKUlvE_clEvENKUlvE2_clEvEUlS7_S7_E_S7_EEDaPvRmT3_T4_T5_mT6_P12ihipStream_tbENKUlT_T0_E_clISt17integral_constantIbLb0EESZ_EEDaSU_SV_EUlSU_E0_NS1_11comp_targetILNS1_3genE5ELNS1_11target_archE942ELNS1_3gpuE9ELNS1_3repE0EEENS1_30default_config_static_selectorELNS0_4arch9wavefront6targetE1EEEvT1_,"axG",@progbits,_ZN7rocprim17ROCPRIM_400000_NS6detail17trampoline_kernelINS0_14default_configENS1_20scan_config_selectorIN3c107complexIfEEEEZZNS1_9scan_implILNS1_25lookback_scan_determinismE0ELb0ELb0ES3_PKS7_PS7_S7_ZZZN2at6native31launch_logcumsumexp_cuda_kernelERKNSE_10TensorBaseESI_lENKUlvE_clEvENKUlvE2_clEvEUlS7_S7_E_S7_EEDaPvRmT3_T4_T5_mT6_P12ihipStream_tbENKUlT_T0_E_clISt17integral_constantIbLb0EESZ_EEDaSU_SV_EUlSU_E0_NS1_11comp_targetILNS1_3genE5ELNS1_11target_archE942ELNS1_3gpuE9ELNS1_3repE0EEENS1_30default_config_static_selectorELNS0_4arch9wavefront6targetE1EEEvT1_,comdat
.Lfunc_end282:
	.size	_ZN7rocprim17ROCPRIM_400000_NS6detail17trampoline_kernelINS0_14default_configENS1_20scan_config_selectorIN3c107complexIfEEEEZZNS1_9scan_implILNS1_25lookback_scan_determinismE0ELb0ELb0ES3_PKS7_PS7_S7_ZZZN2at6native31launch_logcumsumexp_cuda_kernelERKNSE_10TensorBaseESI_lENKUlvE_clEvENKUlvE2_clEvEUlS7_S7_E_S7_EEDaPvRmT3_T4_T5_mT6_P12ihipStream_tbENKUlT_T0_E_clISt17integral_constantIbLb0EESZ_EEDaSU_SV_EUlSU_E0_NS1_11comp_targetILNS1_3genE5ELNS1_11target_archE942ELNS1_3gpuE9ELNS1_3repE0EEENS1_30default_config_static_selectorELNS0_4arch9wavefront6targetE1EEEvT1_, .Lfunc_end282-_ZN7rocprim17ROCPRIM_400000_NS6detail17trampoline_kernelINS0_14default_configENS1_20scan_config_selectorIN3c107complexIfEEEEZZNS1_9scan_implILNS1_25lookback_scan_determinismE0ELb0ELb0ES3_PKS7_PS7_S7_ZZZN2at6native31launch_logcumsumexp_cuda_kernelERKNSE_10TensorBaseESI_lENKUlvE_clEvENKUlvE2_clEvEUlS7_S7_E_S7_EEDaPvRmT3_T4_T5_mT6_P12ihipStream_tbENKUlT_T0_E_clISt17integral_constantIbLb0EESZ_EEDaSU_SV_EUlSU_E0_NS1_11comp_targetILNS1_3genE5ELNS1_11target_archE942ELNS1_3gpuE9ELNS1_3repE0EEENS1_30default_config_static_selectorELNS0_4arch9wavefront6targetE1EEEvT1_
                                        ; -- End function
	.set _ZN7rocprim17ROCPRIM_400000_NS6detail17trampoline_kernelINS0_14default_configENS1_20scan_config_selectorIN3c107complexIfEEEEZZNS1_9scan_implILNS1_25lookback_scan_determinismE0ELb0ELb0ES3_PKS7_PS7_S7_ZZZN2at6native31launch_logcumsumexp_cuda_kernelERKNSE_10TensorBaseESI_lENKUlvE_clEvENKUlvE2_clEvEUlS7_S7_E_S7_EEDaPvRmT3_T4_T5_mT6_P12ihipStream_tbENKUlT_T0_E_clISt17integral_constantIbLb0EESZ_EEDaSU_SV_EUlSU_E0_NS1_11comp_targetILNS1_3genE5ELNS1_11target_archE942ELNS1_3gpuE9ELNS1_3repE0EEENS1_30default_config_static_selectorELNS0_4arch9wavefront6targetE1EEEvT1_.num_vgpr, 0
	.set _ZN7rocprim17ROCPRIM_400000_NS6detail17trampoline_kernelINS0_14default_configENS1_20scan_config_selectorIN3c107complexIfEEEEZZNS1_9scan_implILNS1_25lookback_scan_determinismE0ELb0ELb0ES3_PKS7_PS7_S7_ZZZN2at6native31launch_logcumsumexp_cuda_kernelERKNSE_10TensorBaseESI_lENKUlvE_clEvENKUlvE2_clEvEUlS7_S7_E_S7_EEDaPvRmT3_T4_T5_mT6_P12ihipStream_tbENKUlT_T0_E_clISt17integral_constantIbLb0EESZ_EEDaSU_SV_EUlSU_E0_NS1_11comp_targetILNS1_3genE5ELNS1_11target_archE942ELNS1_3gpuE9ELNS1_3repE0EEENS1_30default_config_static_selectorELNS0_4arch9wavefront6targetE1EEEvT1_.num_agpr, 0
	.set _ZN7rocprim17ROCPRIM_400000_NS6detail17trampoline_kernelINS0_14default_configENS1_20scan_config_selectorIN3c107complexIfEEEEZZNS1_9scan_implILNS1_25lookback_scan_determinismE0ELb0ELb0ES3_PKS7_PS7_S7_ZZZN2at6native31launch_logcumsumexp_cuda_kernelERKNSE_10TensorBaseESI_lENKUlvE_clEvENKUlvE2_clEvEUlS7_S7_E_S7_EEDaPvRmT3_T4_T5_mT6_P12ihipStream_tbENKUlT_T0_E_clISt17integral_constantIbLb0EESZ_EEDaSU_SV_EUlSU_E0_NS1_11comp_targetILNS1_3genE5ELNS1_11target_archE942ELNS1_3gpuE9ELNS1_3repE0EEENS1_30default_config_static_selectorELNS0_4arch9wavefront6targetE1EEEvT1_.numbered_sgpr, 0
	.set _ZN7rocprim17ROCPRIM_400000_NS6detail17trampoline_kernelINS0_14default_configENS1_20scan_config_selectorIN3c107complexIfEEEEZZNS1_9scan_implILNS1_25lookback_scan_determinismE0ELb0ELb0ES3_PKS7_PS7_S7_ZZZN2at6native31launch_logcumsumexp_cuda_kernelERKNSE_10TensorBaseESI_lENKUlvE_clEvENKUlvE2_clEvEUlS7_S7_E_S7_EEDaPvRmT3_T4_T5_mT6_P12ihipStream_tbENKUlT_T0_E_clISt17integral_constantIbLb0EESZ_EEDaSU_SV_EUlSU_E0_NS1_11comp_targetILNS1_3genE5ELNS1_11target_archE942ELNS1_3gpuE9ELNS1_3repE0EEENS1_30default_config_static_selectorELNS0_4arch9wavefront6targetE1EEEvT1_.num_named_barrier, 0
	.set _ZN7rocprim17ROCPRIM_400000_NS6detail17trampoline_kernelINS0_14default_configENS1_20scan_config_selectorIN3c107complexIfEEEEZZNS1_9scan_implILNS1_25lookback_scan_determinismE0ELb0ELb0ES3_PKS7_PS7_S7_ZZZN2at6native31launch_logcumsumexp_cuda_kernelERKNSE_10TensorBaseESI_lENKUlvE_clEvENKUlvE2_clEvEUlS7_S7_E_S7_EEDaPvRmT3_T4_T5_mT6_P12ihipStream_tbENKUlT_T0_E_clISt17integral_constantIbLb0EESZ_EEDaSU_SV_EUlSU_E0_NS1_11comp_targetILNS1_3genE5ELNS1_11target_archE942ELNS1_3gpuE9ELNS1_3repE0EEENS1_30default_config_static_selectorELNS0_4arch9wavefront6targetE1EEEvT1_.private_seg_size, 0
	.set _ZN7rocprim17ROCPRIM_400000_NS6detail17trampoline_kernelINS0_14default_configENS1_20scan_config_selectorIN3c107complexIfEEEEZZNS1_9scan_implILNS1_25lookback_scan_determinismE0ELb0ELb0ES3_PKS7_PS7_S7_ZZZN2at6native31launch_logcumsumexp_cuda_kernelERKNSE_10TensorBaseESI_lENKUlvE_clEvENKUlvE2_clEvEUlS7_S7_E_S7_EEDaPvRmT3_T4_T5_mT6_P12ihipStream_tbENKUlT_T0_E_clISt17integral_constantIbLb0EESZ_EEDaSU_SV_EUlSU_E0_NS1_11comp_targetILNS1_3genE5ELNS1_11target_archE942ELNS1_3gpuE9ELNS1_3repE0EEENS1_30default_config_static_selectorELNS0_4arch9wavefront6targetE1EEEvT1_.uses_vcc, 0
	.set _ZN7rocprim17ROCPRIM_400000_NS6detail17trampoline_kernelINS0_14default_configENS1_20scan_config_selectorIN3c107complexIfEEEEZZNS1_9scan_implILNS1_25lookback_scan_determinismE0ELb0ELb0ES3_PKS7_PS7_S7_ZZZN2at6native31launch_logcumsumexp_cuda_kernelERKNSE_10TensorBaseESI_lENKUlvE_clEvENKUlvE2_clEvEUlS7_S7_E_S7_EEDaPvRmT3_T4_T5_mT6_P12ihipStream_tbENKUlT_T0_E_clISt17integral_constantIbLb0EESZ_EEDaSU_SV_EUlSU_E0_NS1_11comp_targetILNS1_3genE5ELNS1_11target_archE942ELNS1_3gpuE9ELNS1_3repE0EEENS1_30default_config_static_selectorELNS0_4arch9wavefront6targetE1EEEvT1_.uses_flat_scratch, 0
	.set _ZN7rocprim17ROCPRIM_400000_NS6detail17trampoline_kernelINS0_14default_configENS1_20scan_config_selectorIN3c107complexIfEEEEZZNS1_9scan_implILNS1_25lookback_scan_determinismE0ELb0ELb0ES3_PKS7_PS7_S7_ZZZN2at6native31launch_logcumsumexp_cuda_kernelERKNSE_10TensorBaseESI_lENKUlvE_clEvENKUlvE2_clEvEUlS7_S7_E_S7_EEDaPvRmT3_T4_T5_mT6_P12ihipStream_tbENKUlT_T0_E_clISt17integral_constantIbLb0EESZ_EEDaSU_SV_EUlSU_E0_NS1_11comp_targetILNS1_3genE5ELNS1_11target_archE942ELNS1_3gpuE9ELNS1_3repE0EEENS1_30default_config_static_selectorELNS0_4arch9wavefront6targetE1EEEvT1_.has_dyn_sized_stack, 0
	.set _ZN7rocprim17ROCPRIM_400000_NS6detail17trampoline_kernelINS0_14default_configENS1_20scan_config_selectorIN3c107complexIfEEEEZZNS1_9scan_implILNS1_25lookback_scan_determinismE0ELb0ELb0ES3_PKS7_PS7_S7_ZZZN2at6native31launch_logcumsumexp_cuda_kernelERKNSE_10TensorBaseESI_lENKUlvE_clEvENKUlvE2_clEvEUlS7_S7_E_S7_EEDaPvRmT3_T4_T5_mT6_P12ihipStream_tbENKUlT_T0_E_clISt17integral_constantIbLb0EESZ_EEDaSU_SV_EUlSU_E0_NS1_11comp_targetILNS1_3genE5ELNS1_11target_archE942ELNS1_3gpuE9ELNS1_3repE0EEENS1_30default_config_static_selectorELNS0_4arch9wavefront6targetE1EEEvT1_.has_recursion, 0
	.set _ZN7rocprim17ROCPRIM_400000_NS6detail17trampoline_kernelINS0_14default_configENS1_20scan_config_selectorIN3c107complexIfEEEEZZNS1_9scan_implILNS1_25lookback_scan_determinismE0ELb0ELb0ES3_PKS7_PS7_S7_ZZZN2at6native31launch_logcumsumexp_cuda_kernelERKNSE_10TensorBaseESI_lENKUlvE_clEvENKUlvE2_clEvEUlS7_S7_E_S7_EEDaPvRmT3_T4_T5_mT6_P12ihipStream_tbENKUlT_T0_E_clISt17integral_constantIbLb0EESZ_EEDaSU_SV_EUlSU_E0_NS1_11comp_targetILNS1_3genE5ELNS1_11target_archE942ELNS1_3gpuE9ELNS1_3repE0EEENS1_30default_config_static_selectorELNS0_4arch9wavefront6targetE1EEEvT1_.has_indirect_call, 0
	.section	.AMDGPU.csdata,"",@progbits
; Kernel info:
; codeLenInByte = 0
; TotalNumSgprs: 6
; NumVgprs: 0
; NumAgprs: 0
; TotalNumVgprs: 0
; ScratchSize: 0
; MemoryBound: 0
; FloatMode: 240
; IeeeMode: 1
; LDSByteSize: 0 bytes/workgroup (compile time only)
; SGPRBlocks: 0
; VGPRBlocks: 0
; NumSGPRsForWavesPerEU: 6
; NumVGPRsForWavesPerEU: 1
; AccumOffset: 4
; Occupancy: 8
; WaveLimiterHint : 0
; COMPUTE_PGM_RSRC2:SCRATCH_EN: 0
; COMPUTE_PGM_RSRC2:USER_SGPR: 2
; COMPUTE_PGM_RSRC2:TRAP_HANDLER: 0
; COMPUTE_PGM_RSRC2:TGID_X_EN: 1
; COMPUTE_PGM_RSRC2:TGID_Y_EN: 0
; COMPUTE_PGM_RSRC2:TGID_Z_EN: 0
; COMPUTE_PGM_RSRC2:TIDIG_COMP_CNT: 0
; COMPUTE_PGM_RSRC3_GFX90A:ACCUM_OFFSET: 0
; COMPUTE_PGM_RSRC3_GFX90A:TG_SPLIT: 0
	.section	.text._ZN7rocprim17ROCPRIM_400000_NS6detail17trampoline_kernelINS0_14default_configENS1_20scan_config_selectorIN3c107complexIfEEEEZZNS1_9scan_implILNS1_25lookback_scan_determinismE0ELb0ELb0ES3_PKS7_PS7_S7_ZZZN2at6native31launch_logcumsumexp_cuda_kernelERKNSE_10TensorBaseESI_lENKUlvE_clEvENKUlvE2_clEvEUlS7_S7_E_S7_EEDaPvRmT3_T4_T5_mT6_P12ihipStream_tbENKUlT_T0_E_clISt17integral_constantIbLb0EESZ_EEDaSU_SV_EUlSU_E0_NS1_11comp_targetILNS1_3genE4ELNS1_11target_archE910ELNS1_3gpuE8ELNS1_3repE0EEENS1_30default_config_static_selectorELNS0_4arch9wavefront6targetE1EEEvT1_,"axG",@progbits,_ZN7rocprim17ROCPRIM_400000_NS6detail17trampoline_kernelINS0_14default_configENS1_20scan_config_selectorIN3c107complexIfEEEEZZNS1_9scan_implILNS1_25lookback_scan_determinismE0ELb0ELb0ES3_PKS7_PS7_S7_ZZZN2at6native31launch_logcumsumexp_cuda_kernelERKNSE_10TensorBaseESI_lENKUlvE_clEvENKUlvE2_clEvEUlS7_S7_E_S7_EEDaPvRmT3_T4_T5_mT6_P12ihipStream_tbENKUlT_T0_E_clISt17integral_constantIbLb0EESZ_EEDaSU_SV_EUlSU_E0_NS1_11comp_targetILNS1_3genE4ELNS1_11target_archE910ELNS1_3gpuE8ELNS1_3repE0EEENS1_30default_config_static_selectorELNS0_4arch9wavefront6targetE1EEEvT1_,comdat
	.globl	_ZN7rocprim17ROCPRIM_400000_NS6detail17trampoline_kernelINS0_14default_configENS1_20scan_config_selectorIN3c107complexIfEEEEZZNS1_9scan_implILNS1_25lookback_scan_determinismE0ELb0ELb0ES3_PKS7_PS7_S7_ZZZN2at6native31launch_logcumsumexp_cuda_kernelERKNSE_10TensorBaseESI_lENKUlvE_clEvENKUlvE2_clEvEUlS7_S7_E_S7_EEDaPvRmT3_T4_T5_mT6_P12ihipStream_tbENKUlT_T0_E_clISt17integral_constantIbLb0EESZ_EEDaSU_SV_EUlSU_E0_NS1_11comp_targetILNS1_3genE4ELNS1_11target_archE910ELNS1_3gpuE8ELNS1_3repE0EEENS1_30default_config_static_selectorELNS0_4arch9wavefront6targetE1EEEvT1_ ; -- Begin function _ZN7rocprim17ROCPRIM_400000_NS6detail17trampoline_kernelINS0_14default_configENS1_20scan_config_selectorIN3c107complexIfEEEEZZNS1_9scan_implILNS1_25lookback_scan_determinismE0ELb0ELb0ES3_PKS7_PS7_S7_ZZZN2at6native31launch_logcumsumexp_cuda_kernelERKNSE_10TensorBaseESI_lENKUlvE_clEvENKUlvE2_clEvEUlS7_S7_E_S7_EEDaPvRmT3_T4_T5_mT6_P12ihipStream_tbENKUlT_T0_E_clISt17integral_constantIbLb0EESZ_EEDaSU_SV_EUlSU_E0_NS1_11comp_targetILNS1_3genE4ELNS1_11target_archE910ELNS1_3gpuE8ELNS1_3repE0EEENS1_30default_config_static_selectorELNS0_4arch9wavefront6targetE1EEEvT1_
	.p2align	8
	.type	_ZN7rocprim17ROCPRIM_400000_NS6detail17trampoline_kernelINS0_14default_configENS1_20scan_config_selectorIN3c107complexIfEEEEZZNS1_9scan_implILNS1_25lookback_scan_determinismE0ELb0ELb0ES3_PKS7_PS7_S7_ZZZN2at6native31launch_logcumsumexp_cuda_kernelERKNSE_10TensorBaseESI_lENKUlvE_clEvENKUlvE2_clEvEUlS7_S7_E_S7_EEDaPvRmT3_T4_T5_mT6_P12ihipStream_tbENKUlT_T0_E_clISt17integral_constantIbLb0EESZ_EEDaSU_SV_EUlSU_E0_NS1_11comp_targetILNS1_3genE4ELNS1_11target_archE910ELNS1_3gpuE8ELNS1_3repE0EEENS1_30default_config_static_selectorELNS0_4arch9wavefront6targetE1EEEvT1_,@function
_ZN7rocprim17ROCPRIM_400000_NS6detail17trampoline_kernelINS0_14default_configENS1_20scan_config_selectorIN3c107complexIfEEEEZZNS1_9scan_implILNS1_25lookback_scan_determinismE0ELb0ELb0ES3_PKS7_PS7_S7_ZZZN2at6native31launch_logcumsumexp_cuda_kernelERKNSE_10TensorBaseESI_lENKUlvE_clEvENKUlvE2_clEvEUlS7_S7_E_S7_EEDaPvRmT3_T4_T5_mT6_P12ihipStream_tbENKUlT_T0_E_clISt17integral_constantIbLb0EESZ_EEDaSU_SV_EUlSU_E0_NS1_11comp_targetILNS1_3genE4ELNS1_11target_archE910ELNS1_3gpuE8ELNS1_3repE0EEENS1_30default_config_static_selectorELNS0_4arch9wavefront6targetE1EEEvT1_: ; @_ZN7rocprim17ROCPRIM_400000_NS6detail17trampoline_kernelINS0_14default_configENS1_20scan_config_selectorIN3c107complexIfEEEEZZNS1_9scan_implILNS1_25lookback_scan_determinismE0ELb0ELb0ES3_PKS7_PS7_S7_ZZZN2at6native31launch_logcumsumexp_cuda_kernelERKNSE_10TensorBaseESI_lENKUlvE_clEvENKUlvE2_clEvEUlS7_S7_E_S7_EEDaPvRmT3_T4_T5_mT6_P12ihipStream_tbENKUlT_T0_E_clISt17integral_constantIbLb0EESZ_EEDaSU_SV_EUlSU_E0_NS1_11comp_targetILNS1_3genE4ELNS1_11target_archE910ELNS1_3gpuE8ELNS1_3repE0EEENS1_30default_config_static_selectorELNS0_4arch9wavefront6targetE1EEEvT1_
; %bb.0:
	.section	.rodata,"a",@progbits
	.p2align	6, 0x0
	.amdhsa_kernel _ZN7rocprim17ROCPRIM_400000_NS6detail17trampoline_kernelINS0_14default_configENS1_20scan_config_selectorIN3c107complexIfEEEEZZNS1_9scan_implILNS1_25lookback_scan_determinismE0ELb0ELb0ES3_PKS7_PS7_S7_ZZZN2at6native31launch_logcumsumexp_cuda_kernelERKNSE_10TensorBaseESI_lENKUlvE_clEvENKUlvE2_clEvEUlS7_S7_E_S7_EEDaPvRmT3_T4_T5_mT6_P12ihipStream_tbENKUlT_T0_E_clISt17integral_constantIbLb0EESZ_EEDaSU_SV_EUlSU_E0_NS1_11comp_targetILNS1_3genE4ELNS1_11target_archE910ELNS1_3gpuE8ELNS1_3repE0EEENS1_30default_config_static_selectorELNS0_4arch9wavefront6targetE1EEEvT1_
		.amdhsa_group_segment_fixed_size 0
		.amdhsa_private_segment_fixed_size 0
		.amdhsa_kernarg_size 40
		.amdhsa_user_sgpr_count 2
		.amdhsa_user_sgpr_dispatch_ptr 0
		.amdhsa_user_sgpr_queue_ptr 0
		.amdhsa_user_sgpr_kernarg_segment_ptr 1
		.amdhsa_user_sgpr_dispatch_id 0
		.amdhsa_user_sgpr_kernarg_preload_length 0
		.amdhsa_user_sgpr_kernarg_preload_offset 0
		.amdhsa_user_sgpr_private_segment_size 0
		.amdhsa_uses_dynamic_stack 0
		.amdhsa_enable_private_segment 0
		.amdhsa_system_sgpr_workgroup_id_x 1
		.amdhsa_system_sgpr_workgroup_id_y 0
		.amdhsa_system_sgpr_workgroup_id_z 0
		.amdhsa_system_sgpr_workgroup_info 0
		.amdhsa_system_vgpr_workitem_id 0
		.amdhsa_next_free_vgpr 1
		.amdhsa_next_free_sgpr 0
		.amdhsa_accum_offset 4
		.amdhsa_reserve_vcc 0
		.amdhsa_float_round_mode_32 0
		.amdhsa_float_round_mode_16_64 0
		.amdhsa_float_denorm_mode_32 3
		.amdhsa_float_denorm_mode_16_64 3
		.amdhsa_dx10_clamp 1
		.amdhsa_ieee_mode 1
		.amdhsa_fp16_overflow 0
		.amdhsa_tg_split 0
		.amdhsa_exception_fp_ieee_invalid_op 0
		.amdhsa_exception_fp_denorm_src 0
		.amdhsa_exception_fp_ieee_div_zero 0
		.amdhsa_exception_fp_ieee_overflow 0
		.amdhsa_exception_fp_ieee_underflow 0
		.amdhsa_exception_fp_ieee_inexact 0
		.amdhsa_exception_int_div_zero 0
	.end_amdhsa_kernel
	.section	.text._ZN7rocprim17ROCPRIM_400000_NS6detail17trampoline_kernelINS0_14default_configENS1_20scan_config_selectorIN3c107complexIfEEEEZZNS1_9scan_implILNS1_25lookback_scan_determinismE0ELb0ELb0ES3_PKS7_PS7_S7_ZZZN2at6native31launch_logcumsumexp_cuda_kernelERKNSE_10TensorBaseESI_lENKUlvE_clEvENKUlvE2_clEvEUlS7_S7_E_S7_EEDaPvRmT3_T4_T5_mT6_P12ihipStream_tbENKUlT_T0_E_clISt17integral_constantIbLb0EESZ_EEDaSU_SV_EUlSU_E0_NS1_11comp_targetILNS1_3genE4ELNS1_11target_archE910ELNS1_3gpuE8ELNS1_3repE0EEENS1_30default_config_static_selectorELNS0_4arch9wavefront6targetE1EEEvT1_,"axG",@progbits,_ZN7rocprim17ROCPRIM_400000_NS6detail17trampoline_kernelINS0_14default_configENS1_20scan_config_selectorIN3c107complexIfEEEEZZNS1_9scan_implILNS1_25lookback_scan_determinismE0ELb0ELb0ES3_PKS7_PS7_S7_ZZZN2at6native31launch_logcumsumexp_cuda_kernelERKNSE_10TensorBaseESI_lENKUlvE_clEvENKUlvE2_clEvEUlS7_S7_E_S7_EEDaPvRmT3_T4_T5_mT6_P12ihipStream_tbENKUlT_T0_E_clISt17integral_constantIbLb0EESZ_EEDaSU_SV_EUlSU_E0_NS1_11comp_targetILNS1_3genE4ELNS1_11target_archE910ELNS1_3gpuE8ELNS1_3repE0EEENS1_30default_config_static_selectorELNS0_4arch9wavefront6targetE1EEEvT1_,comdat
.Lfunc_end283:
	.size	_ZN7rocprim17ROCPRIM_400000_NS6detail17trampoline_kernelINS0_14default_configENS1_20scan_config_selectorIN3c107complexIfEEEEZZNS1_9scan_implILNS1_25lookback_scan_determinismE0ELb0ELb0ES3_PKS7_PS7_S7_ZZZN2at6native31launch_logcumsumexp_cuda_kernelERKNSE_10TensorBaseESI_lENKUlvE_clEvENKUlvE2_clEvEUlS7_S7_E_S7_EEDaPvRmT3_T4_T5_mT6_P12ihipStream_tbENKUlT_T0_E_clISt17integral_constantIbLb0EESZ_EEDaSU_SV_EUlSU_E0_NS1_11comp_targetILNS1_3genE4ELNS1_11target_archE910ELNS1_3gpuE8ELNS1_3repE0EEENS1_30default_config_static_selectorELNS0_4arch9wavefront6targetE1EEEvT1_, .Lfunc_end283-_ZN7rocprim17ROCPRIM_400000_NS6detail17trampoline_kernelINS0_14default_configENS1_20scan_config_selectorIN3c107complexIfEEEEZZNS1_9scan_implILNS1_25lookback_scan_determinismE0ELb0ELb0ES3_PKS7_PS7_S7_ZZZN2at6native31launch_logcumsumexp_cuda_kernelERKNSE_10TensorBaseESI_lENKUlvE_clEvENKUlvE2_clEvEUlS7_S7_E_S7_EEDaPvRmT3_T4_T5_mT6_P12ihipStream_tbENKUlT_T0_E_clISt17integral_constantIbLb0EESZ_EEDaSU_SV_EUlSU_E0_NS1_11comp_targetILNS1_3genE4ELNS1_11target_archE910ELNS1_3gpuE8ELNS1_3repE0EEENS1_30default_config_static_selectorELNS0_4arch9wavefront6targetE1EEEvT1_
                                        ; -- End function
	.set _ZN7rocprim17ROCPRIM_400000_NS6detail17trampoline_kernelINS0_14default_configENS1_20scan_config_selectorIN3c107complexIfEEEEZZNS1_9scan_implILNS1_25lookback_scan_determinismE0ELb0ELb0ES3_PKS7_PS7_S7_ZZZN2at6native31launch_logcumsumexp_cuda_kernelERKNSE_10TensorBaseESI_lENKUlvE_clEvENKUlvE2_clEvEUlS7_S7_E_S7_EEDaPvRmT3_T4_T5_mT6_P12ihipStream_tbENKUlT_T0_E_clISt17integral_constantIbLb0EESZ_EEDaSU_SV_EUlSU_E0_NS1_11comp_targetILNS1_3genE4ELNS1_11target_archE910ELNS1_3gpuE8ELNS1_3repE0EEENS1_30default_config_static_selectorELNS0_4arch9wavefront6targetE1EEEvT1_.num_vgpr, 0
	.set _ZN7rocprim17ROCPRIM_400000_NS6detail17trampoline_kernelINS0_14default_configENS1_20scan_config_selectorIN3c107complexIfEEEEZZNS1_9scan_implILNS1_25lookback_scan_determinismE0ELb0ELb0ES3_PKS7_PS7_S7_ZZZN2at6native31launch_logcumsumexp_cuda_kernelERKNSE_10TensorBaseESI_lENKUlvE_clEvENKUlvE2_clEvEUlS7_S7_E_S7_EEDaPvRmT3_T4_T5_mT6_P12ihipStream_tbENKUlT_T0_E_clISt17integral_constantIbLb0EESZ_EEDaSU_SV_EUlSU_E0_NS1_11comp_targetILNS1_3genE4ELNS1_11target_archE910ELNS1_3gpuE8ELNS1_3repE0EEENS1_30default_config_static_selectorELNS0_4arch9wavefront6targetE1EEEvT1_.num_agpr, 0
	.set _ZN7rocprim17ROCPRIM_400000_NS6detail17trampoline_kernelINS0_14default_configENS1_20scan_config_selectorIN3c107complexIfEEEEZZNS1_9scan_implILNS1_25lookback_scan_determinismE0ELb0ELb0ES3_PKS7_PS7_S7_ZZZN2at6native31launch_logcumsumexp_cuda_kernelERKNSE_10TensorBaseESI_lENKUlvE_clEvENKUlvE2_clEvEUlS7_S7_E_S7_EEDaPvRmT3_T4_T5_mT6_P12ihipStream_tbENKUlT_T0_E_clISt17integral_constantIbLb0EESZ_EEDaSU_SV_EUlSU_E0_NS1_11comp_targetILNS1_3genE4ELNS1_11target_archE910ELNS1_3gpuE8ELNS1_3repE0EEENS1_30default_config_static_selectorELNS0_4arch9wavefront6targetE1EEEvT1_.numbered_sgpr, 0
	.set _ZN7rocprim17ROCPRIM_400000_NS6detail17trampoline_kernelINS0_14default_configENS1_20scan_config_selectorIN3c107complexIfEEEEZZNS1_9scan_implILNS1_25lookback_scan_determinismE0ELb0ELb0ES3_PKS7_PS7_S7_ZZZN2at6native31launch_logcumsumexp_cuda_kernelERKNSE_10TensorBaseESI_lENKUlvE_clEvENKUlvE2_clEvEUlS7_S7_E_S7_EEDaPvRmT3_T4_T5_mT6_P12ihipStream_tbENKUlT_T0_E_clISt17integral_constantIbLb0EESZ_EEDaSU_SV_EUlSU_E0_NS1_11comp_targetILNS1_3genE4ELNS1_11target_archE910ELNS1_3gpuE8ELNS1_3repE0EEENS1_30default_config_static_selectorELNS0_4arch9wavefront6targetE1EEEvT1_.num_named_barrier, 0
	.set _ZN7rocprim17ROCPRIM_400000_NS6detail17trampoline_kernelINS0_14default_configENS1_20scan_config_selectorIN3c107complexIfEEEEZZNS1_9scan_implILNS1_25lookback_scan_determinismE0ELb0ELb0ES3_PKS7_PS7_S7_ZZZN2at6native31launch_logcumsumexp_cuda_kernelERKNSE_10TensorBaseESI_lENKUlvE_clEvENKUlvE2_clEvEUlS7_S7_E_S7_EEDaPvRmT3_T4_T5_mT6_P12ihipStream_tbENKUlT_T0_E_clISt17integral_constantIbLb0EESZ_EEDaSU_SV_EUlSU_E0_NS1_11comp_targetILNS1_3genE4ELNS1_11target_archE910ELNS1_3gpuE8ELNS1_3repE0EEENS1_30default_config_static_selectorELNS0_4arch9wavefront6targetE1EEEvT1_.private_seg_size, 0
	.set _ZN7rocprim17ROCPRIM_400000_NS6detail17trampoline_kernelINS0_14default_configENS1_20scan_config_selectorIN3c107complexIfEEEEZZNS1_9scan_implILNS1_25lookback_scan_determinismE0ELb0ELb0ES3_PKS7_PS7_S7_ZZZN2at6native31launch_logcumsumexp_cuda_kernelERKNSE_10TensorBaseESI_lENKUlvE_clEvENKUlvE2_clEvEUlS7_S7_E_S7_EEDaPvRmT3_T4_T5_mT6_P12ihipStream_tbENKUlT_T0_E_clISt17integral_constantIbLb0EESZ_EEDaSU_SV_EUlSU_E0_NS1_11comp_targetILNS1_3genE4ELNS1_11target_archE910ELNS1_3gpuE8ELNS1_3repE0EEENS1_30default_config_static_selectorELNS0_4arch9wavefront6targetE1EEEvT1_.uses_vcc, 0
	.set _ZN7rocprim17ROCPRIM_400000_NS6detail17trampoline_kernelINS0_14default_configENS1_20scan_config_selectorIN3c107complexIfEEEEZZNS1_9scan_implILNS1_25lookback_scan_determinismE0ELb0ELb0ES3_PKS7_PS7_S7_ZZZN2at6native31launch_logcumsumexp_cuda_kernelERKNSE_10TensorBaseESI_lENKUlvE_clEvENKUlvE2_clEvEUlS7_S7_E_S7_EEDaPvRmT3_T4_T5_mT6_P12ihipStream_tbENKUlT_T0_E_clISt17integral_constantIbLb0EESZ_EEDaSU_SV_EUlSU_E0_NS1_11comp_targetILNS1_3genE4ELNS1_11target_archE910ELNS1_3gpuE8ELNS1_3repE0EEENS1_30default_config_static_selectorELNS0_4arch9wavefront6targetE1EEEvT1_.uses_flat_scratch, 0
	.set _ZN7rocprim17ROCPRIM_400000_NS6detail17trampoline_kernelINS0_14default_configENS1_20scan_config_selectorIN3c107complexIfEEEEZZNS1_9scan_implILNS1_25lookback_scan_determinismE0ELb0ELb0ES3_PKS7_PS7_S7_ZZZN2at6native31launch_logcumsumexp_cuda_kernelERKNSE_10TensorBaseESI_lENKUlvE_clEvENKUlvE2_clEvEUlS7_S7_E_S7_EEDaPvRmT3_T4_T5_mT6_P12ihipStream_tbENKUlT_T0_E_clISt17integral_constantIbLb0EESZ_EEDaSU_SV_EUlSU_E0_NS1_11comp_targetILNS1_3genE4ELNS1_11target_archE910ELNS1_3gpuE8ELNS1_3repE0EEENS1_30default_config_static_selectorELNS0_4arch9wavefront6targetE1EEEvT1_.has_dyn_sized_stack, 0
	.set _ZN7rocprim17ROCPRIM_400000_NS6detail17trampoline_kernelINS0_14default_configENS1_20scan_config_selectorIN3c107complexIfEEEEZZNS1_9scan_implILNS1_25lookback_scan_determinismE0ELb0ELb0ES3_PKS7_PS7_S7_ZZZN2at6native31launch_logcumsumexp_cuda_kernelERKNSE_10TensorBaseESI_lENKUlvE_clEvENKUlvE2_clEvEUlS7_S7_E_S7_EEDaPvRmT3_T4_T5_mT6_P12ihipStream_tbENKUlT_T0_E_clISt17integral_constantIbLb0EESZ_EEDaSU_SV_EUlSU_E0_NS1_11comp_targetILNS1_3genE4ELNS1_11target_archE910ELNS1_3gpuE8ELNS1_3repE0EEENS1_30default_config_static_selectorELNS0_4arch9wavefront6targetE1EEEvT1_.has_recursion, 0
	.set _ZN7rocprim17ROCPRIM_400000_NS6detail17trampoline_kernelINS0_14default_configENS1_20scan_config_selectorIN3c107complexIfEEEEZZNS1_9scan_implILNS1_25lookback_scan_determinismE0ELb0ELb0ES3_PKS7_PS7_S7_ZZZN2at6native31launch_logcumsumexp_cuda_kernelERKNSE_10TensorBaseESI_lENKUlvE_clEvENKUlvE2_clEvEUlS7_S7_E_S7_EEDaPvRmT3_T4_T5_mT6_P12ihipStream_tbENKUlT_T0_E_clISt17integral_constantIbLb0EESZ_EEDaSU_SV_EUlSU_E0_NS1_11comp_targetILNS1_3genE4ELNS1_11target_archE910ELNS1_3gpuE8ELNS1_3repE0EEENS1_30default_config_static_selectorELNS0_4arch9wavefront6targetE1EEEvT1_.has_indirect_call, 0
	.section	.AMDGPU.csdata,"",@progbits
; Kernel info:
; codeLenInByte = 0
; TotalNumSgprs: 6
; NumVgprs: 0
; NumAgprs: 0
; TotalNumVgprs: 0
; ScratchSize: 0
; MemoryBound: 0
; FloatMode: 240
; IeeeMode: 1
; LDSByteSize: 0 bytes/workgroup (compile time only)
; SGPRBlocks: 0
; VGPRBlocks: 0
; NumSGPRsForWavesPerEU: 6
; NumVGPRsForWavesPerEU: 1
; AccumOffset: 4
; Occupancy: 8
; WaveLimiterHint : 0
; COMPUTE_PGM_RSRC2:SCRATCH_EN: 0
; COMPUTE_PGM_RSRC2:USER_SGPR: 2
; COMPUTE_PGM_RSRC2:TRAP_HANDLER: 0
; COMPUTE_PGM_RSRC2:TGID_X_EN: 1
; COMPUTE_PGM_RSRC2:TGID_Y_EN: 0
; COMPUTE_PGM_RSRC2:TGID_Z_EN: 0
; COMPUTE_PGM_RSRC2:TIDIG_COMP_CNT: 0
; COMPUTE_PGM_RSRC3_GFX90A:ACCUM_OFFSET: 0
; COMPUTE_PGM_RSRC3_GFX90A:TG_SPLIT: 0
	.section	.text._ZN7rocprim17ROCPRIM_400000_NS6detail17trampoline_kernelINS0_14default_configENS1_20scan_config_selectorIN3c107complexIfEEEEZZNS1_9scan_implILNS1_25lookback_scan_determinismE0ELb0ELb0ES3_PKS7_PS7_S7_ZZZN2at6native31launch_logcumsumexp_cuda_kernelERKNSE_10TensorBaseESI_lENKUlvE_clEvENKUlvE2_clEvEUlS7_S7_E_S7_EEDaPvRmT3_T4_T5_mT6_P12ihipStream_tbENKUlT_T0_E_clISt17integral_constantIbLb0EESZ_EEDaSU_SV_EUlSU_E0_NS1_11comp_targetILNS1_3genE3ELNS1_11target_archE908ELNS1_3gpuE7ELNS1_3repE0EEENS1_30default_config_static_selectorELNS0_4arch9wavefront6targetE1EEEvT1_,"axG",@progbits,_ZN7rocprim17ROCPRIM_400000_NS6detail17trampoline_kernelINS0_14default_configENS1_20scan_config_selectorIN3c107complexIfEEEEZZNS1_9scan_implILNS1_25lookback_scan_determinismE0ELb0ELb0ES3_PKS7_PS7_S7_ZZZN2at6native31launch_logcumsumexp_cuda_kernelERKNSE_10TensorBaseESI_lENKUlvE_clEvENKUlvE2_clEvEUlS7_S7_E_S7_EEDaPvRmT3_T4_T5_mT6_P12ihipStream_tbENKUlT_T0_E_clISt17integral_constantIbLb0EESZ_EEDaSU_SV_EUlSU_E0_NS1_11comp_targetILNS1_3genE3ELNS1_11target_archE908ELNS1_3gpuE7ELNS1_3repE0EEENS1_30default_config_static_selectorELNS0_4arch9wavefront6targetE1EEEvT1_,comdat
	.globl	_ZN7rocprim17ROCPRIM_400000_NS6detail17trampoline_kernelINS0_14default_configENS1_20scan_config_selectorIN3c107complexIfEEEEZZNS1_9scan_implILNS1_25lookback_scan_determinismE0ELb0ELb0ES3_PKS7_PS7_S7_ZZZN2at6native31launch_logcumsumexp_cuda_kernelERKNSE_10TensorBaseESI_lENKUlvE_clEvENKUlvE2_clEvEUlS7_S7_E_S7_EEDaPvRmT3_T4_T5_mT6_P12ihipStream_tbENKUlT_T0_E_clISt17integral_constantIbLb0EESZ_EEDaSU_SV_EUlSU_E0_NS1_11comp_targetILNS1_3genE3ELNS1_11target_archE908ELNS1_3gpuE7ELNS1_3repE0EEENS1_30default_config_static_selectorELNS0_4arch9wavefront6targetE1EEEvT1_ ; -- Begin function _ZN7rocprim17ROCPRIM_400000_NS6detail17trampoline_kernelINS0_14default_configENS1_20scan_config_selectorIN3c107complexIfEEEEZZNS1_9scan_implILNS1_25lookback_scan_determinismE0ELb0ELb0ES3_PKS7_PS7_S7_ZZZN2at6native31launch_logcumsumexp_cuda_kernelERKNSE_10TensorBaseESI_lENKUlvE_clEvENKUlvE2_clEvEUlS7_S7_E_S7_EEDaPvRmT3_T4_T5_mT6_P12ihipStream_tbENKUlT_T0_E_clISt17integral_constantIbLb0EESZ_EEDaSU_SV_EUlSU_E0_NS1_11comp_targetILNS1_3genE3ELNS1_11target_archE908ELNS1_3gpuE7ELNS1_3repE0EEENS1_30default_config_static_selectorELNS0_4arch9wavefront6targetE1EEEvT1_
	.p2align	8
	.type	_ZN7rocprim17ROCPRIM_400000_NS6detail17trampoline_kernelINS0_14default_configENS1_20scan_config_selectorIN3c107complexIfEEEEZZNS1_9scan_implILNS1_25lookback_scan_determinismE0ELb0ELb0ES3_PKS7_PS7_S7_ZZZN2at6native31launch_logcumsumexp_cuda_kernelERKNSE_10TensorBaseESI_lENKUlvE_clEvENKUlvE2_clEvEUlS7_S7_E_S7_EEDaPvRmT3_T4_T5_mT6_P12ihipStream_tbENKUlT_T0_E_clISt17integral_constantIbLb0EESZ_EEDaSU_SV_EUlSU_E0_NS1_11comp_targetILNS1_3genE3ELNS1_11target_archE908ELNS1_3gpuE7ELNS1_3repE0EEENS1_30default_config_static_selectorELNS0_4arch9wavefront6targetE1EEEvT1_,@function
_ZN7rocprim17ROCPRIM_400000_NS6detail17trampoline_kernelINS0_14default_configENS1_20scan_config_selectorIN3c107complexIfEEEEZZNS1_9scan_implILNS1_25lookback_scan_determinismE0ELb0ELb0ES3_PKS7_PS7_S7_ZZZN2at6native31launch_logcumsumexp_cuda_kernelERKNSE_10TensorBaseESI_lENKUlvE_clEvENKUlvE2_clEvEUlS7_S7_E_S7_EEDaPvRmT3_T4_T5_mT6_P12ihipStream_tbENKUlT_T0_E_clISt17integral_constantIbLb0EESZ_EEDaSU_SV_EUlSU_E0_NS1_11comp_targetILNS1_3genE3ELNS1_11target_archE908ELNS1_3gpuE7ELNS1_3repE0EEENS1_30default_config_static_selectorELNS0_4arch9wavefront6targetE1EEEvT1_: ; @_ZN7rocprim17ROCPRIM_400000_NS6detail17trampoline_kernelINS0_14default_configENS1_20scan_config_selectorIN3c107complexIfEEEEZZNS1_9scan_implILNS1_25lookback_scan_determinismE0ELb0ELb0ES3_PKS7_PS7_S7_ZZZN2at6native31launch_logcumsumexp_cuda_kernelERKNSE_10TensorBaseESI_lENKUlvE_clEvENKUlvE2_clEvEUlS7_S7_E_S7_EEDaPvRmT3_T4_T5_mT6_P12ihipStream_tbENKUlT_T0_E_clISt17integral_constantIbLb0EESZ_EEDaSU_SV_EUlSU_E0_NS1_11comp_targetILNS1_3genE3ELNS1_11target_archE908ELNS1_3gpuE7ELNS1_3repE0EEENS1_30default_config_static_selectorELNS0_4arch9wavefront6targetE1EEEvT1_
; %bb.0:
	.section	.rodata,"a",@progbits
	.p2align	6, 0x0
	.amdhsa_kernel _ZN7rocprim17ROCPRIM_400000_NS6detail17trampoline_kernelINS0_14default_configENS1_20scan_config_selectorIN3c107complexIfEEEEZZNS1_9scan_implILNS1_25lookback_scan_determinismE0ELb0ELb0ES3_PKS7_PS7_S7_ZZZN2at6native31launch_logcumsumexp_cuda_kernelERKNSE_10TensorBaseESI_lENKUlvE_clEvENKUlvE2_clEvEUlS7_S7_E_S7_EEDaPvRmT3_T4_T5_mT6_P12ihipStream_tbENKUlT_T0_E_clISt17integral_constantIbLb0EESZ_EEDaSU_SV_EUlSU_E0_NS1_11comp_targetILNS1_3genE3ELNS1_11target_archE908ELNS1_3gpuE7ELNS1_3repE0EEENS1_30default_config_static_selectorELNS0_4arch9wavefront6targetE1EEEvT1_
		.amdhsa_group_segment_fixed_size 0
		.amdhsa_private_segment_fixed_size 0
		.amdhsa_kernarg_size 40
		.amdhsa_user_sgpr_count 2
		.amdhsa_user_sgpr_dispatch_ptr 0
		.amdhsa_user_sgpr_queue_ptr 0
		.amdhsa_user_sgpr_kernarg_segment_ptr 1
		.amdhsa_user_sgpr_dispatch_id 0
		.amdhsa_user_sgpr_kernarg_preload_length 0
		.amdhsa_user_sgpr_kernarg_preload_offset 0
		.amdhsa_user_sgpr_private_segment_size 0
		.amdhsa_uses_dynamic_stack 0
		.amdhsa_enable_private_segment 0
		.amdhsa_system_sgpr_workgroup_id_x 1
		.amdhsa_system_sgpr_workgroup_id_y 0
		.amdhsa_system_sgpr_workgroup_id_z 0
		.amdhsa_system_sgpr_workgroup_info 0
		.amdhsa_system_vgpr_workitem_id 0
		.amdhsa_next_free_vgpr 1
		.amdhsa_next_free_sgpr 0
		.amdhsa_accum_offset 4
		.amdhsa_reserve_vcc 0
		.amdhsa_float_round_mode_32 0
		.amdhsa_float_round_mode_16_64 0
		.amdhsa_float_denorm_mode_32 3
		.amdhsa_float_denorm_mode_16_64 3
		.amdhsa_dx10_clamp 1
		.amdhsa_ieee_mode 1
		.amdhsa_fp16_overflow 0
		.amdhsa_tg_split 0
		.amdhsa_exception_fp_ieee_invalid_op 0
		.amdhsa_exception_fp_denorm_src 0
		.amdhsa_exception_fp_ieee_div_zero 0
		.amdhsa_exception_fp_ieee_overflow 0
		.amdhsa_exception_fp_ieee_underflow 0
		.amdhsa_exception_fp_ieee_inexact 0
		.amdhsa_exception_int_div_zero 0
	.end_amdhsa_kernel
	.section	.text._ZN7rocprim17ROCPRIM_400000_NS6detail17trampoline_kernelINS0_14default_configENS1_20scan_config_selectorIN3c107complexIfEEEEZZNS1_9scan_implILNS1_25lookback_scan_determinismE0ELb0ELb0ES3_PKS7_PS7_S7_ZZZN2at6native31launch_logcumsumexp_cuda_kernelERKNSE_10TensorBaseESI_lENKUlvE_clEvENKUlvE2_clEvEUlS7_S7_E_S7_EEDaPvRmT3_T4_T5_mT6_P12ihipStream_tbENKUlT_T0_E_clISt17integral_constantIbLb0EESZ_EEDaSU_SV_EUlSU_E0_NS1_11comp_targetILNS1_3genE3ELNS1_11target_archE908ELNS1_3gpuE7ELNS1_3repE0EEENS1_30default_config_static_selectorELNS0_4arch9wavefront6targetE1EEEvT1_,"axG",@progbits,_ZN7rocprim17ROCPRIM_400000_NS6detail17trampoline_kernelINS0_14default_configENS1_20scan_config_selectorIN3c107complexIfEEEEZZNS1_9scan_implILNS1_25lookback_scan_determinismE0ELb0ELb0ES3_PKS7_PS7_S7_ZZZN2at6native31launch_logcumsumexp_cuda_kernelERKNSE_10TensorBaseESI_lENKUlvE_clEvENKUlvE2_clEvEUlS7_S7_E_S7_EEDaPvRmT3_T4_T5_mT6_P12ihipStream_tbENKUlT_T0_E_clISt17integral_constantIbLb0EESZ_EEDaSU_SV_EUlSU_E0_NS1_11comp_targetILNS1_3genE3ELNS1_11target_archE908ELNS1_3gpuE7ELNS1_3repE0EEENS1_30default_config_static_selectorELNS0_4arch9wavefront6targetE1EEEvT1_,comdat
.Lfunc_end284:
	.size	_ZN7rocprim17ROCPRIM_400000_NS6detail17trampoline_kernelINS0_14default_configENS1_20scan_config_selectorIN3c107complexIfEEEEZZNS1_9scan_implILNS1_25lookback_scan_determinismE0ELb0ELb0ES3_PKS7_PS7_S7_ZZZN2at6native31launch_logcumsumexp_cuda_kernelERKNSE_10TensorBaseESI_lENKUlvE_clEvENKUlvE2_clEvEUlS7_S7_E_S7_EEDaPvRmT3_T4_T5_mT6_P12ihipStream_tbENKUlT_T0_E_clISt17integral_constantIbLb0EESZ_EEDaSU_SV_EUlSU_E0_NS1_11comp_targetILNS1_3genE3ELNS1_11target_archE908ELNS1_3gpuE7ELNS1_3repE0EEENS1_30default_config_static_selectorELNS0_4arch9wavefront6targetE1EEEvT1_, .Lfunc_end284-_ZN7rocprim17ROCPRIM_400000_NS6detail17trampoline_kernelINS0_14default_configENS1_20scan_config_selectorIN3c107complexIfEEEEZZNS1_9scan_implILNS1_25lookback_scan_determinismE0ELb0ELb0ES3_PKS7_PS7_S7_ZZZN2at6native31launch_logcumsumexp_cuda_kernelERKNSE_10TensorBaseESI_lENKUlvE_clEvENKUlvE2_clEvEUlS7_S7_E_S7_EEDaPvRmT3_T4_T5_mT6_P12ihipStream_tbENKUlT_T0_E_clISt17integral_constantIbLb0EESZ_EEDaSU_SV_EUlSU_E0_NS1_11comp_targetILNS1_3genE3ELNS1_11target_archE908ELNS1_3gpuE7ELNS1_3repE0EEENS1_30default_config_static_selectorELNS0_4arch9wavefront6targetE1EEEvT1_
                                        ; -- End function
	.set _ZN7rocprim17ROCPRIM_400000_NS6detail17trampoline_kernelINS0_14default_configENS1_20scan_config_selectorIN3c107complexIfEEEEZZNS1_9scan_implILNS1_25lookback_scan_determinismE0ELb0ELb0ES3_PKS7_PS7_S7_ZZZN2at6native31launch_logcumsumexp_cuda_kernelERKNSE_10TensorBaseESI_lENKUlvE_clEvENKUlvE2_clEvEUlS7_S7_E_S7_EEDaPvRmT3_T4_T5_mT6_P12ihipStream_tbENKUlT_T0_E_clISt17integral_constantIbLb0EESZ_EEDaSU_SV_EUlSU_E0_NS1_11comp_targetILNS1_3genE3ELNS1_11target_archE908ELNS1_3gpuE7ELNS1_3repE0EEENS1_30default_config_static_selectorELNS0_4arch9wavefront6targetE1EEEvT1_.num_vgpr, 0
	.set _ZN7rocprim17ROCPRIM_400000_NS6detail17trampoline_kernelINS0_14default_configENS1_20scan_config_selectorIN3c107complexIfEEEEZZNS1_9scan_implILNS1_25lookback_scan_determinismE0ELb0ELb0ES3_PKS7_PS7_S7_ZZZN2at6native31launch_logcumsumexp_cuda_kernelERKNSE_10TensorBaseESI_lENKUlvE_clEvENKUlvE2_clEvEUlS7_S7_E_S7_EEDaPvRmT3_T4_T5_mT6_P12ihipStream_tbENKUlT_T0_E_clISt17integral_constantIbLb0EESZ_EEDaSU_SV_EUlSU_E0_NS1_11comp_targetILNS1_3genE3ELNS1_11target_archE908ELNS1_3gpuE7ELNS1_3repE0EEENS1_30default_config_static_selectorELNS0_4arch9wavefront6targetE1EEEvT1_.num_agpr, 0
	.set _ZN7rocprim17ROCPRIM_400000_NS6detail17trampoline_kernelINS0_14default_configENS1_20scan_config_selectorIN3c107complexIfEEEEZZNS1_9scan_implILNS1_25lookback_scan_determinismE0ELb0ELb0ES3_PKS7_PS7_S7_ZZZN2at6native31launch_logcumsumexp_cuda_kernelERKNSE_10TensorBaseESI_lENKUlvE_clEvENKUlvE2_clEvEUlS7_S7_E_S7_EEDaPvRmT3_T4_T5_mT6_P12ihipStream_tbENKUlT_T0_E_clISt17integral_constantIbLb0EESZ_EEDaSU_SV_EUlSU_E0_NS1_11comp_targetILNS1_3genE3ELNS1_11target_archE908ELNS1_3gpuE7ELNS1_3repE0EEENS1_30default_config_static_selectorELNS0_4arch9wavefront6targetE1EEEvT1_.numbered_sgpr, 0
	.set _ZN7rocprim17ROCPRIM_400000_NS6detail17trampoline_kernelINS0_14default_configENS1_20scan_config_selectorIN3c107complexIfEEEEZZNS1_9scan_implILNS1_25lookback_scan_determinismE0ELb0ELb0ES3_PKS7_PS7_S7_ZZZN2at6native31launch_logcumsumexp_cuda_kernelERKNSE_10TensorBaseESI_lENKUlvE_clEvENKUlvE2_clEvEUlS7_S7_E_S7_EEDaPvRmT3_T4_T5_mT6_P12ihipStream_tbENKUlT_T0_E_clISt17integral_constantIbLb0EESZ_EEDaSU_SV_EUlSU_E0_NS1_11comp_targetILNS1_3genE3ELNS1_11target_archE908ELNS1_3gpuE7ELNS1_3repE0EEENS1_30default_config_static_selectorELNS0_4arch9wavefront6targetE1EEEvT1_.num_named_barrier, 0
	.set _ZN7rocprim17ROCPRIM_400000_NS6detail17trampoline_kernelINS0_14default_configENS1_20scan_config_selectorIN3c107complexIfEEEEZZNS1_9scan_implILNS1_25lookback_scan_determinismE0ELb0ELb0ES3_PKS7_PS7_S7_ZZZN2at6native31launch_logcumsumexp_cuda_kernelERKNSE_10TensorBaseESI_lENKUlvE_clEvENKUlvE2_clEvEUlS7_S7_E_S7_EEDaPvRmT3_T4_T5_mT6_P12ihipStream_tbENKUlT_T0_E_clISt17integral_constantIbLb0EESZ_EEDaSU_SV_EUlSU_E0_NS1_11comp_targetILNS1_3genE3ELNS1_11target_archE908ELNS1_3gpuE7ELNS1_3repE0EEENS1_30default_config_static_selectorELNS0_4arch9wavefront6targetE1EEEvT1_.private_seg_size, 0
	.set _ZN7rocprim17ROCPRIM_400000_NS6detail17trampoline_kernelINS0_14default_configENS1_20scan_config_selectorIN3c107complexIfEEEEZZNS1_9scan_implILNS1_25lookback_scan_determinismE0ELb0ELb0ES3_PKS7_PS7_S7_ZZZN2at6native31launch_logcumsumexp_cuda_kernelERKNSE_10TensorBaseESI_lENKUlvE_clEvENKUlvE2_clEvEUlS7_S7_E_S7_EEDaPvRmT3_T4_T5_mT6_P12ihipStream_tbENKUlT_T0_E_clISt17integral_constantIbLb0EESZ_EEDaSU_SV_EUlSU_E0_NS1_11comp_targetILNS1_3genE3ELNS1_11target_archE908ELNS1_3gpuE7ELNS1_3repE0EEENS1_30default_config_static_selectorELNS0_4arch9wavefront6targetE1EEEvT1_.uses_vcc, 0
	.set _ZN7rocprim17ROCPRIM_400000_NS6detail17trampoline_kernelINS0_14default_configENS1_20scan_config_selectorIN3c107complexIfEEEEZZNS1_9scan_implILNS1_25lookback_scan_determinismE0ELb0ELb0ES3_PKS7_PS7_S7_ZZZN2at6native31launch_logcumsumexp_cuda_kernelERKNSE_10TensorBaseESI_lENKUlvE_clEvENKUlvE2_clEvEUlS7_S7_E_S7_EEDaPvRmT3_T4_T5_mT6_P12ihipStream_tbENKUlT_T0_E_clISt17integral_constantIbLb0EESZ_EEDaSU_SV_EUlSU_E0_NS1_11comp_targetILNS1_3genE3ELNS1_11target_archE908ELNS1_3gpuE7ELNS1_3repE0EEENS1_30default_config_static_selectorELNS0_4arch9wavefront6targetE1EEEvT1_.uses_flat_scratch, 0
	.set _ZN7rocprim17ROCPRIM_400000_NS6detail17trampoline_kernelINS0_14default_configENS1_20scan_config_selectorIN3c107complexIfEEEEZZNS1_9scan_implILNS1_25lookback_scan_determinismE0ELb0ELb0ES3_PKS7_PS7_S7_ZZZN2at6native31launch_logcumsumexp_cuda_kernelERKNSE_10TensorBaseESI_lENKUlvE_clEvENKUlvE2_clEvEUlS7_S7_E_S7_EEDaPvRmT3_T4_T5_mT6_P12ihipStream_tbENKUlT_T0_E_clISt17integral_constantIbLb0EESZ_EEDaSU_SV_EUlSU_E0_NS1_11comp_targetILNS1_3genE3ELNS1_11target_archE908ELNS1_3gpuE7ELNS1_3repE0EEENS1_30default_config_static_selectorELNS0_4arch9wavefront6targetE1EEEvT1_.has_dyn_sized_stack, 0
	.set _ZN7rocprim17ROCPRIM_400000_NS6detail17trampoline_kernelINS0_14default_configENS1_20scan_config_selectorIN3c107complexIfEEEEZZNS1_9scan_implILNS1_25lookback_scan_determinismE0ELb0ELb0ES3_PKS7_PS7_S7_ZZZN2at6native31launch_logcumsumexp_cuda_kernelERKNSE_10TensorBaseESI_lENKUlvE_clEvENKUlvE2_clEvEUlS7_S7_E_S7_EEDaPvRmT3_T4_T5_mT6_P12ihipStream_tbENKUlT_T0_E_clISt17integral_constantIbLb0EESZ_EEDaSU_SV_EUlSU_E0_NS1_11comp_targetILNS1_3genE3ELNS1_11target_archE908ELNS1_3gpuE7ELNS1_3repE0EEENS1_30default_config_static_selectorELNS0_4arch9wavefront6targetE1EEEvT1_.has_recursion, 0
	.set _ZN7rocprim17ROCPRIM_400000_NS6detail17trampoline_kernelINS0_14default_configENS1_20scan_config_selectorIN3c107complexIfEEEEZZNS1_9scan_implILNS1_25lookback_scan_determinismE0ELb0ELb0ES3_PKS7_PS7_S7_ZZZN2at6native31launch_logcumsumexp_cuda_kernelERKNSE_10TensorBaseESI_lENKUlvE_clEvENKUlvE2_clEvEUlS7_S7_E_S7_EEDaPvRmT3_T4_T5_mT6_P12ihipStream_tbENKUlT_T0_E_clISt17integral_constantIbLb0EESZ_EEDaSU_SV_EUlSU_E0_NS1_11comp_targetILNS1_3genE3ELNS1_11target_archE908ELNS1_3gpuE7ELNS1_3repE0EEENS1_30default_config_static_selectorELNS0_4arch9wavefront6targetE1EEEvT1_.has_indirect_call, 0
	.section	.AMDGPU.csdata,"",@progbits
; Kernel info:
; codeLenInByte = 0
; TotalNumSgprs: 6
; NumVgprs: 0
; NumAgprs: 0
; TotalNumVgprs: 0
; ScratchSize: 0
; MemoryBound: 0
; FloatMode: 240
; IeeeMode: 1
; LDSByteSize: 0 bytes/workgroup (compile time only)
; SGPRBlocks: 0
; VGPRBlocks: 0
; NumSGPRsForWavesPerEU: 6
; NumVGPRsForWavesPerEU: 1
; AccumOffset: 4
; Occupancy: 8
; WaveLimiterHint : 0
; COMPUTE_PGM_RSRC2:SCRATCH_EN: 0
; COMPUTE_PGM_RSRC2:USER_SGPR: 2
; COMPUTE_PGM_RSRC2:TRAP_HANDLER: 0
; COMPUTE_PGM_RSRC2:TGID_X_EN: 1
; COMPUTE_PGM_RSRC2:TGID_Y_EN: 0
; COMPUTE_PGM_RSRC2:TGID_Z_EN: 0
; COMPUTE_PGM_RSRC2:TIDIG_COMP_CNT: 0
; COMPUTE_PGM_RSRC3_GFX90A:ACCUM_OFFSET: 0
; COMPUTE_PGM_RSRC3_GFX90A:TG_SPLIT: 0
	.section	.text._ZN7rocprim17ROCPRIM_400000_NS6detail17trampoline_kernelINS0_14default_configENS1_20scan_config_selectorIN3c107complexIfEEEEZZNS1_9scan_implILNS1_25lookback_scan_determinismE0ELb0ELb0ES3_PKS7_PS7_S7_ZZZN2at6native31launch_logcumsumexp_cuda_kernelERKNSE_10TensorBaseESI_lENKUlvE_clEvENKUlvE2_clEvEUlS7_S7_E_S7_EEDaPvRmT3_T4_T5_mT6_P12ihipStream_tbENKUlT_T0_E_clISt17integral_constantIbLb0EESZ_EEDaSU_SV_EUlSU_E0_NS1_11comp_targetILNS1_3genE2ELNS1_11target_archE906ELNS1_3gpuE6ELNS1_3repE0EEENS1_30default_config_static_selectorELNS0_4arch9wavefront6targetE1EEEvT1_,"axG",@progbits,_ZN7rocprim17ROCPRIM_400000_NS6detail17trampoline_kernelINS0_14default_configENS1_20scan_config_selectorIN3c107complexIfEEEEZZNS1_9scan_implILNS1_25lookback_scan_determinismE0ELb0ELb0ES3_PKS7_PS7_S7_ZZZN2at6native31launch_logcumsumexp_cuda_kernelERKNSE_10TensorBaseESI_lENKUlvE_clEvENKUlvE2_clEvEUlS7_S7_E_S7_EEDaPvRmT3_T4_T5_mT6_P12ihipStream_tbENKUlT_T0_E_clISt17integral_constantIbLb0EESZ_EEDaSU_SV_EUlSU_E0_NS1_11comp_targetILNS1_3genE2ELNS1_11target_archE906ELNS1_3gpuE6ELNS1_3repE0EEENS1_30default_config_static_selectorELNS0_4arch9wavefront6targetE1EEEvT1_,comdat
	.globl	_ZN7rocprim17ROCPRIM_400000_NS6detail17trampoline_kernelINS0_14default_configENS1_20scan_config_selectorIN3c107complexIfEEEEZZNS1_9scan_implILNS1_25lookback_scan_determinismE0ELb0ELb0ES3_PKS7_PS7_S7_ZZZN2at6native31launch_logcumsumexp_cuda_kernelERKNSE_10TensorBaseESI_lENKUlvE_clEvENKUlvE2_clEvEUlS7_S7_E_S7_EEDaPvRmT3_T4_T5_mT6_P12ihipStream_tbENKUlT_T0_E_clISt17integral_constantIbLb0EESZ_EEDaSU_SV_EUlSU_E0_NS1_11comp_targetILNS1_3genE2ELNS1_11target_archE906ELNS1_3gpuE6ELNS1_3repE0EEENS1_30default_config_static_selectorELNS0_4arch9wavefront6targetE1EEEvT1_ ; -- Begin function _ZN7rocprim17ROCPRIM_400000_NS6detail17trampoline_kernelINS0_14default_configENS1_20scan_config_selectorIN3c107complexIfEEEEZZNS1_9scan_implILNS1_25lookback_scan_determinismE0ELb0ELb0ES3_PKS7_PS7_S7_ZZZN2at6native31launch_logcumsumexp_cuda_kernelERKNSE_10TensorBaseESI_lENKUlvE_clEvENKUlvE2_clEvEUlS7_S7_E_S7_EEDaPvRmT3_T4_T5_mT6_P12ihipStream_tbENKUlT_T0_E_clISt17integral_constantIbLb0EESZ_EEDaSU_SV_EUlSU_E0_NS1_11comp_targetILNS1_3genE2ELNS1_11target_archE906ELNS1_3gpuE6ELNS1_3repE0EEENS1_30default_config_static_selectorELNS0_4arch9wavefront6targetE1EEEvT1_
	.p2align	8
	.type	_ZN7rocprim17ROCPRIM_400000_NS6detail17trampoline_kernelINS0_14default_configENS1_20scan_config_selectorIN3c107complexIfEEEEZZNS1_9scan_implILNS1_25lookback_scan_determinismE0ELb0ELb0ES3_PKS7_PS7_S7_ZZZN2at6native31launch_logcumsumexp_cuda_kernelERKNSE_10TensorBaseESI_lENKUlvE_clEvENKUlvE2_clEvEUlS7_S7_E_S7_EEDaPvRmT3_T4_T5_mT6_P12ihipStream_tbENKUlT_T0_E_clISt17integral_constantIbLb0EESZ_EEDaSU_SV_EUlSU_E0_NS1_11comp_targetILNS1_3genE2ELNS1_11target_archE906ELNS1_3gpuE6ELNS1_3repE0EEENS1_30default_config_static_selectorELNS0_4arch9wavefront6targetE1EEEvT1_,@function
_ZN7rocprim17ROCPRIM_400000_NS6detail17trampoline_kernelINS0_14default_configENS1_20scan_config_selectorIN3c107complexIfEEEEZZNS1_9scan_implILNS1_25lookback_scan_determinismE0ELb0ELb0ES3_PKS7_PS7_S7_ZZZN2at6native31launch_logcumsumexp_cuda_kernelERKNSE_10TensorBaseESI_lENKUlvE_clEvENKUlvE2_clEvEUlS7_S7_E_S7_EEDaPvRmT3_T4_T5_mT6_P12ihipStream_tbENKUlT_T0_E_clISt17integral_constantIbLb0EESZ_EEDaSU_SV_EUlSU_E0_NS1_11comp_targetILNS1_3genE2ELNS1_11target_archE906ELNS1_3gpuE6ELNS1_3repE0EEENS1_30default_config_static_selectorELNS0_4arch9wavefront6targetE1EEEvT1_: ; @_ZN7rocprim17ROCPRIM_400000_NS6detail17trampoline_kernelINS0_14default_configENS1_20scan_config_selectorIN3c107complexIfEEEEZZNS1_9scan_implILNS1_25lookback_scan_determinismE0ELb0ELb0ES3_PKS7_PS7_S7_ZZZN2at6native31launch_logcumsumexp_cuda_kernelERKNSE_10TensorBaseESI_lENKUlvE_clEvENKUlvE2_clEvEUlS7_S7_E_S7_EEDaPvRmT3_T4_T5_mT6_P12ihipStream_tbENKUlT_T0_E_clISt17integral_constantIbLb0EESZ_EEDaSU_SV_EUlSU_E0_NS1_11comp_targetILNS1_3genE2ELNS1_11target_archE906ELNS1_3gpuE6ELNS1_3repE0EEENS1_30default_config_static_selectorELNS0_4arch9wavefront6targetE1EEEvT1_
; %bb.0:
	.section	.rodata,"a",@progbits
	.p2align	6, 0x0
	.amdhsa_kernel _ZN7rocprim17ROCPRIM_400000_NS6detail17trampoline_kernelINS0_14default_configENS1_20scan_config_selectorIN3c107complexIfEEEEZZNS1_9scan_implILNS1_25lookback_scan_determinismE0ELb0ELb0ES3_PKS7_PS7_S7_ZZZN2at6native31launch_logcumsumexp_cuda_kernelERKNSE_10TensorBaseESI_lENKUlvE_clEvENKUlvE2_clEvEUlS7_S7_E_S7_EEDaPvRmT3_T4_T5_mT6_P12ihipStream_tbENKUlT_T0_E_clISt17integral_constantIbLb0EESZ_EEDaSU_SV_EUlSU_E0_NS1_11comp_targetILNS1_3genE2ELNS1_11target_archE906ELNS1_3gpuE6ELNS1_3repE0EEENS1_30default_config_static_selectorELNS0_4arch9wavefront6targetE1EEEvT1_
		.amdhsa_group_segment_fixed_size 0
		.amdhsa_private_segment_fixed_size 0
		.amdhsa_kernarg_size 40
		.amdhsa_user_sgpr_count 2
		.amdhsa_user_sgpr_dispatch_ptr 0
		.amdhsa_user_sgpr_queue_ptr 0
		.amdhsa_user_sgpr_kernarg_segment_ptr 1
		.amdhsa_user_sgpr_dispatch_id 0
		.amdhsa_user_sgpr_kernarg_preload_length 0
		.amdhsa_user_sgpr_kernarg_preload_offset 0
		.amdhsa_user_sgpr_private_segment_size 0
		.amdhsa_uses_dynamic_stack 0
		.amdhsa_enable_private_segment 0
		.amdhsa_system_sgpr_workgroup_id_x 1
		.amdhsa_system_sgpr_workgroup_id_y 0
		.amdhsa_system_sgpr_workgroup_id_z 0
		.amdhsa_system_sgpr_workgroup_info 0
		.amdhsa_system_vgpr_workitem_id 0
		.amdhsa_next_free_vgpr 1
		.amdhsa_next_free_sgpr 0
		.amdhsa_accum_offset 4
		.amdhsa_reserve_vcc 0
		.amdhsa_float_round_mode_32 0
		.amdhsa_float_round_mode_16_64 0
		.amdhsa_float_denorm_mode_32 3
		.amdhsa_float_denorm_mode_16_64 3
		.amdhsa_dx10_clamp 1
		.amdhsa_ieee_mode 1
		.amdhsa_fp16_overflow 0
		.amdhsa_tg_split 0
		.amdhsa_exception_fp_ieee_invalid_op 0
		.amdhsa_exception_fp_denorm_src 0
		.amdhsa_exception_fp_ieee_div_zero 0
		.amdhsa_exception_fp_ieee_overflow 0
		.amdhsa_exception_fp_ieee_underflow 0
		.amdhsa_exception_fp_ieee_inexact 0
		.amdhsa_exception_int_div_zero 0
	.end_amdhsa_kernel
	.section	.text._ZN7rocprim17ROCPRIM_400000_NS6detail17trampoline_kernelINS0_14default_configENS1_20scan_config_selectorIN3c107complexIfEEEEZZNS1_9scan_implILNS1_25lookback_scan_determinismE0ELb0ELb0ES3_PKS7_PS7_S7_ZZZN2at6native31launch_logcumsumexp_cuda_kernelERKNSE_10TensorBaseESI_lENKUlvE_clEvENKUlvE2_clEvEUlS7_S7_E_S7_EEDaPvRmT3_T4_T5_mT6_P12ihipStream_tbENKUlT_T0_E_clISt17integral_constantIbLb0EESZ_EEDaSU_SV_EUlSU_E0_NS1_11comp_targetILNS1_3genE2ELNS1_11target_archE906ELNS1_3gpuE6ELNS1_3repE0EEENS1_30default_config_static_selectorELNS0_4arch9wavefront6targetE1EEEvT1_,"axG",@progbits,_ZN7rocprim17ROCPRIM_400000_NS6detail17trampoline_kernelINS0_14default_configENS1_20scan_config_selectorIN3c107complexIfEEEEZZNS1_9scan_implILNS1_25lookback_scan_determinismE0ELb0ELb0ES3_PKS7_PS7_S7_ZZZN2at6native31launch_logcumsumexp_cuda_kernelERKNSE_10TensorBaseESI_lENKUlvE_clEvENKUlvE2_clEvEUlS7_S7_E_S7_EEDaPvRmT3_T4_T5_mT6_P12ihipStream_tbENKUlT_T0_E_clISt17integral_constantIbLb0EESZ_EEDaSU_SV_EUlSU_E0_NS1_11comp_targetILNS1_3genE2ELNS1_11target_archE906ELNS1_3gpuE6ELNS1_3repE0EEENS1_30default_config_static_selectorELNS0_4arch9wavefront6targetE1EEEvT1_,comdat
.Lfunc_end285:
	.size	_ZN7rocprim17ROCPRIM_400000_NS6detail17trampoline_kernelINS0_14default_configENS1_20scan_config_selectorIN3c107complexIfEEEEZZNS1_9scan_implILNS1_25lookback_scan_determinismE0ELb0ELb0ES3_PKS7_PS7_S7_ZZZN2at6native31launch_logcumsumexp_cuda_kernelERKNSE_10TensorBaseESI_lENKUlvE_clEvENKUlvE2_clEvEUlS7_S7_E_S7_EEDaPvRmT3_T4_T5_mT6_P12ihipStream_tbENKUlT_T0_E_clISt17integral_constantIbLb0EESZ_EEDaSU_SV_EUlSU_E0_NS1_11comp_targetILNS1_3genE2ELNS1_11target_archE906ELNS1_3gpuE6ELNS1_3repE0EEENS1_30default_config_static_selectorELNS0_4arch9wavefront6targetE1EEEvT1_, .Lfunc_end285-_ZN7rocprim17ROCPRIM_400000_NS6detail17trampoline_kernelINS0_14default_configENS1_20scan_config_selectorIN3c107complexIfEEEEZZNS1_9scan_implILNS1_25lookback_scan_determinismE0ELb0ELb0ES3_PKS7_PS7_S7_ZZZN2at6native31launch_logcumsumexp_cuda_kernelERKNSE_10TensorBaseESI_lENKUlvE_clEvENKUlvE2_clEvEUlS7_S7_E_S7_EEDaPvRmT3_T4_T5_mT6_P12ihipStream_tbENKUlT_T0_E_clISt17integral_constantIbLb0EESZ_EEDaSU_SV_EUlSU_E0_NS1_11comp_targetILNS1_3genE2ELNS1_11target_archE906ELNS1_3gpuE6ELNS1_3repE0EEENS1_30default_config_static_selectorELNS0_4arch9wavefront6targetE1EEEvT1_
                                        ; -- End function
	.set _ZN7rocprim17ROCPRIM_400000_NS6detail17trampoline_kernelINS0_14default_configENS1_20scan_config_selectorIN3c107complexIfEEEEZZNS1_9scan_implILNS1_25lookback_scan_determinismE0ELb0ELb0ES3_PKS7_PS7_S7_ZZZN2at6native31launch_logcumsumexp_cuda_kernelERKNSE_10TensorBaseESI_lENKUlvE_clEvENKUlvE2_clEvEUlS7_S7_E_S7_EEDaPvRmT3_T4_T5_mT6_P12ihipStream_tbENKUlT_T0_E_clISt17integral_constantIbLb0EESZ_EEDaSU_SV_EUlSU_E0_NS1_11comp_targetILNS1_3genE2ELNS1_11target_archE906ELNS1_3gpuE6ELNS1_3repE0EEENS1_30default_config_static_selectorELNS0_4arch9wavefront6targetE1EEEvT1_.num_vgpr, 0
	.set _ZN7rocprim17ROCPRIM_400000_NS6detail17trampoline_kernelINS0_14default_configENS1_20scan_config_selectorIN3c107complexIfEEEEZZNS1_9scan_implILNS1_25lookback_scan_determinismE0ELb0ELb0ES3_PKS7_PS7_S7_ZZZN2at6native31launch_logcumsumexp_cuda_kernelERKNSE_10TensorBaseESI_lENKUlvE_clEvENKUlvE2_clEvEUlS7_S7_E_S7_EEDaPvRmT3_T4_T5_mT6_P12ihipStream_tbENKUlT_T0_E_clISt17integral_constantIbLb0EESZ_EEDaSU_SV_EUlSU_E0_NS1_11comp_targetILNS1_3genE2ELNS1_11target_archE906ELNS1_3gpuE6ELNS1_3repE0EEENS1_30default_config_static_selectorELNS0_4arch9wavefront6targetE1EEEvT1_.num_agpr, 0
	.set _ZN7rocprim17ROCPRIM_400000_NS6detail17trampoline_kernelINS0_14default_configENS1_20scan_config_selectorIN3c107complexIfEEEEZZNS1_9scan_implILNS1_25lookback_scan_determinismE0ELb0ELb0ES3_PKS7_PS7_S7_ZZZN2at6native31launch_logcumsumexp_cuda_kernelERKNSE_10TensorBaseESI_lENKUlvE_clEvENKUlvE2_clEvEUlS7_S7_E_S7_EEDaPvRmT3_T4_T5_mT6_P12ihipStream_tbENKUlT_T0_E_clISt17integral_constantIbLb0EESZ_EEDaSU_SV_EUlSU_E0_NS1_11comp_targetILNS1_3genE2ELNS1_11target_archE906ELNS1_3gpuE6ELNS1_3repE0EEENS1_30default_config_static_selectorELNS0_4arch9wavefront6targetE1EEEvT1_.numbered_sgpr, 0
	.set _ZN7rocprim17ROCPRIM_400000_NS6detail17trampoline_kernelINS0_14default_configENS1_20scan_config_selectorIN3c107complexIfEEEEZZNS1_9scan_implILNS1_25lookback_scan_determinismE0ELb0ELb0ES3_PKS7_PS7_S7_ZZZN2at6native31launch_logcumsumexp_cuda_kernelERKNSE_10TensorBaseESI_lENKUlvE_clEvENKUlvE2_clEvEUlS7_S7_E_S7_EEDaPvRmT3_T4_T5_mT6_P12ihipStream_tbENKUlT_T0_E_clISt17integral_constantIbLb0EESZ_EEDaSU_SV_EUlSU_E0_NS1_11comp_targetILNS1_3genE2ELNS1_11target_archE906ELNS1_3gpuE6ELNS1_3repE0EEENS1_30default_config_static_selectorELNS0_4arch9wavefront6targetE1EEEvT1_.num_named_barrier, 0
	.set _ZN7rocprim17ROCPRIM_400000_NS6detail17trampoline_kernelINS0_14default_configENS1_20scan_config_selectorIN3c107complexIfEEEEZZNS1_9scan_implILNS1_25lookback_scan_determinismE0ELb0ELb0ES3_PKS7_PS7_S7_ZZZN2at6native31launch_logcumsumexp_cuda_kernelERKNSE_10TensorBaseESI_lENKUlvE_clEvENKUlvE2_clEvEUlS7_S7_E_S7_EEDaPvRmT3_T4_T5_mT6_P12ihipStream_tbENKUlT_T0_E_clISt17integral_constantIbLb0EESZ_EEDaSU_SV_EUlSU_E0_NS1_11comp_targetILNS1_3genE2ELNS1_11target_archE906ELNS1_3gpuE6ELNS1_3repE0EEENS1_30default_config_static_selectorELNS0_4arch9wavefront6targetE1EEEvT1_.private_seg_size, 0
	.set _ZN7rocprim17ROCPRIM_400000_NS6detail17trampoline_kernelINS0_14default_configENS1_20scan_config_selectorIN3c107complexIfEEEEZZNS1_9scan_implILNS1_25lookback_scan_determinismE0ELb0ELb0ES3_PKS7_PS7_S7_ZZZN2at6native31launch_logcumsumexp_cuda_kernelERKNSE_10TensorBaseESI_lENKUlvE_clEvENKUlvE2_clEvEUlS7_S7_E_S7_EEDaPvRmT3_T4_T5_mT6_P12ihipStream_tbENKUlT_T0_E_clISt17integral_constantIbLb0EESZ_EEDaSU_SV_EUlSU_E0_NS1_11comp_targetILNS1_3genE2ELNS1_11target_archE906ELNS1_3gpuE6ELNS1_3repE0EEENS1_30default_config_static_selectorELNS0_4arch9wavefront6targetE1EEEvT1_.uses_vcc, 0
	.set _ZN7rocprim17ROCPRIM_400000_NS6detail17trampoline_kernelINS0_14default_configENS1_20scan_config_selectorIN3c107complexIfEEEEZZNS1_9scan_implILNS1_25lookback_scan_determinismE0ELb0ELb0ES3_PKS7_PS7_S7_ZZZN2at6native31launch_logcumsumexp_cuda_kernelERKNSE_10TensorBaseESI_lENKUlvE_clEvENKUlvE2_clEvEUlS7_S7_E_S7_EEDaPvRmT3_T4_T5_mT6_P12ihipStream_tbENKUlT_T0_E_clISt17integral_constantIbLb0EESZ_EEDaSU_SV_EUlSU_E0_NS1_11comp_targetILNS1_3genE2ELNS1_11target_archE906ELNS1_3gpuE6ELNS1_3repE0EEENS1_30default_config_static_selectorELNS0_4arch9wavefront6targetE1EEEvT1_.uses_flat_scratch, 0
	.set _ZN7rocprim17ROCPRIM_400000_NS6detail17trampoline_kernelINS0_14default_configENS1_20scan_config_selectorIN3c107complexIfEEEEZZNS1_9scan_implILNS1_25lookback_scan_determinismE0ELb0ELb0ES3_PKS7_PS7_S7_ZZZN2at6native31launch_logcumsumexp_cuda_kernelERKNSE_10TensorBaseESI_lENKUlvE_clEvENKUlvE2_clEvEUlS7_S7_E_S7_EEDaPvRmT3_T4_T5_mT6_P12ihipStream_tbENKUlT_T0_E_clISt17integral_constantIbLb0EESZ_EEDaSU_SV_EUlSU_E0_NS1_11comp_targetILNS1_3genE2ELNS1_11target_archE906ELNS1_3gpuE6ELNS1_3repE0EEENS1_30default_config_static_selectorELNS0_4arch9wavefront6targetE1EEEvT1_.has_dyn_sized_stack, 0
	.set _ZN7rocprim17ROCPRIM_400000_NS6detail17trampoline_kernelINS0_14default_configENS1_20scan_config_selectorIN3c107complexIfEEEEZZNS1_9scan_implILNS1_25lookback_scan_determinismE0ELb0ELb0ES3_PKS7_PS7_S7_ZZZN2at6native31launch_logcumsumexp_cuda_kernelERKNSE_10TensorBaseESI_lENKUlvE_clEvENKUlvE2_clEvEUlS7_S7_E_S7_EEDaPvRmT3_T4_T5_mT6_P12ihipStream_tbENKUlT_T0_E_clISt17integral_constantIbLb0EESZ_EEDaSU_SV_EUlSU_E0_NS1_11comp_targetILNS1_3genE2ELNS1_11target_archE906ELNS1_3gpuE6ELNS1_3repE0EEENS1_30default_config_static_selectorELNS0_4arch9wavefront6targetE1EEEvT1_.has_recursion, 0
	.set _ZN7rocprim17ROCPRIM_400000_NS6detail17trampoline_kernelINS0_14default_configENS1_20scan_config_selectorIN3c107complexIfEEEEZZNS1_9scan_implILNS1_25lookback_scan_determinismE0ELb0ELb0ES3_PKS7_PS7_S7_ZZZN2at6native31launch_logcumsumexp_cuda_kernelERKNSE_10TensorBaseESI_lENKUlvE_clEvENKUlvE2_clEvEUlS7_S7_E_S7_EEDaPvRmT3_T4_T5_mT6_P12ihipStream_tbENKUlT_T0_E_clISt17integral_constantIbLb0EESZ_EEDaSU_SV_EUlSU_E0_NS1_11comp_targetILNS1_3genE2ELNS1_11target_archE906ELNS1_3gpuE6ELNS1_3repE0EEENS1_30default_config_static_selectorELNS0_4arch9wavefront6targetE1EEEvT1_.has_indirect_call, 0
	.section	.AMDGPU.csdata,"",@progbits
; Kernel info:
; codeLenInByte = 0
; TotalNumSgprs: 6
; NumVgprs: 0
; NumAgprs: 0
; TotalNumVgprs: 0
; ScratchSize: 0
; MemoryBound: 0
; FloatMode: 240
; IeeeMode: 1
; LDSByteSize: 0 bytes/workgroup (compile time only)
; SGPRBlocks: 0
; VGPRBlocks: 0
; NumSGPRsForWavesPerEU: 6
; NumVGPRsForWavesPerEU: 1
; AccumOffset: 4
; Occupancy: 8
; WaveLimiterHint : 0
; COMPUTE_PGM_RSRC2:SCRATCH_EN: 0
; COMPUTE_PGM_RSRC2:USER_SGPR: 2
; COMPUTE_PGM_RSRC2:TRAP_HANDLER: 0
; COMPUTE_PGM_RSRC2:TGID_X_EN: 1
; COMPUTE_PGM_RSRC2:TGID_Y_EN: 0
; COMPUTE_PGM_RSRC2:TGID_Z_EN: 0
; COMPUTE_PGM_RSRC2:TIDIG_COMP_CNT: 0
; COMPUTE_PGM_RSRC3_GFX90A:ACCUM_OFFSET: 0
; COMPUTE_PGM_RSRC3_GFX90A:TG_SPLIT: 0
	.section	.text._ZN7rocprim17ROCPRIM_400000_NS6detail17trampoline_kernelINS0_14default_configENS1_20scan_config_selectorIN3c107complexIfEEEEZZNS1_9scan_implILNS1_25lookback_scan_determinismE0ELb0ELb0ES3_PKS7_PS7_S7_ZZZN2at6native31launch_logcumsumexp_cuda_kernelERKNSE_10TensorBaseESI_lENKUlvE_clEvENKUlvE2_clEvEUlS7_S7_E_S7_EEDaPvRmT3_T4_T5_mT6_P12ihipStream_tbENKUlT_T0_E_clISt17integral_constantIbLb0EESZ_EEDaSU_SV_EUlSU_E0_NS1_11comp_targetILNS1_3genE10ELNS1_11target_archE1201ELNS1_3gpuE5ELNS1_3repE0EEENS1_30default_config_static_selectorELNS0_4arch9wavefront6targetE1EEEvT1_,"axG",@progbits,_ZN7rocprim17ROCPRIM_400000_NS6detail17trampoline_kernelINS0_14default_configENS1_20scan_config_selectorIN3c107complexIfEEEEZZNS1_9scan_implILNS1_25lookback_scan_determinismE0ELb0ELb0ES3_PKS7_PS7_S7_ZZZN2at6native31launch_logcumsumexp_cuda_kernelERKNSE_10TensorBaseESI_lENKUlvE_clEvENKUlvE2_clEvEUlS7_S7_E_S7_EEDaPvRmT3_T4_T5_mT6_P12ihipStream_tbENKUlT_T0_E_clISt17integral_constantIbLb0EESZ_EEDaSU_SV_EUlSU_E0_NS1_11comp_targetILNS1_3genE10ELNS1_11target_archE1201ELNS1_3gpuE5ELNS1_3repE0EEENS1_30default_config_static_selectorELNS0_4arch9wavefront6targetE1EEEvT1_,comdat
	.globl	_ZN7rocprim17ROCPRIM_400000_NS6detail17trampoline_kernelINS0_14default_configENS1_20scan_config_selectorIN3c107complexIfEEEEZZNS1_9scan_implILNS1_25lookback_scan_determinismE0ELb0ELb0ES3_PKS7_PS7_S7_ZZZN2at6native31launch_logcumsumexp_cuda_kernelERKNSE_10TensorBaseESI_lENKUlvE_clEvENKUlvE2_clEvEUlS7_S7_E_S7_EEDaPvRmT3_T4_T5_mT6_P12ihipStream_tbENKUlT_T0_E_clISt17integral_constantIbLb0EESZ_EEDaSU_SV_EUlSU_E0_NS1_11comp_targetILNS1_3genE10ELNS1_11target_archE1201ELNS1_3gpuE5ELNS1_3repE0EEENS1_30default_config_static_selectorELNS0_4arch9wavefront6targetE1EEEvT1_ ; -- Begin function _ZN7rocprim17ROCPRIM_400000_NS6detail17trampoline_kernelINS0_14default_configENS1_20scan_config_selectorIN3c107complexIfEEEEZZNS1_9scan_implILNS1_25lookback_scan_determinismE0ELb0ELb0ES3_PKS7_PS7_S7_ZZZN2at6native31launch_logcumsumexp_cuda_kernelERKNSE_10TensorBaseESI_lENKUlvE_clEvENKUlvE2_clEvEUlS7_S7_E_S7_EEDaPvRmT3_T4_T5_mT6_P12ihipStream_tbENKUlT_T0_E_clISt17integral_constantIbLb0EESZ_EEDaSU_SV_EUlSU_E0_NS1_11comp_targetILNS1_3genE10ELNS1_11target_archE1201ELNS1_3gpuE5ELNS1_3repE0EEENS1_30default_config_static_selectorELNS0_4arch9wavefront6targetE1EEEvT1_
	.p2align	8
	.type	_ZN7rocprim17ROCPRIM_400000_NS6detail17trampoline_kernelINS0_14default_configENS1_20scan_config_selectorIN3c107complexIfEEEEZZNS1_9scan_implILNS1_25lookback_scan_determinismE0ELb0ELb0ES3_PKS7_PS7_S7_ZZZN2at6native31launch_logcumsumexp_cuda_kernelERKNSE_10TensorBaseESI_lENKUlvE_clEvENKUlvE2_clEvEUlS7_S7_E_S7_EEDaPvRmT3_T4_T5_mT6_P12ihipStream_tbENKUlT_T0_E_clISt17integral_constantIbLb0EESZ_EEDaSU_SV_EUlSU_E0_NS1_11comp_targetILNS1_3genE10ELNS1_11target_archE1201ELNS1_3gpuE5ELNS1_3repE0EEENS1_30default_config_static_selectorELNS0_4arch9wavefront6targetE1EEEvT1_,@function
_ZN7rocprim17ROCPRIM_400000_NS6detail17trampoline_kernelINS0_14default_configENS1_20scan_config_selectorIN3c107complexIfEEEEZZNS1_9scan_implILNS1_25lookback_scan_determinismE0ELb0ELb0ES3_PKS7_PS7_S7_ZZZN2at6native31launch_logcumsumexp_cuda_kernelERKNSE_10TensorBaseESI_lENKUlvE_clEvENKUlvE2_clEvEUlS7_S7_E_S7_EEDaPvRmT3_T4_T5_mT6_P12ihipStream_tbENKUlT_T0_E_clISt17integral_constantIbLb0EESZ_EEDaSU_SV_EUlSU_E0_NS1_11comp_targetILNS1_3genE10ELNS1_11target_archE1201ELNS1_3gpuE5ELNS1_3repE0EEENS1_30default_config_static_selectorELNS0_4arch9wavefront6targetE1EEEvT1_: ; @_ZN7rocprim17ROCPRIM_400000_NS6detail17trampoline_kernelINS0_14default_configENS1_20scan_config_selectorIN3c107complexIfEEEEZZNS1_9scan_implILNS1_25lookback_scan_determinismE0ELb0ELb0ES3_PKS7_PS7_S7_ZZZN2at6native31launch_logcumsumexp_cuda_kernelERKNSE_10TensorBaseESI_lENKUlvE_clEvENKUlvE2_clEvEUlS7_S7_E_S7_EEDaPvRmT3_T4_T5_mT6_P12ihipStream_tbENKUlT_T0_E_clISt17integral_constantIbLb0EESZ_EEDaSU_SV_EUlSU_E0_NS1_11comp_targetILNS1_3genE10ELNS1_11target_archE1201ELNS1_3gpuE5ELNS1_3repE0EEENS1_30default_config_static_selectorELNS0_4arch9wavefront6targetE1EEEvT1_
; %bb.0:
	.section	.rodata,"a",@progbits
	.p2align	6, 0x0
	.amdhsa_kernel _ZN7rocprim17ROCPRIM_400000_NS6detail17trampoline_kernelINS0_14default_configENS1_20scan_config_selectorIN3c107complexIfEEEEZZNS1_9scan_implILNS1_25lookback_scan_determinismE0ELb0ELb0ES3_PKS7_PS7_S7_ZZZN2at6native31launch_logcumsumexp_cuda_kernelERKNSE_10TensorBaseESI_lENKUlvE_clEvENKUlvE2_clEvEUlS7_S7_E_S7_EEDaPvRmT3_T4_T5_mT6_P12ihipStream_tbENKUlT_T0_E_clISt17integral_constantIbLb0EESZ_EEDaSU_SV_EUlSU_E0_NS1_11comp_targetILNS1_3genE10ELNS1_11target_archE1201ELNS1_3gpuE5ELNS1_3repE0EEENS1_30default_config_static_selectorELNS0_4arch9wavefront6targetE1EEEvT1_
		.amdhsa_group_segment_fixed_size 0
		.amdhsa_private_segment_fixed_size 0
		.amdhsa_kernarg_size 40
		.amdhsa_user_sgpr_count 2
		.amdhsa_user_sgpr_dispatch_ptr 0
		.amdhsa_user_sgpr_queue_ptr 0
		.amdhsa_user_sgpr_kernarg_segment_ptr 1
		.amdhsa_user_sgpr_dispatch_id 0
		.amdhsa_user_sgpr_kernarg_preload_length 0
		.amdhsa_user_sgpr_kernarg_preload_offset 0
		.amdhsa_user_sgpr_private_segment_size 0
		.amdhsa_uses_dynamic_stack 0
		.amdhsa_enable_private_segment 0
		.amdhsa_system_sgpr_workgroup_id_x 1
		.amdhsa_system_sgpr_workgroup_id_y 0
		.amdhsa_system_sgpr_workgroup_id_z 0
		.amdhsa_system_sgpr_workgroup_info 0
		.amdhsa_system_vgpr_workitem_id 0
		.amdhsa_next_free_vgpr 1
		.amdhsa_next_free_sgpr 0
		.amdhsa_accum_offset 4
		.amdhsa_reserve_vcc 0
		.amdhsa_float_round_mode_32 0
		.amdhsa_float_round_mode_16_64 0
		.amdhsa_float_denorm_mode_32 3
		.amdhsa_float_denorm_mode_16_64 3
		.amdhsa_dx10_clamp 1
		.amdhsa_ieee_mode 1
		.amdhsa_fp16_overflow 0
		.amdhsa_tg_split 0
		.amdhsa_exception_fp_ieee_invalid_op 0
		.amdhsa_exception_fp_denorm_src 0
		.amdhsa_exception_fp_ieee_div_zero 0
		.amdhsa_exception_fp_ieee_overflow 0
		.amdhsa_exception_fp_ieee_underflow 0
		.amdhsa_exception_fp_ieee_inexact 0
		.amdhsa_exception_int_div_zero 0
	.end_amdhsa_kernel
	.section	.text._ZN7rocprim17ROCPRIM_400000_NS6detail17trampoline_kernelINS0_14default_configENS1_20scan_config_selectorIN3c107complexIfEEEEZZNS1_9scan_implILNS1_25lookback_scan_determinismE0ELb0ELb0ES3_PKS7_PS7_S7_ZZZN2at6native31launch_logcumsumexp_cuda_kernelERKNSE_10TensorBaseESI_lENKUlvE_clEvENKUlvE2_clEvEUlS7_S7_E_S7_EEDaPvRmT3_T4_T5_mT6_P12ihipStream_tbENKUlT_T0_E_clISt17integral_constantIbLb0EESZ_EEDaSU_SV_EUlSU_E0_NS1_11comp_targetILNS1_3genE10ELNS1_11target_archE1201ELNS1_3gpuE5ELNS1_3repE0EEENS1_30default_config_static_selectorELNS0_4arch9wavefront6targetE1EEEvT1_,"axG",@progbits,_ZN7rocprim17ROCPRIM_400000_NS6detail17trampoline_kernelINS0_14default_configENS1_20scan_config_selectorIN3c107complexIfEEEEZZNS1_9scan_implILNS1_25lookback_scan_determinismE0ELb0ELb0ES3_PKS7_PS7_S7_ZZZN2at6native31launch_logcumsumexp_cuda_kernelERKNSE_10TensorBaseESI_lENKUlvE_clEvENKUlvE2_clEvEUlS7_S7_E_S7_EEDaPvRmT3_T4_T5_mT6_P12ihipStream_tbENKUlT_T0_E_clISt17integral_constantIbLb0EESZ_EEDaSU_SV_EUlSU_E0_NS1_11comp_targetILNS1_3genE10ELNS1_11target_archE1201ELNS1_3gpuE5ELNS1_3repE0EEENS1_30default_config_static_selectorELNS0_4arch9wavefront6targetE1EEEvT1_,comdat
.Lfunc_end286:
	.size	_ZN7rocprim17ROCPRIM_400000_NS6detail17trampoline_kernelINS0_14default_configENS1_20scan_config_selectorIN3c107complexIfEEEEZZNS1_9scan_implILNS1_25lookback_scan_determinismE0ELb0ELb0ES3_PKS7_PS7_S7_ZZZN2at6native31launch_logcumsumexp_cuda_kernelERKNSE_10TensorBaseESI_lENKUlvE_clEvENKUlvE2_clEvEUlS7_S7_E_S7_EEDaPvRmT3_T4_T5_mT6_P12ihipStream_tbENKUlT_T0_E_clISt17integral_constantIbLb0EESZ_EEDaSU_SV_EUlSU_E0_NS1_11comp_targetILNS1_3genE10ELNS1_11target_archE1201ELNS1_3gpuE5ELNS1_3repE0EEENS1_30default_config_static_selectorELNS0_4arch9wavefront6targetE1EEEvT1_, .Lfunc_end286-_ZN7rocprim17ROCPRIM_400000_NS6detail17trampoline_kernelINS0_14default_configENS1_20scan_config_selectorIN3c107complexIfEEEEZZNS1_9scan_implILNS1_25lookback_scan_determinismE0ELb0ELb0ES3_PKS7_PS7_S7_ZZZN2at6native31launch_logcumsumexp_cuda_kernelERKNSE_10TensorBaseESI_lENKUlvE_clEvENKUlvE2_clEvEUlS7_S7_E_S7_EEDaPvRmT3_T4_T5_mT6_P12ihipStream_tbENKUlT_T0_E_clISt17integral_constantIbLb0EESZ_EEDaSU_SV_EUlSU_E0_NS1_11comp_targetILNS1_3genE10ELNS1_11target_archE1201ELNS1_3gpuE5ELNS1_3repE0EEENS1_30default_config_static_selectorELNS0_4arch9wavefront6targetE1EEEvT1_
                                        ; -- End function
	.set _ZN7rocprim17ROCPRIM_400000_NS6detail17trampoline_kernelINS0_14default_configENS1_20scan_config_selectorIN3c107complexIfEEEEZZNS1_9scan_implILNS1_25lookback_scan_determinismE0ELb0ELb0ES3_PKS7_PS7_S7_ZZZN2at6native31launch_logcumsumexp_cuda_kernelERKNSE_10TensorBaseESI_lENKUlvE_clEvENKUlvE2_clEvEUlS7_S7_E_S7_EEDaPvRmT3_T4_T5_mT6_P12ihipStream_tbENKUlT_T0_E_clISt17integral_constantIbLb0EESZ_EEDaSU_SV_EUlSU_E0_NS1_11comp_targetILNS1_3genE10ELNS1_11target_archE1201ELNS1_3gpuE5ELNS1_3repE0EEENS1_30default_config_static_selectorELNS0_4arch9wavefront6targetE1EEEvT1_.num_vgpr, 0
	.set _ZN7rocprim17ROCPRIM_400000_NS6detail17trampoline_kernelINS0_14default_configENS1_20scan_config_selectorIN3c107complexIfEEEEZZNS1_9scan_implILNS1_25lookback_scan_determinismE0ELb0ELb0ES3_PKS7_PS7_S7_ZZZN2at6native31launch_logcumsumexp_cuda_kernelERKNSE_10TensorBaseESI_lENKUlvE_clEvENKUlvE2_clEvEUlS7_S7_E_S7_EEDaPvRmT3_T4_T5_mT6_P12ihipStream_tbENKUlT_T0_E_clISt17integral_constantIbLb0EESZ_EEDaSU_SV_EUlSU_E0_NS1_11comp_targetILNS1_3genE10ELNS1_11target_archE1201ELNS1_3gpuE5ELNS1_3repE0EEENS1_30default_config_static_selectorELNS0_4arch9wavefront6targetE1EEEvT1_.num_agpr, 0
	.set _ZN7rocprim17ROCPRIM_400000_NS6detail17trampoline_kernelINS0_14default_configENS1_20scan_config_selectorIN3c107complexIfEEEEZZNS1_9scan_implILNS1_25lookback_scan_determinismE0ELb0ELb0ES3_PKS7_PS7_S7_ZZZN2at6native31launch_logcumsumexp_cuda_kernelERKNSE_10TensorBaseESI_lENKUlvE_clEvENKUlvE2_clEvEUlS7_S7_E_S7_EEDaPvRmT3_T4_T5_mT6_P12ihipStream_tbENKUlT_T0_E_clISt17integral_constantIbLb0EESZ_EEDaSU_SV_EUlSU_E0_NS1_11comp_targetILNS1_3genE10ELNS1_11target_archE1201ELNS1_3gpuE5ELNS1_3repE0EEENS1_30default_config_static_selectorELNS0_4arch9wavefront6targetE1EEEvT1_.numbered_sgpr, 0
	.set _ZN7rocprim17ROCPRIM_400000_NS6detail17trampoline_kernelINS0_14default_configENS1_20scan_config_selectorIN3c107complexIfEEEEZZNS1_9scan_implILNS1_25lookback_scan_determinismE0ELb0ELb0ES3_PKS7_PS7_S7_ZZZN2at6native31launch_logcumsumexp_cuda_kernelERKNSE_10TensorBaseESI_lENKUlvE_clEvENKUlvE2_clEvEUlS7_S7_E_S7_EEDaPvRmT3_T4_T5_mT6_P12ihipStream_tbENKUlT_T0_E_clISt17integral_constantIbLb0EESZ_EEDaSU_SV_EUlSU_E0_NS1_11comp_targetILNS1_3genE10ELNS1_11target_archE1201ELNS1_3gpuE5ELNS1_3repE0EEENS1_30default_config_static_selectorELNS0_4arch9wavefront6targetE1EEEvT1_.num_named_barrier, 0
	.set _ZN7rocprim17ROCPRIM_400000_NS6detail17trampoline_kernelINS0_14default_configENS1_20scan_config_selectorIN3c107complexIfEEEEZZNS1_9scan_implILNS1_25lookback_scan_determinismE0ELb0ELb0ES3_PKS7_PS7_S7_ZZZN2at6native31launch_logcumsumexp_cuda_kernelERKNSE_10TensorBaseESI_lENKUlvE_clEvENKUlvE2_clEvEUlS7_S7_E_S7_EEDaPvRmT3_T4_T5_mT6_P12ihipStream_tbENKUlT_T0_E_clISt17integral_constantIbLb0EESZ_EEDaSU_SV_EUlSU_E0_NS1_11comp_targetILNS1_3genE10ELNS1_11target_archE1201ELNS1_3gpuE5ELNS1_3repE0EEENS1_30default_config_static_selectorELNS0_4arch9wavefront6targetE1EEEvT1_.private_seg_size, 0
	.set _ZN7rocprim17ROCPRIM_400000_NS6detail17trampoline_kernelINS0_14default_configENS1_20scan_config_selectorIN3c107complexIfEEEEZZNS1_9scan_implILNS1_25lookback_scan_determinismE0ELb0ELb0ES3_PKS7_PS7_S7_ZZZN2at6native31launch_logcumsumexp_cuda_kernelERKNSE_10TensorBaseESI_lENKUlvE_clEvENKUlvE2_clEvEUlS7_S7_E_S7_EEDaPvRmT3_T4_T5_mT6_P12ihipStream_tbENKUlT_T0_E_clISt17integral_constantIbLb0EESZ_EEDaSU_SV_EUlSU_E0_NS1_11comp_targetILNS1_3genE10ELNS1_11target_archE1201ELNS1_3gpuE5ELNS1_3repE0EEENS1_30default_config_static_selectorELNS0_4arch9wavefront6targetE1EEEvT1_.uses_vcc, 0
	.set _ZN7rocprim17ROCPRIM_400000_NS6detail17trampoline_kernelINS0_14default_configENS1_20scan_config_selectorIN3c107complexIfEEEEZZNS1_9scan_implILNS1_25lookback_scan_determinismE0ELb0ELb0ES3_PKS7_PS7_S7_ZZZN2at6native31launch_logcumsumexp_cuda_kernelERKNSE_10TensorBaseESI_lENKUlvE_clEvENKUlvE2_clEvEUlS7_S7_E_S7_EEDaPvRmT3_T4_T5_mT6_P12ihipStream_tbENKUlT_T0_E_clISt17integral_constantIbLb0EESZ_EEDaSU_SV_EUlSU_E0_NS1_11comp_targetILNS1_3genE10ELNS1_11target_archE1201ELNS1_3gpuE5ELNS1_3repE0EEENS1_30default_config_static_selectorELNS0_4arch9wavefront6targetE1EEEvT1_.uses_flat_scratch, 0
	.set _ZN7rocprim17ROCPRIM_400000_NS6detail17trampoline_kernelINS0_14default_configENS1_20scan_config_selectorIN3c107complexIfEEEEZZNS1_9scan_implILNS1_25lookback_scan_determinismE0ELb0ELb0ES3_PKS7_PS7_S7_ZZZN2at6native31launch_logcumsumexp_cuda_kernelERKNSE_10TensorBaseESI_lENKUlvE_clEvENKUlvE2_clEvEUlS7_S7_E_S7_EEDaPvRmT3_T4_T5_mT6_P12ihipStream_tbENKUlT_T0_E_clISt17integral_constantIbLb0EESZ_EEDaSU_SV_EUlSU_E0_NS1_11comp_targetILNS1_3genE10ELNS1_11target_archE1201ELNS1_3gpuE5ELNS1_3repE0EEENS1_30default_config_static_selectorELNS0_4arch9wavefront6targetE1EEEvT1_.has_dyn_sized_stack, 0
	.set _ZN7rocprim17ROCPRIM_400000_NS6detail17trampoline_kernelINS0_14default_configENS1_20scan_config_selectorIN3c107complexIfEEEEZZNS1_9scan_implILNS1_25lookback_scan_determinismE0ELb0ELb0ES3_PKS7_PS7_S7_ZZZN2at6native31launch_logcumsumexp_cuda_kernelERKNSE_10TensorBaseESI_lENKUlvE_clEvENKUlvE2_clEvEUlS7_S7_E_S7_EEDaPvRmT3_T4_T5_mT6_P12ihipStream_tbENKUlT_T0_E_clISt17integral_constantIbLb0EESZ_EEDaSU_SV_EUlSU_E0_NS1_11comp_targetILNS1_3genE10ELNS1_11target_archE1201ELNS1_3gpuE5ELNS1_3repE0EEENS1_30default_config_static_selectorELNS0_4arch9wavefront6targetE1EEEvT1_.has_recursion, 0
	.set _ZN7rocprim17ROCPRIM_400000_NS6detail17trampoline_kernelINS0_14default_configENS1_20scan_config_selectorIN3c107complexIfEEEEZZNS1_9scan_implILNS1_25lookback_scan_determinismE0ELb0ELb0ES3_PKS7_PS7_S7_ZZZN2at6native31launch_logcumsumexp_cuda_kernelERKNSE_10TensorBaseESI_lENKUlvE_clEvENKUlvE2_clEvEUlS7_S7_E_S7_EEDaPvRmT3_T4_T5_mT6_P12ihipStream_tbENKUlT_T0_E_clISt17integral_constantIbLb0EESZ_EEDaSU_SV_EUlSU_E0_NS1_11comp_targetILNS1_3genE10ELNS1_11target_archE1201ELNS1_3gpuE5ELNS1_3repE0EEENS1_30default_config_static_selectorELNS0_4arch9wavefront6targetE1EEEvT1_.has_indirect_call, 0
	.section	.AMDGPU.csdata,"",@progbits
; Kernel info:
; codeLenInByte = 0
; TotalNumSgprs: 6
; NumVgprs: 0
; NumAgprs: 0
; TotalNumVgprs: 0
; ScratchSize: 0
; MemoryBound: 0
; FloatMode: 240
; IeeeMode: 1
; LDSByteSize: 0 bytes/workgroup (compile time only)
; SGPRBlocks: 0
; VGPRBlocks: 0
; NumSGPRsForWavesPerEU: 6
; NumVGPRsForWavesPerEU: 1
; AccumOffset: 4
; Occupancy: 8
; WaveLimiterHint : 0
; COMPUTE_PGM_RSRC2:SCRATCH_EN: 0
; COMPUTE_PGM_RSRC2:USER_SGPR: 2
; COMPUTE_PGM_RSRC2:TRAP_HANDLER: 0
; COMPUTE_PGM_RSRC2:TGID_X_EN: 1
; COMPUTE_PGM_RSRC2:TGID_Y_EN: 0
; COMPUTE_PGM_RSRC2:TGID_Z_EN: 0
; COMPUTE_PGM_RSRC2:TIDIG_COMP_CNT: 0
; COMPUTE_PGM_RSRC3_GFX90A:ACCUM_OFFSET: 0
; COMPUTE_PGM_RSRC3_GFX90A:TG_SPLIT: 0
	.section	.text._ZN7rocprim17ROCPRIM_400000_NS6detail17trampoline_kernelINS0_14default_configENS1_20scan_config_selectorIN3c107complexIfEEEEZZNS1_9scan_implILNS1_25lookback_scan_determinismE0ELb0ELb0ES3_PKS7_PS7_S7_ZZZN2at6native31launch_logcumsumexp_cuda_kernelERKNSE_10TensorBaseESI_lENKUlvE_clEvENKUlvE2_clEvEUlS7_S7_E_S7_EEDaPvRmT3_T4_T5_mT6_P12ihipStream_tbENKUlT_T0_E_clISt17integral_constantIbLb0EESZ_EEDaSU_SV_EUlSU_E0_NS1_11comp_targetILNS1_3genE10ELNS1_11target_archE1200ELNS1_3gpuE4ELNS1_3repE0EEENS1_30default_config_static_selectorELNS0_4arch9wavefront6targetE1EEEvT1_,"axG",@progbits,_ZN7rocprim17ROCPRIM_400000_NS6detail17trampoline_kernelINS0_14default_configENS1_20scan_config_selectorIN3c107complexIfEEEEZZNS1_9scan_implILNS1_25lookback_scan_determinismE0ELb0ELb0ES3_PKS7_PS7_S7_ZZZN2at6native31launch_logcumsumexp_cuda_kernelERKNSE_10TensorBaseESI_lENKUlvE_clEvENKUlvE2_clEvEUlS7_S7_E_S7_EEDaPvRmT3_T4_T5_mT6_P12ihipStream_tbENKUlT_T0_E_clISt17integral_constantIbLb0EESZ_EEDaSU_SV_EUlSU_E0_NS1_11comp_targetILNS1_3genE10ELNS1_11target_archE1200ELNS1_3gpuE4ELNS1_3repE0EEENS1_30default_config_static_selectorELNS0_4arch9wavefront6targetE1EEEvT1_,comdat
	.globl	_ZN7rocprim17ROCPRIM_400000_NS6detail17trampoline_kernelINS0_14default_configENS1_20scan_config_selectorIN3c107complexIfEEEEZZNS1_9scan_implILNS1_25lookback_scan_determinismE0ELb0ELb0ES3_PKS7_PS7_S7_ZZZN2at6native31launch_logcumsumexp_cuda_kernelERKNSE_10TensorBaseESI_lENKUlvE_clEvENKUlvE2_clEvEUlS7_S7_E_S7_EEDaPvRmT3_T4_T5_mT6_P12ihipStream_tbENKUlT_T0_E_clISt17integral_constantIbLb0EESZ_EEDaSU_SV_EUlSU_E0_NS1_11comp_targetILNS1_3genE10ELNS1_11target_archE1200ELNS1_3gpuE4ELNS1_3repE0EEENS1_30default_config_static_selectorELNS0_4arch9wavefront6targetE1EEEvT1_ ; -- Begin function _ZN7rocprim17ROCPRIM_400000_NS6detail17trampoline_kernelINS0_14default_configENS1_20scan_config_selectorIN3c107complexIfEEEEZZNS1_9scan_implILNS1_25lookback_scan_determinismE0ELb0ELb0ES3_PKS7_PS7_S7_ZZZN2at6native31launch_logcumsumexp_cuda_kernelERKNSE_10TensorBaseESI_lENKUlvE_clEvENKUlvE2_clEvEUlS7_S7_E_S7_EEDaPvRmT3_T4_T5_mT6_P12ihipStream_tbENKUlT_T0_E_clISt17integral_constantIbLb0EESZ_EEDaSU_SV_EUlSU_E0_NS1_11comp_targetILNS1_3genE10ELNS1_11target_archE1200ELNS1_3gpuE4ELNS1_3repE0EEENS1_30default_config_static_selectorELNS0_4arch9wavefront6targetE1EEEvT1_
	.p2align	8
	.type	_ZN7rocprim17ROCPRIM_400000_NS6detail17trampoline_kernelINS0_14default_configENS1_20scan_config_selectorIN3c107complexIfEEEEZZNS1_9scan_implILNS1_25lookback_scan_determinismE0ELb0ELb0ES3_PKS7_PS7_S7_ZZZN2at6native31launch_logcumsumexp_cuda_kernelERKNSE_10TensorBaseESI_lENKUlvE_clEvENKUlvE2_clEvEUlS7_S7_E_S7_EEDaPvRmT3_T4_T5_mT6_P12ihipStream_tbENKUlT_T0_E_clISt17integral_constantIbLb0EESZ_EEDaSU_SV_EUlSU_E0_NS1_11comp_targetILNS1_3genE10ELNS1_11target_archE1200ELNS1_3gpuE4ELNS1_3repE0EEENS1_30default_config_static_selectorELNS0_4arch9wavefront6targetE1EEEvT1_,@function
_ZN7rocprim17ROCPRIM_400000_NS6detail17trampoline_kernelINS0_14default_configENS1_20scan_config_selectorIN3c107complexIfEEEEZZNS1_9scan_implILNS1_25lookback_scan_determinismE0ELb0ELb0ES3_PKS7_PS7_S7_ZZZN2at6native31launch_logcumsumexp_cuda_kernelERKNSE_10TensorBaseESI_lENKUlvE_clEvENKUlvE2_clEvEUlS7_S7_E_S7_EEDaPvRmT3_T4_T5_mT6_P12ihipStream_tbENKUlT_T0_E_clISt17integral_constantIbLb0EESZ_EEDaSU_SV_EUlSU_E0_NS1_11comp_targetILNS1_3genE10ELNS1_11target_archE1200ELNS1_3gpuE4ELNS1_3repE0EEENS1_30default_config_static_selectorELNS0_4arch9wavefront6targetE1EEEvT1_: ; @_ZN7rocprim17ROCPRIM_400000_NS6detail17trampoline_kernelINS0_14default_configENS1_20scan_config_selectorIN3c107complexIfEEEEZZNS1_9scan_implILNS1_25lookback_scan_determinismE0ELb0ELb0ES3_PKS7_PS7_S7_ZZZN2at6native31launch_logcumsumexp_cuda_kernelERKNSE_10TensorBaseESI_lENKUlvE_clEvENKUlvE2_clEvEUlS7_S7_E_S7_EEDaPvRmT3_T4_T5_mT6_P12ihipStream_tbENKUlT_T0_E_clISt17integral_constantIbLb0EESZ_EEDaSU_SV_EUlSU_E0_NS1_11comp_targetILNS1_3genE10ELNS1_11target_archE1200ELNS1_3gpuE4ELNS1_3repE0EEENS1_30default_config_static_selectorELNS0_4arch9wavefront6targetE1EEEvT1_
; %bb.0:
	.section	.rodata,"a",@progbits
	.p2align	6, 0x0
	.amdhsa_kernel _ZN7rocprim17ROCPRIM_400000_NS6detail17trampoline_kernelINS0_14default_configENS1_20scan_config_selectorIN3c107complexIfEEEEZZNS1_9scan_implILNS1_25lookback_scan_determinismE0ELb0ELb0ES3_PKS7_PS7_S7_ZZZN2at6native31launch_logcumsumexp_cuda_kernelERKNSE_10TensorBaseESI_lENKUlvE_clEvENKUlvE2_clEvEUlS7_S7_E_S7_EEDaPvRmT3_T4_T5_mT6_P12ihipStream_tbENKUlT_T0_E_clISt17integral_constantIbLb0EESZ_EEDaSU_SV_EUlSU_E0_NS1_11comp_targetILNS1_3genE10ELNS1_11target_archE1200ELNS1_3gpuE4ELNS1_3repE0EEENS1_30default_config_static_selectorELNS0_4arch9wavefront6targetE1EEEvT1_
		.amdhsa_group_segment_fixed_size 0
		.amdhsa_private_segment_fixed_size 0
		.amdhsa_kernarg_size 40
		.amdhsa_user_sgpr_count 2
		.amdhsa_user_sgpr_dispatch_ptr 0
		.amdhsa_user_sgpr_queue_ptr 0
		.amdhsa_user_sgpr_kernarg_segment_ptr 1
		.amdhsa_user_sgpr_dispatch_id 0
		.amdhsa_user_sgpr_kernarg_preload_length 0
		.amdhsa_user_sgpr_kernarg_preload_offset 0
		.amdhsa_user_sgpr_private_segment_size 0
		.amdhsa_uses_dynamic_stack 0
		.amdhsa_enable_private_segment 0
		.amdhsa_system_sgpr_workgroup_id_x 1
		.amdhsa_system_sgpr_workgroup_id_y 0
		.amdhsa_system_sgpr_workgroup_id_z 0
		.amdhsa_system_sgpr_workgroup_info 0
		.amdhsa_system_vgpr_workitem_id 0
		.amdhsa_next_free_vgpr 1
		.amdhsa_next_free_sgpr 0
		.amdhsa_accum_offset 4
		.amdhsa_reserve_vcc 0
		.amdhsa_float_round_mode_32 0
		.amdhsa_float_round_mode_16_64 0
		.amdhsa_float_denorm_mode_32 3
		.amdhsa_float_denorm_mode_16_64 3
		.amdhsa_dx10_clamp 1
		.amdhsa_ieee_mode 1
		.amdhsa_fp16_overflow 0
		.amdhsa_tg_split 0
		.amdhsa_exception_fp_ieee_invalid_op 0
		.amdhsa_exception_fp_denorm_src 0
		.amdhsa_exception_fp_ieee_div_zero 0
		.amdhsa_exception_fp_ieee_overflow 0
		.amdhsa_exception_fp_ieee_underflow 0
		.amdhsa_exception_fp_ieee_inexact 0
		.amdhsa_exception_int_div_zero 0
	.end_amdhsa_kernel
	.section	.text._ZN7rocprim17ROCPRIM_400000_NS6detail17trampoline_kernelINS0_14default_configENS1_20scan_config_selectorIN3c107complexIfEEEEZZNS1_9scan_implILNS1_25lookback_scan_determinismE0ELb0ELb0ES3_PKS7_PS7_S7_ZZZN2at6native31launch_logcumsumexp_cuda_kernelERKNSE_10TensorBaseESI_lENKUlvE_clEvENKUlvE2_clEvEUlS7_S7_E_S7_EEDaPvRmT3_T4_T5_mT6_P12ihipStream_tbENKUlT_T0_E_clISt17integral_constantIbLb0EESZ_EEDaSU_SV_EUlSU_E0_NS1_11comp_targetILNS1_3genE10ELNS1_11target_archE1200ELNS1_3gpuE4ELNS1_3repE0EEENS1_30default_config_static_selectorELNS0_4arch9wavefront6targetE1EEEvT1_,"axG",@progbits,_ZN7rocprim17ROCPRIM_400000_NS6detail17trampoline_kernelINS0_14default_configENS1_20scan_config_selectorIN3c107complexIfEEEEZZNS1_9scan_implILNS1_25lookback_scan_determinismE0ELb0ELb0ES3_PKS7_PS7_S7_ZZZN2at6native31launch_logcumsumexp_cuda_kernelERKNSE_10TensorBaseESI_lENKUlvE_clEvENKUlvE2_clEvEUlS7_S7_E_S7_EEDaPvRmT3_T4_T5_mT6_P12ihipStream_tbENKUlT_T0_E_clISt17integral_constantIbLb0EESZ_EEDaSU_SV_EUlSU_E0_NS1_11comp_targetILNS1_3genE10ELNS1_11target_archE1200ELNS1_3gpuE4ELNS1_3repE0EEENS1_30default_config_static_selectorELNS0_4arch9wavefront6targetE1EEEvT1_,comdat
.Lfunc_end287:
	.size	_ZN7rocprim17ROCPRIM_400000_NS6detail17trampoline_kernelINS0_14default_configENS1_20scan_config_selectorIN3c107complexIfEEEEZZNS1_9scan_implILNS1_25lookback_scan_determinismE0ELb0ELb0ES3_PKS7_PS7_S7_ZZZN2at6native31launch_logcumsumexp_cuda_kernelERKNSE_10TensorBaseESI_lENKUlvE_clEvENKUlvE2_clEvEUlS7_S7_E_S7_EEDaPvRmT3_T4_T5_mT6_P12ihipStream_tbENKUlT_T0_E_clISt17integral_constantIbLb0EESZ_EEDaSU_SV_EUlSU_E0_NS1_11comp_targetILNS1_3genE10ELNS1_11target_archE1200ELNS1_3gpuE4ELNS1_3repE0EEENS1_30default_config_static_selectorELNS0_4arch9wavefront6targetE1EEEvT1_, .Lfunc_end287-_ZN7rocprim17ROCPRIM_400000_NS6detail17trampoline_kernelINS0_14default_configENS1_20scan_config_selectorIN3c107complexIfEEEEZZNS1_9scan_implILNS1_25lookback_scan_determinismE0ELb0ELb0ES3_PKS7_PS7_S7_ZZZN2at6native31launch_logcumsumexp_cuda_kernelERKNSE_10TensorBaseESI_lENKUlvE_clEvENKUlvE2_clEvEUlS7_S7_E_S7_EEDaPvRmT3_T4_T5_mT6_P12ihipStream_tbENKUlT_T0_E_clISt17integral_constantIbLb0EESZ_EEDaSU_SV_EUlSU_E0_NS1_11comp_targetILNS1_3genE10ELNS1_11target_archE1200ELNS1_3gpuE4ELNS1_3repE0EEENS1_30default_config_static_selectorELNS0_4arch9wavefront6targetE1EEEvT1_
                                        ; -- End function
	.set _ZN7rocprim17ROCPRIM_400000_NS6detail17trampoline_kernelINS0_14default_configENS1_20scan_config_selectorIN3c107complexIfEEEEZZNS1_9scan_implILNS1_25lookback_scan_determinismE0ELb0ELb0ES3_PKS7_PS7_S7_ZZZN2at6native31launch_logcumsumexp_cuda_kernelERKNSE_10TensorBaseESI_lENKUlvE_clEvENKUlvE2_clEvEUlS7_S7_E_S7_EEDaPvRmT3_T4_T5_mT6_P12ihipStream_tbENKUlT_T0_E_clISt17integral_constantIbLb0EESZ_EEDaSU_SV_EUlSU_E0_NS1_11comp_targetILNS1_3genE10ELNS1_11target_archE1200ELNS1_3gpuE4ELNS1_3repE0EEENS1_30default_config_static_selectorELNS0_4arch9wavefront6targetE1EEEvT1_.num_vgpr, 0
	.set _ZN7rocprim17ROCPRIM_400000_NS6detail17trampoline_kernelINS0_14default_configENS1_20scan_config_selectorIN3c107complexIfEEEEZZNS1_9scan_implILNS1_25lookback_scan_determinismE0ELb0ELb0ES3_PKS7_PS7_S7_ZZZN2at6native31launch_logcumsumexp_cuda_kernelERKNSE_10TensorBaseESI_lENKUlvE_clEvENKUlvE2_clEvEUlS7_S7_E_S7_EEDaPvRmT3_T4_T5_mT6_P12ihipStream_tbENKUlT_T0_E_clISt17integral_constantIbLb0EESZ_EEDaSU_SV_EUlSU_E0_NS1_11comp_targetILNS1_3genE10ELNS1_11target_archE1200ELNS1_3gpuE4ELNS1_3repE0EEENS1_30default_config_static_selectorELNS0_4arch9wavefront6targetE1EEEvT1_.num_agpr, 0
	.set _ZN7rocprim17ROCPRIM_400000_NS6detail17trampoline_kernelINS0_14default_configENS1_20scan_config_selectorIN3c107complexIfEEEEZZNS1_9scan_implILNS1_25lookback_scan_determinismE0ELb0ELb0ES3_PKS7_PS7_S7_ZZZN2at6native31launch_logcumsumexp_cuda_kernelERKNSE_10TensorBaseESI_lENKUlvE_clEvENKUlvE2_clEvEUlS7_S7_E_S7_EEDaPvRmT3_T4_T5_mT6_P12ihipStream_tbENKUlT_T0_E_clISt17integral_constantIbLb0EESZ_EEDaSU_SV_EUlSU_E0_NS1_11comp_targetILNS1_3genE10ELNS1_11target_archE1200ELNS1_3gpuE4ELNS1_3repE0EEENS1_30default_config_static_selectorELNS0_4arch9wavefront6targetE1EEEvT1_.numbered_sgpr, 0
	.set _ZN7rocprim17ROCPRIM_400000_NS6detail17trampoline_kernelINS0_14default_configENS1_20scan_config_selectorIN3c107complexIfEEEEZZNS1_9scan_implILNS1_25lookback_scan_determinismE0ELb0ELb0ES3_PKS7_PS7_S7_ZZZN2at6native31launch_logcumsumexp_cuda_kernelERKNSE_10TensorBaseESI_lENKUlvE_clEvENKUlvE2_clEvEUlS7_S7_E_S7_EEDaPvRmT3_T4_T5_mT6_P12ihipStream_tbENKUlT_T0_E_clISt17integral_constantIbLb0EESZ_EEDaSU_SV_EUlSU_E0_NS1_11comp_targetILNS1_3genE10ELNS1_11target_archE1200ELNS1_3gpuE4ELNS1_3repE0EEENS1_30default_config_static_selectorELNS0_4arch9wavefront6targetE1EEEvT1_.num_named_barrier, 0
	.set _ZN7rocprim17ROCPRIM_400000_NS6detail17trampoline_kernelINS0_14default_configENS1_20scan_config_selectorIN3c107complexIfEEEEZZNS1_9scan_implILNS1_25lookback_scan_determinismE0ELb0ELb0ES3_PKS7_PS7_S7_ZZZN2at6native31launch_logcumsumexp_cuda_kernelERKNSE_10TensorBaseESI_lENKUlvE_clEvENKUlvE2_clEvEUlS7_S7_E_S7_EEDaPvRmT3_T4_T5_mT6_P12ihipStream_tbENKUlT_T0_E_clISt17integral_constantIbLb0EESZ_EEDaSU_SV_EUlSU_E0_NS1_11comp_targetILNS1_3genE10ELNS1_11target_archE1200ELNS1_3gpuE4ELNS1_3repE0EEENS1_30default_config_static_selectorELNS0_4arch9wavefront6targetE1EEEvT1_.private_seg_size, 0
	.set _ZN7rocprim17ROCPRIM_400000_NS6detail17trampoline_kernelINS0_14default_configENS1_20scan_config_selectorIN3c107complexIfEEEEZZNS1_9scan_implILNS1_25lookback_scan_determinismE0ELb0ELb0ES3_PKS7_PS7_S7_ZZZN2at6native31launch_logcumsumexp_cuda_kernelERKNSE_10TensorBaseESI_lENKUlvE_clEvENKUlvE2_clEvEUlS7_S7_E_S7_EEDaPvRmT3_T4_T5_mT6_P12ihipStream_tbENKUlT_T0_E_clISt17integral_constantIbLb0EESZ_EEDaSU_SV_EUlSU_E0_NS1_11comp_targetILNS1_3genE10ELNS1_11target_archE1200ELNS1_3gpuE4ELNS1_3repE0EEENS1_30default_config_static_selectorELNS0_4arch9wavefront6targetE1EEEvT1_.uses_vcc, 0
	.set _ZN7rocprim17ROCPRIM_400000_NS6detail17trampoline_kernelINS0_14default_configENS1_20scan_config_selectorIN3c107complexIfEEEEZZNS1_9scan_implILNS1_25lookback_scan_determinismE0ELb0ELb0ES3_PKS7_PS7_S7_ZZZN2at6native31launch_logcumsumexp_cuda_kernelERKNSE_10TensorBaseESI_lENKUlvE_clEvENKUlvE2_clEvEUlS7_S7_E_S7_EEDaPvRmT3_T4_T5_mT6_P12ihipStream_tbENKUlT_T0_E_clISt17integral_constantIbLb0EESZ_EEDaSU_SV_EUlSU_E0_NS1_11comp_targetILNS1_3genE10ELNS1_11target_archE1200ELNS1_3gpuE4ELNS1_3repE0EEENS1_30default_config_static_selectorELNS0_4arch9wavefront6targetE1EEEvT1_.uses_flat_scratch, 0
	.set _ZN7rocprim17ROCPRIM_400000_NS6detail17trampoline_kernelINS0_14default_configENS1_20scan_config_selectorIN3c107complexIfEEEEZZNS1_9scan_implILNS1_25lookback_scan_determinismE0ELb0ELb0ES3_PKS7_PS7_S7_ZZZN2at6native31launch_logcumsumexp_cuda_kernelERKNSE_10TensorBaseESI_lENKUlvE_clEvENKUlvE2_clEvEUlS7_S7_E_S7_EEDaPvRmT3_T4_T5_mT6_P12ihipStream_tbENKUlT_T0_E_clISt17integral_constantIbLb0EESZ_EEDaSU_SV_EUlSU_E0_NS1_11comp_targetILNS1_3genE10ELNS1_11target_archE1200ELNS1_3gpuE4ELNS1_3repE0EEENS1_30default_config_static_selectorELNS0_4arch9wavefront6targetE1EEEvT1_.has_dyn_sized_stack, 0
	.set _ZN7rocprim17ROCPRIM_400000_NS6detail17trampoline_kernelINS0_14default_configENS1_20scan_config_selectorIN3c107complexIfEEEEZZNS1_9scan_implILNS1_25lookback_scan_determinismE0ELb0ELb0ES3_PKS7_PS7_S7_ZZZN2at6native31launch_logcumsumexp_cuda_kernelERKNSE_10TensorBaseESI_lENKUlvE_clEvENKUlvE2_clEvEUlS7_S7_E_S7_EEDaPvRmT3_T4_T5_mT6_P12ihipStream_tbENKUlT_T0_E_clISt17integral_constantIbLb0EESZ_EEDaSU_SV_EUlSU_E0_NS1_11comp_targetILNS1_3genE10ELNS1_11target_archE1200ELNS1_3gpuE4ELNS1_3repE0EEENS1_30default_config_static_selectorELNS0_4arch9wavefront6targetE1EEEvT1_.has_recursion, 0
	.set _ZN7rocprim17ROCPRIM_400000_NS6detail17trampoline_kernelINS0_14default_configENS1_20scan_config_selectorIN3c107complexIfEEEEZZNS1_9scan_implILNS1_25lookback_scan_determinismE0ELb0ELb0ES3_PKS7_PS7_S7_ZZZN2at6native31launch_logcumsumexp_cuda_kernelERKNSE_10TensorBaseESI_lENKUlvE_clEvENKUlvE2_clEvEUlS7_S7_E_S7_EEDaPvRmT3_T4_T5_mT6_P12ihipStream_tbENKUlT_T0_E_clISt17integral_constantIbLb0EESZ_EEDaSU_SV_EUlSU_E0_NS1_11comp_targetILNS1_3genE10ELNS1_11target_archE1200ELNS1_3gpuE4ELNS1_3repE0EEENS1_30default_config_static_selectorELNS0_4arch9wavefront6targetE1EEEvT1_.has_indirect_call, 0
	.section	.AMDGPU.csdata,"",@progbits
; Kernel info:
; codeLenInByte = 0
; TotalNumSgprs: 6
; NumVgprs: 0
; NumAgprs: 0
; TotalNumVgprs: 0
; ScratchSize: 0
; MemoryBound: 0
; FloatMode: 240
; IeeeMode: 1
; LDSByteSize: 0 bytes/workgroup (compile time only)
; SGPRBlocks: 0
; VGPRBlocks: 0
; NumSGPRsForWavesPerEU: 6
; NumVGPRsForWavesPerEU: 1
; AccumOffset: 4
; Occupancy: 8
; WaveLimiterHint : 0
; COMPUTE_PGM_RSRC2:SCRATCH_EN: 0
; COMPUTE_PGM_RSRC2:USER_SGPR: 2
; COMPUTE_PGM_RSRC2:TRAP_HANDLER: 0
; COMPUTE_PGM_RSRC2:TGID_X_EN: 1
; COMPUTE_PGM_RSRC2:TGID_Y_EN: 0
; COMPUTE_PGM_RSRC2:TGID_Z_EN: 0
; COMPUTE_PGM_RSRC2:TIDIG_COMP_CNT: 0
; COMPUTE_PGM_RSRC3_GFX90A:ACCUM_OFFSET: 0
; COMPUTE_PGM_RSRC3_GFX90A:TG_SPLIT: 0
	.section	.text._ZN7rocprim17ROCPRIM_400000_NS6detail17trampoline_kernelINS0_14default_configENS1_20scan_config_selectorIN3c107complexIfEEEEZZNS1_9scan_implILNS1_25lookback_scan_determinismE0ELb0ELb0ES3_PKS7_PS7_S7_ZZZN2at6native31launch_logcumsumexp_cuda_kernelERKNSE_10TensorBaseESI_lENKUlvE_clEvENKUlvE2_clEvEUlS7_S7_E_S7_EEDaPvRmT3_T4_T5_mT6_P12ihipStream_tbENKUlT_T0_E_clISt17integral_constantIbLb0EESZ_EEDaSU_SV_EUlSU_E0_NS1_11comp_targetILNS1_3genE9ELNS1_11target_archE1100ELNS1_3gpuE3ELNS1_3repE0EEENS1_30default_config_static_selectorELNS0_4arch9wavefront6targetE1EEEvT1_,"axG",@progbits,_ZN7rocprim17ROCPRIM_400000_NS6detail17trampoline_kernelINS0_14default_configENS1_20scan_config_selectorIN3c107complexIfEEEEZZNS1_9scan_implILNS1_25lookback_scan_determinismE0ELb0ELb0ES3_PKS7_PS7_S7_ZZZN2at6native31launch_logcumsumexp_cuda_kernelERKNSE_10TensorBaseESI_lENKUlvE_clEvENKUlvE2_clEvEUlS7_S7_E_S7_EEDaPvRmT3_T4_T5_mT6_P12ihipStream_tbENKUlT_T0_E_clISt17integral_constantIbLb0EESZ_EEDaSU_SV_EUlSU_E0_NS1_11comp_targetILNS1_3genE9ELNS1_11target_archE1100ELNS1_3gpuE3ELNS1_3repE0EEENS1_30default_config_static_selectorELNS0_4arch9wavefront6targetE1EEEvT1_,comdat
	.globl	_ZN7rocprim17ROCPRIM_400000_NS6detail17trampoline_kernelINS0_14default_configENS1_20scan_config_selectorIN3c107complexIfEEEEZZNS1_9scan_implILNS1_25lookback_scan_determinismE0ELb0ELb0ES3_PKS7_PS7_S7_ZZZN2at6native31launch_logcumsumexp_cuda_kernelERKNSE_10TensorBaseESI_lENKUlvE_clEvENKUlvE2_clEvEUlS7_S7_E_S7_EEDaPvRmT3_T4_T5_mT6_P12ihipStream_tbENKUlT_T0_E_clISt17integral_constantIbLb0EESZ_EEDaSU_SV_EUlSU_E0_NS1_11comp_targetILNS1_3genE9ELNS1_11target_archE1100ELNS1_3gpuE3ELNS1_3repE0EEENS1_30default_config_static_selectorELNS0_4arch9wavefront6targetE1EEEvT1_ ; -- Begin function _ZN7rocprim17ROCPRIM_400000_NS6detail17trampoline_kernelINS0_14default_configENS1_20scan_config_selectorIN3c107complexIfEEEEZZNS1_9scan_implILNS1_25lookback_scan_determinismE0ELb0ELb0ES3_PKS7_PS7_S7_ZZZN2at6native31launch_logcumsumexp_cuda_kernelERKNSE_10TensorBaseESI_lENKUlvE_clEvENKUlvE2_clEvEUlS7_S7_E_S7_EEDaPvRmT3_T4_T5_mT6_P12ihipStream_tbENKUlT_T0_E_clISt17integral_constantIbLb0EESZ_EEDaSU_SV_EUlSU_E0_NS1_11comp_targetILNS1_3genE9ELNS1_11target_archE1100ELNS1_3gpuE3ELNS1_3repE0EEENS1_30default_config_static_selectorELNS0_4arch9wavefront6targetE1EEEvT1_
	.p2align	8
	.type	_ZN7rocprim17ROCPRIM_400000_NS6detail17trampoline_kernelINS0_14default_configENS1_20scan_config_selectorIN3c107complexIfEEEEZZNS1_9scan_implILNS1_25lookback_scan_determinismE0ELb0ELb0ES3_PKS7_PS7_S7_ZZZN2at6native31launch_logcumsumexp_cuda_kernelERKNSE_10TensorBaseESI_lENKUlvE_clEvENKUlvE2_clEvEUlS7_S7_E_S7_EEDaPvRmT3_T4_T5_mT6_P12ihipStream_tbENKUlT_T0_E_clISt17integral_constantIbLb0EESZ_EEDaSU_SV_EUlSU_E0_NS1_11comp_targetILNS1_3genE9ELNS1_11target_archE1100ELNS1_3gpuE3ELNS1_3repE0EEENS1_30default_config_static_selectorELNS0_4arch9wavefront6targetE1EEEvT1_,@function
_ZN7rocprim17ROCPRIM_400000_NS6detail17trampoline_kernelINS0_14default_configENS1_20scan_config_selectorIN3c107complexIfEEEEZZNS1_9scan_implILNS1_25lookback_scan_determinismE0ELb0ELb0ES3_PKS7_PS7_S7_ZZZN2at6native31launch_logcumsumexp_cuda_kernelERKNSE_10TensorBaseESI_lENKUlvE_clEvENKUlvE2_clEvEUlS7_S7_E_S7_EEDaPvRmT3_T4_T5_mT6_P12ihipStream_tbENKUlT_T0_E_clISt17integral_constantIbLb0EESZ_EEDaSU_SV_EUlSU_E0_NS1_11comp_targetILNS1_3genE9ELNS1_11target_archE1100ELNS1_3gpuE3ELNS1_3repE0EEENS1_30default_config_static_selectorELNS0_4arch9wavefront6targetE1EEEvT1_: ; @_ZN7rocprim17ROCPRIM_400000_NS6detail17trampoline_kernelINS0_14default_configENS1_20scan_config_selectorIN3c107complexIfEEEEZZNS1_9scan_implILNS1_25lookback_scan_determinismE0ELb0ELb0ES3_PKS7_PS7_S7_ZZZN2at6native31launch_logcumsumexp_cuda_kernelERKNSE_10TensorBaseESI_lENKUlvE_clEvENKUlvE2_clEvEUlS7_S7_E_S7_EEDaPvRmT3_T4_T5_mT6_P12ihipStream_tbENKUlT_T0_E_clISt17integral_constantIbLb0EESZ_EEDaSU_SV_EUlSU_E0_NS1_11comp_targetILNS1_3genE9ELNS1_11target_archE1100ELNS1_3gpuE3ELNS1_3repE0EEENS1_30default_config_static_selectorELNS0_4arch9wavefront6targetE1EEEvT1_
; %bb.0:
	.section	.rodata,"a",@progbits
	.p2align	6, 0x0
	.amdhsa_kernel _ZN7rocprim17ROCPRIM_400000_NS6detail17trampoline_kernelINS0_14default_configENS1_20scan_config_selectorIN3c107complexIfEEEEZZNS1_9scan_implILNS1_25lookback_scan_determinismE0ELb0ELb0ES3_PKS7_PS7_S7_ZZZN2at6native31launch_logcumsumexp_cuda_kernelERKNSE_10TensorBaseESI_lENKUlvE_clEvENKUlvE2_clEvEUlS7_S7_E_S7_EEDaPvRmT3_T4_T5_mT6_P12ihipStream_tbENKUlT_T0_E_clISt17integral_constantIbLb0EESZ_EEDaSU_SV_EUlSU_E0_NS1_11comp_targetILNS1_3genE9ELNS1_11target_archE1100ELNS1_3gpuE3ELNS1_3repE0EEENS1_30default_config_static_selectorELNS0_4arch9wavefront6targetE1EEEvT1_
		.amdhsa_group_segment_fixed_size 0
		.amdhsa_private_segment_fixed_size 0
		.amdhsa_kernarg_size 40
		.amdhsa_user_sgpr_count 2
		.amdhsa_user_sgpr_dispatch_ptr 0
		.amdhsa_user_sgpr_queue_ptr 0
		.amdhsa_user_sgpr_kernarg_segment_ptr 1
		.amdhsa_user_sgpr_dispatch_id 0
		.amdhsa_user_sgpr_kernarg_preload_length 0
		.amdhsa_user_sgpr_kernarg_preload_offset 0
		.amdhsa_user_sgpr_private_segment_size 0
		.amdhsa_uses_dynamic_stack 0
		.amdhsa_enable_private_segment 0
		.amdhsa_system_sgpr_workgroup_id_x 1
		.amdhsa_system_sgpr_workgroup_id_y 0
		.amdhsa_system_sgpr_workgroup_id_z 0
		.amdhsa_system_sgpr_workgroup_info 0
		.amdhsa_system_vgpr_workitem_id 0
		.amdhsa_next_free_vgpr 1
		.amdhsa_next_free_sgpr 0
		.amdhsa_accum_offset 4
		.amdhsa_reserve_vcc 0
		.amdhsa_float_round_mode_32 0
		.amdhsa_float_round_mode_16_64 0
		.amdhsa_float_denorm_mode_32 3
		.amdhsa_float_denorm_mode_16_64 3
		.amdhsa_dx10_clamp 1
		.amdhsa_ieee_mode 1
		.amdhsa_fp16_overflow 0
		.amdhsa_tg_split 0
		.amdhsa_exception_fp_ieee_invalid_op 0
		.amdhsa_exception_fp_denorm_src 0
		.amdhsa_exception_fp_ieee_div_zero 0
		.amdhsa_exception_fp_ieee_overflow 0
		.amdhsa_exception_fp_ieee_underflow 0
		.amdhsa_exception_fp_ieee_inexact 0
		.amdhsa_exception_int_div_zero 0
	.end_amdhsa_kernel
	.section	.text._ZN7rocprim17ROCPRIM_400000_NS6detail17trampoline_kernelINS0_14default_configENS1_20scan_config_selectorIN3c107complexIfEEEEZZNS1_9scan_implILNS1_25lookback_scan_determinismE0ELb0ELb0ES3_PKS7_PS7_S7_ZZZN2at6native31launch_logcumsumexp_cuda_kernelERKNSE_10TensorBaseESI_lENKUlvE_clEvENKUlvE2_clEvEUlS7_S7_E_S7_EEDaPvRmT3_T4_T5_mT6_P12ihipStream_tbENKUlT_T0_E_clISt17integral_constantIbLb0EESZ_EEDaSU_SV_EUlSU_E0_NS1_11comp_targetILNS1_3genE9ELNS1_11target_archE1100ELNS1_3gpuE3ELNS1_3repE0EEENS1_30default_config_static_selectorELNS0_4arch9wavefront6targetE1EEEvT1_,"axG",@progbits,_ZN7rocprim17ROCPRIM_400000_NS6detail17trampoline_kernelINS0_14default_configENS1_20scan_config_selectorIN3c107complexIfEEEEZZNS1_9scan_implILNS1_25lookback_scan_determinismE0ELb0ELb0ES3_PKS7_PS7_S7_ZZZN2at6native31launch_logcumsumexp_cuda_kernelERKNSE_10TensorBaseESI_lENKUlvE_clEvENKUlvE2_clEvEUlS7_S7_E_S7_EEDaPvRmT3_T4_T5_mT6_P12ihipStream_tbENKUlT_T0_E_clISt17integral_constantIbLb0EESZ_EEDaSU_SV_EUlSU_E0_NS1_11comp_targetILNS1_3genE9ELNS1_11target_archE1100ELNS1_3gpuE3ELNS1_3repE0EEENS1_30default_config_static_selectorELNS0_4arch9wavefront6targetE1EEEvT1_,comdat
.Lfunc_end288:
	.size	_ZN7rocprim17ROCPRIM_400000_NS6detail17trampoline_kernelINS0_14default_configENS1_20scan_config_selectorIN3c107complexIfEEEEZZNS1_9scan_implILNS1_25lookback_scan_determinismE0ELb0ELb0ES3_PKS7_PS7_S7_ZZZN2at6native31launch_logcumsumexp_cuda_kernelERKNSE_10TensorBaseESI_lENKUlvE_clEvENKUlvE2_clEvEUlS7_S7_E_S7_EEDaPvRmT3_T4_T5_mT6_P12ihipStream_tbENKUlT_T0_E_clISt17integral_constantIbLb0EESZ_EEDaSU_SV_EUlSU_E0_NS1_11comp_targetILNS1_3genE9ELNS1_11target_archE1100ELNS1_3gpuE3ELNS1_3repE0EEENS1_30default_config_static_selectorELNS0_4arch9wavefront6targetE1EEEvT1_, .Lfunc_end288-_ZN7rocprim17ROCPRIM_400000_NS6detail17trampoline_kernelINS0_14default_configENS1_20scan_config_selectorIN3c107complexIfEEEEZZNS1_9scan_implILNS1_25lookback_scan_determinismE0ELb0ELb0ES3_PKS7_PS7_S7_ZZZN2at6native31launch_logcumsumexp_cuda_kernelERKNSE_10TensorBaseESI_lENKUlvE_clEvENKUlvE2_clEvEUlS7_S7_E_S7_EEDaPvRmT3_T4_T5_mT6_P12ihipStream_tbENKUlT_T0_E_clISt17integral_constantIbLb0EESZ_EEDaSU_SV_EUlSU_E0_NS1_11comp_targetILNS1_3genE9ELNS1_11target_archE1100ELNS1_3gpuE3ELNS1_3repE0EEENS1_30default_config_static_selectorELNS0_4arch9wavefront6targetE1EEEvT1_
                                        ; -- End function
	.set _ZN7rocprim17ROCPRIM_400000_NS6detail17trampoline_kernelINS0_14default_configENS1_20scan_config_selectorIN3c107complexIfEEEEZZNS1_9scan_implILNS1_25lookback_scan_determinismE0ELb0ELb0ES3_PKS7_PS7_S7_ZZZN2at6native31launch_logcumsumexp_cuda_kernelERKNSE_10TensorBaseESI_lENKUlvE_clEvENKUlvE2_clEvEUlS7_S7_E_S7_EEDaPvRmT3_T4_T5_mT6_P12ihipStream_tbENKUlT_T0_E_clISt17integral_constantIbLb0EESZ_EEDaSU_SV_EUlSU_E0_NS1_11comp_targetILNS1_3genE9ELNS1_11target_archE1100ELNS1_3gpuE3ELNS1_3repE0EEENS1_30default_config_static_selectorELNS0_4arch9wavefront6targetE1EEEvT1_.num_vgpr, 0
	.set _ZN7rocprim17ROCPRIM_400000_NS6detail17trampoline_kernelINS0_14default_configENS1_20scan_config_selectorIN3c107complexIfEEEEZZNS1_9scan_implILNS1_25lookback_scan_determinismE0ELb0ELb0ES3_PKS7_PS7_S7_ZZZN2at6native31launch_logcumsumexp_cuda_kernelERKNSE_10TensorBaseESI_lENKUlvE_clEvENKUlvE2_clEvEUlS7_S7_E_S7_EEDaPvRmT3_T4_T5_mT6_P12ihipStream_tbENKUlT_T0_E_clISt17integral_constantIbLb0EESZ_EEDaSU_SV_EUlSU_E0_NS1_11comp_targetILNS1_3genE9ELNS1_11target_archE1100ELNS1_3gpuE3ELNS1_3repE0EEENS1_30default_config_static_selectorELNS0_4arch9wavefront6targetE1EEEvT1_.num_agpr, 0
	.set _ZN7rocprim17ROCPRIM_400000_NS6detail17trampoline_kernelINS0_14default_configENS1_20scan_config_selectorIN3c107complexIfEEEEZZNS1_9scan_implILNS1_25lookback_scan_determinismE0ELb0ELb0ES3_PKS7_PS7_S7_ZZZN2at6native31launch_logcumsumexp_cuda_kernelERKNSE_10TensorBaseESI_lENKUlvE_clEvENKUlvE2_clEvEUlS7_S7_E_S7_EEDaPvRmT3_T4_T5_mT6_P12ihipStream_tbENKUlT_T0_E_clISt17integral_constantIbLb0EESZ_EEDaSU_SV_EUlSU_E0_NS1_11comp_targetILNS1_3genE9ELNS1_11target_archE1100ELNS1_3gpuE3ELNS1_3repE0EEENS1_30default_config_static_selectorELNS0_4arch9wavefront6targetE1EEEvT1_.numbered_sgpr, 0
	.set _ZN7rocprim17ROCPRIM_400000_NS6detail17trampoline_kernelINS0_14default_configENS1_20scan_config_selectorIN3c107complexIfEEEEZZNS1_9scan_implILNS1_25lookback_scan_determinismE0ELb0ELb0ES3_PKS7_PS7_S7_ZZZN2at6native31launch_logcumsumexp_cuda_kernelERKNSE_10TensorBaseESI_lENKUlvE_clEvENKUlvE2_clEvEUlS7_S7_E_S7_EEDaPvRmT3_T4_T5_mT6_P12ihipStream_tbENKUlT_T0_E_clISt17integral_constantIbLb0EESZ_EEDaSU_SV_EUlSU_E0_NS1_11comp_targetILNS1_3genE9ELNS1_11target_archE1100ELNS1_3gpuE3ELNS1_3repE0EEENS1_30default_config_static_selectorELNS0_4arch9wavefront6targetE1EEEvT1_.num_named_barrier, 0
	.set _ZN7rocprim17ROCPRIM_400000_NS6detail17trampoline_kernelINS0_14default_configENS1_20scan_config_selectorIN3c107complexIfEEEEZZNS1_9scan_implILNS1_25lookback_scan_determinismE0ELb0ELb0ES3_PKS7_PS7_S7_ZZZN2at6native31launch_logcumsumexp_cuda_kernelERKNSE_10TensorBaseESI_lENKUlvE_clEvENKUlvE2_clEvEUlS7_S7_E_S7_EEDaPvRmT3_T4_T5_mT6_P12ihipStream_tbENKUlT_T0_E_clISt17integral_constantIbLb0EESZ_EEDaSU_SV_EUlSU_E0_NS1_11comp_targetILNS1_3genE9ELNS1_11target_archE1100ELNS1_3gpuE3ELNS1_3repE0EEENS1_30default_config_static_selectorELNS0_4arch9wavefront6targetE1EEEvT1_.private_seg_size, 0
	.set _ZN7rocprim17ROCPRIM_400000_NS6detail17trampoline_kernelINS0_14default_configENS1_20scan_config_selectorIN3c107complexIfEEEEZZNS1_9scan_implILNS1_25lookback_scan_determinismE0ELb0ELb0ES3_PKS7_PS7_S7_ZZZN2at6native31launch_logcumsumexp_cuda_kernelERKNSE_10TensorBaseESI_lENKUlvE_clEvENKUlvE2_clEvEUlS7_S7_E_S7_EEDaPvRmT3_T4_T5_mT6_P12ihipStream_tbENKUlT_T0_E_clISt17integral_constantIbLb0EESZ_EEDaSU_SV_EUlSU_E0_NS1_11comp_targetILNS1_3genE9ELNS1_11target_archE1100ELNS1_3gpuE3ELNS1_3repE0EEENS1_30default_config_static_selectorELNS0_4arch9wavefront6targetE1EEEvT1_.uses_vcc, 0
	.set _ZN7rocprim17ROCPRIM_400000_NS6detail17trampoline_kernelINS0_14default_configENS1_20scan_config_selectorIN3c107complexIfEEEEZZNS1_9scan_implILNS1_25lookback_scan_determinismE0ELb0ELb0ES3_PKS7_PS7_S7_ZZZN2at6native31launch_logcumsumexp_cuda_kernelERKNSE_10TensorBaseESI_lENKUlvE_clEvENKUlvE2_clEvEUlS7_S7_E_S7_EEDaPvRmT3_T4_T5_mT6_P12ihipStream_tbENKUlT_T0_E_clISt17integral_constantIbLb0EESZ_EEDaSU_SV_EUlSU_E0_NS1_11comp_targetILNS1_3genE9ELNS1_11target_archE1100ELNS1_3gpuE3ELNS1_3repE0EEENS1_30default_config_static_selectorELNS0_4arch9wavefront6targetE1EEEvT1_.uses_flat_scratch, 0
	.set _ZN7rocprim17ROCPRIM_400000_NS6detail17trampoline_kernelINS0_14default_configENS1_20scan_config_selectorIN3c107complexIfEEEEZZNS1_9scan_implILNS1_25lookback_scan_determinismE0ELb0ELb0ES3_PKS7_PS7_S7_ZZZN2at6native31launch_logcumsumexp_cuda_kernelERKNSE_10TensorBaseESI_lENKUlvE_clEvENKUlvE2_clEvEUlS7_S7_E_S7_EEDaPvRmT3_T4_T5_mT6_P12ihipStream_tbENKUlT_T0_E_clISt17integral_constantIbLb0EESZ_EEDaSU_SV_EUlSU_E0_NS1_11comp_targetILNS1_3genE9ELNS1_11target_archE1100ELNS1_3gpuE3ELNS1_3repE0EEENS1_30default_config_static_selectorELNS0_4arch9wavefront6targetE1EEEvT1_.has_dyn_sized_stack, 0
	.set _ZN7rocprim17ROCPRIM_400000_NS6detail17trampoline_kernelINS0_14default_configENS1_20scan_config_selectorIN3c107complexIfEEEEZZNS1_9scan_implILNS1_25lookback_scan_determinismE0ELb0ELb0ES3_PKS7_PS7_S7_ZZZN2at6native31launch_logcumsumexp_cuda_kernelERKNSE_10TensorBaseESI_lENKUlvE_clEvENKUlvE2_clEvEUlS7_S7_E_S7_EEDaPvRmT3_T4_T5_mT6_P12ihipStream_tbENKUlT_T0_E_clISt17integral_constantIbLb0EESZ_EEDaSU_SV_EUlSU_E0_NS1_11comp_targetILNS1_3genE9ELNS1_11target_archE1100ELNS1_3gpuE3ELNS1_3repE0EEENS1_30default_config_static_selectorELNS0_4arch9wavefront6targetE1EEEvT1_.has_recursion, 0
	.set _ZN7rocprim17ROCPRIM_400000_NS6detail17trampoline_kernelINS0_14default_configENS1_20scan_config_selectorIN3c107complexIfEEEEZZNS1_9scan_implILNS1_25lookback_scan_determinismE0ELb0ELb0ES3_PKS7_PS7_S7_ZZZN2at6native31launch_logcumsumexp_cuda_kernelERKNSE_10TensorBaseESI_lENKUlvE_clEvENKUlvE2_clEvEUlS7_S7_E_S7_EEDaPvRmT3_T4_T5_mT6_P12ihipStream_tbENKUlT_T0_E_clISt17integral_constantIbLb0EESZ_EEDaSU_SV_EUlSU_E0_NS1_11comp_targetILNS1_3genE9ELNS1_11target_archE1100ELNS1_3gpuE3ELNS1_3repE0EEENS1_30default_config_static_selectorELNS0_4arch9wavefront6targetE1EEEvT1_.has_indirect_call, 0
	.section	.AMDGPU.csdata,"",@progbits
; Kernel info:
; codeLenInByte = 0
; TotalNumSgprs: 6
; NumVgprs: 0
; NumAgprs: 0
; TotalNumVgprs: 0
; ScratchSize: 0
; MemoryBound: 0
; FloatMode: 240
; IeeeMode: 1
; LDSByteSize: 0 bytes/workgroup (compile time only)
; SGPRBlocks: 0
; VGPRBlocks: 0
; NumSGPRsForWavesPerEU: 6
; NumVGPRsForWavesPerEU: 1
; AccumOffset: 4
; Occupancy: 8
; WaveLimiterHint : 0
; COMPUTE_PGM_RSRC2:SCRATCH_EN: 0
; COMPUTE_PGM_RSRC2:USER_SGPR: 2
; COMPUTE_PGM_RSRC2:TRAP_HANDLER: 0
; COMPUTE_PGM_RSRC2:TGID_X_EN: 1
; COMPUTE_PGM_RSRC2:TGID_Y_EN: 0
; COMPUTE_PGM_RSRC2:TGID_Z_EN: 0
; COMPUTE_PGM_RSRC2:TIDIG_COMP_CNT: 0
; COMPUTE_PGM_RSRC3_GFX90A:ACCUM_OFFSET: 0
; COMPUTE_PGM_RSRC3_GFX90A:TG_SPLIT: 0
	.section	.text._ZN7rocprim17ROCPRIM_400000_NS6detail17trampoline_kernelINS0_14default_configENS1_20scan_config_selectorIN3c107complexIfEEEEZZNS1_9scan_implILNS1_25lookback_scan_determinismE0ELb0ELb0ES3_PKS7_PS7_S7_ZZZN2at6native31launch_logcumsumexp_cuda_kernelERKNSE_10TensorBaseESI_lENKUlvE_clEvENKUlvE2_clEvEUlS7_S7_E_S7_EEDaPvRmT3_T4_T5_mT6_P12ihipStream_tbENKUlT_T0_E_clISt17integral_constantIbLb0EESZ_EEDaSU_SV_EUlSU_E0_NS1_11comp_targetILNS1_3genE8ELNS1_11target_archE1030ELNS1_3gpuE2ELNS1_3repE0EEENS1_30default_config_static_selectorELNS0_4arch9wavefront6targetE1EEEvT1_,"axG",@progbits,_ZN7rocprim17ROCPRIM_400000_NS6detail17trampoline_kernelINS0_14default_configENS1_20scan_config_selectorIN3c107complexIfEEEEZZNS1_9scan_implILNS1_25lookback_scan_determinismE0ELb0ELb0ES3_PKS7_PS7_S7_ZZZN2at6native31launch_logcumsumexp_cuda_kernelERKNSE_10TensorBaseESI_lENKUlvE_clEvENKUlvE2_clEvEUlS7_S7_E_S7_EEDaPvRmT3_T4_T5_mT6_P12ihipStream_tbENKUlT_T0_E_clISt17integral_constantIbLb0EESZ_EEDaSU_SV_EUlSU_E0_NS1_11comp_targetILNS1_3genE8ELNS1_11target_archE1030ELNS1_3gpuE2ELNS1_3repE0EEENS1_30default_config_static_selectorELNS0_4arch9wavefront6targetE1EEEvT1_,comdat
	.globl	_ZN7rocprim17ROCPRIM_400000_NS6detail17trampoline_kernelINS0_14default_configENS1_20scan_config_selectorIN3c107complexIfEEEEZZNS1_9scan_implILNS1_25lookback_scan_determinismE0ELb0ELb0ES3_PKS7_PS7_S7_ZZZN2at6native31launch_logcumsumexp_cuda_kernelERKNSE_10TensorBaseESI_lENKUlvE_clEvENKUlvE2_clEvEUlS7_S7_E_S7_EEDaPvRmT3_T4_T5_mT6_P12ihipStream_tbENKUlT_T0_E_clISt17integral_constantIbLb0EESZ_EEDaSU_SV_EUlSU_E0_NS1_11comp_targetILNS1_3genE8ELNS1_11target_archE1030ELNS1_3gpuE2ELNS1_3repE0EEENS1_30default_config_static_selectorELNS0_4arch9wavefront6targetE1EEEvT1_ ; -- Begin function _ZN7rocprim17ROCPRIM_400000_NS6detail17trampoline_kernelINS0_14default_configENS1_20scan_config_selectorIN3c107complexIfEEEEZZNS1_9scan_implILNS1_25lookback_scan_determinismE0ELb0ELb0ES3_PKS7_PS7_S7_ZZZN2at6native31launch_logcumsumexp_cuda_kernelERKNSE_10TensorBaseESI_lENKUlvE_clEvENKUlvE2_clEvEUlS7_S7_E_S7_EEDaPvRmT3_T4_T5_mT6_P12ihipStream_tbENKUlT_T0_E_clISt17integral_constantIbLb0EESZ_EEDaSU_SV_EUlSU_E0_NS1_11comp_targetILNS1_3genE8ELNS1_11target_archE1030ELNS1_3gpuE2ELNS1_3repE0EEENS1_30default_config_static_selectorELNS0_4arch9wavefront6targetE1EEEvT1_
	.p2align	8
	.type	_ZN7rocprim17ROCPRIM_400000_NS6detail17trampoline_kernelINS0_14default_configENS1_20scan_config_selectorIN3c107complexIfEEEEZZNS1_9scan_implILNS1_25lookback_scan_determinismE0ELb0ELb0ES3_PKS7_PS7_S7_ZZZN2at6native31launch_logcumsumexp_cuda_kernelERKNSE_10TensorBaseESI_lENKUlvE_clEvENKUlvE2_clEvEUlS7_S7_E_S7_EEDaPvRmT3_T4_T5_mT6_P12ihipStream_tbENKUlT_T0_E_clISt17integral_constantIbLb0EESZ_EEDaSU_SV_EUlSU_E0_NS1_11comp_targetILNS1_3genE8ELNS1_11target_archE1030ELNS1_3gpuE2ELNS1_3repE0EEENS1_30default_config_static_selectorELNS0_4arch9wavefront6targetE1EEEvT1_,@function
_ZN7rocprim17ROCPRIM_400000_NS6detail17trampoline_kernelINS0_14default_configENS1_20scan_config_selectorIN3c107complexIfEEEEZZNS1_9scan_implILNS1_25lookback_scan_determinismE0ELb0ELb0ES3_PKS7_PS7_S7_ZZZN2at6native31launch_logcumsumexp_cuda_kernelERKNSE_10TensorBaseESI_lENKUlvE_clEvENKUlvE2_clEvEUlS7_S7_E_S7_EEDaPvRmT3_T4_T5_mT6_P12ihipStream_tbENKUlT_T0_E_clISt17integral_constantIbLb0EESZ_EEDaSU_SV_EUlSU_E0_NS1_11comp_targetILNS1_3genE8ELNS1_11target_archE1030ELNS1_3gpuE2ELNS1_3repE0EEENS1_30default_config_static_selectorELNS0_4arch9wavefront6targetE1EEEvT1_: ; @_ZN7rocprim17ROCPRIM_400000_NS6detail17trampoline_kernelINS0_14default_configENS1_20scan_config_selectorIN3c107complexIfEEEEZZNS1_9scan_implILNS1_25lookback_scan_determinismE0ELb0ELb0ES3_PKS7_PS7_S7_ZZZN2at6native31launch_logcumsumexp_cuda_kernelERKNSE_10TensorBaseESI_lENKUlvE_clEvENKUlvE2_clEvEUlS7_S7_E_S7_EEDaPvRmT3_T4_T5_mT6_P12ihipStream_tbENKUlT_T0_E_clISt17integral_constantIbLb0EESZ_EEDaSU_SV_EUlSU_E0_NS1_11comp_targetILNS1_3genE8ELNS1_11target_archE1030ELNS1_3gpuE2ELNS1_3repE0EEENS1_30default_config_static_selectorELNS0_4arch9wavefront6targetE1EEEvT1_
; %bb.0:
	.section	.rodata,"a",@progbits
	.p2align	6, 0x0
	.amdhsa_kernel _ZN7rocprim17ROCPRIM_400000_NS6detail17trampoline_kernelINS0_14default_configENS1_20scan_config_selectorIN3c107complexIfEEEEZZNS1_9scan_implILNS1_25lookback_scan_determinismE0ELb0ELb0ES3_PKS7_PS7_S7_ZZZN2at6native31launch_logcumsumexp_cuda_kernelERKNSE_10TensorBaseESI_lENKUlvE_clEvENKUlvE2_clEvEUlS7_S7_E_S7_EEDaPvRmT3_T4_T5_mT6_P12ihipStream_tbENKUlT_T0_E_clISt17integral_constantIbLb0EESZ_EEDaSU_SV_EUlSU_E0_NS1_11comp_targetILNS1_3genE8ELNS1_11target_archE1030ELNS1_3gpuE2ELNS1_3repE0EEENS1_30default_config_static_selectorELNS0_4arch9wavefront6targetE1EEEvT1_
		.amdhsa_group_segment_fixed_size 0
		.amdhsa_private_segment_fixed_size 0
		.amdhsa_kernarg_size 40
		.amdhsa_user_sgpr_count 2
		.amdhsa_user_sgpr_dispatch_ptr 0
		.amdhsa_user_sgpr_queue_ptr 0
		.amdhsa_user_sgpr_kernarg_segment_ptr 1
		.amdhsa_user_sgpr_dispatch_id 0
		.amdhsa_user_sgpr_kernarg_preload_length 0
		.amdhsa_user_sgpr_kernarg_preload_offset 0
		.amdhsa_user_sgpr_private_segment_size 0
		.amdhsa_uses_dynamic_stack 0
		.amdhsa_enable_private_segment 0
		.amdhsa_system_sgpr_workgroup_id_x 1
		.amdhsa_system_sgpr_workgroup_id_y 0
		.amdhsa_system_sgpr_workgroup_id_z 0
		.amdhsa_system_sgpr_workgroup_info 0
		.amdhsa_system_vgpr_workitem_id 0
		.amdhsa_next_free_vgpr 1
		.amdhsa_next_free_sgpr 0
		.amdhsa_accum_offset 4
		.amdhsa_reserve_vcc 0
		.amdhsa_float_round_mode_32 0
		.amdhsa_float_round_mode_16_64 0
		.amdhsa_float_denorm_mode_32 3
		.amdhsa_float_denorm_mode_16_64 3
		.amdhsa_dx10_clamp 1
		.amdhsa_ieee_mode 1
		.amdhsa_fp16_overflow 0
		.amdhsa_tg_split 0
		.amdhsa_exception_fp_ieee_invalid_op 0
		.amdhsa_exception_fp_denorm_src 0
		.amdhsa_exception_fp_ieee_div_zero 0
		.amdhsa_exception_fp_ieee_overflow 0
		.amdhsa_exception_fp_ieee_underflow 0
		.amdhsa_exception_fp_ieee_inexact 0
		.amdhsa_exception_int_div_zero 0
	.end_amdhsa_kernel
	.section	.text._ZN7rocprim17ROCPRIM_400000_NS6detail17trampoline_kernelINS0_14default_configENS1_20scan_config_selectorIN3c107complexIfEEEEZZNS1_9scan_implILNS1_25lookback_scan_determinismE0ELb0ELb0ES3_PKS7_PS7_S7_ZZZN2at6native31launch_logcumsumexp_cuda_kernelERKNSE_10TensorBaseESI_lENKUlvE_clEvENKUlvE2_clEvEUlS7_S7_E_S7_EEDaPvRmT3_T4_T5_mT6_P12ihipStream_tbENKUlT_T0_E_clISt17integral_constantIbLb0EESZ_EEDaSU_SV_EUlSU_E0_NS1_11comp_targetILNS1_3genE8ELNS1_11target_archE1030ELNS1_3gpuE2ELNS1_3repE0EEENS1_30default_config_static_selectorELNS0_4arch9wavefront6targetE1EEEvT1_,"axG",@progbits,_ZN7rocprim17ROCPRIM_400000_NS6detail17trampoline_kernelINS0_14default_configENS1_20scan_config_selectorIN3c107complexIfEEEEZZNS1_9scan_implILNS1_25lookback_scan_determinismE0ELb0ELb0ES3_PKS7_PS7_S7_ZZZN2at6native31launch_logcumsumexp_cuda_kernelERKNSE_10TensorBaseESI_lENKUlvE_clEvENKUlvE2_clEvEUlS7_S7_E_S7_EEDaPvRmT3_T4_T5_mT6_P12ihipStream_tbENKUlT_T0_E_clISt17integral_constantIbLb0EESZ_EEDaSU_SV_EUlSU_E0_NS1_11comp_targetILNS1_3genE8ELNS1_11target_archE1030ELNS1_3gpuE2ELNS1_3repE0EEENS1_30default_config_static_selectorELNS0_4arch9wavefront6targetE1EEEvT1_,comdat
.Lfunc_end289:
	.size	_ZN7rocprim17ROCPRIM_400000_NS6detail17trampoline_kernelINS0_14default_configENS1_20scan_config_selectorIN3c107complexIfEEEEZZNS1_9scan_implILNS1_25lookback_scan_determinismE0ELb0ELb0ES3_PKS7_PS7_S7_ZZZN2at6native31launch_logcumsumexp_cuda_kernelERKNSE_10TensorBaseESI_lENKUlvE_clEvENKUlvE2_clEvEUlS7_S7_E_S7_EEDaPvRmT3_T4_T5_mT6_P12ihipStream_tbENKUlT_T0_E_clISt17integral_constantIbLb0EESZ_EEDaSU_SV_EUlSU_E0_NS1_11comp_targetILNS1_3genE8ELNS1_11target_archE1030ELNS1_3gpuE2ELNS1_3repE0EEENS1_30default_config_static_selectorELNS0_4arch9wavefront6targetE1EEEvT1_, .Lfunc_end289-_ZN7rocprim17ROCPRIM_400000_NS6detail17trampoline_kernelINS0_14default_configENS1_20scan_config_selectorIN3c107complexIfEEEEZZNS1_9scan_implILNS1_25lookback_scan_determinismE0ELb0ELb0ES3_PKS7_PS7_S7_ZZZN2at6native31launch_logcumsumexp_cuda_kernelERKNSE_10TensorBaseESI_lENKUlvE_clEvENKUlvE2_clEvEUlS7_S7_E_S7_EEDaPvRmT3_T4_T5_mT6_P12ihipStream_tbENKUlT_T0_E_clISt17integral_constantIbLb0EESZ_EEDaSU_SV_EUlSU_E0_NS1_11comp_targetILNS1_3genE8ELNS1_11target_archE1030ELNS1_3gpuE2ELNS1_3repE0EEENS1_30default_config_static_selectorELNS0_4arch9wavefront6targetE1EEEvT1_
                                        ; -- End function
	.set _ZN7rocprim17ROCPRIM_400000_NS6detail17trampoline_kernelINS0_14default_configENS1_20scan_config_selectorIN3c107complexIfEEEEZZNS1_9scan_implILNS1_25lookback_scan_determinismE0ELb0ELb0ES3_PKS7_PS7_S7_ZZZN2at6native31launch_logcumsumexp_cuda_kernelERKNSE_10TensorBaseESI_lENKUlvE_clEvENKUlvE2_clEvEUlS7_S7_E_S7_EEDaPvRmT3_T4_T5_mT6_P12ihipStream_tbENKUlT_T0_E_clISt17integral_constantIbLb0EESZ_EEDaSU_SV_EUlSU_E0_NS1_11comp_targetILNS1_3genE8ELNS1_11target_archE1030ELNS1_3gpuE2ELNS1_3repE0EEENS1_30default_config_static_selectorELNS0_4arch9wavefront6targetE1EEEvT1_.num_vgpr, 0
	.set _ZN7rocprim17ROCPRIM_400000_NS6detail17trampoline_kernelINS0_14default_configENS1_20scan_config_selectorIN3c107complexIfEEEEZZNS1_9scan_implILNS1_25lookback_scan_determinismE0ELb0ELb0ES3_PKS7_PS7_S7_ZZZN2at6native31launch_logcumsumexp_cuda_kernelERKNSE_10TensorBaseESI_lENKUlvE_clEvENKUlvE2_clEvEUlS7_S7_E_S7_EEDaPvRmT3_T4_T5_mT6_P12ihipStream_tbENKUlT_T0_E_clISt17integral_constantIbLb0EESZ_EEDaSU_SV_EUlSU_E0_NS1_11comp_targetILNS1_3genE8ELNS1_11target_archE1030ELNS1_3gpuE2ELNS1_3repE0EEENS1_30default_config_static_selectorELNS0_4arch9wavefront6targetE1EEEvT1_.num_agpr, 0
	.set _ZN7rocprim17ROCPRIM_400000_NS6detail17trampoline_kernelINS0_14default_configENS1_20scan_config_selectorIN3c107complexIfEEEEZZNS1_9scan_implILNS1_25lookback_scan_determinismE0ELb0ELb0ES3_PKS7_PS7_S7_ZZZN2at6native31launch_logcumsumexp_cuda_kernelERKNSE_10TensorBaseESI_lENKUlvE_clEvENKUlvE2_clEvEUlS7_S7_E_S7_EEDaPvRmT3_T4_T5_mT6_P12ihipStream_tbENKUlT_T0_E_clISt17integral_constantIbLb0EESZ_EEDaSU_SV_EUlSU_E0_NS1_11comp_targetILNS1_3genE8ELNS1_11target_archE1030ELNS1_3gpuE2ELNS1_3repE0EEENS1_30default_config_static_selectorELNS0_4arch9wavefront6targetE1EEEvT1_.numbered_sgpr, 0
	.set _ZN7rocprim17ROCPRIM_400000_NS6detail17trampoline_kernelINS0_14default_configENS1_20scan_config_selectorIN3c107complexIfEEEEZZNS1_9scan_implILNS1_25lookback_scan_determinismE0ELb0ELb0ES3_PKS7_PS7_S7_ZZZN2at6native31launch_logcumsumexp_cuda_kernelERKNSE_10TensorBaseESI_lENKUlvE_clEvENKUlvE2_clEvEUlS7_S7_E_S7_EEDaPvRmT3_T4_T5_mT6_P12ihipStream_tbENKUlT_T0_E_clISt17integral_constantIbLb0EESZ_EEDaSU_SV_EUlSU_E0_NS1_11comp_targetILNS1_3genE8ELNS1_11target_archE1030ELNS1_3gpuE2ELNS1_3repE0EEENS1_30default_config_static_selectorELNS0_4arch9wavefront6targetE1EEEvT1_.num_named_barrier, 0
	.set _ZN7rocprim17ROCPRIM_400000_NS6detail17trampoline_kernelINS0_14default_configENS1_20scan_config_selectorIN3c107complexIfEEEEZZNS1_9scan_implILNS1_25lookback_scan_determinismE0ELb0ELb0ES3_PKS7_PS7_S7_ZZZN2at6native31launch_logcumsumexp_cuda_kernelERKNSE_10TensorBaseESI_lENKUlvE_clEvENKUlvE2_clEvEUlS7_S7_E_S7_EEDaPvRmT3_T4_T5_mT6_P12ihipStream_tbENKUlT_T0_E_clISt17integral_constantIbLb0EESZ_EEDaSU_SV_EUlSU_E0_NS1_11comp_targetILNS1_3genE8ELNS1_11target_archE1030ELNS1_3gpuE2ELNS1_3repE0EEENS1_30default_config_static_selectorELNS0_4arch9wavefront6targetE1EEEvT1_.private_seg_size, 0
	.set _ZN7rocprim17ROCPRIM_400000_NS6detail17trampoline_kernelINS0_14default_configENS1_20scan_config_selectorIN3c107complexIfEEEEZZNS1_9scan_implILNS1_25lookback_scan_determinismE0ELb0ELb0ES3_PKS7_PS7_S7_ZZZN2at6native31launch_logcumsumexp_cuda_kernelERKNSE_10TensorBaseESI_lENKUlvE_clEvENKUlvE2_clEvEUlS7_S7_E_S7_EEDaPvRmT3_T4_T5_mT6_P12ihipStream_tbENKUlT_T0_E_clISt17integral_constantIbLb0EESZ_EEDaSU_SV_EUlSU_E0_NS1_11comp_targetILNS1_3genE8ELNS1_11target_archE1030ELNS1_3gpuE2ELNS1_3repE0EEENS1_30default_config_static_selectorELNS0_4arch9wavefront6targetE1EEEvT1_.uses_vcc, 0
	.set _ZN7rocprim17ROCPRIM_400000_NS6detail17trampoline_kernelINS0_14default_configENS1_20scan_config_selectorIN3c107complexIfEEEEZZNS1_9scan_implILNS1_25lookback_scan_determinismE0ELb0ELb0ES3_PKS7_PS7_S7_ZZZN2at6native31launch_logcumsumexp_cuda_kernelERKNSE_10TensorBaseESI_lENKUlvE_clEvENKUlvE2_clEvEUlS7_S7_E_S7_EEDaPvRmT3_T4_T5_mT6_P12ihipStream_tbENKUlT_T0_E_clISt17integral_constantIbLb0EESZ_EEDaSU_SV_EUlSU_E0_NS1_11comp_targetILNS1_3genE8ELNS1_11target_archE1030ELNS1_3gpuE2ELNS1_3repE0EEENS1_30default_config_static_selectorELNS0_4arch9wavefront6targetE1EEEvT1_.uses_flat_scratch, 0
	.set _ZN7rocprim17ROCPRIM_400000_NS6detail17trampoline_kernelINS0_14default_configENS1_20scan_config_selectorIN3c107complexIfEEEEZZNS1_9scan_implILNS1_25lookback_scan_determinismE0ELb0ELb0ES3_PKS7_PS7_S7_ZZZN2at6native31launch_logcumsumexp_cuda_kernelERKNSE_10TensorBaseESI_lENKUlvE_clEvENKUlvE2_clEvEUlS7_S7_E_S7_EEDaPvRmT3_T4_T5_mT6_P12ihipStream_tbENKUlT_T0_E_clISt17integral_constantIbLb0EESZ_EEDaSU_SV_EUlSU_E0_NS1_11comp_targetILNS1_3genE8ELNS1_11target_archE1030ELNS1_3gpuE2ELNS1_3repE0EEENS1_30default_config_static_selectorELNS0_4arch9wavefront6targetE1EEEvT1_.has_dyn_sized_stack, 0
	.set _ZN7rocprim17ROCPRIM_400000_NS6detail17trampoline_kernelINS0_14default_configENS1_20scan_config_selectorIN3c107complexIfEEEEZZNS1_9scan_implILNS1_25lookback_scan_determinismE0ELb0ELb0ES3_PKS7_PS7_S7_ZZZN2at6native31launch_logcumsumexp_cuda_kernelERKNSE_10TensorBaseESI_lENKUlvE_clEvENKUlvE2_clEvEUlS7_S7_E_S7_EEDaPvRmT3_T4_T5_mT6_P12ihipStream_tbENKUlT_T0_E_clISt17integral_constantIbLb0EESZ_EEDaSU_SV_EUlSU_E0_NS1_11comp_targetILNS1_3genE8ELNS1_11target_archE1030ELNS1_3gpuE2ELNS1_3repE0EEENS1_30default_config_static_selectorELNS0_4arch9wavefront6targetE1EEEvT1_.has_recursion, 0
	.set _ZN7rocprim17ROCPRIM_400000_NS6detail17trampoline_kernelINS0_14default_configENS1_20scan_config_selectorIN3c107complexIfEEEEZZNS1_9scan_implILNS1_25lookback_scan_determinismE0ELb0ELb0ES3_PKS7_PS7_S7_ZZZN2at6native31launch_logcumsumexp_cuda_kernelERKNSE_10TensorBaseESI_lENKUlvE_clEvENKUlvE2_clEvEUlS7_S7_E_S7_EEDaPvRmT3_T4_T5_mT6_P12ihipStream_tbENKUlT_T0_E_clISt17integral_constantIbLb0EESZ_EEDaSU_SV_EUlSU_E0_NS1_11comp_targetILNS1_3genE8ELNS1_11target_archE1030ELNS1_3gpuE2ELNS1_3repE0EEENS1_30default_config_static_selectorELNS0_4arch9wavefront6targetE1EEEvT1_.has_indirect_call, 0
	.section	.AMDGPU.csdata,"",@progbits
; Kernel info:
; codeLenInByte = 0
; TotalNumSgprs: 6
; NumVgprs: 0
; NumAgprs: 0
; TotalNumVgprs: 0
; ScratchSize: 0
; MemoryBound: 0
; FloatMode: 240
; IeeeMode: 1
; LDSByteSize: 0 bytes/workgroup (compile time only)
; SGPRBlocks: 0
; VGPRBlocks: 0
; NumSGPRsForWavesPerEU: 6
; NumVGPRsForWavesPerEU: 1
; AccumOffset: 4
; Occupancy: 8
; WaveLimiterHint : 0
; COMPUTE_PGM_RSRC2:SCRATCH_EN: 0
; COMPUTE_PGM_RSRC2:USER_SGPR: 2
; COMPUTE_PGM_RSRC2:TRAP_HANDLER: 0
; COMPUTE_PGM_RSRC2:TGID_X_EN: 1
; COMPUTE_PGM_RSRC2:TGID_Y_EN: 0
; COMPUTE_PGM_RSRC2:TGID_Z_EN: 0
; COMPUTE_PGM_RSRC2:TIDIG_COMP_CNT: 0
; COMPUTE_PGM_RSRC3_GFX90A:ACCUM_OFFSET: 0
; COMPUTE_PGM_RSRC3_GFX90A:TG_SPLIT: 0
	.section	.text._ZN7rocprim17ROCPRIM_400000_NS6detail31init_lookback_scan_state_kernelINS1_19lookback_scan_stateIN3c107complexIfEELb1ELb1EEENS1_16block_id_wrapperIjLb1EEEEEvT_jT0_jPNSA_10value_typeE,"axG",@progbits,_ZN7rocprim17ROCPRIM_400000_NS6detail31init_lookback_scan_state_kernelINS1_19lookback_scan_stateIN3c107complexIfEELb1ELb1EEENS1_16block_id_wrapperIjLb1EEEEEvT_jT0_jPNSA_10value_typeE,comdat
	.protected	_ZN7rocprim17ROCPRIM_400000_NS6detail31init_lookback_scan_state_kernelINS1_19lookback_scan_stateIN3c107complexIfEELb1ELb1EEENS1_16block_id_wrapperIjLb1EEEEEvT_jT0_jPNSA_10value_typeE ; -- Begin function _ZN7rocprim17ROCPRIM_400000_NS6detail31init_lookback_scan_state_kernelINS1_19lookback_scan_stateIN3c107complexIfEELb1ELb1EEENS1_16block_id_wrapperIjLb1EEEEEvT_jT0_jPNSA_10value_typeE
	.globl	_ZN7rocprim17ROCPRIM_400000_NS6detail31init_lookback_scan_state_kernelINS1_19lookback_scan_stateIN3c107complexIfEELb1ELb1EEENS1_16block_id_wrapperIjLb1EEEEEvT_jT0_jPNSA_10value_typeE
	.p2align	8
	.type	_ZN7rocprim17ROCPRIM_400000_NS6detail31init_lookback_scan_state_kernelINS1_19lookback_scan_stateIN3c107complexIfEELb1ELb1EEENS1_16block_id_wrapperIjLb1EEEEEvT_jT0_jPNSA_10value_typeE,@function
_ZN7rocprim17ROCPRIM_400000_NS6detail31init_lookback_scan_state_kernelINS1_19lookback_scan_stateIN3c107complexIfEELb1ELb1EEENS1_16block_id_wrapperIjLb1EEEEEvT_jT0_jPNSA_10value_typeE: ; @_ZN7rocprim17ROCPRIM_400000_NS6detail31init_lookback_scan_state_kernelINS1_19lookback_scan_stateIN3c107complexIfEELb1ELb1EEENS1_16block_id_wrapperIjLb1EEEEEvT_jT0_jPNSA_10value_typeE
; %bb.0:
	s_load_dword s3, s[0:1], 0x34
	s_load_dwordx2 s[6:7], s[0:1], 0x20
	s_load_dwordx2 s[4:5], s[0:1], 0x0
	s_load_dword s14, s[0:1], 0x8
	s_waitcnt lgkmcnt(0)
	s_and_b32 s3, s3, 0xffff
	s_mul_i32 s2, s2, s3
	s_cmp_eq_u64 s[6:7], 0
	v_add_u32_e32 v0, s2, v0
	s_cbranch_scc1 .LBB290_10
; %bb.1:
	s_load_dword s8, s[0:1], 0x18
	s_mov_b32 s9, 0
	s_waitcnt lgkmcnt(0)
	s_cmp_lt_u32 s8, s14
	s_cselect_b32 s2, s8, 0
	v_cmp_eq_u32_e32 vcc, s2, v0
	s_and_saveexec_b64 s[2:3], vcc
	s_cbranch_execz .LBB290_9
; %bb.2:
	s_add_i32 s8, s8, 64
	s_lshl_b64 s[8:9], s[8:9], 4
	s_add_u32 s12, s4, s8
	s_addc_u32 s13, s5, s9
	v_mov_b64_e32 v[2:3], s[12:13]
	;;#ASMSTART
	global_load_dwordx4 v[2:5], v[2:3] off sc1	
s_waitcnt vmcnt(0)
	;;#ASMEND
	v_mov_b32_e32 v7, 0
	v_and_b32_e32 v6, 0xff, v4
	s_mov_b64 s[10:11], 0
	v_cmp_eq_u64_e32 vcc, 0, v[6:7]
	s_and_saveexec_b64 s[8:9], vcc
	s_cbranch_execz .LBB290_8
; %bb.3:
	s_mov_b32 s15, 1
	v_mov_b64_e32 v[8:9], s[12:13]
.LBB290_4:                              ; =>This Loop Header: Depth=1
                                        ;     Child Loop BB290_5 Depth 2
	s_mov_b32 s12, s15
.LBB290_5:                              ;   Parent Loop BB290_4 Depth=1
                                        ; =>  This Inner Loop Header: Depth=2
	s_add_i32 s12, s12, -1
	s_cmp_eq_u32 s12, 0
	s_sleep 1
	s_cbranch_scc0 .LBB290_5
; %bb.6:                                ;   in Loop: Header=BB290_4 Depth=1
	s_cmp_lt_u32 s15, 32
	s_cselect_b64 s[12:13], -1, 0
	s_cmp_lg_u64 s[12:13], 0
	;;#ASMSTART
	global_load_dwordx4 v[2:5], v[8:9] off sc1	
s_waitcnt vmcnt(0)
	;;#ASMEND
	s_addc_u32 s15, s15, 0
	v_and_b32_e32 v6, 0xff, v4
	v_cmp_ne_u64_e32 vcc, 0, v[6:7]
	s_or_b64 s[10:11], vcc, s[10:11]
	s_andn2_b64 exec, exec, s[10:11]
	s_cbranch_execnz .LBB290_4
; %bb.7:
	s_or_b64 exec, exec, s[10:11]
.LBB290_8:
	s_or_b64 exec, exec, s[8:9]
	v_mov_b32_e32 v1, 0
	global_store_dwordx2 v1, v[2:3], s[6:7]
.LBB290_9:
	s_or_b64 exec, exec, s[2:3]
.LBB290_10:
	v_cmp_eq_u32_e32 vcc, 0, v0
	s_and_saveexec_b64 s[2:3], vcc
	s_cbranch_execnz .LBB290_14
; %bb.11:
	s_or_b64 exec, exec, s[2:3]
	v_cmp_gt_u32_e32 vcc, s14, v0
	s_and_saveexec_b64 s[0:1], vcc
	s_cbranch_execnz .LBB290_15
.LBB290_12:
	s_or_b64 exec, exec, s[0:1]
	v_cmp_gt_u32_e32 vcc, 64, v0
	s_and_saveexec_b64 s[0:1], vcc
	s_cbranch_execnz .LBB290_16
.LBB290_13:
	s_endpgm
.LBB290_14:
	s_load_dwordx2 s[0:1], s[0:1], 0x10
	v_mov_b32_e32 v1, 0
	s_waitcnt lgkmcnt(0)
	global_store_dword v1, v1, s[0:1]
	s_or_b64 exec, exec, s[2:3]
	v_cmp_gt_u32_e32 vcc, s14, v0
	s_and_saveexec_b64 s[0:1], vcc
	s_cbranch_execz .LBB290_12
.LBB290_15:
	v_add_u32_e32 v2, 64, v0
	v_mov_b32_e32 v3, 0
	v_lshl_add_u64 v[6:7], v[2:3], 4, s[4:5]
	v_mov_b32_e32 v2, v3
	v_mov_b32_e32 v4, v3
	;; [unrolled: 1-line block ×3, first 2 shown]
	global_store_dwordx4 v[6:7], v[2:5], off
	s_or_b64 exec, exec, s[0:1]
	v_cmp_gt_u32_e32 vcc, 64, v0
	s_and_saveexec_b64 s[0:1], vcc
	s_cbranch_execz .LBB290_13
.LBB290_16:
	v_mov_b32_e32 v1, 0
	v_lshl_add_u64 v[4:5], v[0:1], 4, s[4:5]
	v_mov_b32_e32 v2, 0xff
	v_mov_b32_e32 v0, v1
	v_mov_b32_e32 v3, v1
	global_store_dwordx4 v[4:5], v[0:3], off
	s_endpgm
	.section	.rodata,"a",@progbits
	.p2align	6, 0x0
	.amdhsa_kernel _ZN7rocprim17ROCPRIM_400000_NS6detail31init_lookback_scan_state_kernelINS1_19lookback_scan_stateIN3c107complexIfEELb1ELb1EEENS1_16block_id_wrapperIjLb1EEEEEvT_jT0_jPNSA_10value_typeE
		.amdhsa_group_segment_fixed_size 0
		.amdhsa_private_segment_fixed_size 0
		.amdhsa_kernarg_size 296
		.amdhsa_user_sgpr_count 2
		.amdhsa_user_sgpr_dispatch_ptr 0
		.amdhsa_user_sgpr_queue_ptr 0
		.amdhsa_user_sgpr_kernarg_segment_ptr 1
		.amdhsa_user_sgpr_dispatch_id 0
		.amdhsa_user_sgpr_kernarg_preload_length 0
		.amdhsa_user_sgpr_kernarg_preload_offset 0
		.amdhsa_user_sgpr_private_segment_size 0
		.amdhsa_uses_dynamic_stack 0
		.amdhsa_enable_private_segment 0
		.amdhsa_system_sgpr_workgroup_id_x 1
		.amdhsa_system_sgpr_workgroup_id_y 0
		.amdhsa_system_sgpr_workgroup_id_z 0
		.amdhsa_system_sgpr_workgroup_info 0
		.amdhsa_system_vgpr_workitem_id 0
		.amdhsa_next_free_vgpr 10
		.amdhsa_next_free_sgpr 16
		.amdhsa_accum_offset 12
		.amdhsa_reserve_vcc 1
		.amdhsa_float_round_mode_32 0
		.amdhsa_float_round_mode_16_64 0
		.amdhsa_float_denorm_mode_32 3
		.amdhsa_float_denorm_mode_16_64 3
		.amdhsa_dx10_clamp 1
		.amdhsa_ieee_mode 1
		.amdhsa_fp16_overflow 0
		.amdhsa_tg_split 0
		.amdhsa_exception_fp_ieee_invalid_op 0
		.amdhsa_exception_fp_denorm_src 0
		.amdhsa_exception_fp_ieee_div_zero 0
		.amdhsa_exception_fp_ieee_overflow 0
		.amdhsa_exception_fp_ieee_underflow 0
		.amdhsa_exception_fp_ieee_inexact 0
		.amdhsa_exception_int_div_zero 0
	.end_amdhsa_kernel
	.section	.text._ZN7rocprim17ROCPRIM_400000_NS6detail31init_lookback_scan_state_kernelINS1_19lookback_scan_stateIN3c107complexIfEELb1ELb1EEENS1_16block_id_wrapperIjLb1EEEEEvT_jT0_jPNSA_10value_typeE,"axG",@progbits,_ZN7rocprim17ROCPRIM_400000_NS6detail31init_lookback_scan_state_kernelINS1_19lookback_scan_stateIN3c107complexIfEELb1ELb1EEENS1_16block_id_wrapperIjLb1EEEEEvT_jT0_jPNSA_10value_typeE,comdat
.Lfunc_end290:
	.size	_ZN7rocprim17ROCPRIM_400000_NS6detail31init_lookback_scan_state_kernelINS1_19lookback_scan_stateIN3c107complexIfEELb1ELb1EEENS1_16block_id_wrapperIjLb1EEEEEvT_jT0_jPNSA_10value_typeE, .Lfunc_end290-_ZN7rocprim17ROCPRIM_400000_NS6detail31init_lookback_scan_state_kernelINS1_19lookback_scan_stateIN3c107complexIfEELb1ELb1EEENS1_16block_id_wrapperIjLb1EEEEEvT_jT0_jPNSA_10value_typeE
                                        ; -- End function
	.set _ZN7rocprim17ROCPRIM_400000_NS6detail31init_lookback_scan_state_kernelINS1_19lookback_scan_stateIN3c107complexIfEELb1ELb1EEENS1_16block_id_wrapperIjLb1EEEEEvT_jT0_jPNSA_10value_typeE.num_vgpr, 10
	.set _ZN7rocprim17ROCPRIM_400000_NS6detail31init_lookback_scan_state_kernelINS1_19lookback_scan_stateIN3c107complexIfEELb1ELb1EEENS1_16block_id_wrapperIjLb1EEEEEvT_jT0_jPNSA_10value_typeE.num_agpr, 0
	.set _ZN7rocprim17ROCPRIM_400000_NS6detail31init_lookback_scan_state_kernelINS1_19lookback_scan_stateIN3c107complexIfEELb1ELb1EEENS1_16block_id_wrapperIjLb1EEEEEvT_jT0_jPNSA_10value_typeE.numbered_sgpr, 16
	.set _ZN7rocprim17ROCPRIM_400000_NS6detail31init_lookback_scan_state_kernelINS1_19lookback_scan_stateIN3c107complexIfEELb1ELb1EEENS1_16block_id_wrapperIjLb1EEEEEvT_jT0_jPNSA_10value_typeE.num_named_barrier, 0
	.set _ZN7rocprim17ROCPRIM_400000_NS6detail31init_lookback_scan_state_kernelINS1_19lookback_scan_stateIN3c107complexIfEELb1ELb1EEENS1_16block_id_wrapperIjLb1EEEEEvT_jT0_jPNSA_10value_typeE.private_seg_size, 0
	.set _ZN7rocprim17ROCPRIM_400000_NS6detail31init_lookback_scan_state_kernelINS1_19lookback_scan_stateIN3c107complexIfEELb1ELb1EEENS1_16block_id_wrapperIjLb1EEEEEvT_jT0_jPNSA_10value_typeE.uses_vcc, 1
	.set _ZN7rocprim17ROCPRIM_400000_NS6detail31init_lookback_scan_state_kernelINS1_19lookback_scan_stateIN3c107complexIfEELb1ELb1EEENS1_16block_id_wrapperIjLb1EEEEEvT_jT0_jPNSA_10value_typeE.uses_flat_scratch, 0
	.set _ZN7rocprim17ROCPRIM_400000_NS6detail31init_lookback_scan_state_kernelINS1_19lookback_scan_stateIN3c107complexIfEELb1ELb1EEENS1_16block_id_wrapperIjLb1EEEEEvT_jT0_jPNSA_10value_typeE.has_dyn_sized_stack, 0
	.set _ZN7rocprim17ROCPRIM_400000_NS6detail31init_lookback_scan_state_kernelINS1_19lookback_scan_stateIN3c107complexIfEELb1ELb1EEENS1_16block_id_wrapperIjLb1EEEEEvT_jT0_jPNSA_10value_typeE.has_recursion, 0
	.set _ZN7rocprim17ROCPRIM_400000_NS6detail31init_lookback_scan_state_kernelINS1_19lookback_scan_stateIN3c107complexIfEELb1ELb1EEENS1_16block_id_wrapperIjLb1EEEEEvT_jT0_jPNSA_10value_typeE.has_indirect_call, 0
	.section	.AMDGPU.csdata,"",@progbits
; Kernel info:
; codeLenInByte = 480
; TotalNumSgprs: 22
; NumVgprs: 10
; NumAgprs: 0
; TotalNumVgprs: 10
; ScratchSize: 0
; MemoryBound: 0
; FloatMode: 240
; IeeeMode: 1
; LDSByteSize: 0 bytes/workgroup (compile time only)
; SGPRBlocks: 2
; VGPRBlocks: 1
; NumSGPRsForWavesPerEU: 22
; NumVGPRsForWavesPerEU: 10
; AccumOffset: 12
; Occupancy: 8
; WaveLimiterHint : 0
; COMPUTE_PGM_RSRC2:SCRATCH_EN: 0
; COMPUTE_PGM_RSRC2:USER_SGPR: 2
; COMPUTE_PGM_RSRC2:TRAP_HANDLER: 0
; COMPUTE_PGM_RSRC2:TGID_X_EN: 1
; COMPUTE_PGM_RSRC2:TGID_Y_EN: 0
; COMPUTE_PGM_RSRC2:TGID_Z_EN: 0
; COMPUTE_PGM_RSRC2:TIDIG_COMP_CNT: 0
; COMPUTE_PGM_RSRC3_GFX90A:ACCUM_OFFSET: 2
; COMPUTE_PGM_RSRC3_GFX90A:TG_SPLIT: 0
	.section	.text._ZN7rocprim17ROCPRIM_400000_NS6detail17trampoline_kernelINS0_14default_configENS1_20scan_config_selectorIN3c107complexIfEEEEZZNS1_9scan_implILNS1_25lookback_scan_determinismE0ELb0ELb0ES3_PKS7_PS7_S7_ZZZN2at6native31launch_logcumsumexp_cuda_kernelERKNSE_10TensorBaseESI_lENKUlvE_clEvENKUlvE2_clEvEUlS7_S7_E_S7_EEDaPvRmT3_T4_T5_mT6_P12ihipStream_tbENKUlT_T0_E_clISt17integral_constantIbLb1EESZ_EEDaSU_SV_EUlSU_E_NS1_11comp_targetILNS1_3genE0ELNS1_11target_archE4294967295ELNS1_3gpuE0ELNS1_3repE0EEENS1_30default_config_static_selectorELNS0_4arch9wavefront6targetE1EEEvT1_,"axG",@progbits,_ZN7rocprim17ROCPRIM_400000_NS6detail17trampoline_kernelINS0_14default_configENS1_20scan_config_selectorIN3c107complexIfEEEEZZNS1_9scan_implILNS1_25lookback_scan_determinismE0ELb0ELb0ES3_PKS7_PS7_S7_ZZZN2at6native31launch_logcumsumexp_cuda_kernelERKNSE_10TensorBaseESI_lENKUlvE_clEvENKUlvE2_clEvEUlS7_S7_E_S7_EEDaPvRmT3_T4_T5_mT6_P12ihipStream_tbENKUlT_T0_E_clISt17integral_constantIbLb1EESZ_EEDaSU_SV_EUlSU_E_NS1_11comp_targetILNS1_3genE0ELNS1_11target_archE4294967295ELNS1_3gpuE0ELNS1_3repE0EEENS1_30default_config_static_selectorELNS0_4arch9wavefront6targetE1EEEvT1_,comdat
	.globl	_ZN7rocprim17ROCPRIM_400000_NS6detail17trampoline_kernelINS0_14default_configENS1_20scan_config_selectorIN3c107complexIfEEEEZZNS1_9scan_implILNS1_25lookback_scan_determinismE0ELb0ELb0ES3_PKS7_PS7_S7_ZZZN2at6native31launch_logcumsumexp_cuda_kernelERKNSE_10TensorBaseESI_lENKUlvE_clEvENKUlvE2_clEvEUlS7_S7_E_S7_EEDaPvRmT3_T4_T5_mT6_P12ihipStream_tbENKUlT_T0_E_clISt17integral_constantIbLb1EESZ_EEDaSU_SV_EUlSU_E_NS1_11comp_targetILNS1_3genE0ELNS1_11target_archE4294967295ELNS1_3gpuE0ELNS1_3repE0EEENS1_30default_config_static_selectorELNS0_4arch9wavefront6targetE1EEEvT1_ ; -- Begin function _ZN7rocprim17ROCPRIM_400000_NS6detail17trampoline_kernelINS0_14default_configENS1_20scan_config_selectorIN3c107complexIfEEEEZZNS1_9scan_implILNS1_25lookback_scan_determinismE0ELb0ELb0ES3_PKS7_PS7_S7_ZZZN2at6native31launch_logcumsumexp_cuda_kernelERKNSE_10TensorBaseESI_lENKUlvE_clEvENKUlvE2_clEvEUlS7_S7_E_S7_EEDaPvRmT3_T4_T5_mT6_P12ihipStream_tbENKUlT_T0_E_clISt17integral_constantIbLb1EESZ_EEDaSU_SV_EUlSU_E_NS1_11comp_targetILNS1_3genE0ELNS1_11target_archE4294967295ELNS1_3gpuE0ELNS1_3repE0EEENS1_30default_config_static_selectorELNS0_4arch9wavefront6targetE1EEEvT1_
	.p2align	8
	.type	_ZN7rocprim17ROCPRIM_400000_NS6detail17trampoline_kernelINS0_14default_configENS1_20scan_config_selectorIN3c107complexIfEEEEZZNS1_9scan_implILNS1_25lookback_scan_determinismE0ELb0ELb0ES3_PKS7_PS7_S7_ZZZN2at6native31launch_logcumsumexp_cuda_kernelERKNSE_10TensorBaseESI_lENKUlvE_clEvENKUlvE2_clEvEUlS7_S7_E_S7_EEDaPvRmT3_T4_T5_mT6_P12ihipStream_tbENKUlT_T0_E_clISt17integral_constantIbLb1EESZ_EEDaSU_SV_EUlSU_E_NS1_11comp_targetILNS1_3genE0ELNS1_11target_archE4294967295ELNS1_3gpuE0ELNS1_3repE0EEENS1_30default_config_static_selectorELNS0_4arch9wavefront6targetE1EEEvT1_,@function
_ZN7rocprim17ROCPRIM_400000_NS6detail17trampoline_kernelINS0_14default_configENS1_20scan_config_selectorIN3c107complexIfEEEEZZNS1_9scan_implILNS1_25lookback_scan_determinismE0ELb0ELb0ES3_PKS7_PS7_S7_ZZZN2at6native31launch_logcumsumexp_cuda_kernelERKNSE_10TensorBaseESI_lENKUlvE_clEvENKUlvE2_clEvEUlS7_S7_E_S7_EEDaPvRmT3_T4_T5_mT6_P12ihipStream_tbENKUlT_T0_E_clISt17integral_constantIbLb1EESZ_EEDaSU_SV_EUlSU_E_NS1_11comp_targetILNS1_3genE0ELNS1_11target_archE4294967295ELNS1_3gpuE0ELNS1_3repE0EEENS1_30default_config_static_selectorELNS0_4arch9wavefront6targetE1EEEvT1_: ; @_ZN7rocprim17ROCPRIM_400000_NS6detail17trampoline_kernelINS0_14default_configENS1_20scan_config_selectorIN3c107complexIfEEEEZZNS1_9scan_implILNS1_25lookback_scan_determinismE0ELb0ELb0ES3_PKS7_PS7_S7_ZZZN2at6native31launch_logcumsumexp_cuda_kernelERKNSE_10TensorBaseESI_lENKUlvE_clEvENKUlvE2_clEvEUlS7_S7_E_S7_EEDaPvRmT3_T4_T5_mT6_P12ihipStream_tbENKUlT_T0_E_clISt17integral_constantIbLb1EESZ_EEDaSU_SV_EUlSU_E_NS1_11comp_targetILNS1_3genE0ELNS1_11target_archE4294967295ELNS1_3gpuE0ELNS1_3repE0EEENS1_30default_config_static_selectorELNS0_4arch9wavefront6targetE1EEEvT1_
; %bb.0:
	s_endpgm
	.section	.rodata,"a",@progbits
	.p2align	6, 0x0
	.amdhsa_kernel _ZN7rocprim17ROCPRIM_400000_NS6detail17trampoline_kernelINS0_14default_configENS1_20scan_config_selectorIN3c107complexIfEEEEZZNS1_9scan_implILNS1_25lookback_scan_determinismE0ELb0ELb0ES3_PKS7_PS7_S7_ZZZN2at6native31launch_logcumsumexp_cuda_kernelERKNSE_10TensorBaseESI_lENKUlvE_clEvENKUlvE2_clEvEUlS7_S7_E_S7_EEDaPvRmT3_T4_T5_mT6_P12ihipStream_tbENKUlT_T0_E_clISt17integral_constantIbLb1EESZ_EEDaSU_SV_EUlSU_E_NS1_11comp_targetILNS1_3genE0ELNS1_11target_archE4294967295ELNS1_3gpuE0ELNS1_3repE0EEENS1_30default_config_static_selectorELNS0_4arch9wavefront6targetE1EEEvT1_
		.amdhsa_group_segment_fixed_size 0
		.amdhsa_private_segment_fixed_size 0
		.amdhsa_kernarg_size 104
		.amdhsa_user_sgpr_count 2
		.amdhsa_user_sgpr_dispatch_ptr 0
		.amdhsa_user_sgpr_queue_ptr 0
		.amdhsa_user_sgpr_kernarg_segment_ptr 1
		.amdhsa_user_sgpr_dispatch_id 0
		.amdhsa_user_sgpr_kernarg_preload_length 0
		.amdhsa_user_sgpr_kernarg_preload_offset 0
		.amdhsa_user_sgpr_private_segment_size 0
		.amdhsa_uses_dynamic_stack 0
		.amdhsa_enable_private_segment 0
		.amdhsa_system_sgpr_workgroup_id_x 1
		.amdhsa_system_sgpr_workgroup_id_y 0
		.amdhsa_system_sgpr_workgroup_id_z 0
		.amdhsa_system_sgpr_workgroup_info 0
		.amdhsa_system_vgpr_workitem_id 0
		.amdhsa_next_free_vgpr 1
		.amdhsa_next_free_sgpr 0
		.amdhsa_accum_offset 4
		.amdhsa_reserve_vcc 0
		.amdhsa_float_round_mode_32 0
		.amdhsa_float_round_mode_16_64 0
		.amdhsa_float_denorm_mode_32 3
		.amdhsa_float_denorm_mode_16_64 3
		.amdhsa_dx10_clamp 1
		.amdhsa_ieee_mode 1
		.amdhsa_fp16_overflow 0
		.amdhsa_tg_split 0
		.amdhsa_exception_fp_ieee_invalid_op 0
		.amdhsa_exception_fp_denorm_src 0
		.amdhsa_exception_fp_ieee_div_zero 0
		.amdhsa_exception_fp_ieee_overflow 0
		.amdhsa_exception_fp_ieee_underflow 0
		.amdhsa_exception_fp_ieee_inexact 0
		.amdhsa_exception_int_div_zero 0
	.end_amdhsa_kernel
	.section	.text._ZN7rocprim17ROCPRIM_400000_NS6detail17trampoline_kernelINS0_14default_configENS1_20scan_config_selectorIN3c107complexIfEEEEZZNS1_9scan_implILNS1_25lookback_scan_determinismE0ELb0ELb0ES3_PKS7_PS7_S7_ZZZN2at6native31launch_logcumsumexp_cuda_kernelERKNSE_10TensorBaseESI_lENKUlvE_clEvENKUlvE2_clEvEUlS7_S7_E_S7_EEDaPvRmT3_T4_T5_mT6_P12ihipStream_tbENKUlT_T0_E_clISt17integral_constantIbLb1EESZ_EEDaSU_SV_EUlSU_E_NS1_11comp_targetILNS1_3genE0ELNS1_11target_archE4294967295ELNS1_3gpuE0ELNS1_3repE0EEENS1_30default_config_static_selectorELNS0_4arch9wavefront6targetE1EEEvT1_,"axG",@progbits,_ZN7rocprim17ROCPRIM_400000_NS6detail17trampoline_kernelINS0_14default_configENS1_20scan_config_selectorIN3c107complexIfEEEEZZNS1_9scan_implILNS1_25lookback_scan_determinismE0ELb0ELb0ES3_PKS7_PS7_S7_ZZZN2at6native31launch_logcumsumexp_cuda_kernelERKNSE_10TensorBaseESI_lENKUlvE_clEvENKUlvE2_clEvEUlS7_S7_E_S7_EEDaPvRmT3_T4_T5_mT6_P12ihipStream_tbENKUlT_T0_E_clISt17integral_constantIbLb1EESZ_EEDaSU_SV_EUlSU_E_NS1_11comp_targetILNS1_3genE0ELNS1_11target_archE4294967295ELNS1_3gpuE0ELNS1_3repE0EEENS1_30default_config_static_selectorELNS0_4arch9wavefront6targetE1EEEvT1_,comdat
.Lfunc_end291:
	.size	_ZN7rocprim17ROCPRIM_400000_NS6detail17trampoline_kernelINS0_14default_configENS1_20scan_config_selectorIN3c107complexIfEEEEZZNS1_9scan_implILNS1_25lookback_scan_determinismE0ELb0ELb0ES3_PKS7_PS7_S7_ZZZN2at6native31launch_logcumsumexp_cuda_kernelERKNSE_10TensorBaseESI_lENKUlvE_clEvENKUlvE2_clEvEUlS7_S7_E_S7_EEDaPvRmT3_T4_T5_mT6_P12ihipStream_tbENKUlT_T0_E_clISt17integral_constantIbLb1EESZ_EEDaSU_SV_EUlSU_E_NS1_11comp_targetILNS1_3genE0ELNS1_11target_archE4294967295ELNS1_3gpuE0ELNS1_3repE0EEENS1_30default_config_static_selectorELNS0_4arch9wavefront6targetE1EEEvT1_, .Lfunc_end291-_ZN7rocprim17ROCPRIM_400000_NS6detail17trampoline_kernelINS0_14default_configENS1_20scan_config_selectorIN3c107complexIfEEEEZZNS1_9scan_implILNS1_25lookback_scan_determinismE0ELb0ELb0ES3_PKS7_PS7_S7_ZZZN2at6native31launch_logcumsumexp_cuda_kernelERKNSE_10TensorBaseESI_lENKUlvE_clEvENKUlvE2_clEvEUlS7_S7_E_S7_EEDaPvRmT3_T4_T5_mT6_P12ihipStream_tbENKUlT_T0_E_clISt17integral_constantIbLb1EESZ_EEDaSU_SV_EUlSU_E_NS1_11comp_targetILNS1_3genE0ELNS1_11target_archE4294967295ELNS1_3gpuE0ELNS1_3repE0EEENS1_30default_config_static_selectorELNS0_4arch9wavefront6targetE1EEEvT1_
                                        ; -- End function
	.set _ZN7rocprim17ROCPRIM_400000_NS6detail17trampoline_kernelINS0_14default_configENS1_20scan_config_selectorIN3c107complexIfEEEEZZNS1_9scan_implILNS1_25lookback_scan_determinismE0ELb0ELb0ES3_PKS7_PS7_S7_ZZZN2at6native31launch_logcumsumexp_cuda_kernelERKNSE_10TensorBaseESI_lENKUlvE_clEvENKUlvE2_clEvEUlS7_S7_E_S7_EEDaPvRmT3_T4_T5_mT6_P12ihipStream_tbENKUlT_T0_E_clISt17integral_constantIbLb1EESZ_EEDaSU_SV_EUlSU_E_NS1_11comp_targetILNS1_3genE0ELNS1_11target_archE4294967295ELNS1_3gpuE0ELNS1_3repE0EEENS1_30default_config_static_selectorELNS0_4arch9wavefront6targetE1EEEvT1_.num_vgpr, 0
	.set _ZN7rocprim17ROCPRIM_400000_NS6detail17trampoline_kernelINS0_14default_configENS1_20scan_config_selectorIN3c107complexIfEEEEZZNS1_9scan_implILNS1_25lookback_scan_determinismE0ELb0ELb0ES3_PKS7_PS7_S7_ZZZN2at6native31launch_logcumsumexp_cuda_kernelERKNSE_10TensorBaseESI_lENKUlvE_clEvENKUlvE2_clEvEUlS7_S7_E_S7_EEDaPvRmT3_T4_T5_mT6_P12ihipStream_tbENKUlT_T0_E_clISt17integral_constantIbLb1EESZ_EEDaSU_SV_EUlSU_E_NS1_11comp_targetILNS1_3genE0ELNS1_11target_archE4294967295ELNS1_3gpuE0ELNS1_3repE0EEENS1_30default_config_static_selectorELNS0_4arch9wavefront6targetE1EEEvT1_.num_agpr, 0
	.set _ZN7rocprim17ROCPRIM_400000_NS6detail17trampoline_kernelINS0_14default_configENS1_20scan_config_selectorIN3c107complexIfEEEEZZNS1_9scan_implILNS1_25lookback_scan_determinismE0ELb0ELb0ES3_PKS7_PS7_S7_ZZZN2at6native31launch_logcumsumexp_cuda_kernelERKNSE_10TensorBaseESI_lENKUlvE_clEvENKUlvE2_clEvEUlS7_S7_E_S7_EEDaPvRmT3_T4_T5_mT6_P12ihipStream_tbENKUlT_T0_E_clISt17integral_constantIbLb1EESZ_EEDaSU_SV_EUlSU_E_NS1_11comp_targetILNS1_3genE0ELNS1_11target_archE4294967295ELNS1_3gpuE0ELNS1_3repE0EEENS1_30default_config_static_selectorELNS0_4arch9wavefront6targetE1EEEvT1_.numbered_sgpr, 0
	.set _ZN7rocprim17ROCPRIM_400000_NS6detail17trampoline_kernelINS0_14default_configENS1_20scan_config_selectorIN3c107complexIfEEEEZZNS1_9scan_implILNS1_25lookback_scan_determinismE0ELb0ELb0ES3_PKS7_PS7_S7_ZZZN2at6native31launch_logcumsumexp_cuda_kernelERKNSE_10TensorBaseESI_lENKUlvE_clEvENKUlvE2_clEvEUlS7_S7_E_S7_EEDaPvRmT3_T4_T5_mT6_P12ihipStream_tbENKUlT_T0_E_clISt17integral_constantIbLb1EESZ_EEDaSU_SV_EUlSU_E_NS1_11comp_targetILNS1_3genE0ELNS1_11target_archE4294967295ELNS1_3gpuE0ELNS1_3repE0EEENS1_30default_config_static_selectorELNS0_4arch9wavefront6targetE1EEEvT1_.num_named_barrier, 0
	.set _ZN7rocprim17ROCPRIM_400000_NS6detail17trampoline_kernelINS0_14default_configENS1_20scan_config_selectorIN3c107complexIfEEEEZZNS1_9scan_implILNS1_25lookback_scan_determinismE0ELb0ELb0ES3_PKS7_PS7_S7_ZZZN2at6native31launch_logcumsumexp_cuda_kernelERKNSE_10TensorBaseESI_lENKUlvE_clEvENKUlvE2_clEvEUlS7_S7_E_S7_EEDaPvRmT3_T4_T5_mT6_P12ihipStream_tbENKUlT_T0_E_clISt17integral_constantIbLb1EESZ_EEDaSU_SV_EUlSU_E_NS1_11comp_targetILNS1_3genE0ELNS1_11target_archE4294967295ELNS1_3gpuE0ELNS1_3repE0EEENS1_30default_config_static_selectorELNS0_4arch9wavefront6targetE1EEEvT1_.private_seg_size, 0
	.set _ZN7rocprim17ROCPRIM_400000_NS6detail17trampoline_kernelINS0_14default_configENS1_20scan_config_selectorIN3c107complexIfEEEEZZNS1_9scan_implILNS1_25lookback_scan_determinismE0ELb0ELb0ES3_PKS7_PS7_S7_ZZZN2at6native31launch_logcumsumexp_cuda_kernelERKNSE_10TensorBaseESI_lENKUlvE_clEvENKUlvE2_clEvEUlS7_S7_E_S7_EEDaPvRmT3_T4_T5_mT6_P12ihipStream_tbENKUlT_T0_E_clISt17integral_constantIbLb1EESZ_EEDaSU_SV_EUlSU_E_NS1_11comp_targetILNS1_3genE0ELNS1_11target_archE4294967295ELNS1_3gpuE0ELNS1_3repE0EEENS1_30default_config_static_selectorELNS0_4arch9wavefront6targetE1EEEvT1_.uses_vcc, 0
	.set _ZN7rocprim17ROCPRIM_400000_NS6detail17trampoline_kernelINS0_14default_configENS1_20scan_config_selectorIN3c107complexIfEEEEZZNS1_9scan_implILNS1_25lookback_scan_determinismE0ELb0ELb0ES3_PKS7_PS7_S7_ZZZN2at6native31launch_logcumsumexp_cuda_kernelERKNSE_10TensorBaseESI_lENKUlvE_clEvENKUlvE2_clEvEUlS7_S7_E_S7_EEDaPvRmT3_T4_T5_mT6_P12ihipStream_tbENKUlT_T0_E_clISt17integral_constantIbLb1EESZ_EEDaSU_SV_EUlSU_E_NS1_11comp_targetILNS1_3genE0ELNS1_11target_archE4294967295ELNS1_3gpuE0ELNS1_3repE0EEENS1_30default_config_static_selectorELNS0_4arch9wavefront6targetE1EEEvT1_.uses_flat_scratch, 0
	.set _ZN7rocprim17ROCPRIM_400000_NS6detail17trampoline_kernelINS0_14default_configENS1_20scan_config_selectorIN3c107complexIfEEEEZZNS1_9scan_implILNS1_25lookback_scan_determinismE0ELb0ELb0ES3_PKS7_PS7_S7_ZZZN2at6native31launch_logcumsumexp_cuda_kernelERKNSE_10TensorBaseESI_lENKUlvE_clEvENKUlvE2_clEvEUlS7_S7_E_S7_EEDaPvRmT3_T4_T5_mT6_P12ihipStream_tbENKUlT_T0_E_clISt17integral_constantIbLb1EESZ_EEDaSU_SV_EUlSU_E_NS1_11comp_targetILNS1_3genE0ELNS1_11target_archE4294967295ELNS1_3gpuE0ELNS1_3repE0EEENS1_30default_config_static_selectorELNS0_4arch9wavefront6targetE1EEEvT1_.has_dyn_sized_stack, 0
	.set _ZN7rocprim17ROCPRIM_400000_NS6detail17trampoline_kernelINS0_14default_configENS1_20scan_config_selectorIN3c107complexIfEEEEZZNS1_9scan_implILNS1_25lookback_scan_determinismE0ELb0ELb0ES3_PKS7_PS7_S7_ZZZN2at6native31launch_logcumsumexp_cuda_kernelERKNSE_10TensorBaseESI_lENKUlvE_clEvENKUlvE2_clEvEUlS7_S7_E_S7_EEDaPvRmT3_T4_T5_mT6_P12ihipStream_tbENKUlT_T0_E_clISt17integral_constantIbLb1EESZ_EEDaSU_SV_EUlSU_E_NS1_11comp_targetILNS1_3genE0ELNS1_11target_archE4294967295ELNS1_3gpuE0ELNS1_3repE0EEENS1_30default_config_static_selectorELNS0_4arch9wavefront6targetE1EEEvT1_.has_recursion, 0
	.set _ZN7rocprim17ROCPRIM_400000_NS6detail17trampoline_kernelINS0_14default_configENS1_20scan_config_selectorIN3c107complexIfEEEEZZNS1_9scan_implILNS1_25lookback_scan_determinismE0ELb0ELb0ES3_PKS7_PS7_S7_ZZZN2at6native31launch_logcumsumexp_cuda_kernelERKNSE_10TensorBaseESI_lENKUlvE_clEvENKUlvE2_clEvEUlS7_S7_E_S7_EEDaPvRmT3_T4_T5_mT6_P12ihipStream_tbENKUlT_T0_E_clISt17integral_constantIbLb1EESZ_EEDaSU_SV_EUlSU_E_NS1_11comp_targetILNS1_3genE0ELNS1_11target_archE4294967295ELNS1_3gpuE0ELNS1_3repE0EEENS1_30default_config_static_selectorELNS0_4arch9wavefront6targetE1EEEvT1_.has_indirect_call, 0
	.section	.AMDGPU.csdata,"",@progbits
; Kernel info:
; codeLenInByte = 4
; TotalNumSgprs: 6
; NumVgprs: 0
; NumAgprs: 0
; TotalNumVgprs: 0
; ScratchSize: 0
; MemoryBound: 0
; FloatMode: 240
; IeeeMode: 1
; LDSByteSize: 0 bytes/workgroup (compile time only)
; SGPRBlocks: 0
; VGPRBlocks: 0
; NumSGPRsForWavesPerEU: 6
; NumVGPRsForWavesPerEU: 1
; AccumOffset: 4
; Occupancy: 8
; WaveLimiterHint : 0
; COMPUTE_PGM_RSRC2:SCRATCH_EN: 0
; COMPUTE_PGM_RSRC2:USER_SGPR: 2
; COMPUTE_PGM_RSRC2:TRAP_HANDLER: 0
; COMPUTE_PGM_RSRC2:TGID_X_EN: 1
; COMPUTE_PGM_RSRC2:TGID_Y_EN: 0
; COMPUTE_PGM_RSRC2:TGID_Z_EN: 0
; COMPUTE_PGM_RSRC2:TIDIG_COMP_CNT: 0
; COMPUTE_PGM_RSRC3_GFX90A:ACCUM_OFFSET: 0
; COMPUTE_PGM_RSRC3_GFX90A:TG_SPLIT: 0
	.section	.text._ZN7rocprim17ROCPRIM_400000_NS6detail17trampoline_kernelINS0_14default_configENS1_20scan_config_selectorIN3c107complexIfEEEEZZNS1_9scan_implILNS1_25lookback_scan_determinismE0ELb0ELb0ES3_PKS7_PS7_S7_ZZZN2at6native31launch_logcumsumexp_cuda_kernelERKNSE_10TensorBaseESI_lENKUlvE_clEvENKUlvE2_clEvEUlS7_S7_E_S7_EEDaPvRmT3_T4_T5_mT6_P12ihipStream_tbENKUlT_T0_E_clISt17integral_constantIbLb1EESZ_EEDaSU_SV_EUlSU_E_NS1_11comp_targetILNS1_3genE5ELNS1_11target_archE942ELNS1_3gpuE9ELNS1_3repE0EEENS1_30default_config_static_selectorELNS0_4arch9wavefront6targetE1EEEvT1_,"axG",@progbits,_ZN7rocprim17ROCPRIM_400000_NS6detail17trampoline_kernelINS0_14default_configENS1_20scan_config_selectorIN3c107complexIfEEEEZZNS1_9scan_implILNS1_25lookback_scan_determinismE0ELb0ELb0ES3_PKS7_PS7_S7_ZZZN2at6native31launch_logcumsumexp_cuda_kernelERKNSE_10TensorBaseESI_lENKUlvE_clEvENKUlvE2_clEvEUlS7_S7_E_S7_EEDaPvRmT3_T4_T5_mT6_P12ihipStream_tbENKUlT_T0_E_clISt17integral_constantIbLb1EESZ_EEDaSU_SV_EUlSU_E_NS1_11comp_targetILNS1_3genE5ELNS1_11target_archE942ELNS1_3gpuE9ELNS1_3repE0EEENS1_30default_config_static_selectorELNS0_4arch9wavefront6targetE1EEEvT1_,comdat
	.globl	_ZN7rocprim17ROCPRIM_400000_NS6detail17trampoline_kernelINS0_14default_configENS1_20scan_config_selectorIN3c107complexIfEEEEZZNS1_9scan_implILNS1_25lookback_scan_determinismE0ELb0ELb0ES3_PKS7_PS7_S7_ZZZN2at6native31launch_logcumsumexp_cuda_kernelERKNSE_10TensorBaseESI_lENKUlvE_clEvENKUlvE2_clEvEUlS7_S7_E_S7_EEDaPvRmT3_T4_T5_mT6_P12ihipStream_tbENKUlT_T0_E_clISt17integral_constantIbLb1EESZ_EEDaSU_SV_EUlSU_E_NS1_11comp_targetILNS1_3genE5ELNS1_11target_archE942ELNS1_3gpuE9ELNS1_3repE0EEENS1_30default_config_static_selectorELNS0_4arch9wavefront6targetE1EEEvT1_ ; -- Begin function _ZN7rocprim17ROCPRIM_400000_NS6detail17trampoline_kernelINS0_14default_configENS1_20scan_config_selectorIN3c107complexIfEEEEZZNS1_9scan_implILNS1_25lookback_scan_determinismE0ELb0ELb0ES3_PKS7_PS7_S7_ZZZN2at6native31launch_logcumsumexp_cuda_kernelERKNSE_10TensorBaseESI_lENKUlvE_clEvENKUlvE2_clEvEUlS7_S7_E_S7_EEDaPvRmT3_T4_T5_mT6_P12ihipStream_tbENKUlT_T0_E_clISt17integral_constantIbLb1EESZ_EEDaSU_SV_EUlSU_E_NS1_11comp_targetILNS1_3genE5ELNS1_11target_archE942ELNS1_3gpuE9ELNS1_3repE0EEENS1_30default_config_static_selectorELNS0_4arch9wavefront6targetE1EEEvT1_
	.p2align	8
	.type	_ZN7rocprim17ROCPRIM_400000_NS6detail17trampoline_kernelINS0_14default_configENS1_20scan_config_selectorIN3c107complexIfEEEEZZNS1_9scan_implILNS1_25lookback_scan_determinismE0ELb0ELb0ES3_PKS7_PS7_S7_ZZZN2at6native31launch_logcumsumexp_cuda_kernelERKNSE_10TensorBaseESI_lENKUlvE_clEvENKUlvE2_clEvEUlS7_S7_E_S7_EEDaPvRmT3_T4_T5_mT6_P12ihipStream_tbENKUlT_T0_E_clISt17integral_constantIbLb1EESZ_EEDaSU_SV_EUlSU_E_NS1_11comp_targetILNS1_3genE5ELNS1_11target_archE942ELNS1_3gpuE9ELNS1_3repE0EEENS1_30default_config_static_selectorELNS0_4arch9wavefront6targetE1EEEvT1_,@function
_ZN7rocprim17ROCPRIM_400000_NS6detail17trampoline_kernelINS0_14default_configENS1_20scan_config_selectorIN3c107complexIfEEEEZZNS1_9scan_implILNS1_25lookback_scan_determinismE0ELb0ELb0ES3_PKS7_PS7_S7_ZZZN2at6native31launch_logcumsumexp_cuda_kernelERKNSE_10TensorBaseESI_lENKUlvE_clEvENKUlvE2_clEvEUlS7_S7_E_S7_EEDaPvRmT3_T4_T5_mT6_P12ihipStream_tbENKUlT_T0_E_clISt17integral_constantIbLb1EESZ_EEDaSU_SV_EUlSU_E_NS1_11comp_targetILNS1_3genE5ELNS1_11target_archE942ELNS1_3gpuE9ELNS1_3repE0EEENS1_30default_config_static_selectorELNS0_4arch9wavefront6targetE1EEEvT1_: ; @_ZN7rocprim17ROCPRIM_400000_NS6detail17trampoline_kernelINS0_14default_configENS1_20scan_config_selectorIN3c107complexIfEEEEZZNS1_9scan_implILNS1_25lookback_scan_determinismE0ELb0ELb0ES3_PKS7_PS7_S7_ZZZN2at6native31launch_logcumsumexp_cuda_kernelERKNSE_10TensorBaseESI_lENKUlvE_clEvENKUlvE2_clEvEUlS7_S7_E_S7_EEDaPvRmT3_T4_T5_mT6_P12ihipStream_tbENKUlT_T0_E_clISt17integral_constantIbLb1EESZ_EEDaSU_SV_EUlSU_E_NS1_11comp_targetILNS1_3genE5ELNS1_11target_archE942ELNS1_3gpuE9ELNS1_3repE0EEENS1_30default_config_static_selectorELNS0_4arch9wavefront6targetE1EEEvT1_
; %bb.0:
	.section	.rodata,"a",@progbits
	.p2align	6, 0x0
	.amdhsa_kernel _ZN7rocprim17ROCPRIM_400000_NS6detail17trampoline_kernelINS0_14default_configENS1_20scan_config_selectorIN3c107complexIfEEEEZZNS1_9scan_implILNS1_25lookback_scan_determinismE0ELb0ELb0ES3_PKS7_PS7_S7_ZZZN2at6native31launch_logcumsumexp_cuda_kernelERKNSE_10TensorBaseESI_lENKUlvE_clEvENKUlvE2_clEvEUlS7_S7_E_S7_EEDaPvRmT3_T4_T5_mT6_P12ihipStream_tbENKUlT_T0_E_clISt17integral_constantIbLb1EESZ_EEDaSU_SV_EUlSU_E_NS1_11comp_targetILNS1_3genE5ELNS1_11target_archE942ELNS1_3gpuE9ELNS1_3repE0EEENS1_30default_config_static_selectorELNS0_4arch9wavefront6targetE1EEEvT1_
		.amdhsa_group_segment_fixed_size 0
		.amdhsa_private_segment_fixed_size 0
		.amdhsa_kernarg_size 104
		.amdhsa_user_sgpr_count 2
		.amdhsa_user_sgpr_dispatch_ptr 0
		.amdhsa_user_sgpr_queue_ptr 0
		.amdhsa_user_sgpr_kernarg_segment_ptr 1
		.amdhsa_user_sgpr_dispatch_id 0
		.amdhsa_user_sgpr_kernarg_preload_length 0
		.amdhsa_user_sgpr_kernarg_preload_offset 0
		.amdhsa_user_sgpr_private_segment_size 0
		.amdhsa_uses_dynamic_stack 0
		.amdhsa_enable_private_segment 0
		.amdhsa_system_sgpr_workgroup_id_x 1
		.amdhsa_system_sgpr_workgroup_id_y 0
		.amdhsa_system_sgpr_workgroup_id_z 0
		.amdhsa_system_sgpr_workgroup_info 0
		.amdhsa_system_vgpr_workitem_id 0
		.amdhsa_next_free_vgpr 1
		.amdhsa_next_free_sgpr 0
		.amdhsa_accum_offset 4
		.amdhsa_reserve_vcc 0
		.amdhsa_float_round_mode_32 0
		.amdhsa_float_round_mode_16_64 0
		.amdhsa_float_denorm_mode_32 3
		.amdhsa_float_denorm_mode_16_64 3
		.amdhsa_dx10_clamp 1
		.amdhsa_ieee_mode 1
		.amdhsa_fp16_overflow 0
		.amdhsa_tg_split 0
		.amdhsa_exception_fp_ieee_invalid_op 0
		.amdhsa_exception_fp_denorm_src 0
		.amdhsa_exception_fp_ieee_div_zero 0
		.amdhsa_exception_fp_ieee_overflow 0
		.amdhsa_exception_fp_ieee_underflow 0
		.amdhsa_exception_fp_ieee_inexact 0
		.amdhsa_exception_int_div_zero 0
	.end_amdhsa_kernel
	.section	.text._ZN7rocprim17ROCPRIM_400000_NS6detail17trampoline_kernelINS0_14default_configENS1_20scan_config_selectorIN3c107complexIfEEEEZZNS1_9scan_implILNS1_25lookback_scan_determinismE0ELb0ELb0ES3_PKS7_PS7_S7_ZZZN2at6native31launch_logcumsumexp_cuda_kernelERKNSE_10TensorBaseESI_lENKUlvE_clEvENKUlvE2_clEvEUlS7_S7_E_S7_EEDaPvRmT3_T4_T5_mT6_P12ihipStream_tbENKUlT_T0_E_clISt17integral_constantIbLb1EESZ_EEDaSU_SV_EUlSU_E_NS1_11comp_targetILNS1_3genE5ELNS1_11target_archE942ELNS1_3gpuE9ELNS1_3repE0EEENS1_30default_config_static_selectorELNS0_4arch9wavefront6targetE1EEEvT1_,"axG",@progbits,_ZN7rocprim17ROCPRIM_400000_NS6detail17trampoline_kernelINS0_14default_configENS1_20scan_config_selectorIN3c107complexIfEEEEZZNS1_9scan_implILNS1_25lookback_scan_determinismE0ELb0ELb0ES3_PKS7_PS7_S7_ZZZN2at6native31launch_logcumsumexp_cuda_kernelERKNSE_10TensorBaseESI_lENKUlvE_clEvENKUlvE2_clEvEUlS7_S7_E_S7_EEDaPvRmT3_T4_T5_mT6_P12ihipStream_tbENKUlT_T0_E_clISt17integral_constantIbLb1EESZ_EEDaSU_SV_EUlSU_E_NS1_11comp_targetILNS1_3genE5ELNS1_11target_archE942ELNS1_3gpuE9ELNS1_3repE0EEENS1_30default_config_static_selectorELNS0_4arch9wavefront6targetE1EEEvT1_,comdat
.Lfunc_end292:
	.size	_ZN7rocprim17ROCPRIM_400000_NS6detail17trampoline_kernelINS0_14default_configENS1_20scan_config_selectorIN3c107complexIfEEEEZZNS1_9scan_implILNS1_25lookback_scan_determinismE0ELb0ELb0ES3_PKS7_PS7_S7_ZZZN2at6native31launch_logcumsumexp_cuda_kernelERKNSE_10TensorBaseESI_lENKUlvE_clEvENKUlvE2_clEvEUlS7_S7_E_S7_EEDaPvRmT3_T4_T5_mT6_P12ihipStream_tbENKUlT_T0_E_clISt17integral_constantIbLb1EESZ_EEDaSU_SV_EUlSU_E_NS1_11comp_targetILNS1_3genE5ELNS1_11target_archE942ELNS1_3gpuE9ELNS1_3repE0EEENS1_30default_config_static_selectorELNS0_4arch9wavefront6targetE1EEEvT1_, .Lfunc_end292-_ZN7rocprim17ROCPRIM_400000_NS6detail17trampoline_kernelINS0_14default_configENS1_20scan_config_selectorIN3c107complexIfEEEEZZNS1_9scan_implILNS1_25lookback_scan_determinismE0ELb0ELb0ES3_PKS7_PS7_S7_ZZZN2at6native31launch_logcumsumexp_cuda_kernelERKNSE_10TensorBaseESI_lENKUlvE_clEvENKUlvE2_clEvEUlS7_S7_E_S7_EEDaPvRmT3_T4_T5_mT6_P12ihipStream_tbENKUlT_T0_E_clISt17integral_constantIbLb1EESZ_EEDaSU_SV_EUlSU_E_NS1_11comp_targetILNS1_3genE5ELNS1_11target_archE942ELNS1_3gpuE9ELNS1_3repE0EEENS1_30default_config_static_selectorELNS0_4arch9wavefront6targetE1EEEvT1_
                                        ; -- End function
	.set _ZN7rocprim17ROCPRIM_400000_NS6detail17trampoline_kernelINS0_14default_configENS1_20scan_config_selectorIN3c107complexIfEEEEZZNS1_9scan_implILNS1_25lookback_scan_determinismE0ELb0ELb0ES3_PKS7_PS7_S7_ZZZN2at6native31launch_logcumsumexp_cuda_kernelERKNSE_10TensorBaseESI_lENKUlvE_clEvENKUlvE2_clEvEUlS7_S7_E_S7_EEDaPvRmT3_T4_T5_mT6_P12ihipStream_tbENKUlT_T0_E_clISt17integral_constantIbLb1EESZ_EEDaSU_SV_EUlSU_E_NS1_11comp_targetILNS1_3genE5ELNS1_11target_archE942ELNS1_3gpuE9ELNS1_3repE0EEENS1_30default_config_static_selectorELNS0_4arch9wavefront6targetE1EEEvT1_.num_vgpr, 0
	.set _ZN7rocprim17ROCPRIM_400000_NS6detail17trampoline_kernelINS0_14default_configENS1_20scan_config_selectorIN3c107complexIfEEEEZZNS1_9scan_implILNS1_25lookback_scan_determinismE0ELb0ELb0ES3_PKS7_PS7_S7_ZZZN2at6native31launch_logcumsumexp_cuda_kernelERKNSE_10TensorBaseESI_lENKUlvE_clEvENKUlvE2_clEvEUlS7_S7_E_S7_EEDaPvRmT3_T4_T5_mT6_P12ihipStream_tbENKUlT_T0_E_clISt17integral_constantIbLb1EESZ_EEDaSU_SV_EUlSU_E_NS1_11comp_targetILNS1_3genE5ELNS1_11target_archE942ELNS1_3gpuE9ELNS1_3repE0EEENS1_30default_config_static_selectorELNS0_4arch9wavefront6targetE1EEEvT1_.num_agpr, 0
	.set _ZN7rocprim17ROCPRIM_400000_NS6detail17trampoline_kernelINS0_14default_configENS1_20scan_config_selectorIN3c107complexIfEEEEZZNS1_9scan_implILNS1_25lookback_scan_determinismE0ELb0ELb0ES3_PKS7_PS7_S7_ZZZN2at6native31launch_logcumsumexp_cuda_kernelERKNSE_10TensorBaseESI_lENKUlvE_clEvENKUlvE2_clEvEUlS7_S7_E_S7_EEDaPvRmT3_T4_T5_mT6_P12ihipStream_tbENKUlT_T0_E_clISt17integral_constantIbLb1EESZ_EEDaSU_SV_EUlSU_E_NS1_11comp_targetILNS1_3genE5ELNS1_11target_archE942ELNS1_3gpuE9ELNS1_3repE0EEENS1_30default_config_static_selectorELNS0_4arch9wavefront6targetE1EEEvT1_.numbered_sgpr, 0
	.set _ZN7rocprim17ROCPRIM_400000_NS6detail17trampoline_kernelINS0_14default_configENS1_20scan_config_selectorIN3c107complexIfEEEEZZNS1_9scan_implILNS1_25lookback_scan_determinismE0ELb0ELb0ES3_PKS7_PS7_S7_ZZZN2at6native31launch_logcumsumexp_cuda_kernelERKNSE_10TensorBaseESI_lENKUlvE_clEvENKUlvE2_clEvEUlS7_S7_E_S7_EEDaPvRmT3_T4_T5_mT6_P12ihipStream_tbENKUlT_T0_E_clISt17integral_constantIbLb1EESZ_EEDaSU_SV_EUlSU_E_NS1_11comp_targetILNS1_3genE5ELNS1_11target_archE942ELNS1_3gpuE9ELNS1_3repE0EEENS1_30default_config_static_selectorELNS0_4arch9wavefront6targetE1EEEvT1_.num_named_barrier, 0
	.set _ZN7rocprim17ROCPRIM_400000_NS6detail17trampoline_kernelINS0_14default_configENS1_20scan_config_selectorIN3c107complexIfEEEEZZNS1_9scan_implILNS1_25lookback_scan_determinismE0ELb0ELb0ES3_PKS7_PS7_S7_ZZZN2at6native31launch_logcumsumexp_cuda_kernelERKNSE_10TensorBaseESI_lENKUlvE_clEvENKUlvE2_clEvEUlS7_S7_E_S7_EEDaPvRmT3_T4_T5_mT6_P12ihipStream_tbENKUlT_T0_E_clISt17integral_constantIbLb1EESZ_EEDaSU_SV_EUlSU_E_NS1_11comp_targetILNS1_3genE5ELNS1_11target_archE942ELNS1_3gpuE9ELNS1_3repE0EEENS1_30default_config_static_selectorELNS0_4arch9wavefront6targetE1EEEvT1_.private_seg_size, 0
	.set _ZN7rocprim17ROCPRIM_400000_NS6detail17trampoline_kernelINS0_14default_configENS1_20scan_config_selectorIN3c107complexIfEEEEZZNS1_9scan_implILNS1_25lookback_scan_determinismE0ELb0ELb0ES3_PKS7_PS7_S7_ZZZN2at6native31launch_logcumsumexp_cuda_kernelERKNSE_10TensorBaseESI_lENKUlvE_clEvENKUlvE2_clEvEUlS7_S7_E_S7_EEDaPvRmT3_T4_T5_mT6_P12ihipStream_tbENKUlT_T0_E_clISt17integral_constantIbLb1EESZ_EEDaSU_SV_EUlSU_E_NS1_11comp_targetILNS1_3genE5ELNS1_11target_archE942ELNS1_3gpuE9ELNS1_3repE0EEENS1_30default_config_static_selectorELNS0_4arch9wavefront6targetE1EEEvT1_.uses_vcc, 0
	.set _ZN7rocprim17ROCPRIM_400000_NS6detail17trampoline_kernelINS0_14default_configENS1_20scan_config_selectorIN3c107complexIfEEEEZZNS1_9scan_implILNS1_25lookback_scan_determinismE0ELb0ELb0ES3_PKS7_PS7_S7_ZZZN2at6native31launch_logcumsumexp_cuda_kernelERKNSE_10TensorBaseESI_lENKUlvE_clEvENKUlvE2_clEvEUlS7_S7_E_S7_EEDaPvRmT3_T4_T5_mT6_P12ihipStream_tbENKUlT_T0_E_clISt17integral_constantIbLb1EESZ_EEDaSU_SV_EUlSU_E_NS1_11comp_targetILNS1_3genE5ELNS1_11target_archE942ELNS1_3gpuE9ELNS1_3repE0EEENS1_30default_config_static_selectorELNS0_4arch9wavefront6targetE1EEEvT1_.uses_flat_scratch, 0
	.set _ZN7rocprim17ROCPRIM_400000_NS6detail17trampoline_kernelINS0_14default_configENS1_20scan_config_selectorIN3c107complexIfEEEEZZNS1_9scan_implILNS1_25lookback_scan_determinismE0ELb0ELb0ES3_PKS7_PS7_S7_ZZZN2at6native31launch_logcumsumexp_cuda_kernelERKNSE_10TensorBaseESI_lENKUlvE_clEvENKUlvE2_clEvEUlS7_S7_E_S7_EEDaPvRmT3_T4_T5_mT6_P12ihipStream_tbENKUlT_T0_E_clISt17integral_constantIbLb1EESZ_EEDaSU_SV_EUlSU_E_NS1_11comp_targetILNS1_3genE5ELNS1_11target_archE942ELNS1_3gpuE9ELNS1_3repE0EEENS1_30default_config_static_selectorELNS0_4arch9wavefront6targetE1EEEvT1_.has_dyn_sized_stack, 0
	.set _ZN7rocprim17ROCPRIM_400000_NS6detail17trampoline_kernelINS0_14default_configENS1_20scan_config_selectorIN3c107complexIfEEEEZZNS1_9scan_implILNS1_25lookback_scan_determinismE0ELb0ELb0ES3_PKS7_PS7_S7_ZZZN2at6native31launch_logcumsumexp_cuda_kernelERKNSE_10TensorBaseESI_lENKUlvE_clEvENKUlvE2_clEvEUlS7_S7_E_S7_EEDaPvRmT3_T4_T5_mT6_P12ihipStream_tbENKUlT_T0_E_clISt17integral_constantIbLb1EESZ_EEDaSU_SV_EUlSU_E_NS1_11comp_targetILNS1_3genE5ELNS1_11target_archE942ELNS1_3gpuE9ELNS1_3repE0EEENS1_30default_config_static_selectorELNS0_4arch9wavefront6targetE1EEEvT1_.has_recursion, 0
	.set _ZN7rocprim17ROCPRIM_400000_NS6detail17trampoline_kernelINS0_14default_configENS1_20scan_config_selectorIN3c107complexIfEEEEZZNS1_9scan_implILNS1_25lookback_scan_determinismE0ELb0ELb0ES3_PKS7_PS7_S7_ZZZN2at6native31launch_logcumsumexp_cuda_kernelERKNSE_10TensorBaseESI_lENKUlvE_clEvENKUlvE2_clEvEUlS7_S7_E_S7_EEDaPvRmT3_T4_T5_mT6_P12ihipStream_tbENKUlT_T0_E_clISt17integral_constantIbLb1EESZ_EEDaSU_SV_EUlSU_E_NS1_11comp_targetILNS1_3genE5ELNS1_11target_archE942ELNS1_3gpuE9ELNS1_3repE0EEENS1_30default_config_static_selectorELNS0_4arch9wavefront6targetE1EEEvT1_.has_indirect_call, 0
	.section	.AMDGPU.csdata,"",@progbits
; Kernel info:
; codeLenInByte = 0
; TotalNumSgprs: 6
; NumVgprs: 0
; NumAgprs: 0
; TotalNumVgprs: 0
; ScratchSize: 0
; MemoryBound: 0
; FloatMode: 240
; IeeeMode: 1
; LDSByteSize: 0 bytes/workgroup (compile time only)
; SGPRBlocks: 0
; VGPRBlocks: 0
; NumSGPRsForWavesPerEU: 6
; NumVGPRsForWavesPerEU: 1
; AccumOffset: 4
; Occupancy: 8
; WaveLimiterHint : 0
; COMPUTE_PGM_RSRC2:SCRATCH_EN: 0
; COMPUTE_PGM_RSRC2:USER_SGPR: 2
; COMPUTE_PGM_RSRC2:TRAP_HANDLER: 0
; COMPUTE_PGM_RSRC2:TGID_X_EN: 1
; COMPUTE_PGM_RSRC2:TGID_Y_EN: 0
; COMPUTE_PGM_RSRC2:TGID_Z_EN: 0
; COMPUTE_PGM_RSRC2:TIDIG_COMP_CNT: 0
; COMPUTE_PGM_RSRC3_GFX90A:ACCUM_OFFSET: 0
; COMPUTE_PGM_RSRC3_GFX90A:TG_SPLIT: 0
	.section	.text._ZN7rocprim17ROCPRIM_400000_NS6detail17trampoline_kernelINS0_14default_configENS1_20scan_config_selectorIN3c107complexIfEEEEZZNS1_9scan_implILNS1_25lookback_scan_determinismE0ELb0ELb0ES3_PKS7_PS7_S7_ZZZN2at6native31launch_logcumsumexp_cuda_kernelERKNSE_10TensorBaseESI_lENKUlvE_clEvENKUlvE2_clEvEUlS7_S7_E_S7_EEDaPvRmT3_T4_T5_mT6_P12ihipStream_tbENKUlT_T0_E_clISt17integral_constantIbLb1EESZ_EEDaSU_SV_EUlSU_E_NS1_11comp_targetILNS1_3genE4ELNS1_11target_archE910ELNS1_3gpuE8ELNS1_3repE0EEENS1_30default_config_static_selectorELNS0_4arch9wavefront6targetE1EEEvT1_,"axG",@progbits,_ZN7rocprim17ROCPRIM_400000_NS6detail17trampoline_kernelINS0_14default_configENS1_20scan_config_selectorIN3c107complexIfEEEEZZNS1_9scan_implILNS1_25lookback_scan_determinismE0ELb0ELb0ES3_PKS7_PS7_S7_ZZZN2at6native31launch_logcumsumexp_cuda_kernelERKNSE_10TensorBaseESI_lENKUlvE_clEvENKUlvE2_clEvEUlS7_S7_E_S7_EEDaPvRmT3_T4_T5_mT6_P12ihipStream_tbENKUlT_T0_E_clISt17integral_constantIbLb1EESZ_EEDaSU_SV_EUlSU_E_NS1_11comp_targetILNS1_3genE4ELNS1_11target_archE910ELNS1_3gpuE8ELNS1_3repE0EEENS1_30default_config_static_selectorELNS0_4arch9wavefront6targetE1EEEvT1_,comdat
	.globl	_ZN7rocprim17ROCPRIM_400000_NS6detail17trampoline_kernelINS0_14default_configENS1_20scan_config_selectorIN3c107complexIfEEEEZZNS1_9scan_implILNS1_25lookback_scan_determinismE0ELb0ELb0ES3_PKS7_PS7_S7_ZZZN2at6native31launch_logcumsumexp_cuda_kernelERKNSE_10TensorBaseESI_lENKUlvE_clEvENKUlvE2_clEvEUlS7_S7_E_S7_EEDaPvRmT3_T4_T5_mT6_P12ihipStream_tbENKUlT_T0_E_clISt17integral_constantIbLb1EESZ_EEDaSU_SV_EUlSU_E_NS1_11comp_targetILNS1_3genE4ELNS1_11target_archE910ELNS1_3gpuE8ELNS1_3repE0EEENS1_30default_config_static_selectorELNS0_4arch9wavefront6targetE1EEEvT1_ ; -- Begin function _ZN7rocprim17ROCPRIM_400000_NS6detail17trampoline_kernelINS0_14default_configENS1_20scan_config_selectorIN3c107complexIfEEEEZZNS1_9scan_implILNS1_25lookback_scan_determinismE0ELb0ELb0ES3_PKS7_PS7_S7_ZZZN2at6native31launch_logcumsumexp_cuda_kernelERKNSE_10TensorBaseESI_lENKUlvE_clEvENKUlvE2_clEvEUlS7_S7_E_S7_EEDaPvRmT3_T4_T5_mT6_P12ihipStream_tbENKUlT_T0_E_clISt17integral_constantIbLb1EESZ_EEDaSU_SV_EUlSU_E_NS1_11comp_targetILNS1_3genE4ELNS1_11target_archE910ELNS1_3gpuE8ELNS1_3repE0EEENS1_30default_config_static_selectorELNS0_4arch9wavefront6targetE1EEEvT1_
	.p2align	8
	.type	_ZN7rocprim17ROCPRIM_400000_NS6detail17trampoline_kernelINS0_14default_configENS1_20scan_config_selectorIN3c107complexIfEEEEZZNS1_9scan_implILNS1_25lookback_scan_determinismE0ELb0ELb0ES3_PKS7_PS7_S7_ZZZN2at6native31launch_logcumsumexp_cuda_kernelERKNSE_10TensorBaseESI_lENKUlvE_clEvENKUlvE2_clEvEUlS7_S7_E_S7_EEDaPvRmT3_T4_T5_mT6_P12ihipStream_tbENKUlT_T0_E_clISt17integral_constantIbLb1EESZ_EEDaSU_SV_EUlSU_E_NS1_11comp_targetILNS1_3genE4ELNS1_11target_archE910ELNS1_3gpuE8ELNS1_3repE0EEENS1_30default_config_static_selectorELNS0_4arch9wavefront6targetE1EEEvT1_,@function
_ZN7rocprim17ROCPRIM_400000_NS6detail17trampoline_kernelINS0_14default_configENS1_20scan_config_selectorIN3c107complexIfEEEEZZNS1_9scan_implILNS1_25lookback_scan_determinismE0ELb0ELb0ES3_PKS7_PS7_S7_ZZZN2at6native31launch_logcumsumexp_cuda_kernelERKNSE_10TensorBaseESI_lENKUlvE_clEvENKUlvE2_clEvEUlS7_S7_E_S7_EEDaPvRmT3_T4_T5_mT6_P12ihipStream_tbENKUlT_T0_E_clISt17integral_constantIbLb1EESZ_EEDaSU_SV_EUlSU_E_NS1_11comp_targetILNS1_3genE4ELNS1_11target_archE910ELNS1_3gpuE8ELNS1_3repE0EEENS1_30default_config_static_selectorELNS0_4arch9wavefront6targetE1EEEvT1_: ; @_ZN7rocprim17ROCPRIM_400000_NS6detail17trampoline_kernelINS0_14default_configENS1_20scan_config_selectorIN3c107complexIfEEEEZZNS1_9scan_implILNS1_25lookback_scan_determinismE0ELb0ELb0ES3_PKS7_PS7_S7_ZZZN2at6native31launch_logcumsumexp_cuda_kernelERKNSE_10TensorBaseESI_lENKUlvE_clEvENKUlvE2_clEvEUlS7_S7_E_S7_EEDaPvRmT3_T4_T5_mT6_P12ihipStream_tbENKUlT_T0_E_clISt17integral_constantIbLb1EESZ_EEDaSU_SV_EUlSU_E_NS1_11comp_targetILNS1_3genE4ELNS1_11target_archE910ELNS1_3gpuE8ELNS1_3repE0EEENS1_30default_config_static_selectorELNS0_4arch9wavefront6targetE1EEEvT1_
; %bb.0:
	.section	.rodata,"a",@progbits
	.p2align	6, 0x0
	.amdhsa_kernel _ZN7rocprim17ROCPRIM_400000_NS6detail17trampoline_kernelINS0_14default_configENS1_20scan_config_selectorIN3c107complexIfEEEEZZNS1_9scan_implILNS1_25lookback_scan_determinismE0ELb0ELb0ES3_PKS7_PS7_S7_ZZZN2at6native31launch_logcumsumexp_cuda_kernelERKNSE_10TensorBaseESI_lENKUlvE_clEvENKUlvE2_clEvEUlS7_S7_E_S7_EEDaPvRmT3_T4_T5_mT6_P12ihipStream_tbENKUlT_T0_E_clISt17integral_constantIbLb1EESZ_EEDaSU_SV_EUlSU_E_NS1_11comp_targetILNS1_3genE4ELNS1_11target_archE910ELNS1_3gpuE8ELNS1_3repE0EEENS1_30default_config_static_selectorELNS0_4arch9wavefront6targetE1EEEvT1_
		.amdhsa_group_segment_fixed_size 0
		.amdhsa_private_segment_fixed_size 0
		.amdhsa_kernarg_size 104
		.amdhsa_user_sgpr_count 2
		.amdhsa_user_sgpr_dispatch_ptr 0
		.amdhsa_user_sgpr_queue_ptr 0
		.amdhsa_user_sgpr_kernarg_segment_ptr 1
		.amdhsa_user_sgpr_dispatch_id 0
		.amdhsa_user_sgpr_kernarg_preload_length 0
		.amdhsa_user_sgpr_kernarg_preload_offset 0
		.amdhsa_user_sgpr_private_segment_size 0
		.amdhsa_uses_dynamic_stack 0
		.amdhsa_enable_private_segment 0
		.amdhsa_system_sgpr_workgroup_id_x 1
		.amdhsa_system_sgpr_workgroup_id_y 0
		.amdhsa_system_sgpr_workgroup_id_z 0
		.amdhsa_system_sgpr_workgroup_info 0
		.amdhsa_system_vgpr_workitem_id 0
		.amdhsa_next_free_vgpr 1
		.amdhsa_next_free_sgpr 0
		.amdhsa_accum_offset 4
		.amdhsa_reserve_vcc 0
		.amdhsa_float_round_mode_32 0
		.amdhsa_float_round_mode_16_64 0
		.amdhsa_float_denorm_mode_32 3
		.amdhsa_float_denorm_mode_16_64 3
		.amdhsa_dx10_clamp 1
		.amdhsa_ieee_mode 1
		.amdhsa_fp16_overflow 0
		.amdhsa_tg_split 0
		.amdhsa_exception_fp_ieee_invalid_op 0
		.amdhsa_exception_fp_denorm_src 0
		.amdhsa_exception_fp_ieee_div_zero 0
		.amdhsa_exception_fp_ieee_overflow 0
		.amdhsa_exception_fp_ieee_underflow 0
		.amdhsa_exception_fp_ieee_inexact 0
		.amdhsa_exception_int_div_zero 0
	.end_amdhsa_kernel
	.section	.text._ZN7rocprim17ROCPRIM_400000_NS6detail17trampoline_kernelINS0_14default_configENS1_20scan_config_selectorIN3c107complexIfEEEEZZNS1_9scan_implILNS1_25lookback_scan_determinismE0ELb0ELb0ES3_PKS7_PS7_S7_ZZZN2at6native31launch_logcumsumexp_cuda_kernelERKNSE_10TensorBaseESI_lENKUlvE_clEvENKUlvE2_clEvEUlS7_S7_E_S7_EEDaPvRmT3_T4_T5_mT6_P12ihipStream_tbENKUlT_T0_E_clISt17integral_constantIbLb1EESZ_EEDaSU_SV_EUlSU_E_NS1_11comp_targetILNS1_3genE4ELNS1_11target_archE910ELNS1_3gpuE8ELNS1_3repE0EEENS1_30default_config_static_selectorELNS0_4arch9wavefront6targetE1EEEvT1_,"axG",@progbits,_ZN7rocprim17ROCPRIM_400000_NS6detail17trampoline_kernelINS0_14default_configENS1_20scan_config_selectorIN3c107complexIfEEEEZZNS1_9scan_implILNS1_25lookback_scan_determinismE0ELb0ELb0ES3_PKS7_PS7_S7_ZZZN2at6native31launch_logcumsumexp_cuda_kernelERKNSE_10TensorBaseESI_lENKUlvE_clEvENKUlvE2_clEvEUlS7_S7_E_S7_EEDaPvRmT3_T4_T5_mT6_P12ihipStream_tbENKUlT_T0_E_clISt17integral_constantIbLb1EESZ_EEDaSU_SV_EUlSU_E_NS1_11comp_targetILNS1_3genE4ELNS1_11target_archE910ELNS1_3gpuE8ELNS1_3repE0EEENS1_30default_config_static_selectorELNS0_4arch9wavefront6targetE1EEEvT1_,comdat
.Lfunc_end293:
	.size	_ZN7rocprim17ROCPRIM_400000_NS6detail17trampoline_kernelINS0_14default_configENS1_20scan_config_selectorIN3c107complexIfEEEEZZNS1_9scan_implILNS1_25lookback_scan_determinismE0ELb0ELb0ES3_PKS7_PS7_S7_ZZZN2at6native31launch_logcumsumexp_cuda_kernelERKNSE_10TensorBaseESI_lENKUlvE_clEvENKUlvE2_clEvEUlS7_S7_E_S7_EEDaPvRmT3_T4_T5_mT6_P12ihipStream_tbENKUlT_T0_E_clISt17integral_constantIbLb1EESZ_EEDaSU_SV_EUlSU_E_NS1_11comp_targetILNS1_3genE4ELNS1_11target_archE910ELNS1_3gpuE8ELNS1_3repE0EEENS1_30default_config_static_selectorELNS0_4arch9wavefront6targetE1EEEvT1_, .Lfunc_end293-_ZN7rocprim17ROCPRIM_400000_NS6detail17trampoline_kernelINS0_14default_configENS1_20scan_config_selectorIN3c107complexIfEEEEZZNS1_9scan_implILNS1_25lookback_scan_determinismE0ELb0ELb0ES3_PKS7_PS7_S7_ZZZN2at6native31launch_logcumsumexp_cuda_kernelERKNSE_10TensorBaseESI_lENKUlvE_clEvENKUlvE2_clEvEUlS7_S7_E_S7_EEDaPvRmT3_T4_T5_mT6_P12ihipStream_tbENKUlT_T0_E_clISt17integral_constantIbLb1EESZ_EEDaSU_SV_EUlSU_E_NS1_11comp_targetILNS1_3genE4ELNS1_11target_archE910ELNS1_3gpuE8ELNS1_3repE0EEENS1_30default_config_static_selectorELNS0_4arch9wavefront6targetE1EEEvT1_
                                        ; -- End function
	.set _ZN7rocprim17ROCPRIM_400000_NS6detail17trampoline_kernelINS0_14default_configENS1_20scan_config_selectorIN3c107complexIfEEEEZZNS1_9scan_implILNS1_25lookback_scan_determinismE0ELb0ELb0ES3_PKS7_PS7_S7_ZZZN2at6native31launch_logcumsumexp_cuda_kernelERKNSE_10TensorBaseESI_lENKUlvE_clEvENKUlvE2_clEvEUlS7_S7_E_S7_EEDaPvRmT3_T4_T5_mT6_P12ihipStream_tbENKUlT_T0_E_clISt17integral_constantIbLb1EESZ_EEDaSU_SV_EUlSU_E_NS1_11comp_targetILNS1_3genE4ELNS1_11target_archE910ELNS1_3gpuE8ELNS1_3repE0EEENS1_30default_config_static_selectorELNS0_4arch9wavefront6targetE1EEEvT1_.num_vgpr, 0
	.set _ZN7rocprim17ROCPRIM_400000_NS6detail17trampoline_kernelINS0_14default_configENS1_20scan_config_selectorIN3c107complexIfEEEEZZNS1_9scan_implILNS1_25lookback_scan_determinismE0ELb0ELb0ES3_PKS7_PS7_S7_ZZZN2at6native31launch_logcumsumexp_cuda_kernelERKNSE_10TensorBaseESI_lENKUlvE_clEvENKUlvE2_clEvEUlS7_S7_E_S7_EEDaPvRmT3_T4_T5_mT6_P12ihipStream_tbENKUlT_T0_E_clISt17integral_constantIbLb1EESZ_EEDaSU_SV_EUlSU_E_NS1_11comp_targetILNS1_3genE4ELNS1_11target_archE910ELNS1_3gpuE8ELNS1_3repE0EEENS1_30default_config_static_selectorELNS0_4arch9wavefront6targetE1EEEvT1_.num_agpr, 0
	.set _ZN7rocprim17ROCPRIM_400000_NS6detail17trampoline_kernelINS0_14default_configENS1_20scan_config_selectorIN3c107complexIfEEEEZZNS1_9scan_implILNS1_25lookback_scan_determinismE0ELb0ELb0ES3_PKS7_PS7_S7_ZZZN2at6native31launch_logcumsumexp_cuda_kernelERKNSE_10TensorBaseESI_lENKUlvE_clEvENKUlvE2_clEvEUlS7_S7_E_S7_EEDaPvRmT3_T4_T5_mT6_P12ihipStream_tbENKUlT_T0_E_clISt17integral_constantIbLb1EESZ_EEDaSU_SV_EUlSU_E_NS1_11comp_targetILNS1_3genE4ELNS1_11target_archE910ELNS1_3gpuE8ELNS1_3repE0EEENS1_30default_config_static_selectorELNS0_4arch9wavefront6targetE1EEEvT1_.numbered_sgpr, 0
	.set _ZN7rocprim17ROCPRIM_400000_NS6detail17trampoline_kernelINS0_14default_configENS1_20scan_config_selectorIN3c107complexIfEEEEZZNS1_9scan_implILNS1_25lookback_scan_determinismE0ELb0ELb0ES3_PKS7_PS7_S7_ZZZN2at6native31launch_logcumsumexp_cuda_kernelERKNSE_10TensorBaseESI_lENKUlvE_clEvENKUlvE2_clEvEUlS7_S7_E_S7_EEDaPvRmT3_T4_T5_mT6_P12ihipStream_tbENKUlT_T0_E_clISt17integral_constantIbLb1EESZ_EEDaSU_SV_EUlSU_E_NS1_11comp_targetILNS1_3genE4ELNS1_11target_archE910ELNS1_3gpuE8ELNS1_3repE0EEENS1_30default_config_static_selectorELNS0_4arch9wavefront6targetE1EEEvT1_.num_named_barrier, 0
	.set _ZN7rocprim17ROCPRIM_400000_NS6detail17trampoline_kernelINS0_14default_configENS1_20scan_config_selectorIN3c107complexIfEEEEZZNS1_9scan_implILNS1_25lookback_scan_determinismE0ELb0ELb0ES3_PKS7_PS7_S7_ZZZN2at6native31launch_logcumsumexp_cuda_kernelERKNSE_10TensorBaseESI_lENKUlvE_clEvENKUlvE2_clEvEUlS7_S7_E_S7_EEDaPvRmT3_T4_T5_mT6_P12ihipStream_tbENKUlT_T0_E_clISt17integral_constantIbLb1EESZ_EEDaSU_SV_EUlSU_E_NS1_11comp_targetILNS1_3genE4ELNS1_11target_archE910ELNS1_3gpuE8ELNS1_3repE0EEENS1_30default_config_static_selectorELNS0_4arch9wavefront6targetE1EEEvT1_.private_seg_size, 0
	.set _ZN7rocprim17ROCPRIM_400000_NS6detail17trampoline_kernelINS0_14default_configENS1_20scan_config_selectorIN3c107complexIfEEEEZZNS1_9scan_implILNS1_25lookback_scan_determinismE0ELb0ELb0ES3_PKS7_PS7_S7_ZZZN2at6native31launch_logcumsumexp_cuda_kernelERKNSE_10TensorBaseESI_lENKUlvE_clEvENKUlvE2_clEvEUlS7_S7_E_S7_EEDaPvRmT3_T4_T5_mT6_P12ihipStream_tbENKUlT_T0_E_clISt17integral_constantIbLb1EESZ_EEDaSU_SV_EUlSU_E_NS1_11comp_targetILNS1_3genE4ELNS1_11target_archE910ELNS1_3gpuE8ELNS1_3repE0EEENS1_30default_config_static_selectorELNS0_4arch9wavefront6targetE1EEEvT1_.uses_vcc, 0
	.set _ZN7rocprim17ROCPRIM_400000_NS6detail17trampoline_kernelINS0_14default_configENS1_20scan_config_selectorIN3c107complexIfEEEEZZNS1_9scan_implILNS1_25lookback_scan_determinismE0ELb0ELb0ES3_PKS7_PS7_S7_ZZZN2at6native31launch_logcumsumexp_cuda_kernelERKNSE_10TensorBaseESI_lENKUlvE_clEvENKUlvE2_clEvEUlS7_S7_E_S7_EEDaPvRmT3_T4_T5_mT6_P12ihipStream_tbENKUlT_T0_E_clISt17integral_constantIbLb1EESZ_EEDaSU_SV_EUlSU_E_NS1_11comp_targetILNS1_3genE4ELNS1_11target_archE910ELNS1_3gpuE8ELNS1_3repE0EEENS1_30default_config_static_selectorELNS0_4arch9wavefront6targetE1EEEvT1_.uses_flat_scratch, 0
	.set _ZN7rocprim17ROCPRIM_400000_NS6detail17trampoline_kernelINS0_14default_configENS1_20scan_config_selectorIN3c107complexIfEEEEZZNS1_9scan_implILNS1_25lookback_scan_determinismE0ELb0ELb0ES3_PKS7_PS7_S7_ZZZN2at6native31launch_logcumsumexp_cuda_kernelERKNSE_10TensorBaseESI_lENKUlvE_clEvENKUlvE2_clEvEUlS7_S7_E_S7_EEDaPvRmT3_T4_T5_mT6_P12ihipStream_tbENKUlT_T0_E_clISt17integral_constantIbLb1EESZ_EEDaSU_SV_EUlSU_E_NS1_11comp_targetILNS1_3genE4ELNS1_11target_archE910ELNS1_3gpuE8ELNS1_3repE0EEENS1_30default_config_static_selectorELNS0_4arch9wavefront6targetE1EEEvT1_.has_dyn_sized_stack, 0
	.set _ZN7rocprim17ROCPRIM_400000_NS6detail17trampoline_kernelINS0_14default_configENS1_20scan_config_selectorIN3c107complexIfEEEEZZNS1_9scan_implILNS1_25lookback_scan_determinismE0ELb0ELb0ES3_PKS7_PS7_S7_ZZZN2at6native31launch_logcumsumexp_cuda_kernelERKNSE_10TensorBaseESI_lENKUlvE_clEvENKUlvE2_clEvEUlS7_S7_E_S7_EEDaPvRmT3_T4_T5_mT6_P12ihipStream_tbENKUlT_T0_E_clISt17integral_constantIbLb1EESZ_EEDaSU_SV_EUlSU_E_NS1_11comp_targetILNS1_3genE4ELNS1_11target_archE910ELNS1_3gpuE8ELNS1_3repE0EEENS1_30default_config_static_selectorELNS0_4arch9wavefront6targetE1EEEvT1_.has_recursion, 0
	.set _ZN7rocprim17ROCPRIM_400000_NS6detail17trampoline_kernelINS0_14default_configENS1_20scan_config_selectorIN3c107complexIfEEEEZZNS1_9scan_implILNS1_25lookback_scan_determinismE0ELb0ELb0ES3_PKS7_PS7_S7_ZZZN2at6native31launch_logcumsumexp_cuda_kernelERKNSE_10TensorBaseESI_lENKUlvE_clEvENKUlvE2_clEvEUlS7_S7_E_S7_EEDaPvRmT3_T4_T5_mT6_P12ihipStream_tbENKUlT_T0_E_clISt17integral_constantIbLb1EESZ_EEDaSU_SV_EUlSU_E_NS1_11comp_targetILNS1_3genE4ELNS1_11target_archE910ELNS1_3gpuE8ELNS1_3repE0EEENS1_30default_config_static_selectorELNS0_4arch9wavefront6targetE1EEEvT1_.has_indirect_call, 0
	.section	.AMDGPU.csdata,"",@progbits
; Kernel info:
; codeLenInByte = 0
; TotalNumSgprs: 6
; NumVgprs: 0
; NumAgprs: 0
; TotalNumVgprs: 0
; ScratchSize: 0
; MemoryBound: 0
; FloatMode: 240
; IeeeMode: 1
; LDSByteSize: 0 bytes/workgroup (compile time only)
; SGPRBlocks: 0
; VGPRBlocks: 0
; NumSGPRsForWavesPerEU: 6
; NumVGPRsForWavesPerEU: 1
; AccumOffset: 4
; Occupancy: 8
; WaveLimiterHint : 0
; COMPUTE_PGM_RSRC2:SCRATCH_EN: 0
; COMPUTE_PGM_RSRC2:USER_SGPR: 2
; COMPUTE_PGM_RSRC2:TRAP_HANDLER: 0
; COMPUTE_PGM_RSRC2:TGID_X_EN: 1
; COMPUTE_PGM_RSRC2:TGID_Y_EN: 0
; COMPUTE_PGM_RSRC2:TGID_Z_EN: 0
; COMPUTE_PGM_RSRC2:TIDIG_COMP_CNT: 0
; COMPUTE_PGM_RSRC3_GFX90A:ACCUM_OFFSET: 0
; COMPUTE_PGM_RSRC3_GFX90A:TG_SPLIT: 0
	.section	.text._ZN7rocprim17ROCPRIM_400000_NS6detail17trampoline_kernelINS0_14default_configENS1_20scan_config_selectorIN3c107complexIfEEEEZZNS1_9scan_implILNS1_25lookback_scan_determinismE0ELb0ELb0ES3_PKS7_PS7_S7_ZZZN2at6native31launch_logcumsumexp_cuda_kernelERKNSE_10TensorBaseESI_lENKUlvE_clEvENKUlvE2_clEvEUlS7_S7_E_S7_EEDaPvRmT3_T4_T5_mT6_P12ihipStream_tbENKUlT_T0_E_clISt17integral_constantIbLb1EESZ_EEDaSU_SV_EUlSU_E_NS1_11comp_targetILNS1_3genE3ELNS1_11target_archE908ELNS1_3gpuE7ELNS1_3repE0EEENS1_30default_config_static_selectorELNS0_4arch9wavefront6targetE1EEEvT1_,"axG",@progbits,_ZN7rocprim17ROCPRIM_400000_NS6detail17trampoline_kernelINS0_14default_configENS1_20scan_config_selectorIN3c107complexIfEEEEZZNS1_9scan_implILNS1_25lookback_scan_determinismE0ELb0ELb0ES3_PKS7_PS7_S7_ZZZN2at6native31launch_logcumsumexp_cuda_kernelERKNSE_10TensorBaseESI_lENKUlvE_clEvENKUlvE2_clEvEUlS7_S7_E_S7_EEDaPvRmT3_T4_T5_mT6_P12ihipStream_tbENKUlT_T0_E_clISt17integral_constantIbLb1EESZ_EEDaSU_SV_EUlSU_E_NS1_11comp_targetILNS1_3genE3ELNS1_11target_archE908ELNS1_3gpuE7ELNS1_3repE0EEENS1_30default_config_static_selectorELNS0_4arch9wavefront6targetE1EEEvT1_,comdat
	.globl	_ZN7rocprim17ROCPRIM_400000_NS6detail17trampoline_kernelINS0_14default_configENS1_20scan_config_selectorIN3c107complexIfEEEEZZNS1_9scan_implILNS1_25lookback_scan_determinismE0ELb0ELb0ES3_PKS7_PS7_S7_ZZZN2at6native31launch_logcumsumexp_cuda_kernelERKNSE_10TensorBaseESI_lENKUlvE_clEvENKUlvE2_clEvEUlS7_S7_E_S7_EEDaPvRmT3_T4_T5_mT6_P12ihipStream_tbENKUlT_T0_E_clISt17integral_constantIbLb1EESZ_EEDaSU_SV_EUlSU_E_NS1_11comp_targetILNS1_3genE3ELNS1_11target_archE908ELNS1_3gpuE7ELNS1_3repE0EEENS1_30default_config_static_selectorELNS0_4arch9wavefront6targetE1EEEvT1_ ; -- Begin function _ZN7rocprim17ROCPRIM_400000_NS6detail17trampoline_kernelINS0_14default_configENS1_20scan_config_selectorIN3c107complexIfEEEEZZNS1_9scan_implILNS1_25lookback_scan_determinismE0ELb0ELb0ES3_PKS7_PS7_S7_ZZZN2at6native31launch_logcumsumexp_cuda_kernelERKNSE_10TensorBaseESI_lENKUlvE_clEvENKUlvE2_clEvEUlS7_S7_E_S7_EEDaPvRmT3_T4_T5_mT6_P12ihipStream_tbENKUlT_T0_E_clISt17integral_constantIbLb1EESZ_EEDaSU_SV_EUlSU_E_NS1_11comp_targetILNS1_3genE3ELNS1_11target_archE908ELNS1_3gpuE7ELNS1_3repE0EEENS1_30default_config_static_selectorELNS0_4arch9wavefront6targetE1EEEvT1_
	.p2align	8
	.type	_ZN7rocprim17ROCPRIM_400000_NS6detail17trampoline_kernelINS0_14default_configENS1_20scan_config_selectorIN3c107complexIfEEEEZZNS1_9scan_implILNS1_25lookback_scan_determinismE0ELb0ELb0ES3_PKS7_PS7_S7_ZZZN2at6native31launch_logcumsumexp_cuda_kernelERKNSE_10TensorBaseESI_lENKUlvE_clEvENKUlvE2_clEvEUlS7_S7_E_S7_EEDaPvRmT3_T4_T5_mT6_P12ihipStream_tbENKUlT_T0_E_clISt17integral_constantIbLb1EESZ_EEDaSU_SV_EUlSU_E_NS1_11comp_targetILNS1_3genE3ELNS1_11target_archE908ELNS1_3gpuE7ELNS1_3repE0EEENS1_30default_config_static_selectorELNS0_4arch9wavefront6targetE1EEEvT1_,@function
_ZN7rocprim17ROCPRIM_400000_NS6detail17trampoline_kernelINS0_14default_configENS1_20scan_config_selectorIN3c107complexIfEEEEZZNS1_9scan_implILNS1_25lookback_scan_determinismE0ELb0ELb0ES3_PKS7_PS7_S7_ZZZN2at6native31launch_logcumsumexp_cuda_kernelERKNSE_10TensorBaseESI_lENKUlvE_clEvENKUlvE2_clEvEUlS7_S7_E_S7_EEDaPvRmT3_T4_T5_mT6_P12ihipStream_tbENKUlT_T0_E_clISt17integral_constantIbLb1EESZ_EEDaSU_SV_EUlSU_E_NS1_11comp_targetILNS1_3genE3ELNS1_11target_archE908ELNS1_3gpuE7ELNS1_3repE0EEENS1_30default_config_static_selectorELNS0_4arch9wavefront6targetE1EEEvT1_: ; @_ZN7rocprim17ROCPRIM_400000_NS6detail17trampoline_kernelINS0_14default_configENS1_20scan_config_selectorIN3c107complexIfEEEEZZNS1_9scan_implILNS1_25lookback_scan_determinismE0ELb0ELb0ES3_PKS7_PS7_S7_ZZZN2at6native31launch_logcumsumexp_cuda_kernelERKNSE_10TensorBaseESI_lENKUlvE_clEvENKUlvE2_clEvEUlS7_S7_E_S7_EEDaPvRmT3_T4_T5_mT6_P12ihipStream_tbENKUlT_T0_E_clISt17integral_constantIbLb1EESZ_EEDaSU_SV_EUlSU_E_NS1_11comp_targetILNS1_3genE3ELNS1_11target_archE908ELNS1_3gpuE7ELNS1_3repE0EEENS1_30default_config_static_selectorELNS0_4arch9wavefront6targetE1EEEvT1_
; %bb.0:
	.section	.rodata,"a",@progbits
	.p2align	6, 0x0
	.amdhsa_kernel _ZN7rocprim17ROCPRIM_400000_NS6detail17trampoline_kernelINS0_14default_configENS1_20scan_config_selectorIN3c107complexIfEEEEZZNS1_9scan_implILNS1_25lookback_scan_determinismE0ELb0ELb0ES3_PKS7_PS7_S7_ZZZN2at6native31launch_logcumsumexp_cuda_kernelERKNSE_10TensorBaseESI_lENKUlvE_clEvENKUlvE2_clEvEUlS7_S7_E_S7_EEDaPvRmT3_T4_T5_mT6_P12ihipStream_tbENKUlT_T0_E_clISt17integral_constantIbLb1EESZ_EEDaSU_SV_EUlSU_E_NS1_11comp_targetILNS1_3genE3ELNS1_11target_archE908ELNS1_3gpuE7ELNS1_3repE0EEENS1_30default_config_static_selectorELNS0_4arch9wavefront6targetE1EEEvT1_
		.amdhsa_group_segment_fixed_size 0
		.amdhsa_private_segment_fixed_size 0
		.amdhsa_kernarg_size 104
		.amdhsa_user_sgpr_count 2
		.amdhsa_user_sgpr_dispatch_ptr 0
		.amdhsa_user_sgpr_queue_ptr 0
		.amdhsa_user_sgpr_kernarg_segment_ptr 1
		.amdhsa_user_sgpr_dispatch_id 0
		.amdhsa_user_sgpr_kernarg_preload_length 0
		.amdhsa_user_sgpr_kernarg_preload_offset 0
		.amdhsa_user_sgpr_private_segment_size 0
		.amdhsa_uses_dynamic_stack 0
		.amdhsa_enable_private_segment 0
		.amdhsa_system_sgpr_workgroup_id_x 1
		.amdhsa_system_sgpr_workgroup_id_y 0
		.amdhsa_system_sgpr_workgroup_id_z 0
		.amdhsa_system_sgpr_workgroup_info 0
		.amdhsa_system_vgpr_workitem_id 0
		.amdhsa_next_free_vgpr 1
		.amdhsa_next_free_sgpr 0
		.amdhsa_accum_offset 4
		.amdhsa_reserve_vcc 0
		.amdhsa_float_round_mode_32 0
		.amdhsa_float_round_mode_16_64 0
		.amdhsa_float_denorm_mode_32 3
		.amdhsa_float_denorm_mode_16_64 3
		.amdhsa_dx10_clamp 1
		.amdhsa_ieee_mode 1
		.amdhsa_fp16_overflow 0
		.amdhsa_tg_split 0
		.amdhsa_exception_fp_ieee_invalid_op 0
		.amdhsa_exception_fp_denorm_src 0
		.amdhsa_exception_fp_ieee_div_zero 0
		.amdhsa_exception_fp_ieee_overflow 0
		.amdhsa_exception_fp_ieee_underflow 0
		.amdhsa_exception_fp_ieee_inexact 0
		.amdhsa_exception_int_div_zero 0
	.end_amdhsa_kernel
	.section	.text._ZN7rocprim17ROCPRIM_400000_NS6detail17trampoline_kernelINS0_14default_configENS1_20scan_config_selectorIN3c107complexIfEEEEZZNS1_9scan_implILNS1_25lookback_scan_determinismE0ELb0ELb0ES3_PKS7_PS7_S7_ZZZN2at6native31launch_logcumsumexp_cuda_kernelERKNSE_10TensorBaseESI_lENKUlvE_clEvENKUlvE2_clEvEUlS7_S7_E_S7_EEDaPvRmT3_T4_T5_mT6_P12ihipStream_tbENKUlT_T0_E_clISt17integral_constantIbLb1EESZ_EEDaSU_SV_EUlSU_E_NS1_11comp_targetILNS1_3genE3ELNS1_11target_archE908ELNS1_3gpuE7ELNS1_3repE0EEENS1_30default_config_static_selectorELNS0_4arch9wavefront6targetE1EEEvT1_,"axG",@progbits,_ZN7rocprim17ROCPRIM_400000_NS6detail17trampoline_kernelINS0_14default_configENS1_20scan_config_selectorIN3c107complexIfEEEEZZNS1_9scan_implILNS1_25lookback_scan_determinismE0ELb0ELb0ES3_PKS7_PS7_S7_ZZZN2at6native31launch_logcumsumexp_cuda_kernelERKNSE_10TensorBaseESI_lENKUlvE_clEvENKUlvE2_clEvEUlS7_S7_E_S7_EEDaPvRmT3_T4_T5_mT6_P12ihipStream_tbENKUlT_T0_E_clISt17integral_constantIbLb1EESZ_EEDaSU_SV_EUlSU_E_NS1_11comp_targetILNS1_3genE3ELNS1_11target_archE908ELNS1_3gpuE7ELNS1_3repE0EEENS1_30default_config_static_selectorELNS0_4arch9wavefront6targetE1EEEvT1_,comdat
.Lfunc_end294:
	.size	_ZN7rocprim17ROCPRIM_400000_NS6detail17trampoline_kernelINS0_14default_configENS1_20scan_config_selectorIN3c107complexIfEEEEZZNS1_9scan_implILNS1_25lookback_scan_determinismE0ELb0ELb0ES3_PKS7_PS7_S7_ZZZN2at6native31launch_logcumsumexp_cuda_kernelERKNSE_10TensorBaseESI_lENKUlvE_clEvENKUlvE2_clEvEUlS7_S7_E_S7_EEDaPvRmT3_T4_T5_mT6_P12ihipStream_tbENKUlT_T0_E_clISt17integral_constantIbLb1EESZ_EEDaSU_SV_EUlSU_E_NS1_11comp_targetILNS1_3genE3ELNS1_11target_archE908ELNS1_3gpuE7ELNS1_3repE0EEENS1_30default_config_static_selectorELNS0_4arch9wavefront6targetE1EEEvT1_, .Lfunc_end294-_ZN7rocprim17ROCPRIM_400000_NS6detail17trampoline_kernelINS0_14default_configENS1_20scan_config_selectorIN3c107complexIfEEEEZZNS1_9scan_implILNS1_25lookback_scan_determinismE0ELb0ELb0ES3_PKS7_PS7_S7_ZZZN2at6native31launch_logcumsumexp_cuda_kernelERKNSE_10TensorBaseESI_lENKUlvE_clEvENKUlvE2_clEvEUlS7_S7_E_S7_EEDaPvRmT3_T4_T5_mT6_P12ihipStream_tbENKUlT_T0_E_clISt17integral_constantIbLb1EESZ_EEDaSU_SV_EUlSU_E_NS1_11comp_targetILNS1_3genE3ELNS1_11target_archE908ELNS1_3gpuE7ELNS1_3repE0EEENS1_30default_config_static_selectorELNS0_4arch9wavefront6targetE1EEEvT1_
                                        ; -- End function
	.set _ZN7rocprim17ROCPRIM_400000_NS6detail17trampoline_kernelINS0_14default_configENS1_20scan_config_selectorIN3c107complexIfEEEEZZNS1_9scan_implILNS1_25lookback_scan_determinismE0ELb0ELb0ES3_PKS7_PS7_S7_ZZZN2at6native31launch_logcumsumexp_cuda_kernelERKNSE_10TensorBaseESI_lENKUlvE_clEvENKUlvE2_clEvEUlS7_S7_E_S7_EEDaPvRmT3_T4_T5_mT6_P12ihipStream_tbENKUlT_T0_E_clISt17integral_constantIbLb1EESZ_EEDaSU_SV_EUlSU_E_NS1_11comp_targetILNS1_3genE3ELNS1_11target_archE908ELNS1_3gpuE7ELNS1_3repE0EEENS1_30default_config_static_selectorELNS0_4arch9wavefront6targetE1EEEvT1_.num_vgpr, 0
	.set _ZN7rocprim17ROCPRIM_400000_NS6detail17trampoline_kernelINS0_14default_configENS1_20scan_config_selectorIN3c107complexIfEEEEZZNS1_9scan_implILNS1_25lookback_scan_determinismE0ELb0ELb0ES3_PKS7_PS7_S7_ZZZN2at6native31launch_logcumsumexp_cuda_kernelERKNSE_10TensorBaseESI_lENKUlvE_clEvENKUlvE2_clEvEUlS7_S7_E_S7_EEDaPvRmT3_T4_T5_mT6_P12ihipStream_tbENKUlT_T0_E_clISt17integral_constantIbLb1EESZ_EEDaSU_SV_EUlSU_E_NS1_11comp_targetILNS1_3genE3ELNS1_11target_archE908ELNS1_3gpuE7ELNS1_3repE0EEENS1_30default_config_static_selectorELNS0_4arch9wavefront6targetE1EEEvT1_.num_agpr, 0
	.set _ZN7rocprim17ROCPRIM_400000_NS6detail17trampoline_kernelINS0_14default_configENS1_20scan_config_selectorIN3c107complexIfEEEEZZNS1_9scan_implILNS1_25lookback_scan_determinismE0ELb0ELb0ES3_PKS7_PS7_S7_ZZZN2at6native31launch_logcumsumexp_cuda_kernelERKNSE_10TensorBaseESI_lENKUlvE_clEvENKUlvE2_clEvEUlS7_S7_E_S7_EEDaPvRmT3_T4_T5_mT6_P12ihipStream_tbENKUlT_T0_E_clISt17integral_constantIbLb1EESZ_EEDaSU_SV_EUlSU_E_NS1_11comp_targetILNS1_3genE3ELNS1_11target_archE908ELNS1_3gpuE7ELNS1_3repE0EEENS1_30default_config_static_selectorELNS0_4arch9wavefront6targetE1EEEvT1_.numbered_sgpr, 0
	.set _ZN7rocprim17ROCPRIM_400000_NS6detail17trampoline_kernelINS0_14default_configENS1_20scan_config_selectorIN3c107complexIfEEEEZZNS1_9scan_implILNS1_25lookback_scan_determinismE0ELb0ELb0ES3_PKS7_PS7_S7_ZZZN2at6native31launch_logcumsumexp_cuda_kernelERKNSE_10TensorBaseESI_lENKUlvE_clEvENKUlvE2_clEvEUlS7_S7_E_S7_EEDaPvRmT3_T4_T5_mT6_P12ihipStream_tbENKUlT_T0_E_clISt17integral_constantIbLb1EESZ_EEDaSU_SV_EUlSU_E_NS1_11comp_targetILNS1_3genE3ELNS1_11target_archE908ELNS1_3gpuE7ELNS1_3repE0EEENS1_30default_config_static_selectorELNS0_4arch9wavefront6targetE1EEEvT1_.num_named_barrier, 0
	.set _ZN7rocprim17ROCPRIM_400000_NS6detail17trampoline_kernelINS0_14default_configENS1_20scan_config_selectorIN3c107complexIfEEEEZZNS1_9scan_implILNS1_25lookback_scan_determinismE0ELb0ELb0ES3_PKS7_PS7_S7_ZZZN2at6native31launch_logcumsumexp_cuda_kernelERKNSE_10TensorBaseESI_lENKUlvE_clEvENKUlvE2_clEvEUlS7_S7_E_S7_EEDaPvRmT3_T4_T5_mT6_P12ihipStream_tbENKUlT_T0_E_clISt17integral_constantIbLb1EESZ_EEDaSU_SV_EUlSU_E_NS1_11comp_targetILNS1_3genE3ELNS1_11target_archE908ELNS1_3gpuE7ELNS1_3repE0EEENS1_30default_config_static_selectorELNS0_4arch9wavefront6targetE1EEEvT1_.private_seg_size, 0
	.set _ZN7rocprim17ROCPRIM_400000_NS6detail17trampoline_kernelINS0_14default_configENS1_20scan_config_selectorIN3c107complexIfEEEEZZNS1_9scan_implILNS1_25lookback_scan_determinismE0ELb0ELb0ES3_PKS7_PS7_S7_ZZZN2at6native31launch_logcumsumexp_cuda_kernelERKNSE_10TensorBaseESI_lENKUlvE_clEvENKUlvE2_clEvEUlS7_S7_E_S7_EEDaPvRmT3_T4_T5_mT6_P12ihipStream_tbENKUlT_T0_E_clISt17integral_constantIbLb1EESZ_EEDaSU_SV_EUlSU_E_NS1_11comp_targetILNS1_3genE3ELNS1_11target_archE908ELNS1_3gpuE7ELNS1_3repE0EEENS1_30default_config_static_selectorELNS0_4arch9wavefront6targetE1EEEvT1_.uses_vcc, 0
	.set _ZN7rocprim17ROCPRIM_400000_NS6detail17trampoline_kernelINS0_14default_configENS1_20scan_config_selectorIN3c107complexIfEEEEZZNS1_9scan_implILNS1_25lookback_scan_determinismE0ELb0ELb0ES3_PKS7_PS7_S7_ZZZN2at6native31launch_logcumsumexp_cuda_kernelERKNSE_10TensorBaseESI_lENKUlvE_clEvENKUlvE2_clEvEUlS7_S7_E_S7_EEDaPvRmT3_T4_T5_mT6_P12ihipStream_tbENKUlT_T0_E_clISt17integral_constantIbLb1EESZ_EEDaSU_SV_EUlSU_E_NS1_11comp_targetILNS1_3genE3ELNS1_11target_archE908ELNS1_3gpuE7ELNS1_3repE0EEENS1_30default_config_static_selectorELNS0_4arch9wavefront6targetE1EEEvT1_.uses_flat_scratch, 0
	.set _ZN7rocprim17ROCPRIM_400000_NS6detail17trampoline_kernelINS0_14default_configENS1_20scan_config_selectorIN3c107complexIfEEEEZZNS1_9scan_implILNS1_25lookback_scan_determinismE0ELb0ELb0ES3_PKS7_PS7_S7_ZZZN2at6native31launch_logcumsumexp_cuda_kernelERKNSE_10TensorBaseESI_lENKUlvE_clEvENKUlvE2_clEvEUlS7_S7_E_S7_EEDaPvRmT3_T4_T5_mT6_P12ihipStream_tbENKUlT_T0_E_clISt17integral_constantIbLb1EESZ_EEDaSU_SV_EUlSU_E_NS1_11comp_targetILNS1_3genE3ELNS1_11target_archE908ELNS1_3gpuE7ELNS1_3repE0EEENS1_30default_config_static_selectorELNS0_4arch9wavefront6targetE1EEEvT1_.has_dyn_sized_stack, 0
	.set _ZN7rocprim17ROCPRIM_400000_NS6detail17trampoline_kernelINS0_14default_configENS1_20scan_config_selectorIN3c107complexIfEEEEZZNS1_9scan_implILNS1_25lookback_scan_determinismE0ELb0ELb0ES3_PKS7_PS7_S7_ZZZN2at6native31launch_logcumsumexp_cuda_kernelERKNSE_10TensorBaseESI_lENKUlvE_clEvENKUlvE2_clEvEUlS7_S7_E_S7_EEDaPvRmT3_T4_T5_mT6_P12ihipStream_tbENKUlT_T0_E_clISt17integral_constantIbLb1EESZ_EEDaSU_SV_EUlSU_E_NS1_11comp_targetILNS1_3genE3ELNS1_11target_archE908ELNS1_3gpuE7ELNS1_3repE0EEENS1_30default_config_static_selectorELNS0_4arch9wavefront6targetE1EEEvT1_.has_recursion, 0
	.set _ZN7rocprim17ROCPRIM_400000_NS6detail17trampoline_kernelINS0_14default_configENS1_20scan_config_selectorIN3c107complexIfEEEEZZNS1_9scan_implILNS1_25lookback_scan_determinismE0ELb0ELb0ES3_PKS7_PS7_S7_ZZZN2at6native31launch_logcumsumexp_cuda_kernelERKNSE_10TensorBaseESI_lENKUlvE_clEvENKUlvE2_clEvEUlS7_S7_E_S7_EEDaPvRmT3_T4_T5_mT6_P12ihipStream_tbENKUlT_T0_E_clISt17integral_constantIbLb1EESZ_EEDaSU_SV_EUlSU_E_NS1_11comp_targetILNS1_3genE3ELNS1_11target_archE908ELNS1_3gpuE7ELNS1_3repE0EEENS1_30default_config_static_selectorELNS0_4arch9wavefront6targetE1EEEvT1_.has_indirect_call, 0
	.section	.AMDGPU.csdata,"",@progbits
; Kernel info:
; codeLenInByte = 0
; TotalNumSgprs: 6
; NumVgprs: 0
; NumAgprs: 0
; TotalNumVgprs: 0
; ScratchSize: 0
; MemoryBound: 0
; FloatMode: 240
; IeeeMode: 1
; LDSByteSize: 0 bytes/workgroup (compile time only)
; SGPRBlocks: 0
; VGPRBlocks: 0
; NumSGPRsForWavesPerEU: 6
; NumVGPRsForWavesPerEU: 1
; AccumOffset: 4
; Occupancy: 8
; WaveLimiterHint : 0
; COMPUTE_PGM_RSRC2:SCRATCH_EN: 0
; COMPUTE_PGM_RSRC2:USER_SGPR: 2
; COMPUTE_PGM_RSRC2:TRAP_HANDLER: 0
; COMPUTE_PGM_RSRC2:TGID_X_EN: 1
; COMPUTE_PGM_RSRC2:TGID_Y_EN: 0
; COMPUTE_PGM_RSRC2:TGID_Z_EN: 0
; COMPUTE_PGM_RSRC2:TIDIG_COMP_CNT: 0
; COMPUTE_PGM_RSRC3_GFX90A:ACCUM_OFFSET: 0
; COMPUTE_PGM_RSRC3_GFX90A:TG_SPLIT: 0
	.section	.text._ZN7rocprim17ROCPRIM_400000_NS6detail17trampoline_kernelINS0_14default_configENS1_20scan_config_selectorIN3c107complexIfEEEEZZNS1_9scan_implILNS1_25lookback_scan_determinismE0ELb0ELb0ES3_PKS7_PS7_S7_ZZZN2at6native31launch_logcumsumexp_cuda_kernelERKNSE_10TensorBaseESI_lENKUlvE_clEvENKUlvE2_clEvEUlS7_S7_E_S7_EEDaPvRmT3_T4_T5_mT6_P12ihipStream_tbENKUlT_T0_E_clISt17integral_constantIbLb1EESZ_EEDaSU_SV_EUlSU_E_NS1_11comp_targetILNS1_3genE2ELNS1_11target_archE906ELNS1_3gpuE6ELNS1_3repE0EEENS1_30default_config_static_selectorELNS0_4arch9wavefront6targetE1EEEvT1_,"axG",@progbits,_ZN7rocprim17ROCPRIM_400000_NS6detail17trampoline_kernelINS0_14default_configENS1_20scan_config_selectorIN3c107complexIfEEEEZZNS1_9scan_implILNS1_25lookback_scan_determinismE0ELb0ELb0ES3_PKS7_PS7_S7_ZZZN2at6native31launch_logcumsumexp_cuda_kernelERKNSE_10TensorBaseESI_lENKUlvE_clEvENKUlvE2_clEvEUlS7_S7_E_S7_EEDaPvRmT3_T4_T5_mT6_P12ihipStream_tbENKUlT_T0_E_clISt17integral_constantIbLb1EESZ_EEDaSU_SV_EUlSU_E_NS1_11comp_targetILNS1_3genE2ELNS1_11target_archE906ELNS1_3gpuE6ELNS1_3repE0EEENS1_30default_config_static_selectorELNS0_4arch9wavefront6targetE1EEEvT1_,comdat
	.globl	_ZN7rocprim17ROCPRIM_400000_NS6detail17trampoline_kernelINS0_14default_configENS1_20scan_config_selectorIN3c107complexIfEEEEZZNS1_9scan_implILNS1_25lookback_scan_determinismE0ELb0ELb0ES3_PKS7_PS7_S7_ZZZN2at6native31launch_logcumsumexp_cuda_kernelERKNSE_10TensorBaseESI_lENKUlvE_clEvENKUlvE2_clEvEUlS7_S7_E_S7_EEDaPvRmT3_T4_T5_mT6_P12ihipStream_tbENKUlT_T0_E_clISt17integral_constantIbLb1EESZ_EEDaSU_SV_EUlSU_E_NS1_11comp_targetILNS1_3genE2ELNS1_11target_archE906ELNS1_3gpuE6ELNS1_3repE0EEENS1_30default_config_static_selectorELNS0_4arch9wavefront6targetE1EEEvT1_ ; -- Begin function _ZN7rocprim17ROCPRIM_400000_NS6detail17trampoline_kernelINS0_14default_configENS1_20scan_config_selectorIN3c107complexIfEEEEZZNS1_9scan_implILNS1_25lookback_scan_determinismE0ELb0ELb0ES3_PKS7_PS7_S7_ZZZN2at6native31launch_logcumsumexp_cuda_kernelERKNSE_10TensorBaseESI_lENKUlvE_clEvENKUlvE2_clEvEUlS7_S7_E_S7_EEDaPvRmT3_T4_T5_mT6_P12ihipStream_tbENKUlT_T0_E_clISt17integral_constantIbLb1EESZ_EEDaSU_SV_EUlSU_E_NS1_11comp_targetILNS1_3genE2ELNS1_11target_archE906ELNS1_3gpuE6ELNS1_3repE0EEENS1_30default_config_static_selectorELNS0_4arch9wavefront6targetE1EEEvT1_
	.p2align	8
	.type	_ZN7rocprim17ROCPRIM_400000_NS6detail17trampoline_kernelINS0_14default_configENS1_20scan_config_selectorIN3c107complexIfEEEEZZNS1_9scan_implILNS1_25lookback_scan_determinismE0ELb0ELb0ES3_PKS7_PS7_S7_ZZZN2at6native31launch_logcumsumexp_cuda_kernelERKNSE_10TensorBaseESI_lENKUlvE_clEvENKUlvE2_clEvEUlS7_S7_E_S7_EEDaPvRmT3_T4_T5_mT6_P12ihipStream_tbENKUlT_T0_E_clISt17integral_constantIbLb1EESZ_EEDaSU_SV_EUlSU_E_NS1_11comp_targetILNS1_3genE2ELNS1_11target_archE906ELNS1_3gpuE6ELNS1_3repE0EEENS1_30default_config_static_selectorELNS0_4arch9wavefront6targetE1EEEvT1_,@function
_ZN7rocprim17ROCPRIM_400000_NS6detail17trampoline_kernelINS0_14default_configENS1_20scan_config_selectorIN3c107complexIfEEEEZZNS1_9scan_implILNS1_25lookback_scan_determinismE0ELb0ELb0ES3_PKS7_PS7_S7_ZZZN2at6native31launch_logcumsumexp_cuda_kernelERKNSE_10TensorBaseESI_lENKUlvE_clEvENKUlvE2_clEvEUlS7_S7_E_S7_EEDaPvRmT3_T4_T5_mT6_P12ihipStream_tbENKUlT_T0_E_clISt17integral_constantIbLb1EESZ_EEDaSU_SV_EUlSU_E_NS1_11comp_targetILNS1_3genE2ELNS1_11target_archE906ELNS1_3gpuE6ELNS1_3repE0EEENS1_30default_config_static_selectorELNS0_4arch9wavefront6targetE1EEEvT1_: ; @_ZN7rocprim17ROCPRIM_400000_NS6detail17trampoline_kernelINS0_14default_configENS1_20scan_config_selectorIN3c107complexIfEEEEZZNS1_9scan_implILNS1_25lookback_scan_determinismE0ELb0ELb0ES3_PKS7_PS7_S7_ZZZN2at6native31launch_logcumsumexp_cuda_kernelERKNSE_10TensorBaseESI_lENKUlvE_clEvENKUlvE2_clEvEUlS7_S7_E_S7_EEDaPvRmT3_T4_T5_mT6_P12ihipStream_tbENKUlT_T0_E_clISt17integral_constantIbLb1EESZ_EEDaSU_SV_EUlSU_E_NS1_11comp_targetILNS1_3genE2ELNS1_11target_archE906ELNS1_3gpuE6ELNS1_3repE0EEENS1_30default_config_static_selectorELNS0_4arch9wavefront6targetE1EEEvT1_
; %bb.0:
	.section	.rodata,"a",@progbits
	.p2align	6, 0x0
	.amdhsa_kernel _ZN7rocprim17ROCPRIM_400000_NS6detail17trampoline_kernelINS0_14default_configENS1_20scan_config_selectorIN3c107complexIfEEEEZZNS1_9scan_implILNS1_25lookback_scan_determinismE0ELb0ELb0ES3_PKS7_PS7_S7_ZZZN2at6native31launch_logcumsumexp_cuda_kernelERKNSE_10TensorBaseESI_lENKUlvE_clEvENKUlvE2_clEvEUlS7_S7_E_S7_EEDaPvRmT3_T4_T5_mT6_P12ihipStream_tbENKUlT_T0_E_clISt17integral_constantIbLb1EESZ_EEDaSU_SV_EUlSU_E_NS1_11comp_targetILNS1_3genE2ELNS1_11target_archE906ELNS1_3gpuE6ELNS1_3repE0EEENS1_30default_config_static_selectorELNS0_4arch9wavefront6targetE1EEEvT1_
		.amdhsa_group_segment_fixed_size 0
		.amdhsa_private_segment_fixed_size 0
		.amdhsa_kernarg_size 104
		.amdhsa_user_sgpr_count 2
		.amdhsa_user_sgpr_dispatch_ptr 0
		.amdhsa_user_sgpr_queue_ptr 0
		.amdhsa_user_sgpr_kernarg_segment_ptr 1
		.amdhsa_user_sgpr_dispatch_id 0
		.amdhsa_user_sgpr_kernarg_preload_length 0
		.amdhsa_user_sgpr_kernarg_preload_offset 0
		.amdhsa_user_sgpr_private_segment_size 0
		.amdhsa_uses_dynamic_stack 0
		.amdhsa_enable_private_segment 0
		.amdhsa_system_sgpr_workgroup_id_x 1
		.amdhsa_system_sgpr_workgroup_id_y 0
		.amdhsa_system_sgpr_workgroup_id_z 0
		.amdhsa_system_sgpr_workgroup_info 0
		.amdhsa_system_vgpr_workitem_id 0
		.amdhsa_next_free_vgpr 1
		.amdhsa_next_free_sgpr 0
		.amdhsa_accum_offset 4
		.amdhsa_reserve_vcc 0
		.amdhsa_float_round_mode_32 0
		.amdhsa_float_round_mode_16_64 0
		.amdhsa_float_denorm_mode_32 3
		.amdhsa_float_denorm_mode_16_64 3
		.amdhsa_dx10_clamp 1
		.amdhsa_ieee_mode 1
		.amdhsa_fp16_overflow 0
		.amdhsa_tg_split 0
		.amdhsa_exception_fp_ieee_invalid_op 0
		.amdhsa_exception_fp_denorm_src 0
		.amdhsa_exception_fp_ieee_div_zero 0
		.amdhsa_exception_fp_ieee_overflow 0
		.amdhsa_exception_fp_ieee_underflow 0
		.amdhsa_exception_fp_ieee_inexact 0
		.amdhsa_exception_int_div_zero 0
	.end_amdhsa_kernel
	.section	.text._ZN7rocprim17ROCPRIM_400000_NS6detail17trampoline_kernelINS0_14default_configENS1_20scan_config_selectorIN3c107complexIfEEEEZZNS1_9scan_implILNS1_25lookback_scan_determinismE0ELb0ELb0ES3_PKS7_PS7_S7_ZZZN2at6native31launch_logcumsumexp_cuda_kernelERKNSE_10TensorBaseESI_lENKUlvE_clEvENKUlvE2_clEvEUlS7_S7_E_S7_EEDaPvRmT3_T4_T5_mT6_P12ihipStream_tbENKUlT_T0_E_clISt17integral_constantIbLb1EESZ_EEDaSU_SV_EUlSU_E_NS1_11comp_targetILNS1_3genE2ELNS1_11target_archE906ELNS1_3gpuE6ELNS1_3repE0EEENS1_30default_config_static_selectorELNS0_4arch9wavefront6targetE1EEEvT1_,"axG",@progbits,_ZN7rocprim17ROCPRIM_400000_NS6detail17trampoline_kernelINS0_14default_configENS1_20scan_config_selectorIN3c107complexIfEEEEZZNS1_9scan_implILNS1_25lookback_scan_determinismE0ELb0ELb0ES3_PKS7_PS7_S7_ZZZN2at6native31launch_logcumsumexp_cuda_kernelERKNSE_10TensorBaseESI_lENKUlvE_clEvENKUlvE2_clEvEUlS7_S7_E_S7_EEDaPvRmT3_T4_T5_mT6_P12ihipStream_tbENKUlT_T0_E_clISt17integral_constantIbLb1EESZ_EEDaSU_SV_EUlSU_E_NS1_11comp_targetILNS1_3genE2ELNS1_11target_archE906ELNS1_3gpuE6ELNS1_3repE0EEENS1_30default_config_static_selectorELNS0_4arch9wavefront6targetE1EEEvT1_,comdat
.Lfunc_end295:
	.size	_ZN7rocprim17ROCPRIM_400000_NS6detail17trampoline_kernelINS0_14default_configENS1_20scan_config_selectorIN3c107complexIfEEEEZZNS1_9scan_implILNS1_25lookback_scan_determinismE0ELb0ELb0ES3_PKS7_PS7_S7_ZZZN2at6native31launch_logcumsumexp_cuda_kernelERKNSE_10TensorBaseESI_lENKUlvE_clEvENKUlvE2_clEvEUlS7_S7_E_S7_EEDaPvRmT3_T4_T5_mT6_P12ihipStream_tbENKUlT_T0_E_clISt17integral_constantIbLb1EESZ_EEDaSU_SV_EUlSU_E_NS1_11comp_targetILNS1_3genE2ELNS1_11target_archE906ELNS1_3gpuE6ELNS1_3repE0EEENS1_30default_config_static_selectorELNS0_4arch9wavefront6targetE1EEEvT1_, .Lfunc_end295-_ZN7rocprim17ROCPRIM_400000_NS6detail17trampoline_kernelINS0_14default_configENS1_20scan_config_selectorIN3c107complexIfEEEEZZNS1_9scan_implILNS1_25lookback_scan_determinismE0ELb0ELb0ES3_PKS7_PS7_S7_ZZZN2at6native31launch_logcumsumexp_cuda_kernelERKNSE_10TensorBaseESI_lENKUlvE_clEvENKUlvE2_clEvEUlS7_S7_E_S7_EEDaPvRmT3_T4_T5_mT6_P12ihipStream_tbENKUlT_T0_E_clISt17integral_constantIbLb1EESZ_EEDaSU_SV_EUlSU_E_NS1_11comp_targetILNS1_3genE2ELNS1_11target_archE906ELNS1_3gpuE6ELNS1_3repE0EEENS1_30default_config_static_selectorELNS0_4arch9wavefront6targetE1EEEvT1_
                                        ; -- End function
	.set _ZN7rocprim17ROCPRIM_400000_NS6detail17trampoline_kernelINS0_14default_configENS1_20scan_config_selectorIN3c107complexIfEEEEZZNS1_9scan_implILNS1_25lookback_scan_determinismE0ELb0ELb0ES3_PKS7_PS7_S7_ZZZN2at6native31launch_logcumsumexp_cuda_kernelERKNSE_10TensorBaseESI_lENKUlvE_clEvENKUlvE2_clEvEUlS7_S7_E_S7_EEDaPvRmT3_T4_T5_mT6_P12ihipStream_tbENKUlT_T0_E_clISt17integral_constantIbLb1EESZ_EEDaSU_SV_EUlSU_E_NS1_11comp_targetILNS1_3genE2ELNS1_11target_archE906ELNS1_3gpuE6ELNS1_3repE0EEENS1_30default_config_static_selectorELNS0_4arch9wavefront6targetE1EEEvT1_.num_vgpr, 0
	.set _ZN7rocprim17ROCPRIM_400000_NS6detail17trampoline_kernelINS0_14default_configENS1_20scan_config_selectorIN3c107complexIfEEEEZZNS1_9scan_implILNS1_25lookback_scan_determinismE0ELb0ELb0ES3_PKS7_PS7_S7_ZZZN2at6native31launch_logcumsumexp_cuda_kernelERKNSE_10TensorBaseESI_lENKUlvE_clEvENKUlvE2_clEvEUlS7_S7_E_S7_EEDaPvRmT3_T4_T5_mT6_P12ihipStream_tbENKUlT_T0_E_clISt17integral_constantIbLb1EESZ_EEDaSU_SV_EUlSU_E_NS1_11comp_targetILNS1_3genE2ELNS1_11target_archE906ELNS1_3gpuE6ELNS1_3repE0EEENS1_30default_config_static_selectorELNS0_4arch9wavefront6targetE1EEEvT1_.num_agpr, 0
	.set _ZN7rocprim17ROCPRIM_400000_NS6detail17trampoline_kernelINS0_14default_configENS1_20scan_config_selectorIN3c107complexIfEEEEZZNS1_9scan_implILNS1_25lookback_scan_determinismE0ELb0ELb0ES3_PKS7_PS7_S7_ZZZN2at6native31launch_logcumsumexp_cuda_kernelERKNSE_10TensorBaseESI_lENKUlvE_clEvENKUlvE2_clEvEUlS7_S7_E_S7_EEDaPvRmT3_T4_T5_mT6_P12ihipStream_tbENKUlT_T0_E_clISt17integral_constantIbLb1EESZ_EEDaSU_SV_EUlSU_E_NS1_11comp_targetILNS1_3genE2ELNS1_11target_archE906ELNS1_3gpuE6ELNS1_3repE0EEENS1_30default_config_static_selectorELNS0_4arch9wavefront6targetE1EEEvT1_.numbered_sgpr, 0
	.set _ZN7rocprim17ROCPRIM_400000_NS6detail17trampoline_kernelINS0_14default_configENS1_20scan_config_selectorIN3c107complexIfEEEEZZNS1_9scan_implILNS1_25lookback_scan_determinismE0ELb0ELb0ES3_PKS7_PS7_S7_ZZZN2at6native31launch_logcumsumexp_cuda_kernelERKNSE_10TensorBaseESI_lENKUlvE_clEvENKUlvE2_clEvEUlS7_S7_E_S7_EEDaPvRmT3_T4_T5_mT6_P12ihipStream_tbENKUlT_T0_E_clISt17integral_constantIbLb1EESZ_EEDaSU_SV_EUlSU_E_NS1_11comp_targetILNS1_3genE2ELNS1_11target_archE906ELNS1_3gpuE6ELNS1_3repE0EEENS1_30default_config_static_selectorELNS0_4arch9wavefront6targetE1EEEvT1_.num_named_barrier, 0
	.set _ZN7rocprim17ROCPRIM_400000_NS6detail17trampoline_kernelINS0_14default_configENS1_20scan_config_selectorIN3c107complexIfEEEEZZNS1_9scan_implILNS1_25lookback_scan_determinismE0ELb0ELb0ES3_PKS7_PS7_S7_ZZZN2at6native31launch_logcumsumexp_cuda_kernelERKNSE_10TensorBaseESI_lENKUlvE_clEvENKUlvE2_clEvEUlS7_S7_E_S7_EEDaPvRmT3_T4_T5_mT6_P12ihipStream_tbENKUlT_T0_E_clISt17integral_constantIbLb1EESZ_EEDaSU_SV_EUlSU_E_NS1_11comp_targetILNS1_3genE2ELNS1_11target_archE906ELNS1_3gpuE6ELNS1_3repE0EEENS1_30default_config_static_selectorELNS0_4arch9wavefront6targetE1EEEvT1_.private_seg_size, 0
	.set _ZN7rocprim17ROCPRIM_400000_NS6detail17trampoline_kernelINS0_14default_configENS1_20scan_config_selectorIN3c107complexIfEEEEZZNS1_9scan_implILNS1_25lookback_scan_determinismE0ELb0ELb0ES3_PKS7_PS7_S7_ZZZN2at6native31launch_logcumsumexp_cuda_kernelERKNSE_10TensorBaseESI_lENKUlvE_clEvENKUlvE2_clEvEUlS7_S7_E_S7_EEDaPvRmT3_T4_T5_mT6_P12ihipStream_tbENKUlT_T0_E_clISt17integral_constantIbLb1EESZ_EEDaSU_SV_EUlSU_E_NS1_11comp_targetILNS1_3genE2ELNS1_11target_archE906ELNS1_3gpuE6ELNS1_3repE0EEENS1_30default_config_static_selectorELNS0_4arch9wavefront6targetE1EEEvT1_.uses_vcc, 0
	.set _ZN7rocprim17ROCPRIM_400000_NS6detail17trampoline_kernelINS0_14default_configENS1_20scan_config_selectorIN3c107complexIfEEEEZZNS1_9scan_implILNS1_25lookback_scan_determinismE0ELb0ELb0ES3_PKS7_PS7_S7_ZZZN2at6native31launch_logcumsumexp_cuda_kernelERKNSE_10TensorBaseESI_lENKUlvE_clEvENKUlvE2_clEvEUlS7_S7_E_S7_EEDaPvRmT3_T4_T5_mT6_P12ihipStream_tbENKUlT_T0_E_clISt17integral_constantIbLb1EESZ_EEDaSU_SV_EUlSU_E_NS1_11comp_targetILNS1_3genE2ELNS1_11target_archE906ELNS1_3gpuE6ELNS1_3repE0EEENS1_30default_config_static_selectorELNS0_4arch9wavefront6targetE1EEEvT1_.uses_flat_scratch, 0
	.set _ZN7rocprim17ROCPRIM_400000_NS6detail17trampoline_kernelINS0_14default_configENS1_20scan_config_selectorIN3c107complexIfEEEEZZNS1_9scan_implILNS1_25lookback_scan_determinismE0ELb0ELb0ES3_PKS7_PS7_S7_ZZZN2at6native31launch_logcumsumexp_cuda_kernelERKNSE_10TensorBaseESI_lENKUlvE_clEvENKUlvE2_clEvEUlS7_S7_E_S7_EEDaPvRmT3_T4_T5_mT6_P12ihipStream_tbENKUlT_T0_E_clISt17integral_constantIbLb1EESZ_EEDaSU_SV_EUlSU_E_NS1_11comp_targetILNS1_3genE2ELNS1_11target_archE906ELNS1_3gpuE6ELNS1_3repE0EEENS1_30default_config_static_selectorELNS0_4arch9wavefront6targetE1EEEvT1_.has_dyn_sized_stack, 0
	.set _ZN7rocprim17ROCPRIM_400000_NS6detail17trampoline_kernelINS0_14default_configENS1_20scan_config_selectorIN3c107complexIfEEEEZZNS1_9scan_implILNS1_25lookback_scan_determinismE0ELb0ELb0ES3_PKS7_PS7_S7_ZZZN2at6native31launch_logcumsumexp_cuda_kernelERKNSE_10TensorBaseESI_lENKUlvE_clEvENKUlvE2_clEvEUlS7_S7_E_S7_EEDaPvRmT3_T4_T5_mT6_P12ihipStream_tbENKUlT_T0_E_clISt17integral_constantIbLb1EESZ_EEDaSU_SV_EUlSU_E_NS1_11comp_targetILNS1_3genE2ELNS1_11target_archE906ELNS1_3gpuE6ELNS1_3repE0EEENS1_30default_config_static_selectorELNS0_4arch9wavefront6targetE1EEEvT1_.has_recursion, 0
	.set _ZN7rocprim17ROCPRIM_400000_NS6detail17trampoline_kernelINS0_14default_configENS1_20scan_config_selectorIN3c107complexIfEEEEZZNS1_9scan_implILNS1_25lookback_scan_determinismE0ELb0ELb0ES3_PKS7_PS7_S7_ZZZN2at6native31launch_logcumsumexp_cuda_kernelERKNSE_10TensorBaseESI_lENKUlvE_clEvENKUlvE2_clEvEUlS7_S7_E_S7_EEDaPvRmT3_T4_T5_mT6_P12ihipStream_tbENKUlT_T0_E_clISt17integral_constantIbLb1EESZ_EEDaSU_SV_EUlSU_E_NS1_11comp_targetILNS1_3genE2ELNS1_11target_archE906ELNS1_3gpuE6ELNS1_3repE0EEENS1_30default_config_static_selectorELNS0_4arch9wavefront6targetE1EEEvT1_.has_indirect_call, 0
	.section	.AMDGPU.csdata,"",@progbits
; Kernel info:
; codeLenInByte = 0
; TotalNumSgprs: 6
; NumVgprs: 0
; NumAgprs: 0
; TotalNumVgprs: 0
; ScratchSize: 0
; MemoryBound: 0
; FloatMode: 240
; IeeeMode: 1
; LDSByteSize: 0 bytes/workgroup (compile time only)
; SGPRBlocks: 0
; VGPRBlocks: 0
; NumSGPRsForWavesPerEU: 6
; NumVGPRsForWavesPerEU: 1
; AccumOffset: 4
; Occupancy: 8
; WaveLimiterHint : 0
; COMPUTE_PGM_RSRC2:SCRATCH_EN: 0
; COMPUTE_PGM_RSRC2:USER_SGPR: 2
; COMPUTE_PGM_RSRC2:TRAP_HANDLER: 0
; COMPUTE_PGM_RSRC2:TGID_X_EN: 1
; COMPUTE_PGM_RSRC2:TGID_Y_EN: 0
; COMPUTE_PGM_RSRC2:TGID_Z_EN: 0
; COMPUTE_PGM_RSRC2:TIDIG_COMP_CNT: 0
; COMPUTE_PGM_RSRC3_GFX90A:ACCUM_OFFSET: 0
; COMPUTE_PGM_RSRC3_GFX90A:TG_SPLIT: 0
	.section	.text._ZN7rocprim17ROCPRIM_400000_NS6detail17trampoline_kernelINS0_14default_configENS1_20scan_config_selectorIN3c107complexIfEEEEZZNS1_9scan_implILNS1_25lookback_scan_determinismE0ELb0ELb0ES3_PKS7_PS7_S7_ZZZN2at6native31launch_logcumsumexp_cuda_kernelERKNSE_10TensorBaseESI_lENKUlvE_clEvENKUlvE2_clEvEUlS7_S7_E_S7_EEDaPvRmT3_T4_T5_mT6_P12ihipStream_tbENKUlT_T0_E_clISt17integral_constantIbLb1EESZ_EEDaSU_SV_EUlSU_E_NS1_11comp_targetILNS1_3genE10ELNS1_11target_archE1201ELNS1_3gpuE5ELNS1_3repE0EEENS1_30default_config_static_selectorELNS0_4arch9wavefront6targetE1EEEvT1_,"axG",@progbits,_ZN7rocprim17ROCPRIM_400000_NS6detail17trampoline_kernelINS0_14default_configENS1_20scan_config_selectorIN3c107complexIfEEEEZZNS1_9scan_implILNS1_25lookback_scan_determinismE0ELb0ELb0ES3_PKS7_PS7_S7_ZZZN2at6native31launch_logcumsumexp_cuda_kernelERKNSE_10TensorBaseESI_lENKUlvE_clEvENKUlvE2_clEvEUlS7_S7_E_S7_EEDaPvRmT3_T4_T5_mT6_P12ihipStream_tbENKUlT_T0_E_clISt17integral_constantIbLb1EESZ_EEDaSU_SV_EUlSU_E_NS1_11comp_targetILNS1_3genE10ELNS1_11target_archE1201ELNS1_3gpuE5ELNS1_3repE0EEENS1_30default_config_static_selectorELNS0_4arch9wavefront6targetE1EEEvT1_,comdat
	.globl	_ZN7rocprim17ROCPRIM_400000_NS6detail17trampoline_kernelINS0_14default_configENS1_20scan_config_selectorIN3c107complexIfEEEEZZNS1_9scan_implILNS1_25lookback_scan_determinismE0ELb0ELb0ES3_PKS7_PS7_S7_ZZZN2at6native31launch_logcumsumexp_cuda_kernelERKNSE_10TensorBaseESI_lENKUlvE_clEvENKUlvE2_clEvEUlS7_S7_E_S7_EEDaPvRmT3_T4_T5_mT6_P12ihipStream_tbENKUlT_T0_E_clISt17integral_constantIbLb1EESZ_EEDaSU_SV_EUlSU_E_NS1_11comp_targetILNS1_3genE10ELNS1_11target_archE1201ELNS1_3gpuE5ELNS1_3repE0EEENS1_30default_config_static_selectorELNS0_4arch9wavefront6targetE1EEEvT1_ ; -- Begin function _ZN7rocprim17ROCPRIM_400000_NS6detail17trampoline_kernelINS0_14default_configENS1_20scan_config_selectorIN3c107complexIfEEEEZZNS1_9scan_implILNS1_25lookback_scan_determinismE0ELb0ELb0ES3_PKS7_PS7_S7_ZZZN2at6native31launch_logcumsumexp_cuda_kernelERKNSE_10TensorBaseESI_lENKUlvE_clEvENKUlvE2_clEvEUlS7_S7_E_S7_EEDaPvRmT3_T4_T5_mT6_P12ihipStream_tbENKUlT_T0_E_clISt17integral_constantIbLb1EESZ_EEDaSU_SV_EUlSU_E_NS1_11comp_targetILNS1_3genE10ELNS1_11target_archE1201ELNS1_3gpuE5ELNS1_3repE0EEENS1_30default_config_static_selectorELNS0_4arch9wavefront6targetE1EEEvT1_
	.p2align	8
	.type	_ZN7rocprim17ROCPRIM_400000_NS6detail17trampoline_kernelINS0_14default_configENS1_20scan_config_selectorIN3c107complexIfEEEEZZNS1_9scan_implILNS1_25lookback_scan_determinismE0ELb0ELb0ES3_PKS7_PS7_S7_ZZZN2at6native31launch_logcumsumexp_cuda_kernelERKNSE_10TensorBaseESI_lENKUlvE_clEvENKUlvE2_clEvEUlS7_S7_E_S7_EEDaPvRmT3_T4_T5_mT6_P12ihipStream_tbENKUlT_T0_E_clISt17integral_constantIbLb1EESZ_EEDaSU_SV_EUlSU_E_NS1_11comp_targetILNS1_3genE10ELNS1_11target_archE1201ELNS1_3gpuE5ELNS1_3repE0EEENS1_30default_config_static_selectorELNS0_4arch9wavefront6targetE1EEEvT1_,@function
_ZN7rocprim17ROCPRIM_400000_NS6detail17trampoline_kernelINS0_14default_configENS1_20scan_config_selectorIN3c107complexIfEEEEZZNS1_9scan_implILNS1_25lookback_scan_determinismE0ELb0ELb0ES3_PKS7_PS7_S7_ZZZN2at6native31launch_logcumsumexp_cuda_kernelERKNSE_10TensorBaseESI_lENKUlvE_clEvENKUlvE2_clEvEUlS7_S7_E_S7_EEDaPvRmT3_T4_T5_mT6_P12ihipStream_tbENKUlT_T0_E_clISt17integral_constantIbLb1EESZ_EEDaSU_SV_EUlSU_E_NS1_11comp_targetILNS1_3genE10ELNS1_11target_archE1201ELNS1_3gpuE5ELNS1_3repE0EEENS1_30default_config_static_selectorELNS0_4arch9wavefront6targetE1EEEvT1_: ; @_ZN7rocprim17ROCPRIM_400000_NS6detail17trampoline_kernelINS0_14default_configENS1_20scan_config_selectorIN3c107complexIfEEEEZZNS1_9scan_implILNS1_25lookback_scan_determinismE0ELb0ELb0ES3_PKS7_PS7_S7_ZZZN2at6native31launch_logcumsumexp_cuda_kernelERKNSE_10TensorBaseESI_lENKUlvE_clEvENKUlvE2_clEvEUlS7_S7_E_S7_EEDaPvRmT3_T4_T5_mT6_P12ihipStream_tbENKUlT_T0_E_clISt17integral_constantIbLb1EESZ_EEDaSU_SV_EUlSU_E_NS1_11comp_targetILNS1_3genE10ELNS1_11target_archE1201ELNS1_3gpuE5ELNS1_3repE0EEENS1_30default_config_static_selectorELNS0_4arch9wavefront6targetE1EEEvT1_
; %bb.0:
	.section	.rodata,"a",@progbits
	.p2align	6, 0x0
	.amdhsa_kernel _ZN7rocprim17ROCPRIM_400000_NS6detail17trampoline_kernelINS0_14default_configENS1_20scan_config_selectorIN3c107complexIfEEEEZZNS1_9scan_implILNS1_25lookback_scan_determinismE0ELb0ELb0ES3_PKS7_PS7_S7_ZZZN2at6native31launch_logcumsumexp_cuda_kernelERKNSE_10TensorBaseESI_lENKUlvE_clEvENKUlvE2_clEvEUlS7_S7_E_S7_EEDaPvRmT3_T4_T5_mT6_P12ihipStream_tbENKUlT_T0_E_clISt17integral_constantIbLb1EESZ_EEDaSU_SV_EUlSU_E_NS1_11comp_targetILNS1_3genE10ELNS1_11target_archE1201ELNS1_3gpuE5ELNS1_3repE0EEENS1_30default_config_static_selectorELNS0_4arch9wavefront6targetE1EEEvT1_
		.amdhsa_group_segment_fixed_size 0
		.amdhsa_private_segment_fixed_size 0
		.amdhsa_kernarg_size 104
		.amdhsa_user_sgpr_count 2
		.amdhsa_user_sgpr_dispatch_ptr 0
		.amdhsa_user_sgpr_queue_ptr 0
		.amdhsa_user_sgpr_kernarg_segment_ptr 1
		.amdhsa_user_sgpr_dispatch_id 0
		.amdhsa_user_sgpr_kernarg_preload_length 0
		.amdhsa_user_sgpr_kernarg_preload_offset 0
		.amdhsa_user_sgpr_private_segment_size 0
		.amdhsa_uses_dynamic_stack 0
		.amdhsa_enable_private_segment 0
		.amdhsa_system_sgpr_workgroup_id_x 1
		.amdhsa_system_sgpr_workgroup_id_y 0
		.amdhsa_system_sgpr_workgroup_id_z 0
		.amdhsa_system_sgpr_workgroup_info 0
		.amdhsa_system_vgpr_workitem_id 0
		.amdhsa_next_free_vgpr 1
		.amdhsa_next_free_sgpr 0
		.amdhsa_accum_offset 4
		.amdhsa_reserve_vcc 0
		.amdhsa_float_round_mode_32 0
		.amdhsa_float_round_mode_16_64 0
		.amdhsa_float_denorm_mode_32 3
		.amdhsa_float_denorm_mode_16_64 3
		.amdhsa_dx10_clamp 1
		.amdhsa_ieee_mode 1
		.amdhsa_fp16_overflow 0
		.amdhsa_tg_split 0
		.amdhsa_exception_fp_ieee_invalid_op 0
		.amdhsa_exception_fp_denorm_src 0
		.amdhsa_exception_fp_ieee_div_zero 0
		.amdhsa_exception_fp_ieee_overflow 0
		.amdhsa_exception_fp_ieee_underflow 0
		.amdhsa_exception_fp_ieee_inexact 0
		.amdhsa_exception_int_div_zero 0
	.end_amdhsa_kernel
	.section	.text._ZN7rocprim17ROCPRIM_400000_NS6detail17trampoline_kernelINS0_14default_configENS1_20scan_config_selectorIN3c107complexIfEEEEZZNS1_9scan_implILNS1_25lookback_scan_determinismE0ELb0ELb0ES3_PKS7_PS7_S7_ZZZN2at6native31launch_logcumsumexp_cuda_kernelERKNSE_10TensorBaseESI_lENKUlvE_clEvENKUlvE2_clEvEUlS7_S7_E_S7_EEDaPvRmT3_T4_T5_mT6_P12ihipStream_tbENKUlT_T0_E_clISt17integral_constantIbLb1EESZ_EEDaSU_SV_EUlSU_E_NS1_11comp_targetILNS1_3genE10ELNS1_11target_archE1201ELNS1_3gpuE5ELNS1_3repE0EEENS1_30default_config_static_selectorELNS0_4arch9wavefront6targetE1EEEvT1_,"axG",@progbits,_ZN7rocprim17ROCPRIM_400000_NS6detail17trampoline_kernelINS0_14default_configENS1_20scan_config_selectorIN3c107complexIfEEEEZZNS1_9scan_implILNS1_25lookback_scan_determinismE0ELb0ELb0ES3_PKS7_PS7_S7_ZZZN2at6native31launch_logcumsumexp_cuda_kernelERKNSE_10TensorBaseESI_lENKUlvE_clEvENKUlvE2_clEvEUlS7_S7_E_S7_EEDaPvRmT3_T4_T5_mT6_P12ihipStream_tbENKUlT_T0_E_clISt17integral_constantIbLb1EESZ_EEDaSU_SV_EUlSU_E_NS1_11comp_targetILNS1_3genE10ELNS1_11target_archE1201ELNS1_3gpuE5ELNS1_3repE0EEENS1_30default_config_static_selectorELNS0_4arch9wavefront6targetE1EEEvT1_,comdat
.Lfunc_end296:
	.size	_ZN7rocprim17ROCPRIM_400000_NS6detail17trampoline_kernelINS0_14default_configENS1_20scan_config_selectorIN3c107complexIfEEEEZZNS1_9scan_implILNS1_25lookback_scan_determinismE0ELb0ELb0ES3_PKS7_PS7_S7_ZZZN2at6native31launch_logcumsumexp_cuda_kernelERKNSE_10TensorBaseESI_lENKUlvE_clEvENKUlvE2_clEvEUlS7_S7_E_S7_EEDaPvRmT3_T4_T5_mT6_P12ihipStream_tbENKUlT_T0_E_clISt17integral_constantIbLb1EESZ_EEDaSU_SV_EUlSU_E_NS1_11comp_targetILNS1_3genE10ELNS1_11target_archE1201ELNS1_3gpuE5ELNS1_3repE0EEENS1_30default_config_static_selectorELNS0_4arch9wavefront6targetE1EEEvT1_, .Lfunc_end296-_ZN7rocprim17ROCPRIM_400000_NS6detail17trampoline_kernelINS0_14default_configENS1_20scan_config_selectorIN3c107complexIfEEEEZZNS1_9scan_implILNS1_25lookback_scan_determinismE0ELb0ELb0ES3_PKS7_PS7_S7_ZZZN2at6native31launch_logcumsumexp_cuda_kernelERKNSE_10TensorBaseESI_lENKUlvE_clEvENKUlvE2_clEvEUlS7_S7_E_S7_EEDaPvRmT3_T4_T5_mT6_P12ihipStream_tbENKUlT_T0_E_clISt17integral_constantIbLb1EESZ_EEDaSU_SV_EUlSU_E_NS1_11comp_targetILNS1_3genE10ELNS1_11target_archE1201ELNS1_3gpuE5ELNS1_3repE0EEENS1_30default_config_static_selectorELNS0_4arch9wavefront6targetE1EEEvT1_
                                        ; -- End function
	.set _ZN7rocprim17ROCPRIM_400000_NS6detail17trampoline_kernelINS0_14default_configENS1_20scan_config_selectorIN3c107complexIfEEEEZZNS1_9scan_implILNS1_25lookback_scan_determinismE0ELb0ELb0ES3_PKS7_PS7_S7_ZZZN2at6native31launch_logcumsumexp_cuda_kernelERKNSE_10TensorBaseESI_lENKUlvE_clEvENKUlvE2_clEvEUlS7_S7_E_S7_EEDaPvRmT3_T4_T5_mT6_P12ihipStream_tbENKUlT_T0_E_clISt17integral_constantIbLb1EESZ_EEDaSU_SV_EUlSU_E_NS1_11comp_targetILNS1_3genE10ELNS1_11target_archE1201ELNS1_3gpuE5ELNS1_3repE0EEENS1_30default_config_static_selectorELNS0_4arch9wavefront6targetE1EEEvT1_.num_vgpr, 0
	.set _ZN7rocprim17ROCPRIM_400000_NS6detail17trampoline_kernelINS0_14default_configENS1_20scan_config_selectorIN3c107complexIfEEEEZZNS1_9scan_implILNS1_25lookback_scan_determinismE0ELb0ELb0ES3_PKS7_PS7_S7_ZZZN2at6native31launch_logcumsumexp_cuda_kernelERKNSE_10TensorBaseESI_lENKUlvE_clEvENKUlvE2_clEvEUlS7_S7_E_S7_EEDaPvRmT3_T4_T5_mT6_P12ihipStream_tbENKUlT_T0_E_clISt17integral_constantIbLb1EESZ_EEDaSU_SV_EUlSU_E_NS1_11comp_targetILNS1_3genE10ELNS1_11target_archE1201ELNS1_3gpuE5ELNS1_3repE0EEENS1_30default_config_static_selectorELNS0_4arch9wavefront6targetE1EEEvT1_.num_agpr, 0
	.set _ZN7rocprim17ROCPRIM_400000_NS6detail17trampoline_kernelINS0_14default_configENS1_20scan_config_selectorIN3c107complexIfEEEEZZNS1_9scan_implILNS1_25lookback_scan_determinismE0ELb0ELb0ES3_PKS7_PS7_S7_ZZZN2at6native31launch_logcumsumexp_cuda_kernelERKNSE_10TensorBaseESI_lENKUlvE_clEvENKUlvE2_clEvEUlS7_S7_E_S7_EEDaPvRmT3_T4_T5_mT6_P12ihipStream_tbENKUlT_T0_E_clISt17integral_constantIbLb1EESZ_EEDaSU_SV_EUlSU_E_NS1_11comp_targetILNS1_3genE10ELNS1_11target_archE1201ELNS1_3gpuE5ELNS1_3repE0EEENS1_30default_config_static_selectorELNS0_4arch9wavefront6targetE1EEEvT1_.numbered_sgpr, 0
	.set _ZN7rocprim17ROCPRIM_400000_NS6detail17trampoline_kernelINS0_14default_configENS1_20scan_config_selectorIN3c107complexIfEEEEZZNS1_9scan_implILNS1_25lookback_scan_determinismE0ELb0ELb0ES3_PKS7_PS7_S7_ZZZN2at6native31launch_logcumsumexp_cuda_kernelERKNSE_10TensorBaseESI_lENKUlvE_clEvENKUlvE2_clEvEUlS7_S7_E_S7_EEDaPvRmT3_T4_T5_mT6_P12ihipStream_tbENKUlT_T0_E_clISt17integral_constantIbLb1EESZ_EEDaSU_SV_EUlSU_E_NS1_11comp_targetILNS1_3genE10ELNS1_11target_archE1201ELNS1_3gpuE5ELNS1_3repE0EEENS1_30default_config_static_selectorELNS0_4arch9wavefront6targetE1EEEvT1_.num_named_barrier, 0
	.set _ZN7rocprim17ROCPRIM_400000_NS6detail17trampoline_kernelINS0_14default_configENS1_20scan_config_selectorIN3c107complexIfEEEEZZNS1_9scan_implILNS1_25lookback_scan_determinismE0ELb0ELb0ES3_PKS7_PS7_S7_ZZZN2at6native31launch_logcumsumexp_cuda_kernelERKNSE_10TensorBaseESI_lENKUlvE_clEvENKUlvE2_clEvEUlS7_S7_E_S7_EEDaPvRmT3_T4_T5_mT6_P12ihipStream_tbENKUlT_T0_E_clISt17integral_constantIbLb1EESZ_EEDaSU_SV_EUlSU_E_NS1_11comp_targetILNS1_3genE10ELNS1_11target_archE1201ELNS1_3gpuE5ELNS1_3repE0EEENS1_30default_config_static_selectorELNS0_4arch9wavefront6targetE1EEEvT1_.private_seg_size, 0
	.set _ZN7rocprim17ROCPRIM_400000_NS6detail17trampoline_kernelINS0_14default_configENS1_20scan_config_selectorIN3c107complexIfEEEEZZNS1_9scan_implILNS1_25lookback_scan_determinismE0ELb0ELb0ES3_PKS7_PS7_S7_ZZZN2at6native31launch_logcumsumexp_cuda_kernelERKNSE_10TensorBaseESI_lENKUlvE_clEvENKUlvE2_clEvEUlS7_S7_E_S7_EEDaPvRmT3_T4_T5_mT6_P12ihipStream_tbENKUlT_T0_E_clISt17integral_constantIbLb1EESZ_EEDaSU_SV_EUlSU_E_NS1_11comp_targetILNS1_3genE10ELNS1_11target_archE1201ELNS1_3gpuE5ELNS1_3repE0EEENS1_30default_config_static_selectorELNS0_4arch9wavefront6targetE1EEEvT1_.uses_vcc, 0
	.set _ZN7rocprim17ROCPRIM_400000_NS6detail17trampoline_kernelINS0_14default_configENS1_20scan_config_selectorIN3c107complexIfEEEEZZNS1_9scan_implILNS1_25lookback_scan_determinismE0ELb0ELb0ES3_PKS7_PS7_S7_ZZZN2at6native31launch_logcumsumexp_cuda_kernelERKNSE_10TensorBaseESI_lENKUlvE_clEvENKUlvE2_clEvEUlS7_S7_E_S7_EEDaPvRmT3_T4_T5_mT6_P12ihipStream_tbENKUlT_T0_E_clISt17integral_constantIbLb1EESZ_EEDaSU_SV_EUlSU_E_NS1_11comp_targetILNS1_3genE10ELNS1_11target_archE1201ELNS1_3gpuE5ELNS1_3repE0EEENS1_30default_config_static_selectorELNS0_4arch9wavefront6targetE1EEEvT1_.uses_flat_scratch, 0
	.set _ZN7rocprim17ROCPRIM_400000_NS6detail17trampoline_kernelINS0_14default_configENS1_20scan_config_selectorIN3c107complexIfEEEEZZNS1_9scan_implILNS1_25lookback_scan_determinismE0ELb0ELb0ES3_PKS7_PS7_S7_ZZZN2at6native31launch_logcumsumexp_cuda_kernelERKNSE_10TensorBaseESI_lENKUlvE_clEvENKUlvE2_clEvEUlS7_S7_E_S7_EEDaPvRmT3_T4_T5_mT6_P12ihipStream_tbENKUlT_T0_E_clISt17integral_constantIbLb1EESZ_EEDaSU_SV_EUlSU_E_NS1_11comp_targetILNS1_3genE10ELNS1_11target_archE1201ELNS1_3gpuE5ELNS1_3repE0EEENS1_30default_config_static_selectorELNS0_4arch9wavefront6targetE1EEEvT1_.has_dyn_sized_stack, 0
	.set _ZN7rocprim17ROCPRIM_400000_NS6detail17trampoline_kernelINS0_14default_configENS1_20scan_config_selectorIN3c107complexIfEEEEZZNS1_9scan_implILNS1_25lookback_scan_determinismE0ELb0ELb0ES3_PKS7_PS7_S7_ZZZN2at6native31launch_logcumsumexp_cuda_kernelERKNSE_10TensorBaseESI_lENKUlvE_clEvENKUlvE2_clEvEUlS7_S7_E_S7_EEDaPvRmT3_T4_T5_mT6_P12ihipStream_tbENKUlT_T0_E_clISt17integral_constantIbLb1EESZ_EEDaSU_SV_EUlSU_E_NS1_11comp_targetILNS1_3genE10ELNS1_11target_archE1201ELNS1_3gpuE5ELNS1_3repE0EEENS1_30default_config_static_selectorELNS0_4arch9wavefront6targetE1EEEvT1_.has_recursion, 0
	.set _ZN7rocprim17ROCPRIM_400000_NS6detail17trampoline_kernelINS0_14default_configENS1_20scan_config_selectorIN3c107complexIfEEEEZZNS1_9scan_implILNS1_25lookback_scan_determinismE0ELb0ELb0ES3_PKS7_PS7_S7_ZZZN2at6native31launch_logcumsumexp_cuda_kernelERKNSE_10TensorBaseESI_lENKUlvE_clEvENKUlvE2_clEvEUlS7_S7_E_S7_EEDaPvRmT3_T4_T5_mT6_P12ihipStream_tbENKUlT_T0_E_clISt17integral_constantIbLb1EESZ_EEDaSU_SV_EUlSU_E_NS1_11comp_targetILNS1_3genE10ELNS1_11target_archE1201ELNS1_3gpuE5ELNS1_3repE0EEENS1_30default_config_static_selectorELNS0_4arch9wavefront6targetE1EEEvT1_.has_indirect_call, 0
	.section	.AMDGPU.csdata,"",@progbits
; Kernel info:
; codeLenInByte = 0
; TotalNumSgprs: 6
; NumVgprs: 0
; NumAgprs: 0
; TotalNumVgprs: 0
; ScratchSize: 0
; MemoryBound: 0
; FloatMode: 240
; IeeeMode: 1
; LDSByteSize: 0 bytes/workgroup (compile time only)
; SGPRBlocks: 0
; VGPRBlocks: 0
; NumSGPRsForWavesPerEU: 6
; NumVGPRsForWavesPerEU: 1
; AccumOffset: 4
; Occupancy: 8
; WaveLimiterHint : 0
; COMPUTE_PGM_RSRC2:SCRATCH_EN: 0
; COMPUTE_PGM_RSRC2:USER_SGPR: 2
; COMPUTE_PGM_RSRC2:TRAP_HANDLER: 0
; COMPUTE_PGM_RSRC2:TGID_X_EN: 1
; COMPUTE_PGM_RSRC2:TGID_Y_EN: 0
; COMPUTE_PGM_RSRC2:TGID_Z_EN: 0
; COMPUTE_PGM_RSRC2:TIDIG_COMP_CNT: 0
; COMPUTE_PGM_RSRC3_GFX90A:ACCUM_OFFSET: 0
; COMPUTE_PGM_RSRC3_GFX90A:TG_SPLIT: 0
	.section	.text._ZN7rocprim17ROCPRIM_400000_NS6detail17trampoline_kernelINS0_14default_configENS1_20scan_config_selectorIN3c107complexIfEEEEZZNS1_9scan_implILNS1_25lookback_scan_determinismE0ELb0ELb0ES3_PKS7_PS7_S7_ZZZN2at6native31launch_logcumsumexp_cuda_kernelERKNSE_10TensorBaseESI_lENKUlvE_clEvENKUlvE2_clEvEUlS7_S7_E_S7_EEDaPvRmT3_T4_T5_mT6_P12ihipStream_tbENKUlT_T0_E_clISt17integral_constantIbLb1EESZ_EEDaSU_SV_EUlSU_E_NS1_11comp_targetILNS1_3genE10ELNS1_11target_archE1200ELNS1_3gpuE4ELNS1_3repE0EEENS1_30default_config_static_selectorELNS0_4arch9wavefront6targetE1EEEvT1_,"axG",@progbits,_ZN7rocprim17ROCPRIM_400000_NS6detail17trampoline_kernelINS0_14default_configENS1_20scan_config_selectorIN3c107complexIfEEEEZZNS1_9scan_implILNS1_25lookback_scan_determinismE0ELb0ELb0ES3_PKS7_PS7_S7_ZZZN2at6native31launch_logcumsumexp_cuda_kernelERKNSE_10TensorBaseESI_lENKUlvE_clEvENKUlvE2_clEvEUlS7_S7_E_S7_EEDaPvRmT3_T4_T5_mT6_P12ihipStream_tbENKUlT_T0_E_clISt17integral_constantIbLb1EESZ_EEDaSU_SV_EUlSU_E_NS1_11comp_targetILNS1_3genE10ELNS1_11target_archE1200ELNS1_3gpuE4ELNS1_3repE0EEENS1_30default_config_static_selectorELNS0_4arch9wavefront6targetE1EEEvT1_,comdat
	.globl	_ZN7rocprim17ROCPRIM_400000_NS6detail17trampoline_kernelINS0_14default_configENS1_20scan_config_selectorIN3c107complexIfEEEEZZNS1_9scan_implILNS1_25lookback_scan_determinismE0ELb0ELb0ES3_PKS7_PS7_S7_ZZZN2at6native31launch_logcumsumexp_cuda_kernelERKNSE_10TensorBaseESI_lENKUlvE_clEvENKUlvE2_clEvEUlS7_S7_E_S7_EEDaPvRmT3_T4_T5_mT6_P12ihipStream_tbENKUlT_T0_E_clISt17integral_constantIbLb1EESZ_EEDaSU_SV_EUlSU_E_NS1_11comp_targetILNS1_3genE10ELNS1_11target_archE1200ELNS1_3gpuE4ELNS1_3repE0EEENS1_30default_config_static_selectorELNS0_4arch9wavefront6targetE1EEEvT1_ ; -- Begin function _ZN7rocprim17ROCPRIM_400000_NS6detail17trampoline_kernelINS0_14default_configENS1_20scan_config_selectorIN3c107complexIfEEEEZZNS1_9scan_implILNS1_25lookback_scan_determinismE0ELb0ELb0ES3_PKS7_PS7_S7_ZZZN2at6native31launch_logcumsumexp_cuda_kernelERKNSE_10TensorBaseESI_lENKUlvE_clEvENKUlvE2_clEvEUlS7_S7_E_S7_EEDaPvRmT3_T4_T5_mT6_P12ihipStream_tbENKUlT_T0_E_clISt17integral_constantIbLb1EESZ_EEDaSU_SV_EUlSU_E_NS1_11comp_targetILNS1_3genE10ELNS1_11target_archE1200ELNS1_3gpuE4ELNS1_3repE0EEENS1_30default_config_static_selectorELNS0_4arch9wavefront6targetE1EEEvT1_
	.p2align	8
	.type	_ZN7rocprim17ROCPRIM_400000_NS6detail17trampoline_kernelINS0_14default_configENS1_20scan_config_selectorIN3c107complexIfEEEEZZNS1_9scan_implILNS1_25lookback_scan_determinismE0ELb0ELb0ES3_PKS7_PS7_S7_ZZZN2at6native31launch_logcumsumexp_cuda_kernelERKNSE_10TensorBaseESI_lENKUlvE_clEvENKUlvE2_clEvEUlS7_S7_E_S7_EEDaPvRmT3_T4_T5_mT6_P12ihipStream_tbENKUlT_T0_E_clISt17integral_constantIbLb1EESZ_EEDaSU_SV_EUlSU_E_NS1_11comp_targetILNS1_3genE10ELNS1_11target_archE1200ELNS1_3gpuE4ELNS1_3repE0EEENS1_30default_config_static_selectorELNS0_4arch9wavefront6targetE1EEEvT1_,@function
_ZN7rocprim17ROCPRIM_400000_NS6detail17trampoline_kernelINS0_14default_configENS1_20scan_config_selectorIN3c107complexIfEEEEZZNS1_9scan_implILNS1_25lookback_scan_determinismE0ELb0ELb0ES3_PKS7_PS7_S7_ZZZN2at6native31launch_logcumsumexp_cuda_kernelERKNSE_10TensorBaseESI_lENKUlvE_clEvENKUlvE2_clEvEUlS7_S7_E_S7_EEDaPvRmT3_T4_T5_mT6_P12ihipStream_tbENKUlT_T0_E_clISt17integral_constantIbLb1EESZ_EEDaSU_SV_EUlSU_E_NS1_11comp_targetILNS1_3genE10ELNS1_11target_archE1200ELNS1_3gpuE4ELNS1_3repE0EEENS1_30default_config_static_selectorELNS0_4arch9wavefront6targetE1EEEvT1_: ; @_ZN7rocprim17ROCPRIM_400000_NS6detail17trampoline_kernelINS0_14default_configENS1_20scan_config_selectorIN3c107complexIfEEEEZZNS1_9scan_implILNS1_25lookback_scan_determinismE0ELb0ELb0ES3_PKS7_PS7_S7_ZZZN2at6native31launch_logcumsumexp_cuda_kernelERKNSE_10TensorBaseESI_lENKUlvE_clEvENKUlvE2_clEvEUlS7_S7_E_S7_EEDaPvRmT3_T4_T5_mT6_P12ihipStream_tbENKUlT_T0_E_clISt17integral_constantIbLb1EESZ_EEDaSU_SV_EUlSU_E_NS1_11comp_targetILNS1_3genE10ELNS1_11target_archE1200ELNS1_3gpuE4ELNS1_3repE0EEENS1_30default_config_static_selectorELNS0_4arch9wavefront6targetE1EEEvT1_
; %bb.0:
	.section	.rodata,"a",@progbits
	.p2align	6, 0x0
	.amdhsa_kernel _ZN7rocprim17ROCPRIM_400000_NS6detail17trampoline_kernelINS0_14default_configENS1_20scan_config_selectorIN3c107complexIfEEEEZZNS1_9scan_implILNS1_25lookback_scan_determinismE0ELb0ELb0ES3_PKS7_PS7_S7_ZZZN2at6native31launch_logcumsumexp_cuda_kernelERKNSE_10TensorBaseESI_lENKUlvE_clEvENKUlvE2_clEvEUlS7_S7_E_S7_EEDaPvRmT3_T4_T5_mT6_P12ihipStream_tbENKUlT_T0_E_clISt17integral_constantIbLb1EESZ_EEDaSU_SV_EUlSU_E_NS1_11comp_targetILNS1_3genE10ELNS1_11target_archE1200ELNS1_3gpuE4ELNS1_3repE0EEENS1_30default_config_static_selectorELNS0_4arch9wavefront6targetE1EEEvT1_
		.amdhsa_group_segment_fixed_size 0
		.amdhsa_private_segment_fixed_size 0
		.amdhsa_kernarg_size 104
		.amdhsa_user_sgpr_count 2
		.amdhsa_user_sgpr_dispatch_ptr 0
		.amdhsa_user_sgpr_queue_ptr 0
		.amdhsa_user_sgpr_kernarg_segment_ptr 1
		.amdhsa_user_sgpr_dispatch_id 0
		.amdhsa_user_sgpr_kernarg_preload_length 0
		.amdhsa_user_sgpr_kernarg_preload_offset 0
		.amdhsa_user_sgpr_private_segment_size 0
		.amdhsa_uses_dynamic_stack 0
		.amdhsa_enable_private_segment 0
		.amdhsa_system_sgpr_workgroup_id_x 1
		.amdhsa_system_sgpr_workgroup_id_y 0
		.amdhsa_system_sgpr_workgroup_id_z 0
		.amdhsa_system_sgpr_workgroup_info 0
		.amdhsa_system_vgpr_workitem_id 0
		.amdhsa_next_free_vgpr 1
		.amdhsa_next_free_sgpr 0
		.amdhsa_accum_offset 4
		.amdhsa_reserve_vcc 0
		.amdhsa_float_round_mode_32 0
		.amdhsa_float_round_mode_16_64 0
		.amdhsa_float_denorm_mode_32 3
		.amdhsa_float_denorm_mode_16_64 3
		.amdhsa_dx10_clamp 1
		.amdhsa_ieee_mode 1
		.amdhsa_fp16_overflow 0
		.amdhsa_tg_split 0
		.amdhsa_exception_fp_ieee_invalid_op 0
		.amdhsa_exception_fp_denorm_src 0
		.amdhsa_exception_fp_ieee_div_zero 0
		.amdhsa_exception_fp_ieee_overflow 0
		.amdhsa_exception_fp_ieee_underflow 0
		.amdhsa_exception_fp_ieee_inexact 0
		.amdhsa_exception_int_div_zero 0
	.end_amdhsa_kernel
	.section	.text._ZN7rocprim17ROCPRIM_400000_NS6detail17trampoline_kernelINS0_14default_configENS1_20scan_config_selectorIN3c107complexIfEEEEZZNS1_9scan_implILNS1_25lookback_scan_determinismE0ELb0ELb0ES3_PKS7_PS7_S7_ZZZN2at6native31launch_logcumsumexp_cuda_kernelERKNSE_10TensorBaseESI_lENKUlvE_clEvENKUlvE2_clEvEUlS7_S7_E_S7_EEDaPvRmT3_T4_T5_mT6_P12ihipStream_tbENKUlT_T0_E_clISt17integral_constantIbLb1EESZ_EEDaSU_SV_EUlSU_E_NS1_11comp_targetILNS1_3genE10ELNS1_11target_archE1200ELNS1_3gpuE4ELNS1_3repE0EEENS1_30default_config_static_selectorELNS0_4arch9wavefront6targetE1EEEvT1_,"axG",@progbits,_ZN7rocprim17ROCPRIM_400000_NS6detail17trampoline_kernelINS0_14default_configENS1_20scan_config_selectorIN3c107complexIfEEEEZZNS1_9scan_implILNS1_25lookback_scan_determinismE0ELb0ELb0ES3_PKS7_PS7_S7_ZZZN2at6native31launch_logcumsumexp_cuda_kernelERKNSE_10TensorBaseESI_lENKUlvE_clEvENKUlvE2_clEvEUlS7_S7_E_S7_EEDaPvRmT3_T4_T5_mT6_P12ihipStream_tbENKUlT_T0_E_clISt17integral_constantIbLb1EESZ_EEDaSU_SV_EUlSU_E_NS1_11comp_targetILNS1_3genE10ELNS1_11target_archE1200ELNS1_3gpuE4ELNS1_3repE0EEENS1_30default_config_static_selectorELNS0_4arch9wavefront6targetE1EEEvT1_,comdat
.Lfunc_end297:
	.size	_ZN7rocprim17ROCPRIM_400000_NS6detail17trampoline_kernelINS0_14default_configENS1_20scan_config_selectorIN3c107complexIfEEEEZZNS1_9scan_implILNS1_25lookback_scan_determinismE0ELb0ELb0ES3_PKS7_PS7_S7_ZZZN2at6native31launch_logcumsumexp_cuda_kernelERKNSE_10TensorBaseESI_lENKUlvE_clEvENKUlvE2_clEvEUlS7_S7_E_S7_EEDaPvRmT3_T4_T5_mT6_P12ihipStream_tbENKUlT_T0_E_clISt17integral_constantIbLb1EESZ_EEDaSU_SV_EUlSU_E_NS1_11comp_targetILNS1_3genE10ELNS1_11target_archE1200ELNS1_3gpuE4ELNS1_3repE0EEENS1_30default_config_static_selectorELNS0_4arch9wavefront6targetE1EEEvT1_, .Lfunc_end297-_ZN7rocprim17ROCPRIM_400000_NS6detail17trampoline_kernelINS0_14default_configENS1_20scan_config_selectorIN3c107complexIfEEEEZZNS1_9scan_implILNS1_25lookback_scan_determinismE0ELb0ELb0ES3_PKS7_PS7_S7_ZZZN2at6native31launch_logcumsumexp_cuda_kernelERKNSE_10TensorBaseESI_lENKUlvE_clEvENKUlvE2_clEvEUlS7_S7_E_S7_EEDaPvRmT3_T4_T5_mT6_P12ihipStream_tbENKUlT_T0_E_clISt17integral_constantIbLb1EESZ_EEDaSU_SV_EUlSU_E_NS1_11comp_targetILNS1_3genE10ELNS1_11target_archE1200ELNS1_3gpuE4ELNS1_3repE0EEENS1_30default_config_static_selectorELNS0_4arch9wavefront6targetE1EEEvT1_
                                        ; -- End function
	.set _ZN7rocprim17ROCPRIM_400000_NS6detail17trampoline_kernelINS0_14default_configENS1_20scan_config_selectorIN3c107complexIfEEEEZZNS1_9scan_implILNS1_25lookback_scan_determinismE0ELb0ELb0ES3_PKS7_PS7_S7_ZZZN2at6native31launch_logcumsumexp_cuda_kernelERKNSE_10TensorBaseESI_lENKUlvE_clEvENKUlvE2_clEvEUlS7_S7_E_S7_EEDaPvRmT3_T4_T5_mT6_P12ihipStream_tbENKUlT_T0_E_clISt17integral_constantIbLb1EESZ_EEDaSU_SV_EUlSU_E_NS1_11comp_targetILNS1_3genE10ELNS1_11target_archE1200ELNS1_3gpuE4ELNS1_3repE0EEENS1_30default_config_static_selectorELNS0_4arch9wavefront6targetE1EEEvT1_.num_vgpr, 0
	.set _ZN7rocprim17ROCPRIM_400000_NS6detail17trampoline_kernelINS0_14default_configENS1_20scan_config_selectorIN3c107complexIfEEEEZZNS1_9scan_implILNS1_25lookback_scan_determinismE0ELb0ELb0ES3_PKS7_PS7_S7_ZZZN2at6native31launch_logcumsumexp_cuda_kernelERKNSE_10TensorBaseESI_lENKUlvE_clEvENKUlvE2_clEvEUlS7_S7_E_S7_EEDaPvRmT3_T4_T5_mT6_P12ihipStream_tbENKUlT_T0_E_clISt17integral_constantIbLb1EESZ_EEDaSU_SV_EUlSU_E_NS1_11comp_targetILNS1_3genE10ELNS1_11target_archE1200ELNS1_3gpuE4ELNS1_3repE0EEENS1_30default_config_static_selectorELNS0_4arch9wavefront6targetE1EEEvT1_.num_agpr, 0
	.set _ZN7rocprim17ROCPRIM_400000_NS6detail17trampoline_kernelINS0_14default_configENS1_20scan_config_selectorIN3c107complexIfEEEEZZNS1_9scan_implILNS1_25lookback_scan_determinismE0ELb0ELb0ES3_PKS7_PS7_S7_ZZZN2at6native31launch_logcumsumexp_cuda_kernelERKNSE_10TensorBaseESI_lENKUlvE_clEvENKUlvE2_clEvEUlS7_S7_E_S7_EEDaPvRmT3_T4_T5_mT6_P12ihipStream_tbENKUlT_T0_E_clISt17integral_constantIbLb1EESZ_EEDaSU_SV_EUlSU_E_NS1_11comp_targetILNS1_3genE10ELNS1_11target_archE1200ELNS1_3gpuE4ELNS1_3repE0EEENS1_30default_config_static_selectorELNS0_4arch9wavefront6targetE1EEEvT1_.numbered_sgpr, 0
	.set _ZN7rocprim17ROCPRIM_400000_NS6detail17trampoline_kernelINS0_14default_configENS1_20scan_config_selectorIN3c107complexIfEEEEZZNS1_9scan_implILNS1_25lookback_scan_determinismE0ELb0ELb0ES3_PKS7_PS7_S7_ZZZN2at6native31launch_logcumsumexp_cuda_kernelERKNSE_10TensorBaseESI_lENKUlvE_clEvENKUlvE2_clEvEUlS7_S7_E_S7_EEDaPvRmT3_T4_T5_mT6_P12ihipStream_tbENKUlT_T0_E_clISt17integral_constantIbLb1EESZ_EEDaSU_SV_EUlSU_E_NS1_11comp_targetILNS1_3genE10ELNS1_11target_archE1200ELNS1_3gpuE4ELNS1_3repE0EEENS1_30default_config_static_selectorELNS0_4arch9wavefront6targetE1EEEvT1_.num_named_barrier, 0
	.set _ZN7rocprim17ROCPRIM_400000_NS6detail17trampoline_kernelINS0_14default_configENS1_20scan_config_selectorIN3c107complexIfEEEEZZNS1_9scan_implILNS1_25lookback_scan_determinismE0ELb0ELb0ES3_PKS7_PS7_S7_ZZZN2at6native31launch_logcumsumexp_cuda_kernelERKNSE_10TensorBaseESI_lENKUlvE_clEvENKUlvE2_clEvEUlS7_S7_E_S7_EEDaPvRmT3_T4_T5_mT6_P12ihipStream_tbENKUlT_T0_E_clISt17integral_constantIbLb1EESZ_EEDaSU_SV_EUlSU_E_NS1_11comp_targetILNS1_3genE10ELNS1_11target_archE1200ELNS1_3gpuE4ELNS1_3repE0EEENS1_30default_config_static_selectorELNS0_4arch9wavefront6targetE1EEEvT1_.private_seg_size, 0
	.set _ZN7rocprim17ROCPRIM_400000_NS6detail17trampoline_kernelINS0_14default_configENS1_20scan_config_selectorIN3c107complexIfEEEEZZNS1_9scan_implILNS1_25lookback_scan_determinismE0ELb0ELb0ES3_PKS7_PS7_S7_ZZZN2at6native31launch_logcumsumexp_cuda_kernelERKNSE_10TensorBaseESI_lENKUlvE_clEvENKUlvE2_clEvEUlS7_S7_E_S7_EEDaPvRmT3_T4_T5_mT6_P12ihipStream_tbENKUlT_T0_E_clISt17integral_constantIbLb1EESZ_EEDaSU_SV_EUlSU_E_NS1_11comp_targetILNS1_3genE10ELNS1_11target_archE1200ELNS1_3gpuE4ELNS1_3repE0EEENS1_30default_config_static_selectorELNS0_4arch9wavefront6targetE1EEEvT1_.uses_vcc, 0
	.set _ZN7rocprim17ROCPRIM_400000_NS6detail17trampoline_kernelINS0_14default_configENS1_20scan_config_selectorIN3c107complexIfEEEEZZNS1_9scan_implILNS1_25lookback_scan_determinismE0ELb0ELb0ES3_PKS7_PS7_S7_ZZZN2at6native31launch_logcumsumexp_cuda_kernelERKNSE_10TensorBaseESI_lENKUlvE_clEvENKUlvE2_clEvEUlS7_S7_E_S7_EEDaPvRmT3_T4_T5_mT6_P12ihipStream_tbENKUlT_T0_E_clISt17integral_constantIbLb1EESZ_EEDaSU_SV_EUlSU_E_NS1_11comp_targetILNS1_3genE10ELNS1_11target_archE1200ELNS1_3gpuE4ELNS1_3repE0EEENS1_30default_config_static_selectorELNS0_4arch9wavefront6targetE1EEEvT1_.uses_flat_scratch, 0
	.set _ZN7rocprim17ROCPRIM_400000_NS6detail17trampoline_kernelINS0_14default_configENS1_20scan_config_selectorIN3c107complexIfEEEEZZNS1_9scan_implILNS1_25lookback_scan_determinismE0ELb0ELb0ES3_PKS7_PS7_S7_ZZZN2at6native31launch_logcumsumexp_cuda_kernelERKNSE_10TensorBaseESI_lENKUlvE_clEvENKUlvE2_clEvEUlS7_S7_E_S7_EEDaPvRmT3_T4_T5_mT6_P12ihipStream_tbENKUlT_T0_E_clISt17integral_constantIbLb1EESZ_EEDaSU_SV_EUlSU_E_NS1_11comp_targetILNS1_3genE10ELNS1_11target_archE1200ELNS1_3gpuE4ELNS1_3repE0EEENS1_30default_config_static_selectorELNS0_4arch9wavefront6targetE1EEEvT1_.has_dyn_sized_stack, 0
	.set _ZN7rocprim17ROCPRIM_400000_NS6detail17trampoline_kernelINS0_14default_configENS1_20scan_config_selectorIN3c107complexIfEEEEZZNS1_9scan_implILNS1_25lookback_scan_determinismE0ELb0ELb0ES3_PKS7_PS7_S7_ZZZN2at6native31launch_logcumsumexp_cuda_kernelERKNSE_10TensorBaseESI_lENKUlvE_clEvENKUlvE2_clEvEUlS7_S7_E_S7_EEDaPvRmT3_T4_T5_mT6_P12ihipStream_tbENKUlT_T0_E_clISt17integral_constantIbLb1EESZ_EEDaSU_SV_EUlSU_E_NS1_11comp_targetILNS1_3genE10ELNS1_11target_archE1200ELNS1_3gpuE4ELNS1_3repE0EEENS1_30default_config_static_selectorELNS0_4arch9wavefront6targetE1EEEvT1_.has_recursion, 0
	.set _ZN7rocprim17ROCPRIM_400000_NS6detail17trampoline_kernelINS0_14default_configENS1_20scan_config_selectorIN3c107complexIfEEEEZZNS1_9scan_implILNS1_25lookback_scan_determinismE0ELb0ELb0ES3_PKS7_PS7_S7_ZZZN2at6native31launch_logcumsumexp_cuda_kernelERKNSE_10TensorBaseESI_lENKUlvE_clEvENKUlvE2_clEvEUlS7_S7_E_S7_EEDaPvRmT3_T4_T5_mT6_P12ihipStream_tbENKUlT_T0_E_clISt17integral_constantIbLb1EESZ_EEDaSU_SV_EUlSU_E_NS1_11comp_targetILNS1_3genE10ELNS1_11target_archE1200ELNS1_3gpuE4ELNS1_3repE0EEENS1_30default_config_static_selectorELNS0_4arch9wavefront6targetE1EEEvT1_.has_indirect_call, 0
	.section	.AMDGPU.csdata,"",@progbits
; Kernel info:
; codeLenInByte = 0
; TotalNumSgprs: 6
; NumVgprs: 0
; NumAgprs: 0
; TotalNumVgprs: 0
; ScratchSize: 0
; MemoryBound: 0
; FloatMode: 240
; IeeeMode: 1
; LDSByteSize: 0 bytes/workgroup (compile time only)
; SGPRBlocks: 0
; VGPRBlocks: 0
; NumSGPRsForWavesPerEU: 6
; NumVGPRsForWavesPerEU: 1
; AccumOffset: 4
; Occupancy: 8
; WaveLimiterHint : 0
; COMPUTE_PGM_RSRC2:SCRATCH_EN: 0
; COMPUTE_PGM_RSRC2:USER_SGPR: 2
; COMPUTE_PGM_RSRC2:TRAP_HANDLER: 0
; COMPUTE_PGM_RSRC2:TGID_X_EN: 1
; COMPUTE_PGM_RSRC2:TGID_Y_EN: 0
; COMPUTE_PGM_RSRC2:TGID_Z_EN: 0
; COMPUTE_PGM_RSRC2:TIDIG_COMP_CNT: 0
; COMPUTE_PGM_RSRC3_GFX90A:ACCUM_OFFSET: 0
; COMPUTE_PGM_RSRC3_GFX90A:TG_SPLIT: 0
	.section	.text._ZN7rocprim17ROCPRIM_400000_NS6detail17trampoline_kernelINS0_14default_configENS1_20scan_config_selectorIN3c107complexIfEEEEZZNS1_9scan_implILNS1_25lookback_scan_determinismE0ELb0ELb0ES3_PKS7_PS7_S7_ZZZN2at6native31launch_logcumsumexp_cuda_kernelERKNSE_10TensorBaseESI_lENKUlvE_clEvENKUlvE2_clEvEUlS7_S7_E_S7_EEDaPvRmT3_T4_T5_mT6_P12ihipStream_tbENKUlT_T0_E_clISt17integral_constantIbLb1EESZ_EEDaSU_SV_EUlSU_E_NS1_11comp_targetILNS1_3genE9ELNS1_11target_archE1100ELNS1_3gpuE3ELNS1_3repE0EEENS1_30default_config_static_selectorELNS0_4arch9wavefront6targetE1EEEvT1_,"axG",@progbits,_ZN7rocprim17ROCPRIM_400000_NS6detail17trampoline_kernelINS0_14default_configENS1_20scan_config_selectorIN3c107complexIfEEEEZZNS1_9scan_implILNS1_25lookback_scan_determinismE0ELb0ELb0ES3_PKS7_PS7_S7_ZZZN2at6native31launch_logcumsumexp_cuda_kernelERKNSE_10TensorBaseESI_lENKUlvE_clEvENKUlvE2_clEvEUlS7_S7_E_S7_EEDaPvRmT3_T4_T5_mT6_P12ihipStream_tbENKUlT_T0_E_clISt17integral_constantIbLb1EESZ_EEDaSU_SV_EUlSU_E_NS1_11comp_targetILNS1_3genE9ELNS1_11target_archE1100ELNS1_3gpuE3ELNS1_3repE0EEENS1_30default_config_static_selectorELNS0_4arch9wavefront6targetE1EEEvT1_,comdat
	.globl	_ZN7rocprim17ROCPRIM_400000_NS6detail17trampoline_kernelINS0_14default_configENS1_20scan_config_selectorIN3c107complexIfEEEEZZNS1_9scan_implILNS1_25lookback_scan_determinismE0ELb0ELb0ES3_PKS7_PS7_S7_ZZZN2at6native31launch_logcumsumexp_cuda_kernelERKNSE_10TensorBaseESI_lENKUlvE_clEvENKUlvE2_clEvEUlS7_S7_E_S7_EEDaPvRmT3_T4_T5_mT6_P12ihipStream_tbENKUlT_T0_E_clISt17integral_constantIbLb1EESZ_EEDaSU_SV_EUlSU_E_NS1_11comp_targetILNS1_3genE9ELNS1_11target_archE1100ELNS1_3gpuE3ELNS1_3repE0EEENS1_30default_config_static_selectorELNS0_4arch9wavefront6targetE1EEEvT1_ ; -- Begin function _ZN7rocprim17ROCPRIM_400000_NS6detail17trampoline_kernelINS0_14default_configENS1_20scan_config_selectorIN3c107complexIfEEEEZZNS1_9scan_implILNS1_25lookback_scan_determinismE0ELb0ELb0ES3_PKS7_PS7_S7_ZZZN2at6native31launch_logcumsumexp_cuda_kernelERKNSE_10TensorBaseESI_lENKUlvE_clEvENKUlvE2_clEvEUlS7_S7_E_S7_EEDaPvRmT3_T4_T5_mT6_P12ihipStream_tbENKUlT_T0_E_clISt17integral_constantIbLb1EESZ_EEDaSU_SV_EUlSU_E_NS1_11comp_targetILNS1_3genE9ELNS1_11target_archE1100ELNS1_3gpuE3ELNS1_3repE0EEENS1_30default_config_static_selectorELNS0_4arch9wavefront6targetE1EEEvT1_
	.p2align	8
	.type	_ZN7rocprim17ROCPRIM_400000_NS6detail17trampoline_kernelINS0_14default_configENS1_20scan_config_selectorIN3c107complexIfEEEEZZNS1_9scan_implILNS1_25lookback_scan_determinismE0ELb0ELb0ES3_PKS7_PS7_S7_ZZZN2at6native31launch_logcumsumexp_cuda_kernelERKNSE_10TensorBaseESI_lENKUlvE_clEvENKUlvE2_clEvEUlS7_S7_E_S7_EEDaPvRmT3_T4_T5_mT6_P12ihipStream_tbENKUlT_T0_E_clISt17integral_constantIbLb1EESZ_EEDaSU_SV_EUlSU_E_NS1_11comp_targetILNS1_3genE9ELNS1_11target_archE1100ELNS1_3gpuE3ELNS1_3repE0EEENS1_30default_config_static_selectorELNS0_4arch9wavefront6targetE1EEEvT1_,@function
_ZN7rocprim17ROCPRIM_400000_NS6detail17trampoline_kernelINS0_14default_configENS1_20scan_config_selectorIN3c107complexIfEEEEZZNS1_9scan_implILNS1_25lookback_scan_determinismE0ELb0ELb0ES3_PKS7_PS7_S7_ZZZN2at6native31launch_logcumsumexp_cuda_kernelERKNSE_10TensorBaseESI_lENKUlvE_clEvENKUlvE2_clEvEUlS7_S7_E_S7_EEDaPvRmT3_T4_T5_mT6_P12ihipStream_tbENKUlT_T0_E_clISt17integral_constantIbLb1EESZ_EEDaSU_SV_EUlSU_E_NS1_11comp_targetILNS1_3genE9ELNS1_11target_archE1100ELNS1_3gpuE3ELNS1_3repE0EEENS1_30default_config_static_selectorELNS0_4arch9wavefront6targetE1EEEvT1_: ; @_ZN7rocprim17ROCPRIM_400000_NS6detail17trampoline_kernelINS0_14default_configENS1_20scan_config_selectorIN3c107complexIfEEEEZZNS1_9scan_implILNS1_25lookback_scan_determinismE0ELb0ELb0ES3_PKS7_PS7_S7_ZZZN2at6native31launch_logcumsumexp_cuda_kernelERKNSE_10TensorBaseESI_lENKUlvE_clEvENKUlvE2_clEvEUlS7_S7_E_S7_EEDaPvRmT3_T4_T5_mT6_P12ihipStream_tbENKUlT_T0_E_clISt17integral_constantIbLb1EESZ_EEDaSU_SV_EUlSU_E_NS1_11comp_targetILNS1_3genE9ELNS1_11target_archE1100ELNS1_3gpuE3ELNS1_3repE0EEENS1_30default_config_static_selectorELNS0_4arch9wavefront6targetE1EEEvT1_
; %bb.0:
	.section	.rodata,"a",@progbits
	.p2align	6, 0x0
	.amdhsa_kernel _ZN7rocprim17ROCPRIM_400000_NS6detail17trampoline_kernelINS0_14default_configENS1_20scan_config_selectorIN3c107complexIfEEEEZZNS1_9scan_implILNS1_25lookback_scan_determinismE0ELb0ELb0ES3_PKS7_PS7_S7_ZZZN2at6native31launch_logcumsumexp_cuda_kernelERKNSE_10TensorBaseESI_lENKUlvE_clEvENKUlvE2_clEvEUlS7_S7_E_S7_EEDaPvRmT3_T4_T5_mT6_P12ihipStream_tbENKUlT_T0_E_clISt17integral_constantIbLb1EESZ_EEDaSU_SV_EUlSU_E_NS1_11comp_targetILNS1_3genE9ELNS1_11target_archE1100ELNS1_3gpuE3ELNS1_3repE0EEENS1_30default_config_static_selectorELNS0_4arch9wavefront6targetE1EEEvT1_
		.amdhsa_group_segment_fixed_size 0
		.amdhsa_private_segment_fixed_size 0
		.amdhsa_kernarg_size 104
		.amdhsa_user_sgpr_count 2
		.amdhsa_user_sgpr_dispatch_ptr 0
		.amdhsa_user_sgpr_queue_ptr 0
		.amdhsa_user_sgpr_kernarg_segment_ptr 1
		.amdhsa_user_sgpr_dispatch_id 0
		.amdhsa_user_sgpr_kernarg_preload_length 0
		.amdhsa_user_sgpr_kernarg_preload_offset 0
		.amdhsa_user_sgpr_private_segment_size 0
		.amdhsa_uses_dynamic_stack 0
		.amdhsa_enable_private_segment 0
		.amdhsa_system_sgpr_workgroup_id_x 1
		.amdhsa_system_sgpr_workgroup_id_y 0
		.amdhsa_system_sgpr_workgroup_id_z 0
		.amdhsa_system_sgpr_workgroup_info 0
		.amdhsa_system_vgpr_workitem_id 0
		.amdhsa_next_free_vgpr 1
		.amdhsa_next_free_sgpr 0
		.amdhsa_accum_offset 4
		.amdhsa_reserve_vcc 0
		.amdhsa_float_round_mode_32 0
		.amdhsa_float_round_mode_16_64 0
		.amdhsa_float_denorm_mode_32 3
		.amdhsa_float_denorm_mode_16_64 3
		.amdhsa_dx10_clamp 1
		.amdhsa_ieee_mode 1
		.amdhsa_fp16_overflow 0
		.amdhsa_tg_split 0
		.amdhsa_exception_fp_ieee_invalid_op 0
		.amdhsa_exception_fp_denorm_src 0
		.amdhsa_exception_fp_ieee_div_zero 0
		.amdhsa_exception_fp_ieee_overflow 0
		.amdhsa_exception_fp_ieee_underflow 0
		.amdhsa_exception_fp_ieee_inexact 0
		.amdhsa_exception_int_div_zero 0
	.end_amdhsa_kernel
	.section	.text._ZN7rocprim17ROCPRIM_400000_NS6detail17trampoline_kernelINS0_14default_configENS1_20scan_config_selectorIN3c107complexIfEEEEZZNS1_9scan_implILNS1_25lookback_scan_determinismE0ELb0ELb0ES3_PKS7_PS7_S7_ZZZN2at6native31launch_logcumsumexp_cuda_kernelERKNSE_10TensorBaseESI_lENKUlvE_clEvENKUlvE2_clEvEUlS7_S7_E_S7_EEDaPvRmT3_T4_T5_mT6_P12ihipStream_tbENKUlT_T0_E_clISt17integral_constantIbLb1EESZ_EEDaSU_SV_EUlSU_E_NS1_11comp_targetILNS1_3genE9ELNS1_11target_archE1100ELNS1_3gpuE3ELNS1_3repE0EEENS1_30default_config_static_selectorELNS0_4arch9wavefront6targetE1EEEvT1_,"axG",@progbits,_ZN7rocprim17ROCPRIM_400000_NS6detail17trampoline_kernelINS0_14default_configENS1_20scan_config_selectorIN3c107complexIfEEEEZZNS1_9scan_implILNS1_25lookback_scan_determinismE0ELb0ELb0ES3_PKS7_PS7_S7_ZZZN2at6native31launch_logcumsumexp_cuda_kernelERKNSE_10TensorBaseESI_lENKUlvE_clEvENKUlvE2_clEvEUlS7_S7_E_S7_EEDaPvRmT3_T4_T5_mT6_P12ihipStream_tbENKUlT_T0_E_clISt17integral_constantIbLb1EESZ_EEDaSU_SV_EUlSU_E_NS1_11comp_targetILNS1_3genE9ELNS1_11target_archE1100ELNS1_3gpuE3ELNS1_3repE0EEENS1_30default_config_static_selectorELNS0_4arch9wavefront6targetE1EEEvT1_,comdat
.Lfunc_end298:
	.size	_ZN7rocprim17ROCPRIM_400000_NS6detail17trampoline_kernelINS0_14default_configENS1_20scan_config_selectorIN3c107complexIfEEEEZZNS1_9scan_implILNS1_25lookback_scan_determinismE0ELb0ELb0ES3_PKS7_PS7_S7_ZZZN2at6native31launch_logcumsumexp_cuda_kernelERKNSE_10TensorBaseESI_lENKUlvE_clEvENKUlvE2_clEvEUlS7_S7_E_S7_EEDaPvRmT3_T4_T5_mT6_P12ihipStream_tbENKUlT_T0_E_clISt17integral_constantIbLb1EESZ_EEDaSU_SV_EUlSU_E_NS1_11comp_targetILNS1_3genE9ELNS1_11target_archE1100ELNS1_3gpuE3ELNS1_3repE0EEENS1_30default_config_static_selectorELNS0_4arch9wavefront6targetE1EEEvT1_, .Lfunc_end298-_ZN7rocprim17ROCPRIM_400000_NS6detail17trampoline_kernelINS0_14default_configENS1_20scan_config_selectorIN3c107complexIfEEEEZZNS1_9scan_implILNS1_25lookback_scan_determinismE0ELb0ELb0ES3_PKS7_PS7_S7_ZZZN2at6native31launch_logcumsumexp_cuda_kernelERKNSE_10TensorBaseESI_lENKUlvE_clEvENKUlvE2_clEvEUlS7_S7_E_S7_EEDaPvRmT3_T4_T5_mT6_P12ihipStream_tbENKUlT_T0_E_clISt17integral_constantIbLb1EESZ_EEDaSU_SV_EUlSU_E_NS1_11comp_targetILNS1_3genE9ELNS1_11target_archE1100ELNS1_3gpuE3ELNS1_3repE0EEENS1_30default_config_static_selectorELNS0_4arch9wavefront6targetE1EEEvT1_
                                        ; -- End function
	.set _ZN7rocprim17ROCPRIM_400000_NS6detail17trampoline_kernelINS0_14default_configENS1_20scan_config_selectorIN3c107complexIfEEEEZZNS1_9scan_implILNS1_25lookback_scan_determinismE0ELb0ELb0ES3_PKS7_PS7_S7_ZZZN2at6native31launch_logcumsumexp_cuda_kernelERKNSE_10TensorBaseESI_lENKUlvE_clEvENKUlvE2_clEvEUlS7_S7_E_S7_EEDaPvRmT3_T4_T5_mT6_P12ihipStream_tbENKUlT_T0_E_clISt17integral_constantIbLb1EESZ_EEDaSU_SV_EUlSU_E_NS1_11comp_targetILNS1_3genE9ELNS1_11target_archE1100ELNS1_3gpuE3ELNS1_3repE0EEENS1_30default_config_static_selectorELNS0_4arch9wavefront6targetE1EEEvT1_.num_vgpr, 0
	.set _ZN7rocprim17ROCPRIM_400000_NS6detail17trampoline_kernelINS0_14default_configENS1_20scan_config_selectorIN3c107complexIfEEEEZZNS1_9scan_implILNS1_25lookback_scan_determinismE0ELb0ELb0ES3_PKS7_PS7_S7_ZZZN2at6native31launch_logcumsumexp_cuda_kernelERKNSE_10TensorBaseESI_lENKUlvE_clEvENKUlvE2_clEvEUlS7_S7_E_S7_EEDaPvRmT3_T4_T5_mT6_P12ihipStream_tbENKUlT_T0_E_clISt17integral_constantIbLb1EESZ_EEDaSU_SV_EUlSU_E_NS1_11comp_targetILNS1_3genE9ELNS1_11target_archE1100ELNS1_3gpuE3ELNS1_3repE0EEENS1_30default_config_static_selectorELNS0_4arch9wavefront6targetE1EEEvT1_.num_agpr, 0
	.set _ZN7rocprim17ROCPRIM_400000_NS6detail17trampoline_kernelINS0_14default_configENS1_20scan_config_selectorIN3c107complexIfEEEEZZNS1_9scan_implILNS1_25lookback_scan_determinismE0ELb0ELb0ES3_PKS7_PS7_S7_ZZZN2at6native31launch_logcumsumexp_cuda_kernelERKNSE_10TensorBaseESI_lENKUlvE_clEvENKUlvE2_clEvEUlS7_S7_E_S7_EEDaPvRmT3_T4_T5_mT6_P12ihipStream_tbENKUlT_T0_E_clISt17integral_constantIbLb1EESZ_EEDaSU_SV_EUlSU_E_NS1_11comp_targetILNS1_3genE9ELNS1_11target_archE1100ELNS1_3gpuE3ELNS1_3repE0EEENS1_30default_config_static_selectorELNS0_4arch9wavefront6targetE1EEEvT1_.numbered_sgpr, 0
	.set _ZN7rocprim17ROCPRIM_400000_NS6detail17trampoline_kernelINS0_14default_configENS1_20scan_config_selectorIN3c107complexIfEEEEZZNS1_9scan_implILNS1_25lookback_scan_determinismE0ELb0ELb0ES3_PKS7_PS7_S7_ZZZN2at6native31launch_logcumsumexp_cuda_kernelERKNSE_10TensorBaseESI_lENKUlvE_clEvENKUlvE2_clEvEUlS7_S7_E_S7_EEDaPvRmT3_T4_T5_mT6_P12ihipStream_tbENKUlT_T0_E_clISt17integral_constantIbLb1EESZ_EEDaSU_SV_EUlSU_E_NS1_11comp_targetILNS1_3genE9ELNS1_11target_archE1100ELNS1_3gpuE3ELNS1_3repE0EEENS1_30default_config_static_selectorELNS0_4arch9wavefront6targetE1EEEvT1_.num_named_barrier, 0
	.set _ZN7rocprim17ROCPRIM_400000_NS6detail17trampoline_kernelINS0_14default_configENS1_20scan_config_selectorIN3c107complexIfEEEEZZNS1_9scan_implILNS1_25lookback_scan_determinismE0ELb0ELb0ES3_PKS7_PS7_S7_ZZZN2at6native31launch_logcumsumexp_cuda_kernelERKNSE_10TensorBaseESI_lENKUlvE_clEvENKUlvE2_clEvEUlS7_S7_E_S7_EEDaPvRmT3_T4_T5_mT6_P12ihipStream_tbENKUlT_T0_E_clISt17integral_constantIbLb1EESZ_EEDaSU_SV_EUlSU_E_NS1_11comp_targetILNS1_3genE9ELNS1_11target_archE1100ELNS1_3gpuE3ELNS1_3repE0EEENS1_30default_config_static_selectorELNS0_4arch9wavefront6targetE1EEEvT1_.private_seg_size, 0
	.set _ZN7rocprim17ROCPRIM_400000_NS6detail17trampoline_kernelINS0_14default_configENS1_20scan_config_selectorIN3c107complexIfEEEEZZNS1_9scan_implILNS1_25lookback_scan_determinismE0ELb0ELb0ES3_PKS7_PS7_S7_ZZZN2at6native31launch_logcumsumexp_cuda_kernelERKNSE_10TensorBaseESI_lENKUlvE_clEvENKUlvE2_clEvEUlS7_S7_E_S7_EEDaPvRmT3_T4_T5_mT6_P12ihipStream_tbENKUlT_T0_E_clISt17integral_constantIbLb1EESZ_EEDaSU_SV_EUlSU_E_NS1_11comp_targetILNS1_3genE9ELNS1_11target_archE1100ELNS1_3gpuE3ELNS1_3repE0EEENS1_30default_config_static_selectorELNS0_4arch9wavefront6targetE1EEEvT1_.uses_vcc, 0
	.set _ZN7rocprim17ROCPRIM_400000_NS6detail17trampoline_kernelINS0_14default_configENS1_20scan_config_selectorIN3c107complexIfEEEEZZNS1_9scan_implILNS1_25lookback_scan_determinismE0ELb0ELb0ES3_PKS7_PS7_S7_ZZZN2at6native31launch_logcumsumexp_cuda_kernelERKNSE_10TensorBaseESI_lENKUlvE_clEvENKUlvE2_clEvEUlS7_S7_E_S7_EEDaPvRmT3_T4_T5_mT6_P12ihipStream_tbENKUlT_T0_E_clISt17integral_constantIbLb1EESZ_EEDaSU_SV_EUlSU_E_NS1_11comp_targetILNS1_3genE9ELNS1_11target_archE1100ELNS1_3gpuE3ELNS1_3repE0EEENS1_30default_config_static_selectorELNS0_4arch9wavefront6targetE1EEEvT1_.uses_flat_scratch, 0
	.set _ZN7rocprim17ROCPRIM_400000_NS6detail17trampoline_kernelINS0_14default_configENS1_20scan_config_selectorIN3c107complexIfEEEEZZNS1_9scan_implILNS1_25lookback_scan_determinismE0ELb0ELb0ES3_PKS7_PS7_S7_ZZZN2at6native31launch_logcumsumexp_cuda_kernelERKNSE_10TensorBaseESI_lENKUlvE_clEvENKUlvE2_clEvEUlS7_S7_E_S7_EEDaPvRmT3_T4_T5_mT6_P12ihipStream_tbENKUlT_T0_E_clISt17integral_constantIbLb1EESZ_EEDaSU_SV_EUlSU_E_NS1_11comp_targetILNS1_3genE9ELNS1_11target_archE1100ELNS1_3gpuE3ELNS1_3repE0EEENS1_30default_config_static_selectorELNS0_4arch9wavefront6targetE1EEEvT1_.has_dyn_sized_stack, 0
	.set _ZN7rocprim17ROCPRIM_400000_NS6detail17trampoline_kernelINS0_14default_configENS1_20scan_config_selectorIN3c107complexIfEEEEZZNS1_9scan_implILNS1_25lookback_scan_determinismE0ELb0ELb0ES3_PKS7_PS7_S7_ZZZN2at6native31launch_logcumsumexp_cuda_kernelERKNSE_10TensorBaseESI_lENKUlvE_clEvENKUlvE2_clEvEUlS7_S7_E_S7_EEDaPvRmT3_T4_T5_mT6_P12ihipStream_tbENKUlT_T0_E_clISt17integral_constantIbLb1EESZ_EEDaSU_SV_EUlSU_E_NS1_11comp_targetILNS1_3genE9ELNS1_11target_archE1100ELNS1_3gpuE3ELNS1_3repE0EEENS1_30default_config_static_selectorELNS0_4arch9wavefront6targetE1EEEvT1_.has_recursion, 0
	.set _ZN7rocprim17ROCPRIM_400000_NS6detail17trampoline_kernelINS0_14default_configENS1_20scan_config_selectorIN3c107complexIfEEEEZZNS1_9scan_implILNS1_25lookback_scan_determinismE0ELb0ELb0ES3_PKS7_PS7_S7_ZZZN2at6native31launch_logcumsumexp_cuda_kernelERKNSE_10TensorBaseESI_lENKUlvE_clEvENKUlvE2_clEvEUlS7_S7_E_S7_EEDaPvRmT3_T4_T5_mT6_P12ihipStream_tbENKUlT_T0_E_clISt17integral_constantIbLb1EESZ_EEDaSU_SV_EUlSU_E_NS1_11comp_targetILNS1_3genE9ELNS1_11target_archE1100ELNS1_3gpuE3ELNS1_3repE0EEENS1_30default_config_static_selectorELNS0_4arch9wavefront6targetE1EEEvT1_.has_indirect_call, 0
	.section	.AMDGPU.csdata,"",@progbits
; Kernel info:
; codeLenInByte = 0
; TotalNumSgprs: 6
; NumVgprs: 0
; NumAgprs: 0
; TotalNumVgprs: 0
; ScratchSize: 0
; MemoryBound: 0
; FloatMode: 240
; IeeeMode: 1
; LDSByteSize: 0 bytes/workgroup (compile time only)
; SGPRBlocks: 0
; VGPRBlocks: 0
; NumSGPRsForWavesPerEU: 6
; NumVGPRsForWavesPerEU: 1
; AccumOffset: 4
; Occupancy: 8
; WaveLimiterHint : 0
; COMPUTE_PGM_RSRC2:SCRATCH_EN: 0
; COMPUTE_PGM_RSRC2:USER_SGPR: 2
; COMPUTE_PGM_RSRC2:TRAP_HANDLER: 0
; COMPUTE_PGM_RSRC2:TGID_X_EN: 1
; COMPUTE_PGM_RSRC2:TGID_Y_EN: 0
; COMPUTE_PGM_RSRC2:TGID_Z_EN: 0
; COMPUTE_PGM_RSRC2:TIDIG_COMP_CNT: 0
; COMPUTE_PGM_RSRC3_GFX90A:ACCUM_OFFSET: 0
; COMPUTE_PGM_RSRC3_GFX90A:TG_SPLIT: 0
	.section	.text._ZN7rocprim17ROCPRIM_400000_NS6detail17trampoline_kernelINS0_14default_configENS1_20scan_config_selectorIN3c107complexIfEEEEZZNS1_9scan_implILNS1_25lookback_scan_determinismE0ELb0ELb0ES3_PKS7_PS7_S7_ZZZN2at6native31launch_logcumsumexp_cuda_kernelERKNSE_10TensorBaseESI_lENKUlvE_clEvENKUlvE2_clEvEUlS7_S7_E_S7_EEDaPvRmT3_T4_T5_mT6_P12ihipStream_tbENKUlT_T0_E_clISt17integral_constantIbLb1EESZ_EEDaSU_SV_EUlSU_E_NS1_11comp_targetILNS1_3genE8ELNS1_11target_archE1030ELNS1_3gpuE2ELNS1_3repE0EEENS1_30default_config_static_selectorELNS0_4arch9wavefront6targetE1EEEvT1_,"axG",@progbits,_ZN7rocprim17ROCPRIM_400000_NS6detail17trampoline_kernelINS0_14default_configENS1_20scan_config_selectorIN3c107complexIfEEEEZZNS1_9scan_implILNS1_25lookback_scan_determinismE0ELb0ELb0ES3_PKS7_PS7_S7_ZZZN2at6native31launch_logcumsumexp_cuda_kernelERKNSE_10TensorBaseESI_lENKUlvE_clEvENKUlvE2_clEvEUlS7_S7_E_S7_EEDaPvRmT3_T4_T5_mT6_P12ihipStream_tbENKUlT_T0_E_clISt17integral_constantIbLb1EESZ_EEDaSU_SV_EUlSU_E_NS1_11comp_targetILNS1_3genE8ELNS1_11target_archE1030ELNS1_3gpuE2ELNS1_3repE0EEENS1_30default_config_static_selectorELNS0_4arch9wavefront6targetE1EEEvT1_,comdat
	.globl	_ZN7rocprim17ROCPRIM_400000_NS6detail17trampoline_kernelINS0_14default_configENS1_20scan_config_selectorIN3c107complexIfEEEEZZNS1_9scan_implILNS1_25lookback_scan_determinismE0ELb0ELb0ES3_PKS7_PS7_S7_ZZZN2at6native31launch_logcumsumexp_cuda_kernelERKNSE_10TensorBaseESI_lENKUlvE_clEvENKUlvE2_clEvEUlS7_S7_E_S7_EEDaPvRmT3_T4_T5_mT6_P12ihipStream_tbENKUlT_T0_E_clISt17integral_constantIbLb1EESZ_EEDaSU_SV_EUlSU_E_NS1_11comp_targetILNS1_3genE8ELNS1_11target_archE1030ELNS1_3gpuE2ELNS1_3repE0EEENS1_30default_config_static_selectorELNS0_4arch9wavefront6targetE1EEEvT1_ ; -- Begin function _ZN7rocprim17ROCPRIM_400000_NS6detail17trampoline_kernelINS0_14default_configENS1_20scan_config_selectorIN3c107complexIfEEEEZZNS1_9scan_implILNS1_25lookback_scan_determinismE0ELb0ELb0ES3_PKS7_PS7_S7_ZZZN2at6native31launch_logcumsumexp_cuda_kernelERKNSE_10TensorBaseESI_lENKUlvE_clEvENKUlvE2_clEvEUlS7_S7_E_S7_EEDaPvRmT3_T4_T5_mT6_P12ihipStream_tbENKUlT_T0_E_clISt17integral_constantIbLb1EESZ_EEDaSU_SV_EUlSU_E_NS1_11comp_targetILNS1_3genE8ELNS1_11target_archE1030ELNS1_3gpuE2ELNS1_3repE0EEENS1_30default_config_static_selectorELNS0_4arch9wavefront6targetE1EEEvT1_
	.p2align	8
	.type	_ZN7rocprim17ROCPRIM_400000_NS6detail17trampoline_kernelINS0_14default_configENS1_20scan_config_selectorIN3c107complexIfEEEEZZNS1_9scan_implILNS1_25lookback_scan_determinismE0ELb0ELb0ES3_PKS7_PS7_S7_ZZZN2at6native31launch_logcumsumexp_cuda_kernelERKNSE_10TensorBaseESI_lENKUlvE_clEvENKUlvE2_clEvEUlS7_S7_E_S7_EEDaPvRmT3_T4_T5_mT6_P12ihipStream_tbENKUlT_T0_E_clISt17integral_constantIbLb1EESZ_EEDaSU_SV_EUlSU_E_NS1_11comp_targetILNS1_3genE8ELNS1_11target_archE1030ELNS1_3gpuE2ELNS1_3repE0EEENS1_30default_config_static_selectorELNS0_4arch9wavefront6targetE1EEEvT1_,@function
_ZN7rocprim17ROCPRIM_400000_NS6detail17trampoline_kernelINS0_14default_configENS1_20scan_config_selectorIN3c107complexIfEEEEZZNS1_9scan_implILNS1_25lookback_scan_determinismE0ELb0ELb0ES3_PKS7_PS7_S7_ZZZN2at6native31launch_logcumsumexp_cuda_kernelERKNSE_10TensorBaseESI_lENKUlvE_clEvENKUlvE2_clEvEUlS7_S7_E_S7_EEDaPvRmT3_T4_T5_mT6_P12ihipStream_tbENKUlT_T0_E_clISt17integral_constantIbLb1EESZ_EEDaSU_SV_EUlSU_E_NS1_11comp_targetILNS1_3genE8ELNS1_11target_archE1030ELNS1_3gpuE2ELNS1_3repE0EEENS1_30default_config_static_selectorELNS0_4arch9wavefront6targetE1EEEvT1_: ; @_ZN7rocprim17ROCPRIM_400000_NS6detail17trampoline_kernelINS0_14default_configENS1_20scan_config_selectorIN3c107complexIfEEEEZZNS1_9scan_implILNS1_25lookback_scan_determinismE0ELb0ELb0ES3_PKS7_PS7_S7_ZZZN2at6native31launch_logcumsumexp_cuda_kernelERKNSE_10TensorBaseESI_lENKUlvE_clEvENKUlvE2_clEvEUlS7_S7_E_S7_EEDaPvRmT3_T4_T5_mT6_P12ihipStream_tbENKUlT_T0_E_clISt17integral_constantIbLb1EESZ_EEDaSU_SV_EUlSU_E_NS1_11comp_targetILNS1_3genE8ELNS1_11target_archE1030ELNS1_3gpuE2ELNS1_3repE0EEENS1_30default_config_static_selectorELNS0_4arch9wavefront6targetE1EEEvT1_
; %bb.0:
	.section	.rodata,"a",@progbits
	.p2align	6, 0x0
	.amdhsa_kernel _ZN7rocprim17ROCPRIM_400000_NS6detail17trampoline_kernelINS0_14default_configENS1_20scan_config_selectorIN3c107complexIfEEEEZZNS1_9scan_implILNS1_25lookback_scan_determinismE0ELb0ELb0ES3_PKS7_PS7_S7_ZZZN2at6native31launch_logcumsumexp_cuda_kernelERKNSE_10TensorBaseESI_lENKUlvE_clEvENKUlvE2_clEvEUlS7_S7_E_S7_EEDaPvRmT3_T4_T5_mT6_P12ihipStream_tbENKUlT_T0_E_clISt17integral_constantIbLb1EESZ_EEDaSU_SV_EUlSU_E_NS1_11comp_targetILNS1_3genE8ELNS1_11target_archE1030ELNS1_3gpuE2ELNS1_3repE0EEENS1_30default_config_static_selectorELNS0_4arch9wavefront6targetE1EEEvT1_
		.amdhsa_group_segment_fixed_size 0
		.amdhsa_private_segment_fixed_size 0
		.amdhsa_kernarg_size 104
		.amdhsa_user_sgpr_count 2
		.amdhsa_user_sgpr_dispatch_ptr 0
		.amdhsa_user_sgpr_queue_ptr 0
		.amdhsa_user_sgpr_kernarg_segment_ptr 1
		.amdhsa_user_sgpr_dispatch_id 0
		.amdhsa_user_sgpr_kernarg_preload_length 0
		.amdhsa_user_sgpr_kernarg_preload_offset 0
		.amdhsa_user_sgpr_private_segment_size 0
		.amdhsa_uses_dynamic_stack 0
		.amdhsa_enable_private_segment 0
		.amdhsa_system_sgpr_workgroup_id_x 1
		.amdhsa_system_sgpr_workgroup_id_y 0
		.amdhsa_system_sgpr_workgroup_id_z 0
		.amdhsa_system_sgpr_workgroup_info 0
		.amdhsa_system_vgpr_workitem_id 0
		.amdhsa_next_free_vgpr 1
		.amdhsa_next_free_sgpr 0
		.amdhsa_accum_offset 4
		.amdhsa_reserve_vcc 0
		.amdhsa_float_round_mode_32 0
		.amdhsa_float_round_mode_16_64 0
		.amdhsa_float_denorm_mode_32 3
		.amdhsa_float_denorm_mode_16_64 3
		.amdhsa_dx10_clamp 1
		.amdhsa_ieee_mode 1
		.amdhsa_fp16_overflow 0
		.amdhsa_tg_split 0
		.amdhsa_exception_fp_ieee_invalid_op 0
		.amdhsa_exception_fp_denorm_src 0
		.amdhsa_exception_fp_ieee_div_zero 0
		.amdhsa_exception_fp_ieee_overflow 0
		.amdhsa_exception_fp_ieee_underflow 0
		.amdhsa_exception_fp_ieee_inexact 0
		.amdhsa_exception_int_div_zero 0
	.end_amdhsa_kernel
	.section	.text._ZN7rocprim17ROCPRIM_400000_NS6detail17trampoline_kernelINS0_14default_configENS1_20scan_config_selectorIN3c107complexIfEEEEZZNS1_9scan_implILNS1_25lookback_scan_determinismE0ELb0ELb0ES3_PKS7_PS7_S7_ZZZN2at6native31launch_logcumsumexp_cuda_kernelERKNSE_10TensorBaseESI_lENKUlvE_clEvENKUlvE2_clEvEUlS7_S7_E_S7_EEDaPvRmT3_T4_T5_mT6_P12ihipStream_tbENKUlT_T0_E_clISt17integral_constantIbLb1EESZ_EEDaSU_SV_EUlSU_E_NS1_11comp_targetILNS1_3genE8ELNS1_11target_archE1030ELNS1_3gpuE2ELNS1_3repE0EEENS1_30default_config_static_selectorELNS0_4arch9wavefront6targetE1EEEvT1_,"axG",@progbits,_ZN7rocprim17ROCPRIM_400000_NS6detail17trampoline_kernelINS0_14default_configENS1_20scan_config_selectorIN3c107complexIfEEEEZZNS1_9scan_implILNS1_25lookback_scan_determinismE0ELb0ELb0ES3_PKS7_PS7_S7_ZZZN2at6native31launch_logcumsumexp_cuda_kernelERKNSE_10TensorBaseESI_lENKUlvE_clEvENKUlvE2_clEvEUlS7_S7_E_S7_EEDaPvRmT3_T4_T5_mT6_P12ihipStream_tbENKUlT_T0_E_clISt17integral_constantIbLb1EESZ_EEDaSU_SV_EUlSU_E_NS1_11comp_targetILNS1_3genE8ELNS1_11target_archE1030ELNS1_3gpuE2ELNS1_3repE0EEENS1_30default_config_static_selectorELNS0_4arch9wavefront6targetE1EEEvT1_,comdat
.Lfunc_end299:
	.size	_ZN7rocprim17ROCPRIM_400000_NS6detail17trampoline_kernelINS0_14default_configENS1_20scan_config_selectorIN3c107complexIfEEEEZZNS1_9scan_implILNS1_25lookback_scan_determinismE0ELb0ELb0ES3_PKS7_PS7_S7_ZZZN2at6native31launch_logcumsumexp_cuda_kernelERKNSE_10TensorBaseESI_lENKUlvE_clEvENKUlvE2_clEvEUlS7_S7_E_S7_EEDaPvRmT3_T4_T5_mT6_P12ihipStream_tbENKUlT_T0_E_clISt17integral_constantIbLb1EESZ_EEDaSU_SV_EUlSU_E_NS1_11comp_targetILNS1_3genE8ELNS1_11target_archE1030ELNS1_3gpuE2ELNS1_3repE0EEENS1_30default_config_static_selectorELNS0_4arch9wavefront6targetE1EEEvT1_, .Lfunc_end299-_ZN7rocprim17ROCPRIM_400000_NS6detail17trampoline_kernelINS0_14default_configENS1_20scan_config_selectorIN3c107complexIfEEEEZZNS1_9scan_implILNS1_25lookback_scan_determinismE0ELb0ELb0ES3_PKS7_PS7_S7_ZZZN2at6native31launch_logcumsumexp_cuda_kernelERKNSE_10TensorBaseESI_lENKUlvE_clEvENKUlvE2_clEvEUlS7_S7_E_S7_EEDaPvRmT3_T4_T5_mT6_P12ihipStream_tbENKUlT_T0_E_clISt17integral_constantIbLb1EESZ_EEDaSU_SV_EUlSU_E_NS1_11comp_targetILNS1_3genE8ELNS1_11target_archE1030ELNS1_3gpuE2ELNS1_3repE0EEENS1_30default_config_static_selectorELNS0_4arch9wavefront6targetE1EEEvT1_
                                        ; -- End function
	.set _ZN7rocprim17ROCPRIM_400000_NS6detail17trampoline_kernelINS0_14default_configENS1_20scan_config_selectorIN3c107complexIfEEEEZZNS1_9scan_implILNS1_25lookback_scan_determinismE0ELb0ELb0ES3_PKS7_PS7_S7_ZZZN2at6native31launch_logcumsumexp_cuda_kernelERKNSE_10TensorBaseESI_lENKUlvE_clEvENKUlvE2_clEvEUlS7_S7_E_S7_EEDaPvRmT3_T4_T5_mT6_P12ihipStream_tbENKUlT_T0_E_clISt17integral_constantIbLb1EESZ_EEDaSU_SV_EUlSU_E_NS1_11comp_targetILNS1_3genE8ELNS1_11target_archE1030ELNS1_3gpuE2ELNS1_3repE0EEENS1_30default_config_static_selectorELNS0_4arch9wavefront6targetE1EEEvT1_.num_vgpr, 0
	.set _ZN7rocprim17ROCPRIM_400000_NS6detail17trampoline_kernelINS0_14default_configENS1_20scan_config_selectorIN3c107complexIfEEEEZZNS1_9scan_implILNS1_25lookback_scan_determinismE0ELb0ELb0ES3_PKS7_PS7_S7_ZZZN2at6native31launch_logcumsumexp_cuda_kernelERKNSE_10TensorBaseESI_lENKUlvE_clEvENKUlvE2_clEvEUlS7_S7_E_S7_EEDaPvRmT3_T4_T5_mT6_P12ihipStream_tbENKUlT_T0_E_clISt17integral_constantIbLb1EESZ_EEDaSU_SV_EUlSU_E_NS1_11comp_targetILNS1_3genE8ELNS1_11target_archE1030ELNS1_3gpuE2ELNS1_3repE0EEENS1_30default_config_static_selectorELNS0_4arch9wavefront6targetE1EEEvT1_.num_agpr, 0
	.set _ZN7rocprim17ROCPRIM_400000_NS6detail17trampoline_kernelINS0_14default_configENS1_20scan_config_selectorIN3c107complexIfEEEEZZNS1_9scan_implILNS1_25lookback_scan_determinismE0ELb0ELb0ES3_PKS7_PS7_S7_ZZZN2at6native31launch_logcumsumexp_cuda_kernelERKNSE_10TensorBaseESI_lENKUlvE_clEvENKUlvE2_clEvEUlS7_S7_E_S7_EEDaPvRmT3_T4_T5_mT6_P12ihipStream_tbENKUlT_T0_E_clISt17integral_constantIbLb1EESZ_EEDaSU_SV_EUlSU_E_NS1_11comp_targetILNS1_3genE8ELNS1_11target_archE1030ELNS1_3gpuE2ELNS1_3repE0EEENS1_30default_config_static_selectorELNS0_4arch9wavefront6targetE1EEEvT1_.numbered_sgpr, 0
	.set _ZN7rocprim17ROCPRIM_400000_NS6detail17trampoline_kernelINS0_14default_configENS1_20scan_config_selectorIN3c107complexIfEEEEZZNS1_9scan_implILNS1_25lookback_scan_determinismE0ELb0ELb0ES3_PKS7_PS7_S7_ZZZN2at6native31launch_logcumsumexp_cuda_kernelERKNSE_10TensorBaseESI_lENKUlvE_clEvENKUlvE2_clEvEUlS7_S7_E_S7_EEDaPvRmT3_T4_T5_mT6_P12ihipStream_tbENKUlT_T0_E_clISt17integral_constantIbLb1EESZ_EEDaSU_SV_EUlSU_E_NS1_11comp_targetILNS1_3genE8ELNS1_11target_archE1030ELNS1_3gpuE2ELNS1_3repE0EEENS1_30default_config_static_selectorELNS0_4arch9wavefront6targetE1EEEvT1_.num_named_barrier, 0
	.set _ZN7rocprim17ROCPRIM_400000_NS6detail17trampoline_kernelINS0_14default_configENS1_20scan_config_selectorIN3c107complexIfEEEEZZNS1_9scan_implILNS1_25lookback_scan_determinismE0ELb0ELb0ES3_PKS7_PS7_S7_ZZZN2at6native31launch_logcumsumexp_cuda_kernelERKNSE_10TensorBaseESI_lENKUlvE_clEvENKUlvE2_clEvEUlS7_S7_E_S7_EEDaPvRmT3_T4_T5_mT6_P12ihipStream_tbENKUlT_T0_E_clISt17integral_constantIbLb1EESZ_EEDaSU_SV_EUlSU_E_NS1_11comp_targetILNS1_3genE8ELNS1_11target_archE1030ELNS1_3gpuE2ELNS1_3repE0EEENS1_30default_config_static_selectorELNS0_4arch9wavefront6targetE1EEEvT1_.private_seg_size, 0
	.set _ZN7rocprim17ROCPRIM_400000_NS6detail17trampoline_kernelINS0_14default_configENS1_20scan_config_selectorIN3c107complexIfEEEEZZNS1_9scan_implILNS1_25lookback_scan_determinismE0ELb0ELb0ES3_PKS7_PS7_S7_ZZZN2at6native31launch_logcumsumexp_cuda_kernelERKNSE_10TensorBaseESI_lENKUlvE_clEvENKUlvE2_clEvEUlS7_S7_E_S7_EEDaPvRmT3_T4_T5_mT6_P12ihipStream_tbENKUlT_T0_E_clISt17integral_constantIbLb1EESZ_EEDaSU_SV_EUlSU_E_NS1_11comp_targetILNS1_3genE8ELNS1_11target_archE1030ELNS1_3gpuE2ELNS1_3repE0EEENS1_30default_config_static_selectorELNS0_4arch9wavefront6targetE1EEEvT1_.uses_vcc, 0
	.set _ZN7rocprim17ROCPRIM_400000_NS6detail17trampoline_kernelINS0_14default_configENS1_20scan_config_selectorIN3c107complexIfEEEEZZNS1_9scan_implILNS1_25lookback_scan_determinismE0ELb0ELb0ES3_PKS7_PS7_S7_ZZZN2at6native31launch_logcumsumexp_cuda_kernelERKNSE_10TensorBaseESI_lENKUlvE_clEvENKUlvE2_clEvEUlS7_S7_E_S7_EEDaPvRmT3_T4_T5_mT6_P12ihipStream_tbENKUlT_T0_E_clISt17integral_constantIbLb1EESZ_EEDaSU_SV_EUlSU_E_NS1_11comp_targetILNS1_3genE8ELNS1_11target_archE1030ELNS1_3gpuE2ELNS1_3repE0EEENS1_30default_config_static_selectorELNS0_4arch9wavefront6targetE1EEEvT1_.uses_flat_scratch, 0
	.set _ZN7rocprim17ROCPRIM_400000_NS6detail17trampoline_kernelINS0_14default_configENS1_20scan_config_selectorIN3c107complexIfEEEEZZNS1_9scan_implILNS1_25lookback_scan_determinismE0ELb0ELb0ES3_PKS7_PS7_S7_ZZZN2at6native31launch_logcumsumexp_cuda_kernelERKNSE_10TensorBaseESI_lENKUlvE_clEvENKUlvE2_clEvEUlS7_S7_E_S7_EEDaPvRmT3_T4_T5_mT6_P12ihipStream_tbENKUlT_T0_E_clISt17integral_constantIbLb1EESZ_EEDaSU_SV_EUlSU_E_NS1_11comp_targetILNS1_3genE8ELNS1_11target_archE1030ELNS1_3gpuE2ELNS1_3repE0EEENS1_30default_config_static_selectorELNS0_4arch9wavefront6targetE1EEEvT1_.has_dyn_sized_stack, 0
	.set _ZN7rocprim17ROCPRIM_400000_NS6detail17trampoline_kernelINS0_14default_configENS1_20scan_config_selectorIN3c107complexIfEEEEZZNS1_9scan_implILNS1_25lookback_scan_determinismE0ELb0ELb0ES3_PKS7_PS7_S7_ZZZN2at6native31launch_logcumsumexp_cuda_kernelERKNSE_10TensorBaseESI_lENKUlvE_clEvENKUlvE2_clEvEUlS7_S7_E_S7_EEDaPvRmT3_T4_T5_mT6_P12ihipStream_tbENKUlT_T0_E_clISt17integral_constantIbLb1EESZ_EEDaSU_SV_EUlSU_E_NS1_11comp_targetILNS1_3genE8ELNS1_11target_archE1030ELNS1_3gpuE2ELNS1_3repE0EEENS1_30default_config_static_selectorELNS0_4arch9wavefront6targetE1EEEvT1_.has_recursion, 0
	.set _ZN7rocprim17ROCPRIM_400000_NS6detail17trampoline_kernelINS0_14default_configENS1_20scan_config_selectorIN3c107complexIfEEEEZZNS1_9scan_implILNS1_25lookback_scan_determinismE0ELb0ELb0ES3_PKS7_PS7_S7_ZZZN2at6native31launch_logcumsumexp_cuda_kernelERKNSE_10TensorBaseESI_lENKUlvE_clEvENKUlvE2_clEvEUlS7_S7_E_S7_EEDaPvRmT3_T4_T5_mT6_P12ihipStream_tbENKUlT_T0_E_clISt17integral_constantIbLb1EESZ_EEDaSU_SV_EUlSU_E_NS1_11comp_targetILNS1_3genE8ELNS1_11target_archE1030ELNS1_3gpuE2ELNS1_3repE0EEENS1_30default_config_static_selectorELNS0_4arch9wavefront6targetE1EEEvT1_.has_indirect_call, 0
	.section	.AMDGPU.csdata,"",@progbits
; Kernel info:
; codeLenInByte = 0
; TotalNumSgprs: 6
; NumVgprs: 0
; NumAgprs: 0
; TotalNumVgprs: 0
; ScratchSize: 0
; MemoryBound: 0
; FloatMode: 240
; IeeeMode: 1
; LDSByteSize: 0 bytes/workgroup (compile time only)
; SGPRBlocks: 0
; VGPRBlocks: 0
; NumSGPRsForWavesPerEU: 6
; NumVGPRsForWavesPerEU: 1
; AccumOffset: 4
; Occupancy: 8
; WaveLimiterHint : 0
; COMPUTE_PGM_RSRC2:SCRATCH_EN: 0
; COMPUTE_PGM_RSRC2:USER_SGPR: 2
; COMPUTE_PGM_RSRC2:TRAP_HANDLER: 0
; COMPUTE_PGM_RSRC2:TGID_X_EN: 1
; COMPUTE_PGM_RSRC2:TGID_Y_EN: 0
; COMPUTE_PGM_RSRC2:TGID_Z_EN: 0
; COMPUTE_PGM_RSRC2:TIDIG_COMP_CNT: 0
; COMPUTE_PGM_RSRC3_GFX90A:ACCUM_OFFSET: 0
; COMPUTE_PGM_RSRC3_GFX90A:TG_SPLIT: 0
	.section	.text._ZN7rocprim17ROCPRIM_400000_NS6detail17trampoline_kernelINS0_14default_configENS1_20scan_config_selectorIN3c107complexIfEEEEZZNS1_9scan_implILNS1_25lookback_scan_determinismE0ELb0ELb0ES3_PKS7_PS7_S7_ZZZN2at6native31launch_logcumsumexp_cuda_kernelERKNSE_10TensorBaseESI_lENKUlvE_clEvENKUlvE2_clEvEUlS7_S7_E_S7_EEDaPvRmT3_T4_T5_mT6_P12ihipStream_tbENKUlT_T0_E_clISt17integral_constantIbLb1EESZ_EEDaSU_SV_EUlSU_E0_NS1_11comp_targetILNS1_3genE0ELNS1_11target_archE4294967295ELNS1_3gpuE0ELNS1_3repE0EEENS1_30default_config_static_selectorELNS0_4arch9wavefront6targetE1EEEvT1_,"axG",@progbits,_ZN7rocprim17ROCPRIM_400000_NS6detail17trampoline_kernelINS0_14default_configENS1_20scan_config_selectorIN3c107complexIfEEEEZZNS1_9scan_implILNS1_25lookback_scan_determinismE0ELb0ELb0ES3_PKS7_PS7_S7_ZZZN2at6native31launch_logcumsumexp_cuda_kernelERKNSE_10TensorBaseESI_lENKUlvE_clEvENKUlvE2_clEvEUlS7_S7_E_S7_EEDaPvRmT3_T4_T5_mT6_P12ihipStream_tbENKUlT_T0_E_clISt17integral_constantIbLb1EESZ_EEDaSU_SV_EUlSU_E0_NS1_11comp_targetILNS1_3genE0ELNS1_11target_archE4294967295ELNS1_3gpuE0ELNS1_3repE0EEENS1_30default_config_static_selectorELNS0_4arch9wavefront6targetE1EEEvT1_,comdat
	.globl	_ZN7rocprim17ROCPRIM_400000_NS6detail17trampoline_kernelINS0_14default_configENS1_20scan_config_selectorIN3c107complexIfEEEEZZNS1_9scan_implILNS1_25lookback_scan_determinismE0ELb0ELb0ES3_PKS7_PS7_S7_ZZZN2at6native31launch_logcumsumexp_cuda_kernelERKNSE_10TensorBaseESI_lENKUlvE_clEvENKUlvE2_clEvEUlS7_S7_E_S7_EEDaPvRmT3_T4_T5_mT6_P12ihipStream_tbENKUlT_T0_E_clISt17integral_constantIbLb1EESZ_EEDaSU_SV_EUlSU_E0_NS1_11comp_targetILNS1_3genE0ELNS1_11target_archE4294967295ELNS1_3gpuE0ELNS1_3repE0EEENS1_30default_config_static_selectorELNS0_4arch9wavefront6targetE1EEEvT1_ ; -- Begin function _ZN7rocprim17ROCPRIM_400000_NS6detail17trampoline_kernelINS0_14default_configENS1_20scan_config_selectorIN3c107complexIfEEEEZZNS1_9scan_implILNS1_25lookback_scan_determinismE0ELb0ELb0ES3_PKS7_PS7_S7_ZZZN2at6native31launch_logcumsumexp_cuda_kernelERKNSE_10TensorBaseESI_lENKUlvE_clEvENKUlvE2_clEvEUlS7_S7_E_S7_EEDaPvRmT3_T4_T5_mT6_P12ihipStream_tbENKUlT_T0_E_clISt17integral_constantIbLb1EESZ_EEDaSU_SV_EUlSU_E0_NS1_11comp_targetILNS1_3genE0ELNS1_11target_archE4294967295ELNS1_3gpuE0ELNS1_3repE0EEENS1_30default_config_static_selectorELNS0_4arch9wavefront6targetE1EEEvT1_
	.p2align	8
	.type	_ZN7rocprim17ROCPRIM_400000_NS6detail17trampoline_kernelINS0_14default_configENS1_20scan_config_selectorIN3c107complexIfEEEEZZNS1_9scan_implILNS1_25lookback_scan_determinismE0ELb0ELb0ES3_PKS7_PS7_S7_ZZZN2at6native31launch_logcumsumexp_cuda_kernelERKNSE_10TensorBaseESI_lENKUlvE_clEvENKUlvE2_clEvEUlS7_S7_E_S7_EEDaPvRmT3_T4_T5_mT6_P12ihipStream_tbENKUlT_T0_E_clISt17integral_constantIbLb1EESZ_EEDaSU_SV_EUlSU_E0_NS1_11comp_targetILNS1_3genE0ELNS1_11target_archE4294967295ELNS1_3gpuE0ELNS1_3repE0EEENS1_30default_config_static_selectorELNS0_4arch9wavefront6targetE1EEEvT1_,@function
_ZN7rocprim17ROCPRIM_400000_NS6detail17trampoline_kernelINS0_14default_configENS1_20scan_config_selectorIN3c107complexIfEEEEZZNS1_9scan_implILNS1_25lookback_scan_determinismE0ELb0ELb0ES3_PKS7_PS7_S7_ZZZN2at6native31launch_logcumsumexp_cuda_kernelERKNSE_10TensorBaseESI_lENKUlvE_clEvENKUlvE2_clEvEUlS7_S7_E_S7_EEDaPvRmT3_T4_T5_mT6_P12ihipStream_tbENKUlT_T0_E_clISt17integral_constantIbLb1EESZ_EEDaSU_SV_EUlSU_E0_NS1_11comp_targetILNS1_3genE0ELNS1_11target_archE4294967295ELNS1_3gpuE0ELNS1_3repE0EEENS1_30default_config_static_selectorELNS0_4arch9wavefront6targetE1EEEvT1_: ; @_ZN7rocprim17ROCPRIM_400000_NS6detail17trampoline_kernelINS0_14default_configENS1_20scan_config_selectorIN3c107complexIfEEEEZZNS1_9scan_implILNS1_25lookback_scan_determinismE0ELb0ELb0ES3_PKS7_PS7_S7_ZZZN2at6native31launch_logcumsumexp_cuda_kernelERKNSE_10TensorBaseESI_lENKUlvE_clEvENKUlvE2_clEvEUlS7_S7_E_S7_EEDaPvRmT3_T4_T5_mT6_P12ihipStream_tbENKUlT_T0_E_clISt17integral_constantIbLb1EESZ_EEDaSU_SV_EUlSU_E0_NS1_11comp_targetILNS1_3genE0ELNS1_11target_archE4294967295ELNS1_3gpuE0ELNS1_3repE0EEENS1_30default_config_static_selectorELNS0_4arch9wavefront6targetE1EEEvT1_
; %bb.0:
	s_mov_b64 s[28:29], s[0:1]
	s_load_dwordx4 s[0:3], s[28:29], 0x0
	v_mov_b32_e32 v27, v0
	v_lshlrev_b32_e32 v54, 3, v27
	s_mov_b32 s32, 0
	s_waitcnt lgkmcnt(0)
	s_load_dwordx2 s[4:5], s[0:1], 0x0
	v_cmp_gt_u32_e64 s[16:17], s2, v27
	s_waitcnt lgkmcnt(0)
	v_mov_b64_e32 v[0:1], s[4:5]
	s_and_saveexec_b64 s[6:7], s[16:17]
	s_cbranch_execz .LBB300_2
; %bb.1:
	global_load_dwordx2 v[0:1], v54, s[0:1]
.LBB300_2:
	s_or_b64 exec, exec, s[6:7]
	v_or_b32_e32 v2, 0x100, v27
	v_cmp_gt_u32_e64 s[18:19], s2, v2
	v_mov_b64_e32 v[2:3], s[4:5]
	s_and_saveexec_b64 s[6:7], s[18:19]
	s_cbranch_execz .LBB300_4
; %bb.3:
	global_load_dwordx2 v[2:3], v54, s[0:1] offset:2048
.LBB300_4:
	s_or_b64 exec, exec, s[6:7]
	v_or_b32_e32 v6, 0x200, v27
	v_cmp_gt_u32_e64 s[20:21], s2, v6
	v_mov_b64_e32 v[4:5], s[4:5]
	s_and_saveexec_b64 s[6:7], s[20:21]
	s_cbranch_execz .LBB300_6
; %bb.5:
	v_lshlrev_b32_e32 v4, 3, v6
	global_load_dwordx2 v[4:5], v4, s[0:1]
.LBB300_6:
	s_or_b64 exec, exec, s[6:7]
	v_or_b32_e32 v8, 0x300, v27
	v_cmp_gt_u32_e64 s[22:23], s2, v8
	v_mov_b64_e32 v[6:7], s[4:5]
	s_and_saveexec_b64 s[6:7], s[22:23]
	s_cbranch_execz .LBB300_8
; %bb.7:
	v_lshlrev_b32_e32 v6, 3, v8
	global_load_dwordx2 v[6:7], v6, s[0:1]
.LBB300_8:
	;; [unrolled: 10-line block ×4, first 2 shown]
	s_or_b64 exec, exec, s[2:3]
	s_waitcnt vmcnt(0)
	ds_write2st64_b64 v54, v[0:1], v[2:3] offset1:4
	ds_write2st64_b64 v54, v[4:5], v[6:7] offset0:8 offset1:12
	ds_write2st64_b64 v54, v[8:9], v[10:11] offset0:16 offset1:20
	v_mad_u32_u24 v0, v27, 40, v54
	s_waitcnt lgkmcnt(0)
	s_barrier
	ds_read_b128 v[32:35], v0
	ds_read_b128 v[48:51], v0 offset:16
	ds_read_b128 v[40:43], v0 offset:32
	s_getpc_b64 s[34:35]
	s_add_u32 s34, s34, _ZZZZN2at6native31launch_logcumsumexp_cuda_kernelERKNS_10TensorBaseES3_lENKUlvE_clEvENKUlvE2_clEvENKUlN3c107complexIfEES8_E_clES8_S8_@rel32@lo+4
	s_addc_u32 s35, s35, _ZZZZN2at6native31launch_logcumsumexp_cuda_kernelERKNS_10TensorBaseES3_lENKUlvE_clEvENKUlvE2_clEvENKUlN3c107complexIfEES8_E_clES8_S8_@rel32@hi+12
	s_waitcnt lgkmcnt(0)
	v_mov_b32_e32 v0, v32
	v_mov_b32_e32 v1, v33
	;; [unrolled: 1-line block ×4, first 2 shown]
	s_barrier
	s_swappc_b64 s[30:31], s[34:35]
	v_mov_b32_e32 v2, v48
	v_mov_b32_e32 v3, v49
	v_mov_b32_e32 v52, v0
	v_mov_b32_e32 v53, v1
	s_swappc_b64 s[30:31], s[34:35]
	v_mov_b32_e32 v2, v50
	v_mov_b32_e32 v3, v51
	v_mov_b32_e32 v36, v0
	v_mov_b32_e32 v37, v1
	;; [unrolled: 5-line block ×4, first 2 shown]
	s_swappc_b64 s[30:31], s[34:35]
	v_mov_b32_e32 v31, v0
	v_mbcnt_lo_u32_b32 v0, -1, 0
	v_mov_b32_e32 v30, v1
	v_mbcnt_hi_u32_b32 v55, -1, v0
	v_and_b32_e32 v28, 15, v55
	v_mov_b32_e32 v46, v31
	v_mov_b32_e32 v47, v30
	v_mov_b32_dpp v0, v31 row_shr:1 row_mask:0xf bank_mask:0xf
	v_mov_b32_dpp v1, v30 row_shr:1 row_mask:0xf bank_mask:0xf
	v_cmp_ne_u32_e32 vcc, 0, v28
	v_mov_b64_e32 v[2:3], v[46:47]
	s_and_saveexec_b64 s[36:37], vcc
	s_cbranch_execz .LBB300_14
; %bb.13:
	v_mov_b32_e32 v2, v31
	v_mov_b32_e32 v3, v30
	s_swappc_b64 s[30:31], s[34:35]
	v_mov_b32_e32 v2, v0
	v_mov_b32_e32 v3, v1
	;; [unrolled: 1-line block ×4, first 2 shown]
.LBB300_14:
	s_or_b64 exec, exec, s[36:37]
	v_mov_b32_dpp v0, v31 row_shr:2 row_mask:0xf bank_mask:0xf
	v_mov_b32_dpp v1, v30 row_shr:2 row_mask:0xf bank_mask:0xf
	v_cmp_lt_u32_e32 vcc, 1, v28
	s_and_saveexec_b64 s[34:35], vcc
	s_cbranch_execz .LBB300_16
; %bb.15:
	s_getpc_b64 s[0:1]
	s_add_u32 s0, s0, _ZZZZN2at6native31launch_logcumsumexp_cuda_kernelERKNS_10TensorBaseES3_lENKUlvE_clEvENKUlvE2_clEvENKUlN3c107complexIfEES8_E_clES8_S8_@rel32@lo+4
	s_addc_u32 s1, s1, _ZZZZN2at6native31launch_logcumsumexp_cuda_kernelERKNS_10TensorBaseES3_lENKUlvE_clEvENKUlvE2_clEvENKUlN3c107complexIfEES8_E_clES8_S8_@rel32@hi+12
	v_mov_b32_e32 v2, v31
	v_mov_b32_e32 v3, v30
	s_swappc_b64 s[30:31], s[0:1]
	v_mov_b32_e32 v2, v0
	v_mov_b32_e32 v3, v1
	;; [unrolled: 1-line block ×4, first 2 shown]
.LBB300_16:
	s_or_b64 exec, exec, s[34:35]
	s_nop 0
	v_mov_b32_dpp v0, v31 row_shr:4 row_mask:0xf bank_mask:0xf
	v_mov_b32_dpp v1, v30 row_shr:4 row_mask:0xf bank_mask:0xf
	v_cmp_lt_u32_e32 vcc, 3, v28
	s_and_saveexec_b64 s[34:35], vcc
	s_cbranch_execz .LBB300_18
; %bb.17:
	s_getpc_b64 s[0:1]
	s_add_u32 s0, s0, _ZZZZN2at6native31launch_logcumsumexp_cuda_kernelERKNS_10TensorBaseES3_lENKUlvE_clEvENKUlvE2_clEvENKUlN3c107complexIfEES8_E_clES8_S8_@rel32@lo+4
	s_addc_u32 s1, s1, _ZZZZN2at6native31launch_logcumsumexp_cuda_kernelERKNS_10TensorBaseES3_lENKUlvE_clEvENKUlvE2_clEvENKUlN3c107complexIfEES8_E_clES8_S8_@rel32@hi+12
	v_mov_b32_e32 v2, v31
	v_mov_b32_e32 v3, v30
	s_swappc_b64 s[30:31], s[0:1]
	v_mov_b32_e32 v2, v0
	v_mov_b32_e32 v3, v1
	v_mov_b32_e32 v30, v1
	v_mov_b32_e32 v31, v0
.LBB300_18:
	s_or_b64 exec, exec, s[34:35]
	s_nop 0
	v_mov_b32_dpp v0, v31 row_shr:8 row_mask:0xf bank_mask:0xf
	v_mov_b32_dpp v1, v30 row_shr:8 row_mask:0xf bank_mask:0xf
	v_cmp_lt_u32_e32 vcc, 7, v28
	s_and_saveexec_b64 s[34:35], vcc
	s_cbranch_execz .LBB300_20
; %bb.19:
	s_getpc_b64 s[0:1]
	s_add_u32 s0, s0, _ZZZZN2at6native31launch_logcumsumexp_cuda_kernelERKNS_10TensorBaseES3_lENKUlvE_clEvENKUlvE2_clEvENKUlN3c107complexIfEES8_E_clES8_S8_@rel32@lo+4
	s_addc_u32 s1, s1, _ZZZZN2at6native31launch_logcumsumexp_cuda_kernelERKNS_10TensorBaseES3_lENKUlvE_clEvENKUlvE2_clEvENKUlN3c107complexIfEES8_E_clES8_S8_@rel32@hi+12
	v_mov_b32_e32 v2, v31
	v_mov_b32_e32 v3, v30
	s_swappc_b64 s[30:31], s[0:1]
	v_mov_b32_e32 v2, v0
	v_mov_b32_e32 v3, v1
	;; [unrolled: 1-line block ×4, first 2 shown]
.LBB300_20:
	s_or_b64 exec, exec, s[34:35]
	v_and_b32_e32 v4, 16, v55
	v_mov_b32_dpp v0, v31 row_bcast:15 row_mask:0xf bank_mask:0xf
	v_mov_b32_dpp v1, v30 row_bcast:15 row_mask:0xf bank_mask:0xf
	v_cmp_ne_u32_e32 vcc, 0, v4
	s_and_saveexec_b64 s[34:35], vcc
	s_cbranch_execz .LBB300_22
; %bb.21:
	s_getpc_b64 s[0:1]
	s_add_u32 s0, s0, _ZZZZN2at6native31launch_logcumsumexp_cuda_kernelERKNS_10TensorBaseES3_lENKUlvE_clEvENKUlvE2_clEvENKUlN3c107complexIfEES8_E_clES8_S8_@rel32@lo+4
	s_addc_u32 s1, s1, _ZZZZN2at6native31launch_logcumsumexp_cuda_kernelERKNS_10TensorBaseES3_lENKUlvE_clEvENKUlvE2_clEvENKUlN3c107complexIfEES8_E_clES8_S8_@rel32@hi+12
	v_mov_b32_e32 v2, v31
	v_mov_b32_e32 v3, v30
	s_swappc_b64 s[30:31], s[0:1]
	v_mov_b32_e32 v2, v0
	v_mov_b32_e32 v3, v1
	v_mov_b32_e32 v30, v1
	v_mov_b32_e32 v31, v0
.LBB300_22:
	s_or_b64 exec, exec, s[34:35]
	s_nop 0
	v_mov_b32_dpp v0, v31 row_bcast:31 row_mask:0xf bank_mask:0xf
	v_mov_b32_dpp v1, v30 row_bcast:31 row_mask:0xf bank_mask:0xf
	v_cmp_lt_u32_e32 vcc, 31, v55
	s_and_saveexec_b64 s[34:35], vcc
	s_cbranch_execz .LBB300_24
; %bb.23:
	s_getpc_b64 s[0:1]
	s_add_u32 s0, s0, _ZZZZN2at6native31launch_logcumsumexp_cuda_kernelERKNS_10TensorBaseES3_lENKUlvE_clEvENKUlvE2_clEvENKUlN3c107complexIfEES8_E_clES8_S8_@rel32@lo+4
	s_addc_u32 s1, s1, _ZZZZN2at6native31launch_logcumsumexp_cuda_kernelERKNS_10TensorBaseES3_lENKUlvE_clEvENKUlvE2_clEvENKUlN3c107complexIfEES8_E_clES8_S8_@rel32@hi+12
	v_mov_b32_e32 v2, v31
	v_mov_b32_e32 v3, v30
	s_swappc_b64 s[30:31], s[0:1]
	v_mov_b32_e32 v2, v0
	v_mov_b32_e32 v3, v1
	;; [unrolled: 1-line block ×4, first 2 shown]
.LBB300_24:
	s_or_b64 exec, exec, s[34:35]
	v_or_b32_e32 v0, 63, v27
	v_lshrrev_b32_e32 v57, 6, v27
	v_cmp_eq_u32_e32 vcc, v27, v0
	s_and_saveexec_b64 s[0:1], vcc
; %bb.25:
	v_lshlrev_b32_e32 v0, 3, v57
	ds_write_b64 v0, v[2:3]
; %bb.26:
	s_or_b64 exec, exec, s[0:1]
	v_cmp_gt_u32_e32 vcc, 4, v27
	s_waitcnt lgkmcnt(0)
	s_barrier
	s_and_saveexec_b64 s[34:35], vcc
	s_cbranch_execz .LBB300_32
; %bb.27:
	ds_read_b64 v[2:3], v54
	v_and_b32_e32 v28, 3, v55
	v_cmp_ne_u32_e32 vcc, 0, v28
	s_waitcnt lgkmcnt(0)
	v_mov_b32_dpp v0, v2 row_shr:1 row_mask:0xf bank_mask:0xf
	v_mov_b32_dpp v1, v3 row_shr:1 row_mask:0xf bank_mask:0xf
	s_and_saveexec_b64 s[36:37], vcc
	s_cbranch_execz .LBB300_29
; %bb.28:
	s_getpc_b64 s[0:1]
	s_add_u32 s0, s0, _ZZZZN2at6native31launch_logcumsumexp_cuda_kernelERKNS_10TensorBaseES3_lENKUlvE_clEvENKUlvE2_clEvENKUlN3c107complexIfEES8_E_clES8_S8_@rel32@lo+4
	s_addc_u32 s1, s1, _ZZZZN2at6native31launch_logcumsumexp_cuda_kernelERKNS_10TensorBaseES3_lENKUlvE_clEvENKUlvE2_clEvENKUlN3c107complexIfEES8_E_clES8_S8_@rel32@hi+12
	s_swappc_b64 s[30:31], s[0:1]
	v_mov_b32_e32 v2, v0
	v_mov_b32_e32 v3, v1
.LBB300_29:
	s_or_b64 exec, exec, s[36:37]
	v_mov_b32_dpp v0, v2 row_shr:2 row_mask:0xf bank_mask:0xf
	v_mov_b32_dpp v1, v3 row_shr:2 row_mask:0xf bank_mask:0xf
	v_cmp_lt_u32_e32 vcc, 1, v28
	s_and_saveexec_b64 s[36:37], vcc
	s_cbranch_execz .LBB300_31
; %bb.30:
	s_getpc_b64 s[0:1]
	s_add_u32 s0, s0, _ZZZZN2at6native31launch_logcumsumexp_cuda_kernelERKNS_10TensorBaseES3_lENKUlvE_clEvENKUlvE2_clEvENKUlN3c107complexIfEES8_E_clES8_S8_@rel32@lo+4
	s_addc_u32 s1, s1, _ZZZZN2at6native31launch_logcumsumexp_cuda_kernelERKNS_10TensorBaseES3_lENKUlvE_clEvENKUlvE2_clEvENKUlN3c107complexIfEES8_E_clES8_S8_@rel32@hi+12
	s_swappc_b64 s[30:31], s[0:1]
	v_mov_b32_e32 v2, v0
	v_mov_b32_e32 v3, v1
.LBB300_31:
	s_or_b64 exec, exec, s[36:37]
	ds_write_b64 v54, v[2:3]
.LBB300_32:
	s_or_b64 exec, exec, s[34:35]
	s_load_dwordx2 s[28:29], s[28:29], 0x20
	v_mul_u32_u24_e32 v56, 40, v27
	v_cmp_lt_u32_e32 vcc, 63, v27
	v_mov_b32_e32 v28, 0
	v_mov_b32_e32 v29, 0
	s_waitcnt lgkmcnt(0)
	s_barrier
	s_and_saveexec_b64 s[34:35], vcc
	s_cbranch_execz .LBB300_34
; %bb.33:
	v_lshl_add_u32 v0, v57, 3, -8
	ds_read_b64 v[28:29], v0
	s_getpc_b64 s[0:1]
	s_add_u32 s0, s0, _ZZZZN2at6native31launch_logcumsumexp_cuda_kernelERKNS_10TensorBaseES3_lENKUlvE_clEvENKUlvE2_clEvENKUlN3c107complexIfEES8_E_clES8_S8_@rel32@lo+4
	s_addc_u32 s1, s1, _ZZZZN2at6native31launch_logcumsumexp_cuda_kernelERKNS_10TensorBaseES3_lENKUlvE_clEvENKUlvE2_clEvENKUlN3c107complexIfEES8_E_clES8_S8_@rel32@hi+12
	v_mov_b32_e32 v2, v31
	v_mov_b32_e32 v3, v30
	s_waitcnt lgkmcnt(0)
	v_mov_b32_e32 v0, v28
	v_mov_b32_e32 v1, v29
	s_swappc_b64 s[30:31], s[0:1]
	v_mov_b32_e32 v31, v0
	v_mov_b32_e32 v30, v1
.LBB300_34:
	s_or_b64 exec, exec, s[34:35]
	v_add_u32_e32 v0, -1, v55
	v_and_b32_e32 v1, 64, v55
	v_cmp_lt_i32_e32 vcc, v0, v1
	s_nop 1
	v_cndmask_b32_e32 v0, v0, v55, vcc
	v_lshlrev_b32_e32 v1, 2, v0
	ds_bpermute_b32 v0, v1, v31
	ds_bpermute_b32 v1, v1, v30
	v_cmp_ne_u32_e32 vcc, 0, v27
	s_and_saveexec_b64 s[0:1], vcc
	s_xor_b64 s[34:35], exec, s[0:1]
	s_cbranch_execz .LBB300_36
; %bb.35:
	v_cmp_eq_u32_e32 vcc, 0, v55
	s_getpc_b64 s[36:37]
	s_add_u32 s36, s36, _ZZZZN2at6native31launch_logcumsumexp_cuda_kernelERKNS_10TensorBaseES3_lENKUlvE_clEvENKUlvE2_clEvENKUlN3c107complexIfEES8_E_clES8_S8_@rel32@lo+4
	s_addc_u32 s37, s37, _ZZZZN2at6native31launch_logcumsumexp_cuda_kernelERKNS_10TensorBaseES3_lENKUlvE_clEvENKUlvE2_clEvENKUlN3c107complexIfEES8_E_clES8_S8_@rel32@hi+12
	s_waitcnt lgkmcnt(1)
	v_cndmask_b32_e32 v0, v0, v28, vcc
	s_waitcnt lgkmcnt(0)
	v_cndmask_b32_e32 v1, v1, v29, vcc
	v_mov_b32_e32 v2, v32
	v_mov_b32_e32 v3, v33
	s_swappc_b64 s[30:31], s[36:37]
	v_mov_b32_e32 v2, v34
	v_mov_b32_e32 v3, v35
	;; [unrolled: 1-line block ×4, first 2 shown]
	;;#ASMSTART
	;;#ASMEND
	s_swappc_b64 s[30:31], s[36:37]
	v_mov_b32_e32 v2, v48
	v_mov_b32_e32 v3, v49
	v_mov_b32_e32 v34, v0
	v_mov_b32_e32 v35, v1
	s_swappc_b64 s[30:31], s[36:37]
	v_mov_b32_e32 v2, v50
	v_mov_b32_e32 v3, v51
	v_mov_b32_e32 v36, v0
	v_mov_b32_e32 v37, v1
	;; [unrolled: 5-line block ×4, first 2 shown]
	s_swappc_b64 s[30:31], s[36:37]
	v_mov_b32_e32 v46, v0
	v_mov_b32_e32 v47, v1
                                        ; implicit-def: $vgpr52
                                        ; implicit-def: $vgpr53
.LBB300_36:
	s_andn2_saveexec_b64 s[0:1], s[34:35]
; %bb.37:
	v_mov_b32_e32 v34, v52
	v_mov_b32_e32 v35, v53
; %bb.38:
	s_or_b64 exec, exec, s[0:1]
	s_waitcnt lgkmcnt(1)
	v_add_u32_e32 v0, v54, v56
	s_waitcnt lgkmcnt(0)
	s_barrier
	ds_write_b128 v0, v[32:35]
	ds_write_b128 v0, v[36:39] offset:16
	ds_write_b128 v0, v[44:47] offset:32
	s_waitcnt lgkmcnt(0)
	s_barrier
	ds_read2st64_b64 v[4:7], v54 offset0:4 offset1:8
	ds_read2st64_b64 v[0:3], v54 offset0:12 offset1:16
	ds_read_b64 v[8:9], v54 offset:10240
	v_mov_b32_e32 v55, 0
	v_lshl_add_u64 v[10:11], s[28:29], 0, v[54:55]
	s_and_saveexec_b64 s[0:1], s[16:17]
	s_cbranch_execnz .LBB300_45
; %bb.39:
	s_or_b64 exec, exec, s[0:1]
	s_and_saveexec_b64 s[0:1], s[18:19]
	s_cbranch_execnz .LBB300_46
.LBB300_40:
	s_or_b64 exec, exec, s[0:1]
	s_and_saveexec_b64 s[0:1], s[20:21]
	s_cbranch_execnz .LBB300_47
.LBB300_41:
	s_or_b64 exec, exec, s[0:1]
	s_and_saveexec_b64 s[0:1], s[22:23]
	s_cbranch_execnz .LBB300_48
.LBB300_42:
	s_or_b64 exec, exec, s[0:1]
	s_and_saveexec_b64 s[0:1], s[24:25]
	s_cbranch_execnz .LBB300_49
.LBB300_43:
	s_or_b64 exec, exec, s[0:1]
	s_and_saveexec_b64 s[0:1], s[26:27]
	s_cbranch_execnz .LBB300_50
.LBB300_44:
	s_endpgm
.LBB300_45:
	ds_read_b64 v[12:13], v54
	s_waitcnt lgkmcnt(0)
	global_store_dwordx2 v[10:11], v[12:13], off
	s_or_b64 exec, exec, s[0:1]
	s_and_saveexec_b64 s[0:1], s[18:19]
	s_cbranch_execz .LBB300_40
.LBB300_46:
	s_waitcnt lgkmcnt(2)
	global_store_dwordx2 v[10:11], v[4:5], off offset:2048
	s_or_b64 exec, exec, s[0:1]
	s_and_saveexec_b64 s[0:1], s[20:21]
	s_cbranch_execz .LBB300_41
.LBB300_47:
	s_waitcnt lgkmcnt(2)
	v_add_co_u32_e32 v4, vcc, 0x1000, v10
	s_nop 1
	v_addc_co_u32_e32 v5, vcc, 0, v11, vcc
	global_store_dwordx2 v[4:5], v[6:7], off
	s_or_b64 exec, exec, s[0:1]
	s_and_saveexec_b64 s[0:1], s[22:23]
	s_cbranch_execz .LBB300_42
.LBB300_48:
	s_waitcnt lgkmcnt(2)
	v_add_co_u32_e32 v4, vcc, 0x1000, v10
	s_nop 1
	v_addc_co_u32_e32 v5, vcc, 0, v11, vcc
	s_waitcnt lgkmcnt(1)
	global_store_dwordx2 v[4:5], v[0:1], off offset:2048
	s_or_b64 exec, exec, s[0:1]
	s_and_saveexec_b64 s[0:1], s[24:25]
	s_cbranch_execz .LBB300_43
.LBB300_49:
	s_waitcnt lgkmcnt(1)
	v_add_co_u32_e32 v0, vcc, 0x2000, v10
	s_nop 1
	v_addc_co_u32_e32 v1, vcc, 0, v11, vcc
	global_store_dwordx2 v[0:1], v[2:3], off
	s_or_b64 exec, exec, s[0:1]
	s_and_saveexec_b64 s[0:1], s[26:27]
	s_cbranch_execz .LBB300_44
.LBB300_50:
	s_waitcnt lgkmcnt(1)
	v_add_co_u32_e32 v0, vcc, 0x2000, v10
	s_nop 1
	v_addc_co_u32_e32 v1, vcc, 0, v11, vcc
	s_waitcnt lgkmcnt(0)
	global_store_dwordx2 v[0:1], v[8:9], off offset:2048
	s_endpgm
	.section	.rodata,"a",@progbits
	.p2align	6, 0x0
	.amdhsa_kernel _ZN7rocprim17ROCPRIM_400000_NS6detail17trampoline_kernelINS0_14default_configENS1_20scan_config_selectorIN3c107complexIfEEEEZZNS1_9scan_implILNS1_25lookback_scan_determinismE0ELb0ELb0ES3_PKS7_PS7_S7_ZZZN2at6native31launch_logcumsumexp_cuda_kernelERKNSE_10TensorBaseESI_lENKUlvE_clEvENKUlvE2_clEvEUlS7_S7_E_S7_EEDaPvRmT3_T4_T5_mT6_P12ihipStream_tbENKUlT_T0_E_clISt17integral_constantIbLb1EESZ_EEDaSU_SV_EUlSU_E0_NS1_11comp_targetILNS1_3genE0ELNS1_11target_archE4294967295ELNS1_3gpuE0ELNS1_3repE0EEENS1_30default_config_static_selectorELNS0_4arch9wavefront6targetE1EEEvT1_
		.amdhsa_group_segment_fixed_size 12288
		.amdhsa_private_segment_fixed_size 0
		.amdhsa_kernarg_size 40
		.amdhsa_user_sgpr_count 2
		.amdhsa_user_sgpr_dispatch_ptr 0
		.amdhsa_user_sgpr_queue_ptr 0
		.amdhsa_user_sgpr_kernarg_segment_ptr 1
		.amdhsa_user_sgpr_dispatch_id 0
		.amdhsa_user_sgpr_kernarg_preload_length 0
		.amdhsa_user_sgpr_kernarg_preload_offset 0
		.amdhsa_user_sgpr_private_segment_size 0
		.amdhsa_uses_dynamic_stack 0
		.amdhsa_enable_private_segment 0
		.amdhsa_system_sgpr_workgroup_id_x 1
		.amdhsa_system_sgpr_workgroup_id_y 0
		.amdhsa_system_sgpr_workgroup_id_z 0
		.amdhsa_system_sgpr_workgroup_info 0
		.amdhsa_system_vgpr_workitem_id 0
		.amdhsa_next_free_vgpr 58
		.amdhsa_next_free_sgpr 38
		.amdhsa_accum_offset 60
		.amdhsa_reserve_vcc 1
		.amdhsa_float_round_mode_32 0
		.amdhsa_float_round_mode_16_64 0
		.amdhsa_float_denorm_mode_32 3
		.amdhsa_float_denorm_mode_16_64 3
		.amdhsa_dx10_clamp 1
		.amdhsa_ieee_mode 1
		.amdhsa_fp16_overflow 0
		.amdhsa_tg_split 0
		.amdhsa_exception_fp_ieee_invalid_op 0
		.amdhsa_exception_fp_denorm_src 0
		.amdhsa_exception_fp_ieee_div_zero 0
		.amdhsa_exception_fp_ieee_overflow 0
		.amdhsa_exception_fp_ieee_underflow 0
		.amdhsa_exception_fp_ieee_inexact 0
		.amdhsa_exception_int_div_zero 0
	.end_amdhsa_kernel
	.section	.text._ZN7rocprim17ROCPRIM_400000_NS6detail17trampoline_kernelINS0_14default_configENS1_20scan_config_selectorIN3c107complexIfEEEEZZNS1_9scan_implILNS1_25lookback_scan_determinismE0ELb0ELb0ES3_PKS7_PS7_S7_ZZZN2at6native31launch_logcumsumexp_cuda_kernelERKNSE_10TensorBaseESI_lENKUlvE_clEvENKUlvE2_clEvEUlS7_S7_E_S7_EEDaPvRmT3_T4_T5_mT6_P12ihipStream_tbENKUlT_T0_E_clISt17integral_constantIbLb1EESZ_EEDaSU_SV_EUlSU_E0_NS1_11comp_targetILNS1_3genE0ELNS1_11target_archE4294967295ELNS1_3gpuE0ELNS1_3repE0EEENS1_30default_config_static_selectorELNS0_4arch9wavefront6targetE1EEEvT1_,"axG",@progbits,_ZN7rocprim17ROCPRIM_400000_NS6detail17trampoline_kernelINS0_14default_configENS1_20scan_config_selectorIN3c107complexIfEEEEZZNS1_9scan_implILNS1_25lookback_scan_determinismE0ELb0ELb0ES3_PKS7_PS7_S7_ZZZN2at6native31launch_logcumsumexp_cuda_kernelERKNSE_10TensorBaseESI_lENKUlvE_clEvENKUlvE2_clEvEUlS7_S7_E_S7_EEDaPvRmT3_T4_T5_mT6_P12ihipStream_tbENKUlT_T0_E_clISt17integral_constantIbLb1EESZ_EEDaSU_SV_EUlSU_E0_NS1_11comp_targetILNS1_3genE0ELNS1_11target_archE4294967295ELNS1_3gpuE0ELNS1_3repE0EEENS1_30default_config_static_selectorELNS0_4arch9wavefront6targetE1EEEvT1_,comdat
.Lfunc_end300:
	.size	_ZN7rocprim17ROCPRIM_400000_NS6detail17trampoline_kernelINS0_14default_configENS1_20scan_config_selectorIN3c107complexIfEEEEZZNS1_9scan_implILNS1_25lookback_scan_determinismE0ELb0ELb0ES3_PKS7_PS7_S7_ZZZN2at6native31launch_logcumsumexp_cuda_kernelERKNSE_10TensorBaseESI_lENKUlvE_clEvENKUlvE2_clEvEUlS7_S7_E_S7_EEDaPvRmT3_T4_T5_mT6_P12ihipStream_tbENKUlT_T0_E_clISt17integral_constantIbLb1EESZ_EEDaSU_SV_EUlSU_E0_NS1_11comp_targetILNS1_3genE0ELNS1_11target_archE4294967295ELNS1_3gpuE0ELNS1_3repE0EEENS1_30default_config_static_selectorELNS0_4arch9wavefront6targetE1EEEvT1_, .Lfunc_end300-_ZN7rocprim17ROCPRIM_400000_NS6detail17trampoline_kernelINS0_14default_configENS1_20scan_config_selectorIN3c107complexIfEEEEZZNS1_9scan_implILNS1_25lookback_scan_determinismE0ELb0ELb0ES3_PKS7_PS7_S7_ZZZN2at6native31launch_logcumsumexp_cuda_kernelERKNSE_10TensorBaseESI_lENKUlvE_clEvENKUlvE2_clEvEUlS7_S7_E_S7_EEDaPvRmT3_T4_T5_mT6_P12ihipStream_tbENKUlT_T0_E_clISt17integral_constantIbLb1EESZ_EEDaSU_SV_EUlSU_E0_NS1_11comp_targetILNS1_3genE0ELNS1_11target_archE4294967295ELNS1_3gpuE0ELNS1_3repE0EEENS1_30default_config_static_selectorELNS0_4arch9wavefront6targetE1EEEvT1_
                                        ; -- End function
	.set _ZN7rocprim17ROCPRIM_400000_NS6detail17trampoline_kernelINS0_14default_configENS1_20scan_config_selectorIN3c107complexIfEEEEZZNS1_9scan_implILNS1_25lookback_scan_determinismE0ELb0ELb0ES3_PKS7_PS7_S7_ZZZN2at6native31launch_logcumsumexp_cuda_kernelERKNSE_10TensorBaseESI_lENKUlvE_clEvENKUlvE2_clEvEUlS7_S7_E_S7_EEDaPvRmT3_T4_T5_mT6_P12ihipStream_tbENKUlT_T0_E_clISt17integral_constantIbLb1EESZ_EEDaSU_SV_EUlSU_E0_NS1_11comp_targetILNS1_3genE0ELNS1_11target_archE4294967295ELNS1_3gpuE0ELNS1_3repE0EEENS1_30default_config_static_selectorELNS0_4arch9wavefront6targetE1EEEvT1_.num_vgpr, max(58, .L_ZZZZN2at6native31launch_logcumsumexp_cuda_kernelERKNS_10TensorBaseES3_lENKUlvE_clEvENKUlvE2_clEvENKUlN3c107complexIfEES8_E_clES8_S8_.num_vgpr)
	.set _ZN7rocprim17ROCPRIM_400000_NS6detail17trampoline_kernelINS0_14default_configENS1_20scan_config_selectorIN3c107complexIfEEEEZZNS1_9scan_implILNS1_25lookback_scan_determinismE0ELb0ELb0ES3_PKS7_PS7_S7_ZZZN2at6native31launch_logcumsumexp_cuda_kernelERKNSE_10TensorBaseESI_lENKUlvE_clEvENKUlvE2_clEvEUlS7_S7_E_S7_EEDaPvRmT3_T4_T5_mT6_P12ihipStream_tbENKUlT_T0_E_clISt17integral_constantIbLb1EESZ_EEDaSU_SV_EUlSU_E0_NS1_11comp_targetILNS1_3genE0ELNS1_11target_archE4294967295ELNS1_3gpuE0ELNS1_3repE0EEENS1_30default_config_static_selectorELNS0_4arch9wavefront6targetE1EEEvT1_.num_agpr, max(0, .L_ZZZZN2at6native31launch_logcumsumexp_cuda_kernelERKNS_10TensorBaseES3_lENKUlvE_clEvENKUlvE2_clEvENKUlN3c107complexIfEES8_E_clES8_S8_.num_agpr)
	.set _ZN7rocprim17ROCPRIM_400000_NS6detail17trampoline_kernelINS0_14default_configENS1_20scan_config_selectorIN3c107complexIfEEEEZZNS1_9scan_implILNS1_25lookback_scan_determinismE0ELb0ELb0ES3_PKS7_PS7_S7_ZZZN2at6native31launch_logcumsumexp_cuda_kernelERKNSE_10TensorBaseESI_lENKUlvE_clEvENKUlvE2_clEvEUlS7_S7_E_S7_EEDaPvRmT3_T4_T5_mT6_P12ihipStream_tbENKUlT_T0_E_clISt17integral_constantIbLb1EESZ_EEDaSU_SV_EUlSU_E0_NS1_11comp_targetILNS1_3genE0ELNS1_11target_archE4294967295ELNS1_3gpuE0ELNS1_3repE0EEENS1_30default_config_static_selectorELNS0_4arch9wavefront6targetE1EEEvT1_.numbered_sgpr, max(38, .L_ZZZZN2at6native31launch_logcumsumexp_cuda_kernelERKNS_10TensorBaseES3_lENKUlvE_clEvENKUlvE2_clEvENKUlN3c107complexIfEES8_E_clES8_S8_.numbered_sgpr)
	.set _ZN7rocprim17ROCPRIM_400000_NS6detail17trampoline_kernelINS0_14default_configENS1_20scan_config_selectorIN3c107complexIfEEEEZZNS1_9scan_implILNS1_25lookback_scan_determinismE0ELb0ELb0ES3_PKS7_PS7_S7_ZZZN2at6native31launch_logcumsumexp_cuda_kernelERKNSE_10TensorBaseESI_lENKUlvE_clEvENKUlvE2_clEvEUlS7_S7_E_S7_EEDaPvRmT3_T4_T5_mT6_P12ihipStream_tbENKUlT_T0_E_clISt17integral_constantIbLb1EESZ_EEDaSU_SV_EUlSU_E0_NS1_11comp_targetILNS1_3genE0ELNS1_11target_archE4294967295ELNS1_3gpuE0ELNS1_3repE0EEENS1_30default_config_static_selectorELNS0_4arch9wavefront6targetE1EEEvT1_.num_named_barrier, max(0, .L_ZZZZN2at6native31launch_logcumsumexp_cuda_kernelERKNS_10TensorBaseES3_lENKUlvE_clEvENKUlvE2_clEvENKUlN3c107complexIfEES8_E_clES8_S8_.num_named_barrier)
	.set _ZN7rocprim17ROCPRIM_400000_NS6detail17trampoline_kernelINS0_14default_configENS1_20scan_config_selectorIN3c107complexIfEEEEZZNS1_9scan_implILNS1_25lookback_scan_determinismE0ELb0ELb0ES3_PKS7_PS7_S7_ZZZN2at6native31launch_logcumsumexp_cuda_kernelERKNSE_10TensorBaseESI_lENKUlvE_clEvENKUlvE2_clEvEUlS7_S7_E_S7_EEDaPvRmT3_T4_T5_mT6_P12ihipStream_tbENKUlT_T0_E_clISt17integral_constantIbLb1EESZ_EEDaSU_SV_EUlSU_E0_NS1_11comp_targetILNS1_3genE0ELNS1_11target_archE4294967295ELNS1_3gpuE0ELNS1_3repE0EEENS1_30default_config_static_selectorELNS0_4arch9wavefront6targetE1EEEvT1_.private_seg_size, 0+max(.L_ZZZZN2at6native31launch_logcumsumexp_cuda_kernelERKNS_10TensorBaseES3_lENKUlvE_clEvENKUlvE2_clEvENKUlN3c107complexIfEES8_E_clES8_S8_.private_seg_size)
	.set _ZN7rocprim17ROCPRIM_400000_NS6detail17trampoline_kernelINS0_14default_configENS1_20scan_config_selectorIN3c107complexIfEEEEZZNS1_9scan_implILNS1_25lookback_scan_determinismE0ELb0ELb0ES3_PKS7_PS7_S7_ZZZN2at6native31launch_logcumsumexp_cuda_kernelERKNSE_10TensorBaseESI_lENKUlvE_clEvENKUlvE2_clEvEUlS7_S7_E_S7_EEDaPvRmT3_T4_T5_mT6_P12ihipStream_tbENKUlT_T0_E_clISt17integral_constantIbLb1EESZ_EEDaSU_SV_EUlSU_E0_NS1_11comp_targetILNS1_3genE0ELNS1_11target_archE4294967295ELNS1_3gpuE0ELNS1_3repE0EEENS1_30default_config_static_selectorELNS0_4arch9wavefront6targetE1EEEvT1_.uses_vcc, or(1, .L_ZZZZN2at6native31launch_logcumsumexp_cuda_kernelERKNS_10TensorBaseES3_lENKUlvE_clEvENKUlvE2_clEvENKUlN3c107complexIfEES8_E_clES8_S8_.uses_vcc)
	.set _ZN7rocprim17ROCPRIM_400000_NS6detail17trampoline_kernelINS0_14default_configENS1_20scan_config_selectorIN3c107complexIfEEEEZZNS1_9scan_implILNS1_25lookback_scan_determinismE0ELb0ELb0ES3_PKS7_PS7_S7_ZZZN2at6native31launch_logcumsumexp_cuda_kernelERKNSE_10TensorBaseESI_lENKUlvE_clEvENKUlvE2_clEvEUlS7_S7_E_S7_EEDaPvRmT3_T4_T5_mT6_P12ihipStream_tbENKUlT_T0_E_clISt17integral_constantIbLb1EESZ_EEDaSU_SV_EUlSU_E0_NS1_11comp_targetILNS1_3genE0ELNS1_11target_archE4294967295ELNS1_3gpuE0ELNS1_3repE0EEENS1_30default_config_static_selectorELNS0_4arch9wavefront6targetE1EEEvT1_.uses_flat_scratch, or(0, .L_ZZZZN2at6native31launch_logcumsumexp_cuda_kernelERKNS_10TensorBaseES3_lENKUlvE_clEvENKUlvE2_clEvENKUlN3c107complexIfEES8_E_clES8_S8_.uses_flat_scratch)
	.set _ZN7rocprim17ROCPRIM_400000_NS6detail17trampoline_kernelINS0_14default_configENS1_20scan_config_selectorIN3c107complexIfEEEEZZNS1_9scan_implILNS1_25lookback_scan_determinismE0ELb0ELb0ES3_PKS7_PS7_S7_ZZZN2at6native31launch_logcumsumexp_cuda_kernelERKNSE_10TensorBaseESI_lENKUlvE_clEvENKUlvE2_clEvEUlS7_S7_E_S7_EEDaPvRmT3_T4_T5_mT6_P12ihipStream_tbENKUlT_T0_E_clISt17integral_constantIbLb1EESZ_EEDaSU_SV_EUlSU_E0_NS1_11comp_targetILNS1_3genE0ELNS1_11target_archE4294967295ELNS1_3gpuE0ELNS1_3repE0EEENS1_30default_config_static_selectorELNS0_4arch9wavefront6targetE1EEEvT1_.has_dyn_sized_stack, or(0, .L_ZZZZN2at6native31launch_logcumsumexp_cuda_kernelERKNS_10TensorBaseES3_lENKUlvE_clEvENKUlvE2_clEvENKUlN3c107complexIfEES8_E_clES8_S8_.has_dyn_sized_stack)
	.set _ZN7rocprim17ROCPRIM_400000_NS6detail17trampoline_kernelINS0_14default_configENS1_20scan_config_selectorIN3c107complexIfEEEEZZNS1_9scan_implILNS1_25lookback_scan_determinismE0ELb0ELb0ES3_PKS7_PS7_S7_ZZZN2at6native31launch_logcumsumexp_cuda_kernelERKNSE_10TensorBaseESI_lENKUlvE_clEvENKUlvE2_clEvEUlS7_S7_E_S7_EEDaPvRmT3_T4_T5_mT6_P12ihipStream_tbENKUlT_T0_E_clISt17integral_constantIbLb1EESZ_EEDaSU_SV_EUlSU_E0_NS1_11comp_targetILNS1_3genE0ELNS1_11target_archE4294967295ELNS1_3gpuE0ELNS1_3repE0EEENS1_30default_config_static_selectorELNS0_4arch9wavefront6targetE1EEEvT1_.has_recursion, or(0, .L_ZZZZN2at6native31launch_logcumsumexp_cuda_kernelERKNS_10TensorBaseES3_lENKUlvE_clEvENKUlvE2_clEvENKUlN3c107complexIfEES8_E_clES8_S8_.has_recursion)
	.set _ZN7rocprim17ROCPRIM_400000_NS6detail17trampoline_kernelINS0_14default_configENS1_20scan_config_selectorIN3c107complexIfEEEEZZNS1_9scan_implILNS1_25lookback_scan_determinismE0ELb0ELb0ES3_PKS7_PS7_S7_ZZZN2at6native31launch_logcumsumexp_cuda_kernelERKNSE_10TensorBaseESI_lENKUlvE_clEvENKUlvE2_clEvEUlS7_S7_E_S7_EEDaPvRmT3_T4_T5_mT6_P12ihipStream_tbENKUlT_T0_E_clISt17integral_constantIbLb1EESZ_EEDaSU_SV_EUlSU_E0_NS1_11comp_targetILNS1_3genE0ELNS1_11target_archE4294967295ELNS1_3gpuE0ELNS1_3repE0EEENS1_30default_config_static_selectorELNS0_4arch9wavefront6targetE1EEEvT1_.has_indirect_call, or(0, .L_ZZZZN2at6native31launch_logcumsumexp_cuda_kernelERKNS_10TensorBaseES3_lENKUlvE_clEvENKUlvE2_clEvENKUlN3c107complexIfEES8_E_clES8_S8_.has_indirect_call)
	.section	.AMDGPU.csdata,"",@progbits
; Kernel info:
; codeLenInByte = 1924
; TotalNumSgprs: 44
; NumVgprs: 58
; NumAgprs: 0
; TotalNumVgprs: 58
; ScratchSize: 0
; MemoryBound: 0
; FloatMode: 240
; IeeeMode: 1
; LDSByteSize: 12288 bytes/workgroup (compile time only)
; SGPRBlocks: 5
; VGPRBlocks: 7
; NumSGPRsForWavesPerEU: 44
; NumVGPRsForWavesPerEU: 58
; AccumOffset: 60
; Occupancy: 8
; WaveLimiterHint : 0
; COMPUTE_PGM_RSRC2:SCRATCH_EN: 0
; COMPUTE_PGM_RSRC2:USER_SGPR: 2
; COMPUTE_PGM_RSRC2:TRAP_HANDLER: 0
; COMPUTE_PGM_RSRC2:TGID_X_EN: 1
; COMPUTE_PGM_RSRC2:TGID_Y_EN: 0
; COMPUTE_PGM_RSRC2:TGID_Z_EN: 0
; COMPUTE_PGM_RSRC2:TIDIG_COMP_CNT: 0
; COMPUTE_PGM_RSRC3_GFX90A:ACCUM_OFFSET: 14
; COMPUTE_PGM_RSRC3_GFX90A:TG_SPLIT: 0
	.section	.text._ZN7rocprim17ROCPRIM_400000_NS6detail17trampoline_kernelINS0_14default_configENS1_20scan_config_selectorIN3c107complexIfEEEEZZNS1_9scan_implILNS1_25lookback_scan_determinismE0ELb0ELb0ES3_PKS7_PS7_S7_ZZZN2at6native31launch_logcumsumexp_cuda_kernelERKNSE_10TensorBaseESI_lENKUlvE_clEvENKUlvE2_clEvEUlS7_S7_E_S7_EEDaPvRmT3_T4_T5_mT6_P12ihipStream_tbENKUlT_T0_E_clISt17integral_constantIbLb1EESZ_EEDaSU_SV_EUlSU_E0_NS1_11comp_targetILNS1_3genE5ELNS1_11target_archE942ELNS1_3gpuE9ELNS1_3repE0EEENS1_30default_config_static_selectorELNS0_4arch9wavefront6targetE1EEEvT1_,"axG",@progbits,_ZN7rocprim17ROCPRIM_400000_NS6detail17trampoline_kernelINS0_14default_configENS1_20scan_config_selectorIN3c107complexIfEEEEZZNS1_9scan_implILNS1_25lookback_scan_determinismE0ELb0ELb0ES3_PKS7_PS7_S7_ZZZN2at6native31launch_logcumsumexp_cuda_kernelERKNSE_10TensorBaseESI_lENKUlvE_clEvENKUlvE2_clEvEUlS7_S7_E_S7_EEDaPvRmT3_T4_T5_mT6_P12ihipStream_tbENKUlT_T0_E_clISt17integral_constantIbLb1EESZ_EEDaSU_SV_EUlSU_E0_NS1_11comp_targetILNS1_3genE5ELNS1_11target_archE942ELNS1_3gpuE9ELNS1_3repE0EEENS1_30default_config_static_selectorELNS0_4arch9wavefront6targetE1EEEvT1_,comdat
	.globl	_ZN7rocprim17ROCPRIM_400000_NS6detail17trampoline_kernelINS0_14default_configENS1_20scan_config_selectorIN3c107complexIfEEEEZZNS1_9scan_implILNS1_25lookback_scan_determinismE0ELb0ELb0ES3_PKS7_PS7_S7_ZZZN2at6native31launch_logcumsumexp_cuda_kernelERKNSE_10TensorBaseESI_lENKUlvE_clEvENKUlvE2_clEvEUlS7_S7_E_S7_EEDaPvRmT3_T4_T5_mT6_P12ihipStream_tbENKUlT_T0_E_clISt17integral_constantIbLb1EESZ_EEDaSU_SV_EUlSU_E0_NS1_11comp_targetILNS1_3genE5ELNS1_11target_archE942ELNS1_3gpuE9ELNS1_3repE0EEENS1_30default_config_static_selectorELNS0_4arch9wavefront6targetE1EEEvT1_ ; -- Begin function _ZN7rocprim17ROCPRIM_400000_NS6detail17trampoline_kernelINS0_14default_configENS1_20scan_config_selectorIN3c107complexIfEEEEZZNS1_9scan_implILNS1_25lookback_scan_determinismE0ELb0ELb0ES3_PKS7_PS7_S7_ZZZN2at6native31launch_logcumsumexp_cuda_kernelERKNSE_10TensorBaseESI_lENKUlvE_clEvENKUlvE2_clEvEUlS7_S7_E_S7_EEDaPvRmT3_T4_T5_mT6_P12ihipStream_tbENKUlT_T0_E_clISt17integral_constantIbLb1EESZ_EEDaSU_SV_EUlSU_E0_NS1_11comp_targetILNS1_3genE5ELNS1_11target_archE942ELNS1_3gpuE9ELNS1_3repE0EEENS1_30default_config_static_selectorELNS0_4arch9wavefront6targetE1EEEvT1_
	.p2align	8
	.type	_ZN7rocprim17ROCPRIM_400000_NS6detail17trampoline_kernelINS0_14default_configENS1_20scan_config_selectorIN3c107complexIfEEEEZZNS1_9scan_implILNS1_25lookback_scan_determinismE0ELb0ELb0ES3_PKS7_PS7_S7_ZZZN2at6native31launch_logcumsumexp_cuda_kernelERKNSE_10TensorBaseESI_lENKUlvE_clEvENKUlvE2_clEvEUlS7_S7_E_S7_EEDaPvRmT3_T4_T5_mT6_P12ihipStream_tbENKUlT_T0_E_clISt17integral_constantIbLb1EESZ_EEDaSU_SV_EUlSU_E0_NS1_11comp_targetILNS1_3genE5ELNS1_11target_archE942ELNS1_3gpuE9ELNS1_3repE0EEENS1_30default_config_static_selectorELNS0_4arch9wavefront6targetE1EEEvT1_,@function
_ZN7rocprim17ROCPRIM_400000_NS6detail17trampoline_kernelINS0_14default_configENS1_20scan_config_selectorIN3c107complexIfEEEEZZNS1_9scan_implILNS1_25lookback_scan_determinismE0ELb0ELb0ES3_PKS7_PS7_S7_ZZZN2at6native31launch_logcumsumexp_cuda_kernelERKNSE_10TensorBaseESI_lENKUlvE_clEvENKUlvE2_clEvEUlS7_S7_E_S7_EEDaPvRmT3_T4_T5_mT6_P12ihipStream_tbENKUlT_T0_E_clISt17integral_constantIbLb1EESZ_EEDaSU_SV_EUlSU_E0_NS1_11comp_targetILNS1_3genE5ELNS1_11target_archE942ELNS1_3gpuE9ELNS1_3repE0EEENS1_30default_config_static_selectorELNS0_4arch9wavefront6targetE1EEEvT1_: ; @_ZN7rocprim17ROCPRIM_400000_NS6detail17trampoline_kernelINS0_14default_configENS1_20scan_config_selectorIN3c107complexIfEEEEZZNS1_9scan_implILNS1_25lookback_scan_determinismE0ELb0ELb0ES3_PKS7_PS7_S7_ZZZN2at6native31launch_logcumsumexp_cuda_kernelERKNSE_10TensorBaseESI_lENKUlvE_clEvENKUlvE2_clEvEUlS7_S7_E_S7_EEDaPvRmT3_T4_T5_mT6_P12ihipStream_tbENKUlT_T0_E_clISt17integral_constantIbLb1EESZ_EEDaSU_SV_EUlSU_E0_NS1_11comp_targetILNS1_3genE5ELNS1_11target_archE942ELNS1_3gpuE9ELNS1_3repE0EEENS1_30default_config_static_selectorELNS0_4arch9wavefront6targetE1EEEvT1_
; %bb.0:
	.section	.rodata,"a",@progbits
	.p2align	6, 0x0
	.amdhsa_kernel _ZN7rocprim17ROCPRIM_400000_NS6detail17trampoline_kernelINS0_14default_configENS1_20scan_config_selectorIN3c107complexIfEEEEZZNS1_9scan_implILNS1_25lookback_scan_determinismE0ELb0ELb0ES3_PKS7_PS7_S7_ZZZN2at6native31launch_logcumsumexp_cuda_kernelERKNSE_10TensorBaseESI_lENKUlvE_clEvENKUlvE2_clEvEUlS7_S7_E_S7_EEDaPvRmT3_T4_T5_mT6_P12ihipStream_tbENKUlT_T0_E_clISt17integral_constantIbLb1EESZ_EEDaSU_SV_EUlSU_E0_NS1_11comp_targetILNS1_3genE5ELNS1_11target_archE942ELNS1_3gpuE9ELNS1_3repE0EEENS1_30default_config_static_selectorELNS0_4arch9wavefront6targetE1EEEvT1_
		.amdhsa_group_segment_fixed_size 0
		.amdhsa_private_segment_fixed_size 0
		.amdhsa_kernarg_size 40
		.amdhsa_user_sgpr_count 2
		.amdhsa_user_sgpr_dispatch_ptr 0
		.amdhsa_user_sgpr_queue_ptr 0
		.amdhsa_user_sgpr_kernarg_segment_ptr 1
		.amdhsa_user_sgpr_dispatch_id 0
		.amdhsa_user_sgpr_kernarg_preload_length 0
		.amdhsa_user_sgpr_kernarg_preload_offset 0
		.amdhsa_user_sgpr_private_segment_size 0
		.amdhsa_uses_dynamic_stack 0
		.amdhsa_enable_private_segment 0
		.amdhsa_system_sgpr_workgroup_id_x 1
		.amdhsa_system_sgpr_workgroup_id_y 0
		.amdhsa_system_sgpr_workgroup_id_z 0
		.amdhsa_system_sgpr_workgroup_info 0
		.amdhsa_system_vgpr_workitem_id 0
		.amdhsa_next_free_vgpr 1
		.amdhsa_next_free_sgpr 0
		.amdhsa_accum_offset 4
		.amdhsa_reserve_vcc 0
		.amdhsa_float_round_mode_32 0
		.amdhsa_float_round_mode_16_64 0
		.amdhsa_float_denorm_mode_32 3
		.amdhsa_float_denorm_mode_16_64 3
		.amdhsa_dx10_clamp 1
		.amdhsa_ieee_mode 1
		.amdhsa_fp16_overflow 0
		.amdhsa_tg_split 0
		.amdhsa_exception_fp_ieee_invalid_op 0
		.amdhsa_exception_fp_denorm_src 0
		.amdhsa_exception_fp_ieee_div_zero 0
		.amdhsa_exception_fp_ieee_overflow 0
		.amdhsa_exception_fp_ieee_underflow 0
		.amdhsa_exception_fp_ieee_inexact 0
		.amdhsa_exception_int_div_zero 0
	.end_amdhsa_kernel
	.section	.text._ZN7rocprim17ROCPRIM_400000_NS6detail17trampoline_kernelINS0_14default_configENS1_20scan_config_selectorIN3c107complexIfEEEEZZNS1_9scan_implILNS1_25lookback_scan_determinismE0ELb0ELb0ES3_PKS7_PS7_S7_ZZZN2at6native31launch_logcumsumexp_cuda_kernelERKNSE_10TensorBaseESI_lENKUlvE_clEvENKUlvE2_clEvEUlS7_S7_E_S7_EEDaPvRmT3_T4_T5_mT6_P12ihipStream_tbENKUlT_T0_E_clISt17integral_constantIbLb1EESZ_EEDaSU_SV_EUlSU_E0_NS1_11comp_targetILNS1_3genE5ELNS1_11target_archE942ELNS1_3gpuE9ELNS1_3repE0EEENS1_30default_config_static_selectorELNS0_4arch9wavefront6targetE1EEEvT1_,"axG",@progbits,_ZN7rocprim17ROCPRIM_400000_NS6detail17trampoline_kernelINS0_14default_configENS1_20scan_config_selectorIN3c107complexIfEEEEZZNS1_9scan_implILNS1_25lookback_scan_determinismE0ELb0ELb0ES3_PKS7_PS7_S7_ZZZN2at6native31launch_logcumsumexp_cuda_kernelERKNSE_10TensorBaseESI_lENKUlvE_clEvENKUlvE2_clEvEUlS7_S7_E_S7_EEDaPvRmT3_T4_T5_mT6_P12ihipStream_tbENKUlT_T0_E_clISt17integral_constantIbLb1EESZ_EEDaSU_SV_EUlSU_E0_NS1_11comp_targetILNS1_3genE5ELNS1_11target_archE942ELNS1_3gpuE9ELNS1_3repE0EEENS1_30default_config_static_selectorELNS0_4arch9wavefront6targetE1EEEvT1_,comdat
.Lfunc_end301:
	.size	_ZN7rocprim17ROCPRIM_400000_NS6detail17trampoline_kernelINS0_14default_configENS1_20scan_config_selectorIN3c107complexIfEEEEZZNS1_9scan_implILNS1_25lookback_scan_determinismE0ELb0ELb0ES3_PKS7_PS7_S7_ZZZN2at6native31launch_logcumsumexp_cuda_kernelERKNSE_10TensorBaseESI_lENKUlvE_clEvENKUlvE2_clEvEUlS7_S7_E_S7_EEDaPvRmT3_T4_T5_mT6_P12ihipStream_tbENKUlT_T0_E_clISt17integral_constantIbLb1EESZ_EEDaSU_SV_EUlSU_E0_NS1_11comp_targetILNS1_3genE5ELNS1_11target_archE942ELNS1_3gpuE9ELNS1_3repE0EEENS1_30default_config_static_selectorELNS0_4arch9wavefront6targetE1EEEvT1_, .Lfunc_end301-_ZN7rocprim17ROCPRIM_400000_NS6detail17trampoline_kernelINS0_14default_configENS1_20scan_config_selectorIN3c107complexIfEEEEZZNS1_9scan_implILNS1_25lookback_scan_determinismE0ELb0ELb0ES3_PKS7_PS7_S7_ZZZN2at6native31launch_logcumsumexp_cuda_kernelERKNSE_10TensorBaseESI_lENKUlvE_clEvENKUlvE2_clEvEUlS7_S7_E_S7_EEDaPvRmT3_T4_T5_mT6_P12ihipStream_tbENKUlT_T0_E_clISt17integral_constantIbLb1EESZ_EEDaSU_SV_EUlSU_E0_NS1_11comp_targetILNS1_3genE5ELNS1_11target_archE942ELNS1_3gpuE9ELNS1_3repE0EEENS1_30default_config_static_selectorELNS0_4arch9wavefront6targetE1EEEvT1_
                                        ; -- End function
	.set _ZN7rocprim17ROCPRIM_400000_NS6detail17trampoline_kernelINS0_14default_configENS1_20scan_config_selectorIN3c107complexIfEEEEZZNS1_9scan_implILNS1_25lookback_scan_determinismE0ELb0ELb0ES3_PKS7_PS7_S7_ZZZN2at6native31launch_logcumsumexp_cuda_kernelERKNSE_10TensorBaseESI_lENKUlvE_clEvENKUlvE2_clEvEUlS7_S7_E_S7_EEDaPvRmT3_T4_T5_mT6_P12ihipStream_tbENKUlT_T0_E_clISt17integral_constantIbLb1EESZ_EEDaSU_SV_EUlSU_E0_NS1_11comp_targetILNS1_3genE5ELNS1_11target_archE942ELNS1_3gpuE9ELNS1_3repE0EEENS1_30default_config_static_selectorELNS0_4arch9wavefront6targetE1EEEvT1_.num_vgpr, 0
	.set _ZN7rocprim17ROCPRIM_400000_NS6detail17trampoline_kernelINS0_14default_configENS1_20scan_config_selectorIN3c107complexIfEEEEZZNS1_9scan_implILNS1_25lookback_scan_determinismE0ELb0ELb0ES3_PKS7_PS7_S7_ZZZN2at6native31launch_logcumsumexp_cuda_kernelERKNSE_10TensorBaseESI_lENKUlvE_clEvENKUlvE2_clEvEUlS7_S7_E_S7_EEDaPvRmT3_T4_T5_mT6_P12ihipStream_tbENKUlT_T0_E_clISt17integral_constantIbLb1EESZ_EEDaSU_SV_EUlSU_E0_NS1_11comp_targetILNS1_3genE5ELNS1_11target_archE942ELNS1_3gpuE9ELNS1_3repE0EEENS1_30default_config_static_selectorELNS0_4arch9wavefront6targetE1EEEvT1_.num_agpr, 0
	.set _ZN7rocprim17ROCPRIM_400000_NS6detail17trampoline_kernelINS0_14default_configENS1_20scan_config_selectorIN3c107complexIfEEEEZZNS1_9scan_implILNS1_25lookback_scan_determinismE0ELb0ELb0ES3_PKS7_PS7_S7_ZZZN2at6native31launch_logcumsumexp_cuda_kernelERKNSE_10TensorBaseESI_lENKUlvE_clEvENKUlvE2_clEvEUlS7_S7_E_S7_EEDaPvRmT3_T4_T5_mT6_P12ihipStream_tbENKUlT_T0_E_clISt17integral_constantIbLb1EESZ_EEDaSU_SV_EUlSU_E0_NS1_11comp_targetILNS1_3genE5ELNS1_11target_archE942ELNS1_3gpuE9ELNS1_3repE0EEENS1_30default_config_static_selectorELNS0_4arch9wavefront6targetE1EEEvT1_.numbered_sgpr, 0
	.set _ZN7rocprim17ROCPRIM_400000_NS6detail17trampoline_kernelINS0_14default_configENS1_20scan_config_selectorIN3c107complexIfEEEEZZNS1_9scan_implILNS1_25lookback_scan_determinismE0ELb0ELb0ES3_PKS7_PS7_S7_ZZZN2at6native31launch_logcumsumexp_cuda_kernelERKNSE_10TensorBaseESI_lENKUlvE_clEvENKUlvE2_clEvEUlS7_S7_E_S7_EEDaPvRmT3_T4_T5_mT6_P12ihipStream_tbENKUlT_T0_E_clISt17integral_constantIbLb1EESZ_EEDaSU_SV_EUlSU_E0_NS1_11comp_targetILNS1_3genE5ELNS1_11target_archE942ELNS1_3gpuE9ELNS1_3repE0EEENS1_30default_config_static_selectorELNS0_4arch9wavefront6targetE1EEEvT1_.num_named_barrier, 0
	.set _ZN7rocprim17ROCPRIM_400000_NS6detail17trampoline_kernelINS0_14default_configENS1_20scan_config_selectorIN3c107complexIfEEEEZZNS1_9scan_implILNS1_25lookback_scan_determinismE0ELb0ELb0ES3_PKS7_PS7_S7_ZZZN2at6native31launch_logcumsumexp_cuda_kernelERKNSE_10TensorBaseESI_lENKUlvE_clEvENKUlvE2_clEvEUlS7_S7_E_S7_EEDaPvRmT3_T4_T5_mT6_P12ihipStream_tbENKUlT_T0_E_clISt17integral_constantIbLb1EESZ_EEDaSU_SV_EUlSU_E0_NS1_11comp_targetILNS1_3genE5ELNS1_11target_archE942ELNS1_3gpuE9ELNS1_3repE0EEENS1_30default_config_static_selectorELNS0_4arch9wavefront6targetE1EEEvT1_.private_seg_size, 0
	.set _ZN7rocprim17ROCPRIM_400000_NS6detail17trampoline_kernelINS0_14default_configENS1_20scan_config_selectorIN3c107complexIfEEEEZZNS1_9scan_implILNS1_25lookback_scan_determinismE0ELb0ELb0ES3_PKS7_PS7_S7_ZZZN2at6native31launch_logcumsumexp_cuda_kernelERKNSE_10TensorBaseESI_lENKUlvE_clEvENKUlvE2_clEvEUlS7_S7_E_S7_EEDaPvRmT3_T4_T5_mT6_P12ihipStream_tbENKUlT_T0_E_clISt17integral_constantIbLb1EESZ_EEDaSU_SV_EUlSU_E0_NS1_11comp_targetILNS1_3genE5ELNS1_11target_archE942ELNS1_3gpuE9ELNS1_3repE0EEENS1_30default_config_static_selectorELNS0_4arch9wavefront6targetE1EEEvT1_.uses_vcc, 0
	.set _ZN7rocprim17ROCPRIM_400000_NS6detail17trampoline_kernelINS0_14default_configENS1_20scan_config_selectorIN3c107complexIfEEEEZZNS1_9scan_implILNS1_25lookback_scan_determinismE0ELb0ELb0ES3_PKS7_PS7_S7_ZZZN2at6native31launch_logcumsumexp_cuda_kernelERKNSE_10TensorBaseESI_lENKUlvE_clEvENKUlvE2_clEvEUlS7_S7_E_S7_EEDaPvRmT3_T4_T5_mT6_P12ihipStream_tbENKUlT_T0_E_clISt17integral_constantIbLb1EESZ_EEDaSU_SV_EUlSU_E0_NS1_11comp_targetILNS1_3genE5ELNS1_11target_archE942ELNS1_3gpuE9ELNS1_3repE0EEENS1_30default_config_static_selectorELNS0_4arch9wavefront6targetE1EEEvT1_.uses_flat_scratch, 0
	.set _ZN7rocprim17ROCPRIM_400000_NS6detail17trampoline_kernelINS0_14default_configENS1_20scan_config_selectorIN3c107complexIfEEEEZZNS1_9scan_implILNS1_25lookback_scan_determinismE0ELb0ELb0ES3_PKS7_PS7_S7_ZZZN2at6native31launch_logcumsumexp_cuda_kernelERKNSE_10TensorBaseESI_lENKUlvE_clEvENKUlvE2_clEvEUlS7_S7_E_S7_EEDaPvRmT3_T4_T5_mT6_P12ihipStream_tbENKUlT_T0_E_clISt17integral_constantIbLb1EESZ_EEDaSU_SV_EUlSU_E0_NS1_11comp_targetILNS1_3genE5ELNS1_11target_archE942ELNS1_3gpuE9ELNS1_3repE0EEENS1_30default_config_static_selectorELNS0_4arch9wavefront6targetE1EEEvT1_.has_dyn_sized_stack, 0
	.set _ZN7rocprim17ROCPRIM_400000_NS6detail17trampoline_kernelINS0_14default_configENS1_20scan_config_selectorIN3c107complexIfEEEEZZNS1_9scan_implILNS1_25lookback_scan_determinismE0ELb0ELb0ES3_PKS7_PS7_S7_ZZZN2at6native31launch_logcumsumexp_cuda_kernelERKNSE_10TensorBaseESI_lENKUlvE_clEvENKUlvE2_clEvEUlS7_S7_E_S7_EEDaPvRmT3_T4_T5_mT6_P12ihipStream_tbENKUlT_T0_E_clISt17integral_constantIbLb1EESZ_EEDaSU_SV_EUlSU_E0_NS1_11comp_targetILNS1_3genE5ELNS1_11target_archE942ELNS1_3gpuE9ELNS1_3repE0EEENS1_30default_config_static_selectorELNS0_4arch9wavefront6targetE1EEEvT1_.has_recursion, 0
	.set _ZN7rocprim17ROCPRIM_400000_NS6detail17trampoline_kernelINS0_14default_configENS1_20scan_config_selectorIN3c107complexIfEEEEZZNS1_9scan_implILNS1_25lookback_scan_determinismE0ELb0ELb0ES3_PKS7_PS7_S7_ZZZN2at6native31launch_logcumsumexp_cuda_kernelERKNSE_10TensorBaseESI_lENKUlvE_clEvENKUlvE2_clEvEUlS7_S7_E_S7_EEDaPvRmT3_T4_T5_mT6_P12ihipStream_tbENKUlT_T0_E_clISt17integral_constantIbLb1EESZ_EEDaSU_SV_EUlSU_E0_NS1_11comp_targetILNS1_3genE5ELNS1_11target_archE942ELNS1_3gpuE9ELNS1_3repE0EEENS1_30default_config_static_selectorELNS0_4arch9wavefront6targetE1EEEvT1_.has_indirect_call, 0
	.section	.AMDGPU.csdata,"",@progbits
; Kernel info:
; codeLenInByte = 0
; TotalNumSgprs: 6
; NumVgprs: 0
; NumAgprs: 0
; TotalNumVgprs: 0
; ScratchSize: 0
; MemoryBound: 0
; FloatMode: 240
; IeeeMode: 1
; LDSByteSize: 0 bytes/workgroup (compile time only)
; SGPRBlocks: 0
; VGPRBlocks: 0
; NumSGPRsForWavesPerEU: 6
; NumVGPRsForWavesPerEU: 1
; AccumOffset: 4
; Occupancy: 8
; WaveLimiterHint : 0
; COMPUTE_PGM_RSRC2:SCRATCH_EN: 0
; COMPUTE_PGM_RSRC2:USER_SGPR: 2
; COMPUTE_PGM_RSRC2:TRAP_HANDLER: 0
; COMPUTE_PGM_RSRC2:TGID_X_EN: 1
; COMPUTE_PGM_RSRC2:TGID_Y_EN: 0
; COMPUTE_PGM_RSRC2:TGID_Z_EN: 0
; COMPUTE_PGM_RSRC2:TIDIG_COMP_CNT: 0
; COMPUTE_PGM_RSRC3_GFX90A:ACCUM_OFFSET: 0
; COMPUTE_PGM_RSRC3_GFX90A:TG_SPLIT: 0
	.section	.text._ZN7rocprim17ROCPRIM_400000_NS6detail17trampoline_kernelINS0_14default_configENS1_20scan_config_selectorIN3c107complexIfEEEEZZNS1_9scan_implILNS1_25lookback_scan_determinismE0ELb0ELb0ES3_PKS7_PS7_S7_ZZZN2at6native31launch_logcumsumexp_cuda_kernelERKNSE_10TensorBaseESI_lENKUlvE_clEvENKUlvE2_clEvEUlS7_S7_E_S7_EEDaPvRmT3_T4_T5_mT6_P12ihipStream_tbENKUlT_T0_E_clISt17integral_constantIbLb1EESZ_EEDaSU_SV_EUlSU_E0_NS1_11comp_targetILNS1_3genE4ELNS1_11target_archE910ELNS1_3gpuE8ELNS1_3repE0EEENS1_30default_config_static_selectorELNS0_4arch9wavefront6targetE1EEEvT1_,"axG",@progbits,_ZN7rocprim17ROCPRIM_400000_NS6detail17trampoline_kernelINS0_14default_configENS1_20scan_config_selectorIN3c107complexIfEEEEZZNS1_9scan_implILNS1_25lookback_scan_determinismE0ELb0ELb0ES3_PKS7_PS7_S7_ZZZN2at6native31launch_logcumsumexp_cuda_kernelERKNSE_10TensorBaseESI_lENKUlvE_clEvENKUlvE2_clEvEUlS7_S7_E_S7_EEDaPvRmT3_T4_T5_mT6_P12ihipStream_tbENKUlT_T0_E_clISt17integral_constantIbLb1EESZ_EEDaSU_SV_EUlSU_E0_NS1_11comp_targetILNS1_3genE4ELNS1_11target_archE910ELNS1_3gpuE8ELNS1_3repE0EEENS1_30default_config_static_selectorELNS0_4arch9wavefront6targetE1EEEvT1_,comdat
	.globl	_ZN7rocprim17ROCPRIM_400000_NS6detail17trampoline_kernelINS0_14default_configENS1_20scan_config_selectorIN3c107complexIfEEEEZZNS1_9scan_implILNS1_25lookback_scan_determinismE0ELb0ELb0ES3_PKS7_PS7_S7_ZZZN2at6native31launch_logcumsumexp_cuda_kernelERKNSE_10TensorBaseESI_lENKUlvE_clEvENKUlvE2_clEvEUlS7_S7_E_S7_EEDaPvRmT3_T4_T5_mT6_P12ihipStream_tbENKUlT_T0_E_clISt17integral_constantIbLb1EESZ_EEDaSU_SV_EUlSU_E0_NS1_11comp_targetILNS1_3genE4ELNS1_11target_archE910ELNS1_3gpuE8ELNS1_3repE0EEENS1_30default_config_static_selectorELNS0_4arch9wavefront6targetE1EEEvT1_ ; -- Begin function _ZN7rocprim17ROCPRIM_400000_NS6detail17trampoline_kernelINS0_14default_configENS1_20scan_config_selectorIN3c107complexIfEEEEZZNS1_9scan_implILNS1_25lookback_scan_determinismE0ELb0ELb0ES3_PKS7_PS7_S7_ZZZN2at6native31launch_logcumsumexp_cuda_kernelERKNSE_10TensorBaseESI_lENKUlvE_clEvENKUlvE2_clEvEUlS7_S7_E_S7_EEDaPvRmT3_T4_T5_mT6_P12ihipStream_tbENKUlT_T0_E_clISt17integral_constantIbLb1EESZ_EEDaSU_SV_EUlSU_E0_NS1_11comp_targetILNS1_3genE4ELNS1_11target_archE910ELNS1_3gpuE8ELNS1_3repE0EEENS1_30default_config_static_selectorELNS0_4arch9wavefront6targetE1EEEvT1_
	.p2align	8
	.type	_ZN7rocprim17ROCPRIM_400000_NS6detail17trampoline_kernelINS0_14default_configENS1_20scan_config_selectorIN3c107complexIfEEEEZZNS1_9scan_implILNS1_25lookback_scan_determinismE0ELb0ELb0ES3_PKS7_PS7_S7_ZZZN2at6native31launch_logcumsumexp_cuda_kernelERKNSE_10TensorBaseESI_lENKUlvE_clEvENKUlvE2_clEvEUlS7_S7_E_S7_EEDaPvRmT3_T4_T5_mT6_P12ihipStream_tbENKUlT_T0_E_clISt17integral_constantIbLb1EESZ_EEDaSU_SV_EUlSU_E0_NS1_11comp_targetILNS1_3genE4ELNS1_11target_archE910ELNS1_3gpuE8ELNS1_3repE0EEENS1_30default_config_static_selectorELNS0_4arch9wavefront6targetE1EEEvT1_,@function
_ZN7rocprim17ROCPRIM_400000_NS6detail17trampoline_kernelINS0_14default_configENS1_20scan_config_selectorIN3c107complexIfEEEEZZNS1_9scan_implILNS1_25lookback_scan_determinismE0ELb0ELb0ES3_PKS7_PS7_S7_ZZZN2at6native31launch_logcumsumexp_cuda_kernelERKNSE_10TensorBaseESI_lENKUlvE_clEvENKUlvE2_clEvEUlS7_S7_E_S7_EEDaPvRmT3_T4_T5_mT6_P12ihipStream_tbENKUlT_T0_E_clISt17integral_constantIbLb1EESZ_EEDaSU_SV_EUlSU_E0_NS1_11comp_targetILNS1_3genE4ELNS1_11target_archE910ELNS1_3gpuE8ELNS1_3repE0EEENS1_30default_config_static_selectorELNS0_4arch9wavefront6targetE1EEEvT1_: ; @_ZN7rocprim17ROCPRIM_400000_NS6detail17trampoline_kernelINS0_14default_configENS1_20scan_config_selectorIN3c107complexIfEEEEZZNS1_9scan_implILNS1_25lookback_scan_determinismE0ELb0ELb0ES3_PKS7_PS7_S7_ZZZN2at6native31launch_logcumsumexp_cuda_kernelERKNSE_10TensorBaseESI_lENKUlvE_clEvENKUlvE2_clEvEUlS7_S7_E_S7_EEDaPvRmT3_T4_T5_mT6_P12ihipStream_tbENKUlT_T0_E_clISt17integral_constantIbLb1EESZ_EEDaSU_SV_EUlSU_E0_NS1_11comp_targetILNS1_3genE4ELNS1_11target_archE910ELNS1_3gpuE8ELNS1_3repE0EEENS1_30default_config_static_selectorELNS0_4arch9wavefront6targetE1EEEvT1_
; %bb.0:
	.section	.rodata,"a",@progbits
	.p2align	6, 0x0
	.amdhsa_kernel _ZN7rocprim17ROCPRIM_400000_NS6detail17trampoline_kernelINS0_14default_configENS1_20scan_config_selectorIN3c107complexIfEEEEZZNS1_9scan_implILNS1_25lookback_scan_determinismE0ELb0ELb0ES3_PKS7_PS7_S7_ZZZN2at6native31launch_logcumsumexp_cuda_kernelERKNSE_10TensorBaseESI_lENKUlvE_clEvENKUlvE2_clEvEUlS7_S7_E_S7_EEDaPvRmT3_T4_T5_mT6_P12ihipStream_tbENKUlT_T0_E_clISt17integral_constantIbLb1EESZ_EEDaSU_SV_EUlSU_E0_NS1_11comp_targetILNS1_3genE4ELNS1_11target_archE910ELNS1_3gpuE8ELNS1_3repE0EEENS1_30default_config_static_selectorELNS0_4arch9wavefront6targetE1EEEvT1_
		.amdhsa_group_segment_fixed_size 0
		.amdhsa_private_segment_fixed_size 0
		.amdhsa_kernarg_size 40
		.amdhsa_user_sgpr_count 2
		.amdhsa_user_sgpr_dispatch_ptr 0
		.amdhsa_user_sgpr_queue_ptr 0
		.amdhsa_user_sgpr_kernarg_segment_ptr 1
		.amdhsa_user_sgpr_dispatch_id 0
		.amdhsa_user_sgpr_kernarg_preload_length 0
		.amdhsa_user_sgpr_kernarg_preload_offset 0
		.amdhsa_user_sgpr_private_segment_size 0
		.amdhsa_uses_dynamic_stack 0
		.amdhsa_enable_private_segment 0
		.amdhsa_system_sgpr_workgroup_id_x 1
		.amdhsa_system_sgpr_workgroup_id_y 0
		.amdhsa_system_sgpr_workgroup_id_z 0
		.amdhsa_system_sgpr_workgroup_info 0
		.amdhsa_system_vgpr_workitem_id 0
		.amdhsa_next_free_vgpr 1
		.amdhsa_next_free_sgpr 0
		.amdhsa_accum_offset 4
		.amdhsa_reserve_vcc 0
		.amdhsa_float_round_mode_32 0
		.amdhsa_float_round_mode_16_64 0
		.amdhsa_float_denorm_mode_32 3
		.amdhsa_float_denorm_mode_16_64 3
		.amdhsa_dx10_clamp 1
		.amdhsa_ieee_mode 1
		.amdhsa_fp16_overflow 0
		.amdhsa_tg_split 0
		.amdhsa_exception_fp_ieee_invalid_op 0
		.amdhsa_exception_fp_denorm_src 0
		.amdhsa_exception_fp_ieee_div_zero 0
		.amdhsa_exception_fp_ieee_overflow 0
		.amdhsa_exception_fp_ieee_underflow 0
		.amdhsa_exception_fp_ieee_inexact 0
		.amdhsa_exception_int_div_zero 0
	.end_amdhsa_kernel
	.section	.text._ZN7rocprim17ROCPRIM_400000_NS6detail17trampoline_kernelINS0_14default_configENS1_20scan_config_selectorIN3c107complexIfEEEEZZNS1_9scan_implILNS1_25lookback_scan_determinismE0ELb0ELb0ES3_PKS7_PS7_S7_ZZZN2at6native31launch_logcumsumexp_cuda_kernelERKNSE_10TensorBaseESI_lENKUlvE_clEvENKUlvE2_clEvEUlS7_S7_E_S7_EEDaPvRmT3_T4_T5_mT6_P12ihipStream_tbENKUlT_T0_E_clISt17integral_constantIbLb1EESZ_EEDaSU_SV_EUlSU_E0_NS1_11comp_targetILNS1_3genE4ELNS1_11target_archE910ELNS1_3gpuE8ELNS1_3repE0EEENS1_30default_config_static_selectorELNS0_4arch9wavefront6targetE1EEEvT1_,"axG",@progbits,_ZN7rocprim17ROCPRIM_400000_NS6detail17trampoline_kernelINS0_14default_configENS1_20scan_config_selectorIN3c107complexIfEEEEZZNS1_9scan_implILNS1_25lookback_scan_determinismE0ELb0ELb0ES3_PKS7_PS7_S7_ZZZN2at6native31launch_logcumsumexp_cuda_kernelERKNSE_10TensorBaseESI_lENKUlvE_clEvENKUlvE2_clEvEUlS7_S7_E_S7_EEDaPvRmT3_T4_T5_mT6_P12ihipStream_tbENKUlT_T0_E_clISt17integral_constantIbLb1EESZ_EEDaSU_SV_EUlSU_E0_NS1_11comp_targetILNS1_3genE4ELNS1_11target_archE910ELNS1_3gpuE8ELNS1_3repE0EEENS1_30default_config_static_selectorELNS0_4arch9wavefront6targetE1EEEvT1_,comdat
.Lfunc_end302:
	.size	_ZN7rocprim17ROCPRIM_400000_NS6detail17trampoline_kernelINS0_14default_configENS1_20scan_config_selectorIN3c107complexIfEEEEZZNS1_9scan_implILNS1_25lookback_scan_determinismE0ELb0ELb0ES3_PKS7_PS7_S7_ZZZN2at6native31launch_logcumsumexp_cuda_kernelERKNSE_10TensorBaseESI_lENKUlvE_clEvENKUlvE2_clEvEUlS7_S7_E_S7_EEDaPvRmT3_T4_T5_mT6_P12ihipStream_tbENKUlT_T0_E_clISt17integral_constantIbLb1EESZ_EEDaSU_SV_EUlSU_E0_NS1_11comp_targetILNS1_3genE4ELNS1_11target_archE910ELNS1_3gpuE8ELNS1_3repE0EEENS1_30default_config_static_selectorELNS0_4arch9wavefront6targetE1EEEvT1_, .Lfunc_end302-_ZN7rocprim17ROCPRIM_400000_NS6detail17trampoline_kernelINS0_14default_configENS1_20scan_config_selectorIN3c107complexIfEEEEZZNS1_9scan_implILNS1_25lookback_scan_determinismE0ELb0ELb0ES3_PKS7_PS7_S7_ZZZN2at6native31launch_logcumsumexp_cuda_kernelERKNSE_10TensorBaseESI_lENKUlvE_clEvENKUlvE2_clEvEUlS7_S7_E_S7_EEDaPvRmT3_T4_T5_mT6_P12ihipStream_tbENKUlT_T0_E_clISt17integral_constantIbLb1EESZ_EEDaSU_SV_EUlSU_E0_NS1_11comp_targetILNS1_3genE4ELNS1_11target_archE910ELNS1_3gpuE8ELNS1_3repE0EEENS1_30default_config_static_selectorELNS0_4arch9wavefront6targetE1EEEvT1_
                                        ; -- End function
	.set _ZN7rocprim17ROCPRIM_400000_NS6detail17trampoline_kernelINS0_14default_configENS1_20scan_config_selectorIN3c107complexIfEEEEZZNS1_9scan_implILNS1_25lookback_scan_determinismE0ELb0ELb0ES3_PKS7_PS7_S7_ZZZN2at6native31launch_logcumsumexp_cuda_kernelERKNSE_10TensorBaseESI_lENKUlvE_clEvENKUlvE2_clEvEUlS7_S7_E_S7_EEDaPvRmT3_T4_T5_mT6_P12ihipStream_tbENKUlT_T0_E_clISt17integral_constantIbLb1EESZ_EEDaSU_SV_EUlSU_E0_NS1_11comp_targetILNS1_3genE4ELNS1_11target_archE910ELNS1_3gpuE8ELNS1_3repE0EEENS1_30default_config_static_selectorELNS0_4arch9wavefront6targetE1EEEvT1_.num_vgpr, 0
	.set _ZN7rocprim17ROCPRIM_400000_NS6detail17trampoline_kernelINS0_14default_configENS1_20scan_config_selectorIN3c107complexIfEEEEZZNS1_9scan_implILNS1_25lookback_scan_determinismE0ELb0ELb0ES3_PKS7_PS7_S7_ZZZN2at6native31launch_logcumsumexp_cuda_kernelERKNSE_10TensorBaseESI_lENKUlvE_clEvENKUlvE2_clEvEUlS7_S7_E_S7_EEDaPvRmT3_T4_T5_mT6_P12ihipStream_tbENKUlT_T0_E_clISt17integral_constantIbLb1EESZ_EEDaSU_SV_EUlSU_E0_NS1_11comp_targetILNS1_3genE4ELNS1_11target_archE910ELNS1_3gpuE8ELNS1_3repE0EEENS1_30default_config_static_selectorELNS0_4arch9wavefront6targetE1EEEvT1_.num_agpr, 0
	.set _ZN7rocprim17ROCPRIM_400000_NS6detail17trampoline_kernelINS0_14default_configENS1_20scan_config_selectorIN3c107complexIfEEEEZZNS1_9scan_implILNS1_25lookback_scan_determinismE0ELb0ELb0ES3_PKS7_PS7_S7_ZZZN2at6native31launch_logcumsumexp_cuda_kernelERKNSE_10TensorBaseESI_lENKUlvE_clEvENKUlvE2_clEvEUlS7_S7_E_S7_EEDaPvRmT3_T4_T5_mT6_P12ihipStream_tbENKUlT_T0_E_clISt17integral_constantIbLb1EESZ_EEDaSU_SV_EUlSU_E0_NS1_11comp_targetILNS1_3genE4ELNS1_11target_archE910ELNS1_3gpuE8ELNS1_3repE0EEENS1_30default_config_static_selectorELNS0_4arch9wavefront6targetE1EEEvT1_.numbered_sgpr, 0
	.set _ZN7rocprim17ROCPRIM_400000_NS6detail17trampoline_kernelINS0_14default_configENS1_20scan_config_selectorIN3c107complexIfEEEEZZNS1_9scan_implILNS1_25lookback_scan_determinismE0ELb0ELb0ES3_PKS7_PS7_S7_ZZZN2at6native31launch_logcumsumexp_cuda_kernelERKNSE_10TensorBaseESI_lENKUlvE_clEvENKUlvE2_clEvEUlS7_S7_E_S7_EEDaPvRmT3_T4_T5_mT6_P12ihipStream_tbENKUlT_T0_E_clISt17integral_constantIbLb1EESZ_EEDaSU_SV_EUlSU_E0_NS1_11comp_targetILNS1_3genE4ELNS1_11target_archE910ELNS1_3gpuE8ELNS1_3repE0EEENS1_30default_config_static_selectorELNS0_4arch9wavefront6targetE1EEEvT1_.num_named_barrier, 0
	.set _ZN7rocprim17ROCPRIM_400000_NS6detail17trampoline_kernelINS0_14default_configENS1_20scan_config_selectorIN3c107complexIfEEEEZZNS1_9scan_implILNS1_25lookback_scan_determinismE0ELb0ELb0ES3_PKS7_PS7_S7_ZZZN2at6native31launch_logcumsumexp_cuda_kernelERKNSE_10TensorBaseESI_lENKUlvE_clEvENKUlvE2_clEvEUlS7_S7_E_S7_EEDaPvRmT3_T4_T5_mT6_P12ihipStream_tbENKUlT_T0_E_clISt17integral_constantIbLb1EESZ_EEDaSU_SV_EUlSU_E0_NS1_11comp_targetILNS1_3genE4ELNS1_11target_archE910ELNS1_3gpuE8ELNS1_3repE0EEENS1_30default_config_static_selectorELNS0_4arch9wavefront6targetE1EEEvT1_.private_seg_size, 0
	.set _ZN7rocprim17ROCPRIM_400000_NS6detail17trampoline_kernelINS0_14default_configENS1_20scan_config_selectorIN3c107complexIfEEEEZZNS1_9scan_implILNS1_25lookback_scan_determinismE0ELb0ELb0ES3_PKS7_PS7_S7_ZZZN2at6native31launch_logcumsumexp_cuda_kernelERKNSE_10TensorBaseESI_lENKUlvE_clEvENKUlvE2_clEvEUlS7_S7_E_S7_EEDaPvRmT3_T4_T5_mT6_P12ihipStream_tbENKUlT_T0_E_clISt17integral_constantIbLb1EESZ_EEDaSU_SV_EUlSU_E0_NS1_11comp_targetILNS1_3genE4ELNS1_11target_archE910ELNS1_3gpuE8ELNS1_3repE0EEENS1_30default_config_static_selectorELNS0_4arch9wavefront6targetE1EEEvT1_.uses_vcc, 0
	.set _ZN7rocprim17ROCPRIM_400000_NS6detail17trampoline_kernelINS0_14default_configENS1_20scan_config_selectorIN3c107complexIfEEEEZZNS1_9scan_implILNS1_25lookback_scan_determinismE0ELb0ELb0ES3_PKS7_PS7_S7_ZZZN2at6native31launch_logcumsumexp_cuda_kernelERKNSE_10TensorBaseESI_lENKUlvE_clEvENKUlvE2_clEvEUlS7_S7_E_S7_EEDaPvRmT3_T4_T5_mT6_P12ihipStream_tbENKUlT_T0_E_clISt17integral_constantIbLb1EESZ_EEDaSU_SV_EUlSU_E0_NS1_11comp_targetILNS1_3genE4ELNS1_11target_archE910ELNS1_3gpuE8ELNS1_3repE0EEENS1_30default_config_static_selectorELNS0_4arch9wavefront6targetE1EEEvT1_.uses_flat_scratch, 0
	.set _ZN7rocprim17ROCPRIM_400000_NS6detail17trampoline_kernelINS0_14default_configENS1_20scan_config_selectorIN3c107complexIfEEEEZZNS1_9scan_implILNS1_25lookback_scan_determinismE0ELb0ELb0ES3_PKS7_PS7_S7_ZZZN2at6native31launch_logcumsumexp_cuda_kernelERKNSE_10TensorBaseESI_lENKUlvE_clEvENKUlvE2_clEvEUlS7_S7_E_S7_EEDaPvRmT3_T4_T5_mT6_P12ihipStream_tbENKUlT_T0_E_clISt17integral_constantIbLb1EESZ_EEDaSU_SV_EUlSU_E0_NS1_11comp_targetILNS1_3genE4ELNS1_11target_archE910ELNS1_3gpuE8ELNS1_3repE0EEENS1_30default_config_static_selectorELNS0_4arch9wavefront6targetE1EEEvT1_.has_dyn_sized_stack, 0
	.set _ZN7rocprim17ROCPRIM_400000_NS6detail17trampoline_kernelINS0_14default_configENS1_20scan_config_selectorIN3c107complexIfEEEEZZNS1_9scan_implILNS1_25lookback_scan_determinismE0ELb0ELb0ES3_PKS7_PS7_S7_ZZZN2at6native31launch_logcumsumexp_cuda_kernelERKNSE_10TensorBaseESI_lENKUlvE_clEvENKUlvE2_clEvEUlS7_S7_E_S7_EEDaPvRmT3_T4_T5_mT6_P12ihipStream_tbENKUlT_T0_E_clISt17integral_constantIbLb1EESZ_EEDaSU_SV_EUlSU_E0_NS1_11comp_targetILNS1_3genE4ELNS1_11target_archE910ELNS1_3gpuE8ELNS1_3repE0EEENS1_30default_config_static_selectorELNS0_4arch9wavefront6targetE1EEEvT1_.has_recursion, 0
	.set _ZN7rocprim17ROCPRIM_400000_NS6detail17trampoline_kernelINS0_14default_configENS1_20scan_config_selectorIN3c107complexIfEEEEZZNS1_9scan_implILNS1_25lookback_scan_determinismE0ELb0ELb0ES3_PKS7_PS7_S7_ZZZN2at6native31launch_logcumsumexp_cuda_kernelERKNSE_10TensorBaseESI_lENKUlvE_clEvENKUlvE2_clEvEUlS7_S7_E_S7_EEDaPvRmT3_T4_T5_mT6_P12ihipStream_tbENKUlT_T0_E_clISt17integral_constantIbLb1EESZ_EEDaSU_SV_EUlSU_E0_NS1_11comp_targetILNS1_3genE4ELNS1_11target_archE910ELNS1_3gpuE8ELNS1_3repE0EEENS1_30default_config_static_selectorELNS0_4arch9wavefront6targetE1EEEvT1_.has_indirect_call, 0
	.section	.AMDGPU.csdata,"",@progbits
; Kernel info:
; codeLenInByte = 0
; TotalNumSgprs: 6
; NumVgprs: 0
; NumAgprs: 0
; TotalNumVgprs: 0
; ScratchSize: 0
; MemoryBound: 0
; FloatMode: 240
; IeeeMode: 1
; LDSByteSize: 0 bytes/workgroup (compile time only)
; SGPRBlocks: 0
; VGPRBlocks: 0
; NumSGPRsForWavesPerEU: 6
; NumVGPRsForWavesPerEU: 1
; AccumOffset: 4
; Occupancy: 8
; WaveLimiterHint : 0
; COMPUTE_PGM_RSRC2:SCRATCH_EN: 0
; COMPUTE_PGM_RSRC2:USER_SGPR: 2
; COMPUTE_PGM_RSRC2:TRAP_HANDLER: 0
; COMPUTE_PGM_RSRC2:TGID_X_EN: 1
; COMPUTE_PGM_RSRC2:TGID_Y_EN: 0
; COMPUTE_PGM_RSRC2:TGID_Z_EN: 0
; COMPUTE_PGM_RSRC2:TIDIG_COMP_CNT: 0
; COMPUTE_PGM_RSRC3_GFX90A:ACCUM_OFFSET: 0
; COMPUTE_PGM_RSRC3_GFX90A:TG_SPLIT: 0
	.section	.text._ZN7rocprim17ROCPRIM_400000_NS6detail17trampoline_kernelINS0_14default_configENS1_20scan_config_selectorIN3c107complexIfEEEEZZNS1_9scan_implILNS1_25lookback_scan_determinismE0ELb0ELb0ES3_PKS7_PS7_S7_ZZZN2at6native31launch_logcumsumexp_cuda_kernelERKNSE_10TensorBaseESI_lENKUlvE_clEvENKUlvE2_clEvEUlS7_S7_E_S7_EEDaPvRmT3_T4_T5_mT6_P12ihipStream_tbENKUlT_T0_E_clISt17integral_constantIbLb1EESZ_EEDaSU_SV_EUlSU_E0_NS1_11comp_targetILNS1_3genE3ELNS1_11target_archE908ELNS1_3gpuE7ELNS1_3repE0EEENS1_30default_config_static_selectorELNS0_4arch9wavefront6targetE1EEEvT1_,"axG",@progbits,_ZN7rocprim17ROCPRIM_400000_NS6detail17trampoline_kernelINS0_14default_configENS1_20scan_config_selectorIN3c107complexIfEEEEZZNS1_9scan_implILNS1_25lookback_scan_determinismE0ELb0ELb0ES3_PKS7_PS7_S7_ZZZN2at6native31launch_logcumsumexp_cuda_kernelERKNSE_10TensorBaseESI_lENKUlvE_clEvENKUlvE2_clEvEUlS7_S7_E_S7_EEDaPvRmT3_T4_T5_mT6_P12ihipStream_tbENKUlT_T0_E_clISt17integral_constantIbLb1EESZ_EEDaSU_SV_EUlSU_E0_NS1_11comp_targetILNS1_3genE3ELNS1_11target_archE908ELNS1_3gpuE7ELNS1_3repE0EEENS1_30default_config_static_selectorELNS0_4arch9wavefront6targetE1EEEvT1_,comdat
	.globl	_ZN7rocprim17ROCPRIM_400000_NS6detail17trampoline_kernelINS0_14default_configENS1_20scan_config_selectorIN3c107complexIfEEEEZZNS1_9scan_implILNS1_25lookback_scan_determinismE0ELb0ELb0ES3_PKS7_PS7_S7_ZZZN2at6native31launch_logcumsumexp_cuda_kernelERKNSE_10TensorBaseESI_lENKUlvE_clEvENKUlvE2_clEvEUlS7_S7_E_S7_EEDaPvRmT3_T4_T5_mT6_P12ihipStream_tbENKUlT_T0_E_clISt17integral_constantIbLb1EESZ_EEDaSU_SV_EUlSU_E0_NS1_11comp_targetILNS1_3genE3ELNS1_11target_archE908ELNS1_3gpuE7ELNS1_3repE0EEENS1_30default_config_static_selectorELNS0_4arch9wavefront6targetE1EEEvT1_ ; -- Begin function _ZN7rocprim17ROCPRIM_400000_NS6detail17trampoline_kernelINS0_14default_configENS1_20scan_config_selectorIN3c107complexIfEEEEZZNS1_9scan_implILNS1_25lookback_scan_determinismE0ELb0ELb0ES3_PKS7_PS7_S7_ZZZN2at6native31launch_logcumsumexp_cuda_kernelERKNSE_10TensorBaseESI_lENKUlvE_clEvENKUlvE2_clEvEUlS7_S7_E_S7_EEDaPvRmT3_T4_T5_mT6_P12ihipStream_tbENKUlT_T0_E_clISt17integral_constantIbLb1EESZ_EEDaSU_SV_EUlSU_E0_NS1_11comp_targetILNS1_3genE3ELNS1_11target_archE908ELNS1_3gpuE7ELNS1_3repE0EEENS1_30default_config_static_selectorELNS0_4arch9wavefront6targetE1EEEvT1_
	.p2align	8
	.type	_ZN7rocprim17ROCPRIM_400000_NS6detail17trampoline_kernelINS0_14default_configENS1_20scan_config_selectorIN3c107complexIfEEEEZZNS1_9scan_implILNS1_25lookback_scan_determinismE0ELb0ELb0ES3_PKS7_PS7_S7_ZZZN2at6native31launch_logcumsumexp_cuda_kernelERKNSE_10TensorBaseESI_lENKUlvE_clEvENKUlvE2_clEvEUlS7_S7_E_S7_EEDaPvRmT3_T4_T5_mT6_P12ihipStream_tbENKUlT_T0_E_clISt17integral_constantIbLb1EESZ_EEDaSU_SV_EUlSU_E0_NS1_11comp_targetILNS1_3genE3ELNS1_11target_archE908ELNS1_3gpuE7ELNS1_3repE0EEENS1_30default_config_static_selectorELNS0_4arch9wavefront6targetE1EEEvT1_,@function
_ZN7rocprim17ROCPRIM_400000_NS6detail17trampoline_kernelINS0_14default_configENS1_20scan_config_selectorIN3c107complexIfEEEEZZNS1_9scan_implILNS1_25lookback_scan_determinismE0ELb0ELb0ES3_PKS7_PS7_S7_ZZZN2at6native31launch_logcumsumexp_cuda_kernelERKNSE_10TensorBaseESI_lENKUlvE_clEvENKUlvE2_clEvEUlS7_S7_E_S7_EEDaPvRmT3_T4_T5_mT6_P12ihipStream_tbENKUlT_T0_E_clISt17integral_constantIbLb1EESZ_EEDaSU_SV_EUlSU_E0_NS1_11comp_targetILNS1_3genE3ELNS1_11target_archE908ELNS1_3gpuE7ELNS1_3repE0EEENS1_30default_config_static_selectorELNS0_4arch9wavefront6targetE1EEEvT1_: ; @_ZN7rocprim17ROCPRIM_400000_NS6detail17trampoline_kernelINS0_14default_configENS1_20scan_config_selectorIN3c107complexIfEEEEZZNS1_9scan_implILNS1_25lookback_scan_determinismE0ELb0ELb0ES3_PKS7_PS7_S7_ZZZN2at6native31launch_logcumsumexp_cuda_kernelERKNSE_10TensorBaseESI_lENKUlvE_clEvENKUlvE2_clEvEUlS7_S7_E_S7_EEDaPvRmT3_T4_T5_mT6_P12ihipStream_tbENKUlT_T0_E_clISt17integral_constantIbLb1EESZ_EEDaSU_SV_EUlSU_E0_NS1_11comp_targetILNS1_3genE3ELNS1_11target_archE908ELNS1_3gpuE7ELNS1_3repE0EEENS1_30default_config_static_selectorELNS0_4arch9wavefront6targetE1EEEvT1_
; %bb.0:
	.section	.rodata,"a",@progbits
	.p2align	6, 0x0
	.amdhsa_kernel _ZN7rocprim17ROCPRIM_400000_NS6detail17trampoline_kernelINS0_14default_configENS1_20scan_config_selectorIN3c107complexIfEEEEZZNS1_9scan_implILNS1_25lookback_scan_determinismE0ELb0ELb0ES3_PKS7_PS7_S7_ZZZN2at6native31launch_logcumsumexp_cuda_kernelERKNSE_10TensorBaseESI_lENKUlvE_clEvENKUlvE2_clEvEUlS7_S7_E_S7_EEDaPvRmT3_T4_T5_mT6_P12ihipStream_tbENKUlT_T0_E_clISt17integral_constantIbLb1EESZ_EEDaSU_SV_EUlSU_E0_NS1_11comp_targetILNS1_3genE3ELNS1_11target_archE908ELNS1_3gpuE7ELNS1_3repE0EEENS1_30default_config_static_selectorELNS0_4arch9wavefront6targetE1EEEvT1_
		.amdhsa_group_segment_fixed_size 0
		.amdhsa_private_segment_fixed_size 0
		.amdhsa_kernarg_size 40
		.amdhsa_user_sgpr_count 2
		.amdhsa_user_sgpr_dispatch_ptr 0
		.amdhsa_user_sgpr_queue_ptr 0
		.amdhsa_user_sgpr_kernarg_segment_ptr 1
		.amdhsa_user_sgpr_dispatch_id 0
		.amdhsa_user_sgpr_kernarg_preload_length 0
		.amdhsa_user_sgpr_kernarg_preload_offset 0
		.amdhsa_user_sgpr_private_segment_size 0
		.amdhsa_uses_dynamic_stack 0
		.amdhsa_enable_private_segment 0
		.amdhsa_system_sgpr_workgroup_id_x 1
		.amdhsa_system_sgpr_workgroup_id_y 0
		.amdhsa_system_sgpr_workgroup_id_z 0
		.amdhsa_system_sgpr_workgroup_info 0
		.amdhsa_system_vgpr_workitem_id 0
		.amdhsa_next_free_vgpr 1
		.amdhsa_next_free_sgpr 0
		.amdhsa_accum_offset 4
		.amdhsa_reserve_vcc 0
		.amdhsa_float_round_mode_32 0
		.amdhsa_float_round_mode_16_64 0
		.amdhsa_float_denorm_mode_32 3
		.amdhsa_float_denorm_mode_16_64 3
		.amdhsa_dx10_clamp 1
		.amdhsa_ieee_mode 1
		.amdhsa_fp16_overflow 0
		.amdhsa_tg_split 0
		.amdhsa_exception_fp_ieee_invalid_op 0
		.amdhsa_exception_fp_denorm_src 0
		.amdhsa_exception_fp_ieee_div_zero 0
		.amdhsa_exception_fp_ieee_overflow 0
		.amdhsa_exception_fp_ieee_underflow 0
		.amdhsa_exception_fp_ieee_inexact 0
		.amdhsa_exception_int_div_zero 0
	.end_amdhsa_kernel
	.section	.text._ZN7rocprim17ROCPRIM_400000_NS6detail17trampoline_kernelINS0_14default_configENS1_20scan_config_selectorIN3c107complexIfEEEEZZNS1_9scan_implILNS1_25lookback_scan_determinismE0ELb0ELb0ES3_PKS7_PS7_S7_ZZZN2at6native31launch_logcumsumexp_cuda_kernelERKNSE_10TensorBaseESI_lENKUlvE_clEvENKUlvE2_clEvEUlS7_S7_E_S7_EEDaPvRmT3_T4_T5_mT6_P12ihipStream_tbENKUlT_T0_E_clISt17integral_constantIbLb1EESZ_EEDaSU_SV_EUlSU_E0_NS1_11comp_targetILNS1_3genE3ELNS1_11target_archE908ELNS1_3gpuE7ELNS1_3repE0EEENS1_30default_config_static_selectorELNS0_4arch9wavefront6targetE1EEEvT1_,"axG",@progbits,_ZN7rocprim17ROCPRIM_400000_NS6detail17trampoline_kernelINS0_14default_configENS1_20scan_config_selectorIN3c107complexIfEEEEZZNS1_9scan_implILNS1_25lookback_scan_determinismE0ELb0ELb0ES3_PKS7_PS7_S7_ZZZN2at6native31launch_logcumsumexp_cuda_kernelERKNSE_10TensorBaseESI_lENKUlvE_clEvENKUlvE2_clEvEUlS7_S7_E_S7_EEDaPvRmT3_T4_T5_mT6_P12ihipStream_tbENKUlT_T0_E_clISt17integral_constantIbLb1EESZ_EEDaSU_SV_EUlSU_E0_NS1_11comp_targetILNS1_3genE3ELNS1_11target_archE908ELNS1_3gpuE7ELNS1_3repE0EEENS1_30default_config_static_selectorELNS0_4arch9wavefront6targetE1EEEvT1_,comdat
.Lfunc_end303:
	.size	_ZN7rocprim17ROCPRIM_400000_NS6detail17trampoline_kernelINS0_14default_configENS1_20scan_config_selectorIN3c107complexIfEEEEZZNS1_9scan_implILNS1_25lookback_scan_determinismE0ELb0ELb0ES3_PKS7_PS7_S7_ZZZN2at6native31launch_logcumsumexp_cuda_kernelERKNSE_10TensorBaseESI_lENKUlvE_clEvENKUlvE2_clEvEUlS7_S7_E_S7_EEDaPvRmT3_T4_T5_mT6_P12ihipStream_tbENKUlT_T0_E_clISt17integral_constantIbLb1EESZ_EEDaSU_SV_EUlSU_E0_NS1_11comp_targetILNS1_3genE3ELNS1_11target_archE908ELNS1_3gpuE7ELNS1_3repE0EEENS1_30default_config_static_selectorELNS0_4arch9wavefront6targetE1EEEvT1_, .Lfunc_end303-_ZN7rocprim17ROCPRIM_400000_NS6detail17trampoline_kernelINS0_14default_configENS1_20scan_config_selectorIN3c107complexIfEEEEZZNS1_9scan_implILNS1_25lookback_scan_determinismE0ELb0ELb0ES3_PKS7_PS7_S7_ZZZN2at6native31launch_logcumsumexp_cuda_kernelERKNSE_10TensorBaseESI_lENKUlvE_clEvENKUlvE2_clEvEUlS7_S7_E_S7_EEDaPvRmT3_T4_T5_mT6_P12ihipStream_tbENKUlT_T0_E_clISt17integral_constantIbLb1EESZ_EEDaSU_SV_EUlSU_E0_NS1_11comp_targetILNS1_3genE3ELNS1_11target_archE908ELNS1_3gpuE7ELNS1_3repE0EEENS1_30default_config_static_selectorELNS0_4arch9wavefront6targetE1EEEvT1_
                                        ; -- End function
	.set _ZN7rocprim17ROCPRIM_400000_NS6detail17trampoline_kernelINS0_14default_configENS1_20scan_config_selectorIN3c107complexIfEEEEZZNS1_9scan_implILNS1_25lookback_scan_determinismE0ELb0ELb0ES3_PKS7_PS7_S7_ZZZN2at6native31launch_logcumsumexp_cuda_kernelERKNSE_10TensorBaseESI_lENKUlvE_clEvENKUlvE2_clEvEUlS7_S7_E_S7_EEDaPvRmT3_T4_T5_mT6_P12ihipStream_tbENKUlT_T0_E_clISt17integral_constantIbLb1EESZ_EEDaSU_SV_EUlSU_E0_NS1_11comp_targetILNS1_3genE3ELNS1_11target_archE908ELNS1_3gpuE7ELNS1_3repE0EEENS1_30default_config_static_selectorELNS0_4arch9wavefront6targetE1EEEvT1_.num_vgpr, 0
	.set _ZN7rocprim17ROCPRIM_400000_NS6detail17trampoline_kernelINS0_14default_configENS1_20scan_config_selectorIN3c107complexIfEEEEZZNS1_9scan_implILNS1_25lookback_scan_determinismE0ELb0ELb0ES3_PKS7_PS7_S7_ZZZN2at6native31launch_logcumsumexp_cuda_kernelERKNSE_10TensorBaseESI_lENKUlvE_clEvENKUlvE2_clEvEUlS7_S7_E_S7_EEDaPvRmT3_T4_T5_mT6_P12ihipStream_tbENKUlT_T0_E_clISt17integral_constantIbLb1EESZ_EEDaSU_SV_EUlSU_E0_NS1_11comp_targetILNS1_3genE3ELNS1_11target_archE908ELNS1_3gpuE7ELNS1_3repE0EEENS1_30default_config_static_selectorELNS0_4arch9wavefront6targetE1EEEvT1_.num_agpr, 0
	.set _ZN7rocprim17ROCPRIM_400000_NS6detail17trampoline_kernelINS0_14default_configENS1_20scan_config_selectorIN3c107complexIfEEEEZZNS1_9scan_implILNS1_25lookback_scan_determinismE0ELb0ELb0ES3_PKS7_PS7_S7_ZZZN2at6native31launch_logcumsumexp_cuda_kernelERKNSE_10TensorBaseESI_lENKUlvE_clEvENKUlvE2_clEvEUlS7_S7_E_S7_EEDaPvRmT3_T4_T5_mT6_P12ihipStream_tbENKUlT_T0_E_clISt17integral_constantIbLb1EESZ_EEDaSU_SV_EUlSU_E0_NS1_11comp_targetILNS1_3genE3ELNS1_11target_archE908ELNS1_3gpuE7ELNS1_3repE0EEENS1_30default_config_static_selectorELNS0_4arch9wavefront6targetE1EEEvT1_.numbered_sgpr, 0
	.set _ZN7rocprim17ROCPRIM_400000_NS6detail17trampoline_kernelINS0_14default_configENS1_20scan_config_selectorIN3c107complexIfEEEEZZNS1_9scan_implILNS1_25lookback_scan_determinismE0ELb0ELb0ES3_PKS7_PS7_S7_ZZZN2at6native31launch_logcumsumexp_cuda_kernelERKNSE_10TensorBaseESI_lENKUlvE_clEvENKUlvE2_clEvEUlS7_S7_E_S7_EEDaPvRmT3_T4_T5_mT6_P12ihipStream_tbENKUlT_T0_E_clISt17integral_constantIbLb1EESZ_EEDaSU_SV_EUlSU_E0_NS1_11comp_targetILNS1_3genE3ELNS1_11target_archE908ELNS1_3gpuE7ELNS1_3repE0EEENS1_30default_config_static_selectorELNS0_4arch9wavefront6targetE1EEEvT1_.num_named_barrier, 0
	.set _ZN7rocprim17ROCPRIM_400000_NS6detail17trampoline_kernelINS0_14default_configENS1_20scan_config_selectorIN3c107complexIfEEEEZZNS1_9scan_implILNS1_25lookback_scan_determinismE0ELb0ELb0ES3_PKS7_PS7_S7_ZZZN2at6native31launch_logcumsumexp_cuda_kernelERKNSE_10TensorBaseESI_lENKUlvE_clEvENKUlvE2_clEvEUlS7_S7_E_S7_EEDaPvRmT3_T4_T5_mT6_P12ihipStream_tbENKUlT_T0_E_clISt17integral_constantIbLb1EESZ_EEDaSU_SV_EUlSU_E0_NS1_11comp_targetILNS1_3genE3ELNS1_11target_archE908ELNS1_3gpuE7ELNS1_3repE0EEENS1_30default_config_static_selectorELNS0_4arch9wavefront6targetE1EEEvT1_.private_seg_size, 0
	.set _ZN7rocprim17ROCPRIM_400000_NS6detail17trampoline_kernelINS0_14default_configENS1_20scan_config_selectorIN3c107complexIfEEEEZZNS1_9scan_implILNS1_25lookback_scan_determinismE0ELb0ELb0ES3_PKS7_PS7_S7_ZZZN2at6native31launch_logcumsumexp_cuda_kernelERKNSE_10TensorBaseESI_lENKUlvE_clEvENKUlvE2_clEvEUlS7_S7_E_S7_EEDaPvRmT3_T4_T5_mT6_P12ihipStream_tbENKUlT_T0_E_clISt17integral_constantIbLb1EESZ_EEDaSU_SV_EUlSU_E0_NS1_11comp_targetILNS1_3genE3ELNS1_11target_archE908ELNS1_3gpuE7ELNS1_3repE0EEENS1_30default_config_static_selectorELNS0_4arch9wavefront6targetE1EEEvT1_.uses_vcc, 0
	.set _ZN7rocprim17ROCPRIM_400000_NS6detail17trampoline_kernelINS0_14default_configENS1_20scan_config_selectorIN3c107complexIfEEEEZZNS1_9scan_implILNS1_25lookback_scan_determinismE0ELb0ELb0ES3_PKS7_PS7_S7_ZZZN2at6native31launch_logcumsumexp_cuda_kernelERKNSE_10TensorBaseESI_lENKUlvE_clEvENKUlvE2_clEvEUlS7_S7_E_S7_EEDaPvRmT3_T4_T5_mT6_P12ihipStream_tbENKUlT_T0_E_clISt17integral_constantIbLb1EESZ_EEDaSU_SV_EUlSU_E0_NS1_11comp_targetILNS1_3genE3ELNS1_11target_archE908ELNS1_3gpuE7ELNS1_3repE0EEENS1_30default_config_static_selectorELNS0_4arch9wavefront6targetE1EEEvT1_.uses_flat_scratch, 0
	.set _ZN7rocprim17ROCPRIM_400000_NS6detail17trampoline_kernelINS0_14default_configENS1_20scan_config_selectorIN3c107complexIfEEEEZZNS1_9scan_implILNS1_25lookback_scan_determinismE0ELb0ELb0ES3_PKS7_PS7_S7_ZZZN2at6native31launch_logcumsumexp_cuda_kernelERKNSE_10TensorBaseESI_lENKUlvE_clEvENKUlvE2_clEvEUlS7_S7_E_S7_EEDaPvRmT3_T4_T5_mT6_P12ihipStream_tbENKUlT_T0_E_clISt17integral_constantIbLb1EESZ_EEDaSU_SV_EUlSU_E0_NS1_11comp_targetILNS1_3genE3ELNS1_11target_archE908ELNS1_3gpuE7ELNS1_3repE0EEENS1_30default_config_static_selectorELNS0_4arch9wavefront6targetE1EEEvT1_.has_dyn_sized_stack, 0
	.set _ZN7rocprim17ROCPRIM_400000_NS6detail17trampoline_kernelINS0_14default_configENS1_20scan_config_selectorIN3c107complexIfEEEEZZNS1_9scan_implILNS1_25lookback_scan_determinismE0ELb0ELb0ES3_PKS7_PS7_S7_ZZZN2at6native31launch_logcumsumexp_cuda_kernelERKNSE_10TensorBaseESI_lENKUlvE_clEvENKUlvE2_clEvEUlS7_S7_E_S7_EEDaPvRmT3_T4_T5_mT6_P12ihipStream_tbENKUlT_T0_E_clISt17integral_constantIbLb1EESZ_EEDaSU_SV_EUlSU_E0_NS1_11comp_targetILNS1_3genE3ELNS1_11target_archE908ELNS1_3gpuE7ELNS1_3repE0EEENS1_30default_config_static_selectorELNS0_4arch9wavefront6targetE1EEEvT1_.has_recursion, 0
	.set _ZN7rocprim17ROCPRIM_400000_NS6detail17trampoline_kernelINS0_14default_configENS1_20scan_config_selectorIN3c107complexIfEEEEZZNS1_9scan_implILNS1_25lookback_scan_determinismE0ELb0ELb0ES3_PKS7_PS7_S7_ZZZN2at6native31launch_logcumsumexp_cuda_kernelERKNSE_10TensorBaseESI_lENKUlvE_clEvENKUlvE2_clEvEUlS7_S7_E_S7_EEDaPvRmT3_T4_T5_mT6_P12ihipStream_tbENKUlT_T0_E_clISt17integral_constantIbLb1EESZ_EEDaSU_SV_EUlSU_E0_NS1_11comp_targetILNS1_3genE3ELNS1_11target_archE908ELNS1_3gpuE7ELNS1_3repE0EEENS1_30default_config_static_selectorELNS0_4arch9wavefront6targetE1EEEvT1_.has_indirect_call, 0
	.section	.AMDGPU.csdata,"",@progbits
; Kernel info:
; codeLenInByte = 0
; TotalNumSgprs: 6
; NumVgprs: 0
; NumAgprs: 0
; TotalNumVgprs: 0
; ScratchSize: 0
; MemoryBound: 0
; FloatMode: 240
; IeeeMode: 1
; LDSByteSize: 0 bytes/workgroup (compile time only)
; SGPRBlocks: 0
; VGPRBlocks: 0
; NumSGPRsForWavesPerEU: 6
; NumVGPRsForWavesPerEU: 1
; AccumOffset: 4
; Occupancy: 8
; WaveLimiterHint : 0
; COMPUTE_PGM_RSRC2:SCRATCH_EN: 0
; COMPUTE_PGM_RSRC2:USER_SGPR: 2
; COMPUTE_PGM_RSRC2:TRAP_HANDLER: 0
; COMPUTE_PGM_RSRC2:TGID_X_EN: 1
; COMPUTE_PGM_RSRC2:TGID_Y_EN: 0
; COMPUTE_PGM_RSRC2:TGID_Z_EN: 0
; COMPUTE_PGM_RSRC2:TIDIG_COMP_CNT: 0
; COMPUTE_PGM_RSRC3_GFX90A:ACCUM_OFFSET: 0
; COMPUTE_PGM_RSRC3_GFX90A:TG_SPLIT: 0
	.section	.text._ZN7rocprim17ROCPRIM_400000_NS6detail17trampoline_kernelINS0_14default_configENS1_20scan_config_selectorIN3c107complexIfEEEEZZNS1_9scan_implILNS1_25lookback_scan_determinismE0ELb0ELb0ES3_PKS7_PS7_S7_ZZZN2at6native31launch_logcumsumexp_cuda_kernelERKNSE_10TensorBaseESI_lENKUlvE_clEvENKUlvE2_clEvEUlS7_S7_E_S7_EEDaPvRmT3_T4_T5_mT6_P12ihipStream_tbENKUlT_T0_E_clISt17integral_constantIbLb1EESZ_EEDaSU_SV_EUlSU_E0_NS1_11comp_targetILNS1_3genE2ELNS1_11target_archE906ELNS1_3gpuE6ELNS1_3repE0EEENS1_30default_config_static_selectorELNS0_4arch9wavefront6targetE1EEEvT1_,"axG",@progbits,_ZN7rocprim17ROCPRIM_400000_NS6detail17trampoline_kernelINS0_14default_configENS1_20scan_config_selectorIN3c107complexIfEEEEZZNS1_9scan_implILNS1_25lookback_scan_determinismE0ELb0ELb0ES3_PKS7_PS7_S7_ZZZN2at6native31launch_logcumsumexp_cuda_kernelERKNSE_10TensorBaseESI_lENKUlvE_clEvENKUlvE2_clEvEUlS7_S7_E_S7_EEDaPvRmT3_T4_T5_mT6_P12ihipStream_tbENKUlT_T0_E_clISt17integral_constantIbLb1EESZ_EEDaSU_SV_EUlSU_E0_NS1_11comp_targetILNS1_3genE2ELNS1_11target_archE906ELNS1_3gpuE6ELNS1_3repE0EEENS1_30default_config_static_selectorELNS0_4arch9wavefront6targetE1EEEvT1_,comdat
	.globl	_ZN7rocprim17ROCPRIM_400000_NS6detail17trampoline_kernelINS0_14default_configENS1_20scan_config_selectorIN3c107complexIfEEEEZZNS1_9scan_implILNS1_25lookback_scan_determinismE0ELb0ELb0ES3_PKS7_PS7_S7_ZZZN2at6native31launch_logcumsumexp_cuda_kernelERKNSE_10TensorBaseESI_lENKUlvE_clEvENKUlvE2_clEvEUlS7_S7_E_S7_EEDaPvRmT3_T4_T5_mT6_P12ihipStream_tbENKUlT_T0_E_clISt17integral_constantIbLb1EESZ_EEDaSU_SV_EUlSU_E0_NS1_11comp_targetILNS1_3genE2ELNS1_11target_archE906ELNS1_3gpuE6ELNS1_3repE0EEENS1_30default_config_static_selectorELNS0_4arch9wavefront6targetE1EEEvT1_ ; -- Begin function _ZN7rocprim17ROCPRIM_400000_NS6detail17trampoline_kernelINS0_14default_configENS1_20scan_config_selectorIN3c107complexIfEEEEZZNS1_9scan_implILNS1_25lookback_scan_determinismE0ELb0ELb0ES3_PKS7_PS7_S7_ZZZN2at6native31launch_logcumsumexp_cuda_kernelERKNSE_10TensorBaseESI_lENKUlvE_clEvENKUlvE2_clEvEUlS7_S7_E_S7_EEDaPvRmT3_T4_T5_mT6_P12ihipStream_tbENKUlT_T0_E_clISt17integral_constantIbLb1EESZ_EEDaSU_SV_EUlSU_E0_NS1_11comp_targetILNS1_3genE2ELNS1_11target_archE906ELNS1_3gpuE6ELNS1_3repE0EEENS1_30default_config_static_selectorELNS0_4arch9wavefront6targetE1EEEvT1_
	.p2align	8
	.type	_ZN7rocprim17ROCPRIM_400000_NS6detail17trampoline_kernelINS0_14default_configENS1_20scan_config_selectorIN3c107complexIfEEEEZZNS1_9scan_implILNS1_25lookback_scan_determinismE0ELb0ELb0ES3_PKS7_PS7_S7_ZZZN2at6native31launch_logcumsumexp_cuda_kernelERKNSE_10TensorBaseESI_lENKUlvE_clEvENKUlvE2_clEvEUlS7_S7_E_S7_EEDaPvRmT3_T4_T5_mT6_P12ihipStream_tbENKUlT_T0_E_clISt17integral_constantIbLb1EESZ_EEDaSU_SV_EUlSU_E0_NS1_11comp_targetILNS1_3genE2ELNS1_11target_archE906ELNS1_3gpuE6ELNS1_3repE0EEENS1_30default_config_static_selectorELNS0_4arch9wavefront6targetE1EEEvT1_,@function
_ZN7rocprim17ROCPRIM_400000_NS6detail17trampoline_kernelINS0_14default_configENS1_20scan_config_selectorIN3c107complexIfEEEEZZNS1_9scan_implILNS1_25lookback_scan_determinismE0ELb0ELb0ES3_PKS7_PS7_S7_ZZZN2at6native31launch_logcumsumexp_cuda_kernelERKNSE_10TensorBaseESI_lENKUlvE_clEvENKUlvE2_clEvEUlS7_S7_E_S7_EEDaPvRmT3_T4_T5_mT6_P12ihipStream_tbENKUlT_T0_E_clISt17integral_constantIbLb1EESZ_EEDaSU_SV_EUlSU_E0_NS1_11comp_targetILNS1_3genE2ELNS1_11target_archE906ELNS1_3gpuE6ELNS1_3repE0EEENS1_30default_config_static_selectorELNS0_4arch9wavefront6targetE1EEEvT1_: ; @_ZN7rocprim17ROCPRIM_400000_NS6detail17trampoline_kernelINS0_14default_configENS1_20scan_config_selectorIN3c107complexIfEEEEZZNS1_9scan_implILNS1_25lookback_scan_determinismE0ELb0ELb0ES3_PKS7_PS7_S7_ZZZN2at6native31launch_logcumsumexp_cuda_kernelERKNSE_10TensorBaseESI_lENKUlvE_clEvENKUlvE2_clEvEUlS7_S7_E_S7_EEDaPvRmT3_T4_T5_mT6_P12ihipStream_tbENKUlT_T0_E_clISt17integral_constantIbLb1EESZ_EEDaSU_SV_EUlSU_E0_NS1_11comp_targetILNS1_3genE2ELNS1_11target_archE906ELNS1_3gpuE6ELNS1_3repE0EEENS1_30default_config_static_selectorELNS0_4arch9wavefront6targetE1EEEvT1_
; %bb.0:
	.section	.rodata,"a",@progbits
	.p2align	6, 0x0
	.amdhsa_kernel _ZN7rocprim17ROCPRIM_400000_NS6detail17trampoline_kernelINS0_14default_configENS1_20scan_config_selectorIN3c107complexIfEEEEZZNS1_9scan_implILNS1_25lookback_scan_determinismE0ELb0ELb0ES3_PKS7_PS7_S7_ZZZN2at6native31launch_logcumsumexp_cuda_kernelERKNSE_10TensorBaseESI_lENKUlvE_clEvENKUlvE2_clEvEUlS7_S7_E_S7_EEDaPvRmT3_T4_T5_mT6_P12ihipStream_tbENKUlT_T0_E_clISt17integral_constantIbLb1EESZ_EEDaSU_SV_EUlSU_E0_NS1_11comp_targetILNS1_3genE2ELNS1_11target_archE906ELNS1_3gpuE6ELNS1_3repE0EEENS1_30default_config_static_selectorELNS0_4arch9wavefront6targetE1EEEvT1_
		.amdhsa_group_segment_fixed_size 0
		.amdhsa_private_segment_fixed_size 0
		.amdhsa_kernarg_size 40
		.amdhsa_user_sgpr_count 2
		.amdhsa_user_sgpr_dispatch_ptr 0
		.amdhsa_user_sgpr_queue_ptr 0
		.amdhsa_user_sgpr_kernarg_segment_ptr 1
		.amdhsa_user_sgpr_dispatch_id 0
		.amdhsa_user_sgpr_kernarg_preload_length 0
		.amdhsa_user_sgpr_kernarg_preload_offset 0
		.amdhsa_user_sgpr_private_segment_size 0
		.amdhsa_uses_dynamic_stack 0
		.amdhsa_enable_private_segment 0
		.amdhsa_system_sgpr_workgroup_id_x 1
		.amdhsa_system_sgpr_workgroup_id_y 0
		.amdhsa_system_sgpr_workgroup_id_z 0
		.amdhsa_system_sgpr_workgroup_info 0
		.amdhsa_system_vgpr_workitem_id 0
		.amdhsa_next_free_vgpr 1
		.amdhsa_next_free_sgpr 0
		.amdhsa_accum_offset 4
		.amdhsa_reserve_vcc 0
		.amdhsa_float_round_mode_32 0
		.amdhsa_float_round_mode_16_64 0
		.amdhsa_float_denorm_mode_32 3
		.amdhsa_float_denorm_mode_16_64 3
		.amdhsa_dx10_clamp 1
		.amdhsa_ieee_mode 1
		.amdhsa_fp16_overflow 0
		.amdhsa_tg_split 0
		.amdhsa_exception_fp_ieee_invalid_op 0
		.amdhsa_exception_fp_denorm_src 0
		.amdhsa_exception_fp_ieee_div_zero 0
		.amdhsa_exception_fp_ieee_overflow 0
		.amdhsa_exception_fp_ieee_underflow 0
		.amdhsa_exception_fp_ieee_inexact 0
		.amdhsa_exception_int_div_zero 0
	.end_amdhsa_kernel
	.section	.text._ZN7rocprim17ROCPRIM_400000_NS6detail17trampoline_kernelINS0_14default_configENS1_20scan_config_selectorIN3c107complexIfEEEEZZNS1_9scan_implILNS1_25lookback_scan_determinismE0ELb0ELb0ES3_PKS7_PS7_S7_ZZZN2at6native31launch_logcumsumexp_cuda_kernelERKNSE_10TensorBaseESI_lENKUlvE_clEvENKUlvE2_clEvEUlS7_S7_E_S7_EEDaPvRmT3_T4_T5_mT6_P12ihipStream_tbENKUlT_T0_E_clISt17integral_constantIbLb1EESZ_EEDaSU_SV_EUlSU_E0_NS1_11comp_targetILNS1_3genE2ELNS1_11target_archE906ELNS1_3gpuE6ELNS1_3repE0EEENS1_30default_config_static_selectorELNS0_4arch9wavefront6targetE1EEEvT1_,"axG",@progbits,_ZN7rocprim17ROCPRIM_400000_NS6detail17trampoline_kernelINS0_14default_configENS1_20scan_config_selectorIN3c107complexIfEEEEZZNS1_9scan_implILNS1_25lookback_scan_determinismE0ELb0ELb0ES3_PKS7_PS7_S7_ZZZN2at6native31launch_logcumsumexp_cuda_kernelERKNSE_10TensorBaseESI_lENKUlvE_clEvENKUlvE2_clEvEUlS7_S7_E_S7_EEDaPvRmT3_T4_T5_mT6_P12ihipStream_tbENKUlT_T0_E_clISt17integral_constantIbLb1EESZ_EEDaSU_SV_EUlSU_E0_NS1_11comp_targetILNS1_3genE2ELNS1_11target_archE906ELNS1_3gpuE6ELNS1_3repE0EEENS1_30default_config_static_selectorELNS0_4arch9wavefront6targetE1EEEvT1_,comdat
.Lfunc_end304:
	.size	_ZN7rocprim17ROCPRIM_400000_NS6detail17trampoline_kernelINS0_14default_configENS1_20scan_config_selectorIN3c107complexIfEEEEZZNS1_9scan_implILNS1_25lookback_scan_determinismE0ELb0ELb0ES3_PKS7_PS7_S7_ZZZN2at6native31launch_logcumsumexp_cuda_kernelERKNSE_10TensorBaseESI_lENKUlvE_clEvENKUlvE2_clEvEUlS7_S7_E_S7_EEDaPvRmT3_T4_T5_mT6_P12ihipStream_tbENKUlT_T0_E_clISt17integral_constantIbLb1EESZ_EEDaSU_SV_EUlSU_E0_NS1_11comp_targetILNS1_3genE2ELNS1_11target_archE906ELNS1_3gpuE6ELNS1_3repE0EEENS1_30default_config_static_selectorELNS0_4arch9wavefront6targetE1EEEvT1_, .Lfunc_end304-_ZN7rocprim17ROCPRIM_400000_NS6detail17trampoline_kernelINS0_14default_configENS1_20scan_config_selectorIN3c107complexIfEEEEZZNS1_9scan_implILNS1_25lookback_scan_determinismE0ELb0ELb0ES3_PKS7_PS7_S7_ZZZN2at6native31launch_logcumsumexp_cuda_kernelERKNSE_10TensorBaseESI_lENKUlvE_clEvENKUlvE2_clEvEUlS7_S7_E_S7_EEDaPvRmT3_T4_T5_mT6_P12ihipStream_tbENKUlT_T0_E_clISt17integral_constantIbLb1EESZ_EEDaSU_SV_EUlSU_E0_NS1_11comp_targetILNS1_3genE2ELNS1_11target_archE906ELNS1_3gpuE6ELNS1_3repE0EEENS1_30default_config_static_selectorELNS0_4arch9wavefront6targetE1EEEvT1_
                                        ; -- End function
	.set _ZN7rocprim17ROCPRIM_400000_NS6detail17trampoline_kernelINS0_14default_configENS1_20scan_config_selectorIN3c107complexIfEEEEZZNS1_9scan_implILNS1_25lookback_scan_determinismE0ELb0ELb0ES3_PKS7_PS7_S7_ZZZN2at6native31launch_logcumsumexp_cuda_kernelERKNSE_10TensorBaseESI_lENKUlvE_clEvENKUlvE2_clEvEUlS7_S7_E_S7_EEDaPvRmT3_T4_T5_mT6_P12ihipStream_tbENKUlT_T0_E_clISt17integral_constantIbLb1EESZ_EEDaSU_SV_EUlSU_E0_NS1_11comp_targetILNS1_3genE2ELNS1_11target_archE906ELNS1_3gpuE6ELNS1_3repE0EEENS1_30default_config_static_selectorELNS0_4arch9wavefront6targetE1EEEvT1_.num_vgpr, 0
	.set _ZN7rocprim17ROCPRIM_400000_NS6detail17trampoline_kernelINS0_14default_configENS1_20scan_config_selectorIN3c107complexIfEEEEZZNS1_9scan_implILNS1_25lookback_scan_determinismE0ELb0ELb0ES3_PKS7_PS7_S7_ZZZN2at6native31launch_logcumsumexp_cuda_kernelERKNSE_10TensorBaseESI_lENKUlvE_clEvENKUlvE2_clEvEUlS7_S7_E_S7_EEDaPvRmT3_T4_T5_mT6_P12ihipStream_tbENKUlT_T0_E_clISt17integral_constantIbLb1EESZ_EEDaSU_SV_EUlSU_E0_NS1_11comp_targetILNS1_3genE2ELNS1_11target_archE906ELNS1_3gpuE6ELNS1_3repE0EEENS1_30default_config_static_selectorELNS0_4arch9wavefront6targetE1EEEvT1_.num_agpr, 0
	.set _ZN7rocprim17ROCPRIM_400000_NS6detail17trampoline_kernelINS0_14default_configENS1_20scan_config_selectorIN3c107complexIfEEEEZZNS1_9scan_implILNS1_25lookback_scan_determinismE0ELb0ELb0ES3_PKS7_PS7_S7_ZZZN2at6native31launch_logcumsumexp_cuda_kernelERKNSE_10TensorBaseESI_lENKUlvE_clEvENKUlvE2_clEvEUlS7_S7_E_S7_EEDaPvRmT3_T4_T5_mT6_P12ihipStream_tbENKUlT_T0_E_clISt17integral_constantIbLb1EESZ_EEDaSU_SV_EUlSU_E0_NS1_11comp_targetILNS1_3genE2ELNS1_11target_archE906ELNS1_3gpuE6ELNS1_3repE0EEENS1_30default_config_static_selectorELNS0_4arch9wavefront6targetE1EEEvT1_.numbered_sgpr, 0
	.set _ZN7rocprim17ROCPRIM_400000_NS6detail17trampoline_kernelINS0_14default_configENS1_20scan_config_selectorIN3c107complexIfEEEEZZNS1_9scan_implILNS1_25lookback_scan_determinismE0ELb0ELb0ES3_PKS7_PS7_S7_ZZZN2at6native31launch_logcumsumexp_cuda_kernelERKNSE_10TensorBaseESI_lENKUlvE_clEvENKUlvE2_clEvEUlS7_S7_E_S7_EEDaPvRmT3_T4_T5_mT6_P12ihipStream_tbENKUlT_T0_E_clISt17integral_constantIbLb1EESZ_EEDaSU_SV_EUlSU_E0_NS1_11comp_targetILNS1_3genE2ELNS1_11target_archE906ELNS1_3gpuE6ELNS1_3repE0EEENS1_30default_config_static_selectorELNS0_4arch9wavefront6targetE1EEEvT1_.num_named_barrier, 0
	.set _ZN7rocprim17ROCPRIM_400000_NS6detail17trampoline_kernelINS0_14default_configENS1_20scan_config_selectorIN3c107complexIfEEEEZZNS1_9scan_implILNS1_25lookback_scan_determinismE0ELb0ELb0ES3_PKS7_PS7_S7_ZZZN2at6native31launch_logcumsumexp_cuda_kernelERKNSE_10TensorBaseESI_lENKUlvE_clEvENKUlvE2_clEvEUlS7_S7_E_S7_EEDaPvRmT3_T4_T5_mT6_P12ihipStream_tbENKUlT_T0_E_clISt17integral_constantIbLb1EESZ_EEDaSU_SV_EUlSU_E0_NS1_11comp_targetILNS1_3genE2ELNS1_11target_archE906ELNS1_3gpuE6ELNS1_3repE0EEENS1_30default_config_static_selectorELNS0_4arch9wavefront6targetE1EEEvT1_.private_seg_size, 0
	.set _ZN7rocprim17ROCPRIM_400000_NS6detail17trampoline_kernelINS0_14default_configENS1_20scan_config_selectorIN3c107complexIfEEEEZZNS1_9scan_implILNS1_25lookback_scan_determinismE0ELb0ELb0ES3_PKS7_PS7_S7_ZZZN2at6native31launch_logcumsumexp_cuda_kernelERKNSE_10TensorBaseESI_lENKUlvE_clEvENKUlvE2_clEvEUlS7_S7_E_S7_EEDaPvRmT3_T4_T5_mT6_P12ihipStream_tbENKUlT_T0_E_clISt17integral_constantIbLb1EESZ_EEDaSU_SV_EUlSU_E0_NS1_11comp_targetILNS1_3genE2ELNS1_11target_archE906ELNS1_3gpuE6ELNS1_3repE0EEENS1_30default_config_static_selectorELNS0_4arch9wavefront6targetE1EEEvT1_.uses_vcc, 0
	.set _ZN7rocprim17ROCPRIM_400000_NS6detail17trampoline_kernelINS0_14default_configENS1_20scan_config_selectorIN3c107complexIfEEEEZZNS1_9scan_implILNS1_25lookback_scan_determinismE0ELb0ELb0ES3_PKS7_PS7_S7_ZZZN2at6native31launch_logcumsumexp_cuda_kernelERKNSE_10TensorBaseESI_lENKUlvE_clEvENKUlvE2_clEvEUlS7_S7_E_S7_EEDaPvRmT3_T4_T5_mT6_P12ihipStream_tbENKUlT_T0_E_clISt17integral_constantIbLb1EESZ_EEDaSU_SV_EUlSU_E0_NS1_11comp_targetILNS1_3genE2ELNS1_11target_archE906ELNS1_3gpuE6ELNS1_3repE0EEENS1_30default_config_static_selectorELNS0_4arch9wavefront6targetE1EEEvT1_.uses_flat_scratch, 0
	.set _ZN7rocprim17ROCPRIM_400000_NS6detail17trampoline_kernelINS0_14default_configENS1_20scan_config_selectorIN3c107complexIfEEEEZZNS1_9scan_implILNS1_25lookback_scan_determinismE0ELb0ELb0ES3_PKS7_PS7_S7_ZZZN2at6native31launch_logcumsumexp_cuda_kernelERKNSE_10TensorBaseESI_lENKUlvE_clEvENKUlvE2_clEvEUlS7_S7_E_S7_EEDaPvRmT3_T4_T5_mT6_P12ihipStream_tbENKUlT_T0_E_clISt17integral_constantIbLb1EESZ_EEDaSU_SV_EUlSU_E0_NS1_11comp_targetILNS1_3genE2ELNS1_11target_archE906ELNS1_3gpuE6ELNS1_3repE0EEENS1_30default_config_static_selectorELNS0_4arch9wavefront6targetE1EEEvT1_.has_dyn_sized_stack, 0
	.set _ZN7rocprim17ROCPRIM_400000_NS6detail17trampoline_kernelINS0_14default_configENS1_20scan_config_selectorIN3c107complexIfEEEEZZNS1_9scan_implILNS1_25lookback_scan_determinismE0ELb0ELb0ES3_PKS7_PS7_S7_ZZZN2at6native31launch_logcumsumexp_cuda_kernelERKNSE_10TensorBaseESI_lENKUlvE_clEvENKUlvE2_clEvEUlS7_S7_E_S7_EEDaPvRmT3_T4_T5_mT6_P12ihipStream_tbENKUlT_T0_E_clISt17integral_constantIbLb1EESZ_EEDaSU_SV_EUlSU_E0_NS1_11comp_targetILNS1_3genE2ELNS1_11target_archE906ELNS1_3gpuE6ELNS1_3repE0EEENS1_30default_config_static_selectorELNS0_4arch9wavefront6targetE1EEEvT1_.has_recursion, 0
	.set _ZN7rocprim17ROCPRIM_400000_NS6detail17trampoline_kernelINS0_14default_configENS1_20scan_config_selectorIN3c107complexIfEEEEZZNS1_9scan_implILNS1_25lookback_scan_determinismE0ELb0ELb0ES3_PKS7_PS7_S7_ZZZN2at6native31launch_logcumsumexp_cuda_kernelERKNSE_10TensorBaseESI_lENKUlvE_clEvENKUlvE2_clEvEUlS7_S7_E_S7_EEDaPvRmT3_T4_T5_mT6_P12ihipStream_tbENKUlT_T0_E_clISt17integral_constantIbLb1EESZ_EEDaSU_SV_EUlSU_E0_NS1_11comp_targetILNS1_3genE2ELNS1_11target_archE906ELNS1_3gpuE6ELNS1_3repE0EEENS1_30default_config_static_selectorELNS0_4arch9wavefront6targetE1EEEvT1_.has_indirect_call, 0
	.section	.AMDGPU.csdata,"",@progbits
; Kernel info:
; codeLenInByte = 0
; TotalNumSgprs: 6
; NumVgprs: 0
; NumAgprs: 0
; TotalNumVgprs: 0
; ScratchSize: 0
; MemoryBound: 0
; FloatMode: 240
; IeeeMode: 1
; LDSByteSize: 0 bytes/workgroup (compile time only)
; SGPRBlocks: 0
; VGPRBlocks: 0
; NumSGPRsForWavesPerEU: 6
; NumVGPRsForWavesPerEU: 1
; AccumOffset: 4
; Occupancy: 8
; WaveLimiterHint : 0
; COMPUTE_PGM_RSRC2:SCRATCH_EN: 0
; COMPUTE_PGM_RSRC2:USER_SGPR: 2
; COMPUTE_PGM_RSRC2:TRAP_HANDLER: 0
; COMPUTE_PGM_RSRC2:TGID_X_EN: 1
; COMPUTE_PGM_RSRC2:TGID_Y_EN: 0
; COMPUTE_PGM_RSRC2:TGID_Z_EN: 0
; COMPUTE_PGM_RSRC2:TIDIG_COMP_CNT: 0
; COMPUTE_PGM_RSRC3_GFX90A:ACCUM_OFFSET: 0
; COMPUTE_PGM_RSRC3_GFX90A:TG_SPLIT: 0
	.section	.text._ZN7rocprim17ROCPRIM_400000_NS6detail17trampoline_kernelINS0_14default_configENS1_20scan_config_selectorIN3c107complexIfEEEEZZNS1_9scan_implILNS1_25lookback_scan_determinismE0ELb0ELb0ES3_PKS7_PS7_S7_ZZZN2at6native31launch_logcumsumexp_cuda_kernelERKNSE_10TensorBaseESI_lENKUlvE_clEvENKUlvE2_clEvEUlS7_S7_E_S7_EEDaPvRmT3_T4_T5_mT6_P12ihipStream_tbENKUlT_T0_E_clISt17integral_constantIbLb1EESZ_EEDaSU_SV_EUlSU_E0_NS1_11comp_targetILNS1_3genE10ELNS1_11target_archE1201ELNS1_3gpuE5ELNS1_3repE0EEENS1_30default_config_static_selectorELNS0_4arch9wavefront6targetE1EEEvT1_,"axG",@progbits,_ZN7rocprim17ROCPRIM_400000_NS6detail17trampoline_kernelINS0_14default_configENS1_20scan_config_selectorIN3c107complexIfEEEEZZNS1_9scan_implILNS1_25lookback_scan_determinismE0ELb0ELb0ES3_PKS7_PS7_S7_ZZZN2at6native31launch_logcumsumexp_cuda_kernelERKNSE_10TensorBaseESI_lENKUlvE_clEvENKUlvE2_clEvEUlS7_S7_E_S7_EEDaPvRmT3_T4_T5_mT6_P12ihipStream_tbENKUlT_T0_E_clISt17integral_constantIbLb1EESZ_EEDaSU_SV_EUlSU_E0_NS1_11comp_targetILNS1_3genE10ELNS1_11target_archE1201ELNS1_3gpuE5ELNS1_3repE0EEENS1_30default_config_static_selectorELNS0_4arch9wavefront6targetE1EEEvT1_,comdat
	.globl	_ZN7rocprim17ROCPRIM_400000_NS6detail17trampoline_kernelINS0_14default_configENS1_20scan_config_selectorIN3c107complexIfEEEEZZNS1_9scan_implILNS1_25lookback_scan_determinismE0ELb0ELb0ES3_PKS7_PS7_S7_ZZZN2at6native31launch_logcumsumexp_cuda_kernelERKNSE_10TensorBaseESI_lENKUlvE_clEvENKUlvE2_clEvEUlS7_S7_E_S7_EEDaPvRmT3_T4_T5_mT6_P12ihipStream_tbENKUlT_T0_E_clISt17integral_constantIbLb1EESZ_EEDaSU_SV_EUlSU_E0_NS1_11comp_targetILNS1_3genE10ELNS1_11target_archE1201ELNS1_3gpuE5ELNS1_3repE0EEENS1_30default_config_static_selectorELNS0_4arch9wavefront6targetE1EEEvT1_ ; -- Begin function _ZN7rocprim17ROCPRIM_400000_NS6detail17trampoline_kernelINS0_14default_configENS1_20scan_config_selectorIN3c107complexIfEEEEZZNS1_9scan_implILNS1_25lookback_scan_determinismE0ELb0ELb0ES3_PKS7_PS7_S7_ZZZN2at6native31launch_logcumsumexp_cuda_kernelERKNSE_10TensorBaseESI_lENKUlvE_clEvENKUlvE2_clEvEUlS7_S7_E_S7_EEDaPvRmT3_T4_T5_mT6_P12ihipStream_tbENKUlT_T0_E_clISt17integral_constantIbLb1EESZ_EEDaSU_SV_EUlSU_E0_NS1_11comp_targetILNS1_3genE10ELNS1_11target_archE1201ELNS1_3gpuE5ELNS1_3repE0EEENS1_30default_config_static_selectorELNS0_4arch9wavefront6targetE1EEEvT1_
	.p2align	8
	.type	_ZN7rocprim17ROCPRIM_400000_NS6detail17trampoline_kernelINS0_14default_configENS1_20scan_config_selectorIN3c107complexIfEEEEZZNS1_9scan_implILNS1_25lookback_scan_determinismE0ELb0ELb0ES3_PKS7_PS7_S7_ZZZN2at6native31launch_logcumsumexp_cuda_kernelERKNSE_10TensorBaseESI_lENKUlvE_clEvENKUlvE2_clEvEUlS7_S7_E_S7_EEDaPvRmT3_T4_T5_mT6_P12ihipStream_tbENKUlT_T0_E_clISt17integral_constantIbLb1EESZ_EEDaSU_SV_EUlSU_E0_NS1_11comp_targetILNS1_3genE10ELNS1_11target_archE1201ELNS1_3gpuE5ELNS1_3repE0EEENS1_30default_config_static_selectorELNS0_4arch9wavefront6targetE1EEEvT1_,@function
_ZN7rocprim17ROCPRIM_400000_NS6detail17trampoline_kernelINS0_14default_configENS1_20scan_config_selectorIN3c107complexIfEEEEZZNS1_9scan_implILNS1_25lookback_scan_determinismE0ELb0ELb0ES3_PKS7_PS7_S7_ZZZN2at6native31launch_logcumsumexp_cuda_kernelERKNSE_10TensorBaseESI_lENKUlvE_clEvENKUlvE2_clEvEUlS7_S7_E_S7_EEDaPvRmT3_T4_T5_mT6_P12ihipStream_tbENKUlT_T0_E_clISt17integral_constantIbLb1EESZ_EEDaSU_SV_EUlSU_E0_NS1_11comp_targetILNS1_3genE10ELNS1_11target_archE1201ELNS1_3gpuE5ELNS1_3repE0EEENS1_30default_config_static_selectorELNS0_4arch9wavefront6targetE1EEEvT1_: ; @_ZN7rocprim17ROCPRIM_400000_NS6detail17trampoline_kernelINS0_14default_configENS1_20scan_config_selectorIN3c107complexIfEEEEZZNS1_9scan_implILNS1_25lookback_scan_determinismE0ELb0ELb0ES3_PKS7_PS7_S7_ZZZN2at6native31launch_logcumsumexp_cuda_kernelERKNSE_10TensorBaseESI_lENKUlvE_clEvENKUlvE2_clEvEUlS7_S7_E_S7_EEDaPvRmT3_T4_T5_mT6_P12ihipStream_tbENKUlT_T0_E_clISt17integral_constantIbLb1EESZ_EEDaSU_SV_EUlSU_E0_NS1_11comp_targetILNS1_3genE10ELNS1_11target_archE1201ELNS1_3gpuE5ELNS1_3repE0EEENS1_30default_config_static_selectorELNS0_4arch9wavefront6targetE1EEEvT1_
; %bb.0:
	.section	.rodata,"a",@progbits
	.p2align	6, 0x0
	.amdhsa_kernel _ZN7rocprim17ROCPRIM_400000_NS6detail17trampoline_kernelINS0_14default_configENS1_20scan_config_selectorIN3c107complexIfEEEEZZNS1_9scan_implILNS1_25lookback_scan_determinismE0ELb0ELb0ES3_PKS7_PS7_S7_ZZZN2at6native31launch_logcumsumexp_cuda_kernelERKNSE_10TensorBaseESI_lENKUlvE_clEvENKUlvE2_clEvEUlS7_S7_E_S7_EEDaPvRmT3_T4_T5_mT6_P12ihipStream_tbENKUlT_T0_E_clISt17integral_constantIbLb1EESZ_EEDaSU_SV_EUlSU_E0_NS1_11comp_targetILNS1_3genE10ELNS1_11target_archE1201ELNS1_3gpuE5ELNS1_3repE0EEENS1_30default_config_static_selectorELNS0_4arch9wavefront6targetE1EEEvT1_
		.amdhsa_group_segment_fixed_size 0
		.amdhsa_private_segment_fixed_size 0
		.amdhsa_kernarg_size 40
		.amdhsa_user_sgpr_count 2
		.amdhsa_user_sgpr_dispatch_ptr 0
		.amdhsa_user_sgpr_queue_ptr 0
		.amdhsa_user_sgpr_kernarg_segment_ptr 1
		.amdhsa_user_sgpr_dispatch_id 0
		.amdhsa_user_sgpr_kernarg_preload_length 0
		.amdhsa_user_sgpr_kernarg_preload_offset 0
		.amdhsa_user_sgpr_private_segment_size 0
		.amdhsa_uses_dynamic_stack 0
		.amdhsa_enable_private_segment 0
		.amdhsa_system_sgpr_workgroup_id_x 1
		.amdhsa_system_sgpr_workgroup_id_y 0
		.amdhsa_system_sgpr_workgroup_id_z 0
		.amdhsa_system_sgpr_workgroup_info 0
		.amdhsa_system_vgpr_workitem_id 0
		.amdhsa_next_free_vgpr 1
		.amdhsa_next_free_sgpr 0
		.amdhsa_accum_offset 4
		.amdhsa_reserve_vcc 0
		.amdhsa_float_round_mode_32 0
		.amdhsa_float_round_mode_16_64 0
		.amdhsa_float_denorm_mode_32 3
		.amdhsa_float_denorm_mode_16_64 3
		.amdhsa_dx10_clamp 1
		.amdhsa_ieee_mode 1
		.amdhsa_fp16_overflow 0
		.amdhsa_tg_split 0
		.amdhsa_exception_fp_ieee_invalid_op 0
		.amdhsa_exception_fp_denorm_src 0
		.amdhsa_exception_fp_ieee_div_zero 0
		.amdhsa_exception_fp_ieee_overflow 0
		.amdhsa_exception_fp_ieee_underflow 0
		.amdhsa_exception_fp_ieee_inexact 0
		.amdhsa_exception_int_div_zero 0
	.end_amdhsa_kernel
	.section	.text._ZN7rocprim17ROCPRIM_400000_NS6detail17trampoline_kernelINS0_14default_configENS1_20scan_config_selectorIN3c107complexIfEEEEZZNS1_9scan_implILNS1_25lookback_scan_determinismE0ELb0ELb0ES3_PKS7_PS7_S7_ZZZN2at6native31launch_logcumsumexp_cuda_kernelERKNSE_10TensorBaseESI_lENKUlvE_clEvENKUlvE2_clEvEUlS7_S7_E_S7_EEDaPvRmT3_T4_T5_mT6_P12ihipStream_tbENKUlT_T0_E_clISt17integral_constantIbLb1EESZ_EEDaSU_SV_EUlSU_E0_NS1_11comp_targetILNS1_3genE10ELNS1_11target_archE1201ELNS1_3gpuE5ELNS1_3repE0EEENS1_30default_config_static_selectorELNS0_4arch9wavefront6targetE1EEEvT1_,"axG",@progbits,_ZN7rocprim17ROCPRIM_400000_NS6detail17trampoline_kernelINS0_14default_configENS1_20scan_config_selectorIN3c107complexIfEEEEZZNS1_9scan_implILNS1_25lookback_scan_determinismE0ELb0ELb0ES3_PKS7_PS7_S7_ZZZN2at6native31launch_logcumsumexp_cuda_kernelERKNSE_10TensorBaseESI_lENKUlvE_clEvENKUlvE2_clEvEUlS7_S7_E_S7_EEDaPvRmT3_T4_T5_mT6_P12ihipStream_tbENKUlT_T0_E_clISt17integral_constantIbLb1EESZ_EEDaSU_SV_EUlSU_E0_NS1_11comp_targetILNS1_3genE10ELNS1_11target_archE1201ELNS1_3gpuE5ELNS1_3repE0EEENS1_30default_config_static_selectorELNS0_4arch9wavefront6targetE1EEEvT1_,comdat
.Lfunc_end305:
	.size	_ZN7rocprim17ROCPRIM_400000_NS6detail17trampoline_kernelINS0_14default_configENS1_20scan_config_selectorIN3c107complexIfEEEEZZNS1_9scan_implILNS1_25lookback_scan_determinismE0ELb0ELb0ES3_PKS7_PS7_S7_ZZZN2at6native31launch_logcumsumexp_cuda_kernelERKNSE_10TensorBaseESI_lENKUlvE_clEvENKUlvE2_clEvEUlS7_S7_E_S7_EEDaPvRmT3_T4_T5_mT6_P12ihipStream_tbENKUlT_T0_E_clISt17integral_constantIbLb1EESZ_EEDaSU_SV_EUlSU_E0_NS1_11comp_targetILNS1_3genE10ELNS1_11target_archE1201ELNS1_3gpuE5ELNS1_3repE0EEENS1_30default_config_static_selectorELNS0_4arch9wavefront6targetE1EEEvT1_, .Lfunc_end305-_ZN7rocprim17ROCPRIM_400000_NS6detail17trampoline_kernelINS0_14default_configENS1_20scan_config_selectorIN3c107complexIfEEEEZZNS1_9scan_implILNS1_25lookback_scan_determinismE0ELb0ELb0ES3_PKS7_PS7_S7_ZZZN2at6native31launch_logcumsumexp_cuda_kernelERKNSE_10TensorBaseESI_lENKUlvE_clEvENKUlvE2_clEvEUlS7_S7_E_S7_EEDaPvRmT3_T4_T5_mT6_P12ihipStream_tbENKUlT_T0_E_clISt17integral_constantIbLb1EESZ_EEDaSU_SV_EUlSU_E0_NS1_11comp_targetILNS1_3genE10ELNS1_11target_archE1201ELNS1_3gpuE5ELNS1_3repE0EEENS1_30default_config_static_selectorELNS0_4arch9wavefront6targetE1EEEvT1_
                                        ; -- End function
	.set _ZN7rocprim17ROCPRIM_400000_NS6detail17trampoline_kernelINS0_14default_configENS1_20scan_config_selectorIN3c107complexIfEEEEZZNS1_9scan_implILNS1_25lookback_scan_determinismE0ELb0ELb0ES3_PKS7_PS7_S7_ZZZN2at6native31launch_logcumsumexp_cuda_kernelERKNSE_10TensorBaseESI_lENKUlvE_clEvENKUlvE2_clEvEUlS7_S7_E_S7_EEDaPvRmT3_T4_T5_mT6_P12ihipStream_tbENKUlT_T0_E_clISt17integral_constantIbLb1EESZ_EEDaSU_SV_EUlSU_E0_NS1_11comp_targetILNS1_3genE10ELNS1_11target_archE1201ELNS1_3gpuE5ELNS1_3repE0EEENS1_30default_config_static_selectorELNS0_4arch9wavefront6targetE1EEEvT1_.num_vgpr, 0
	.set _ZN7rocprim17ROCPRIM_400000_NS6detail17trampoline_kernelINS0_14default_configENS1_20scan_config_selectorIN3c107complexIfEEEEZZNS1_9scan_implILNS1_25lookback_scan_determinismE0ELb0ELb0ES3_PKS7_PS7_S7_ZZZN2at6native31launch_logcumsumexp_cuda_kernelERKNSE_10TensorBaseESI_lENKUlvE_clEvENKUlvE2_clEvEUlS7_S7_E_S7_EEDaPvRmT3_T4_T5_mT6_P12ihipStream_tbENKUlT_T0_E_clISt17integral_constantIbLb1EESZ_EEDaSU_SV_EUlSU_E0_NS1_11comp_targetILNS1_3genE10ELNS1_11target_archE1201ELNS1_3gpuE5ELNS1_3repE0EEENS1_30default_config_static_selectorELNS0_4arch9wavefront6targetE1EEEvT1_.num_agpr, 0
	.set _ZN7rocprim17ROCPRIM_400000_NS6detail17trampoline_kernelINS0_14default_configENS1_20scan_config_selectorIN3c107complexIfEEEEZZNS1_9scan_implILNS1_25lookback_scan_determinismE0ELb0ELb0ES3_PKS7_PS7_S7_ZZZN2at6native31launch_logcumsumexp_cuda_kernelERKNSE_10TensorBaseESI_lENKUlvE_clEvENKUlvE2_clEvEUlS7_S7_E_S7_EEDaPvRmT3_T4_T5_mT6_P12ihipStream_tbENKUlT_T0_E_clISt17integral_constantIbLb1EESZ_EEDaSU_SV_EUlSU_E0_NS1_11comp_targetILNS1_3genE10ELNS1_11target_archE1201ELNS1_3gpuE5ELNS1_3repE0EEENS1_30default_config_static_selectorELNS0_4arch9wavefront6targetE1EEEvT1_.numbered_sgpr, 0
	.set _ZN7rocprim17ROCPRIM_400000_NS6detail17trampoline_kernelINS0_14default_configENS1_20scan_config_selectorIN3c107complexIfEEEEZZNS1_9scan_implILNS1_25lookback_scan_determinismE0ELb0ELb0ES3_PKS7_PS7_S7_ZZZN2at6native31launch_logcumsumexp_cuda_kernelERKNSE_10TensorBaseESI_lENKUlvE_clEvENKUlvE2_clEvEUlS7_S7_E_S7_EEDaPvRmT3_T4_T5_mT6_P12ihipStream_tbENKUlT_T0_E_clISt17integral_constantIbLb1EESZ_EEDaSU_SV_EUlSU_E0_NS1_11comp_targetILNS1_3genE10ELNS1_11target_archE1201ELNS1_3gpuE5ELNS1_3repE0EEENS1_30default_config_static_selectorELNS0_4arch9wavefront6targetE1EEEvT1_.num_named_barrier, 0
	.set _ZN7rocprim17ROCPRIM_400000_NS6detail17trampoline_kernelINS0_14default_configENS1_20scan_config_selectorIN3c107complexIfEEEEZZNS1_9scan_implILNS1_25lookback_scan_determinismE0ELb0ELb0ES3_PKS7_PS7_S7_ZZZN2at6native31launch_logcumsumexp_cuda_kernelERKNSE_10TensorBaseESI_lENKUlvE_clEvENKUlvE2_clEvEUlS7_S7_E_S7_EEDaPvRmT3_T4_T5_mT6_P12ihipStream_tbENKUlT_T0_E_clISt17integral_constantIbLb1EESZ_EEDaSU_SV_EUlSU_E0_NS1_11comp_targetILNS1_3genE10ELNS1_11target_archE1201ELNS1_3gpuE5ELNS1_3repE0EEENS1_30default_config_static_selectorELNS0_4arch9wavefront6targetE1EEEvT1_.private_seg_size, 0
	.set _ZN7rocprim17ROCPRIM_400000_NS6detail17trampoline_kernelINS0_14default_configENS1_20scan_config_selectorIN3c107complexIfEEEEZZNS1_9scan_implILNS1_25lookback_scan_determinismE0ELb0ELb0ES3_PKS7_PS7_S7_ZZZN2at6native31launch_logcumsumexp_cuda_kernelERKNSE_10TensorBaseESI_lENKUlvE_clEvENKUlvE2_clEvEUlS7_S7_E_S7_EEDaPvRmT3_T4_T5_mT6_P12ihipStream_tbENKUlT_T0_E_clISt17integral_constantIbLb1EESZ_EEDaSU_SV_EUlSU_E0_NS1_11comp_targetILNS1_3genE10ELNS1_11target_archE1201ELNS1_3gpuE5ELNS1_3repE0EEENS1_30default_config_static_selectorELNS0_4arch9wavefront6targetE1EEEvT1_.uses_vcc, 0
	.set _ZN7rocprim17ROCPRIM_400000_NS6detail17trampoline_kernelINS0_14default_configENS1_20scan_config_selectorIN3c107complexIfEEEEZZNS1_9scan_implILNS1_25lookback_scan_determinismE0ELb0ELb0ES3_PKS7_PS7_S7_ZZZN2at6native31launch_logcumsumexp_cuda_kernelERKNSE_10TensorBaseESI_lENKUlvE_clEvENKUlvE2_clEvEUlS7_S7_E_S7_EEDaPvRmT3_T4_T5_mT6_P12ihipStream_tbENKUlT_T0_E_clISt17integral_constantIbLb1EESZ_EEDaSU_SV_EUlSU_E0_NS1_11comp_targetILNS1_3genE10ELNS1_11target_archE1201ELNS1_3gpuE5ELNS1_3repE0EEENS1_30default_config_static_selectorELNS0_4arch9wavefront6targetE1EEEvT1_.uses_flat_scratch, 0
	.set _ZN7rocprim17ROCPRIM_400000_NS6detail17trampoline_kernelINS0_14default_configENS1_20scan_config_selectorIN3c107complexIfEEEEZZNS1_9scan_implILNS1_25lookback_scan_determinismE0ELb0ELb0ES3_PKS7_PS7_S7_ZZZN2at6native31launch_logcumsumexp_cuda_kernelERKNSE_10TensorBaseESI_lENKUlvE_clEvENKUlvE2_clEvEUlS7_S7_E_S7_EEDaPvRmT3_T4_T5_mT6_P12ihipStream_tbENKUlT_T0_E_clISt17integral_constantIbLb1EESZ_EEDaSU_SV_EUlSU_E0_NS1_11comp_targetILNS1_3genE10ELNS1_11target_archE1201ELNS1_3gpuE5ELNS1_3repE0EEENS1_30default_config_static_selectorELNS0_4arch9wavefront6targetE1EEEvT1_.has_dyn_sized_stack, 0
	.set _ZN7rocprim17ROCPRIM_400000_NS6detail17trampoline_kernelINS0_14default_configENS1_20scan_config_selectorIN3c107complexIfEEEEZZNS1_9scan_implILNS1_25lookback_scan_determinismE0ELb0ELb0ES3_PKS7_PS7_S7_ZZZN2at6native31launch_logcumsumexp_cuda_kernelERKNSE_10TensorBaseESI_lENKUlvE_clEvENKUlvE2_clEvEUlS7_S7_E_S7_EEDaPvRmT3_T4_T5_mT6_P12ihipStream_tbENKUlT_T0_E_clISt17integral_constantIbLb1EESZ_EEDaSU_SV_EUlSU_E0_NS1_11comp_targetILNS1_3genE10ELNS1_11target_archE1201ELNS1_3gpuE5ELNS1_3repE0EEENS1_30default_config_static_selectorELNS0_4arch9wavefront6targetE1EEEvT1_.has_recursion, 0
	.set _ZN7rocprim17ROCPRIM_400000_NS6detail17trampoline_kernelINS0_14default_configENS1_20scan_config_selectorIN3c107complexIfEEEEZZNS1_9scan_implILNS1_25lookback_scan_determinismE0ELb0ELb0ES3_PKS7_PS7_S7_ZZZN2at6native31launch_logcumsumexp_cuda_kernelERKNSE_10TensorBaseESI_lENKUlvE_clEvENKUlvE2_clEvEUlS7_S7_E_S7_EEDaPvRmT3_T4_T5_mT6_P12ihipStream_tbENKUlT_T0_E_clISt17integral_constantIbLb1EESZ_EEDaSU_SV_EUlSU_E0_NS1_11comp_targetILNS1_3genE10ELNS1_11target_archE1201ELNS1_3gpuE5ELNS1_3repE0EEENS1_30default_config_static_selectorELNS0_4arch9wavefront6targetE1EEEvT1_.has_indirect_call, 0
	.section	.AMDGPU.csdata,"",@progbits
; Kernel info:
; codeLenInByte = 0
; TotalNumSgprs: 6
; NumVgprs: 0
; NumAgprs: 0
; TotalNumVgprs: 0
; ScratchSize: 0
; MemoryBound: 0
; FloatMode: 240
; IeeeMode: 1
; LDSByteSize: 0 bytes/workgroup (compile time only)
; SGPRBlocks: 0
; VGPRBlocks: 0
; NumSGPRsForWavesPerEU: 6
; NumVGPRsForWavesPerEU: 1
; AccumOffset: 4
; Occupancy: 8
; WaveLimiterHint : 0
; COMPUTE_PGM_RSRC2:SCRATCH_EN: 0
; COMPUTE_PGM_RSRC2:USER_SGPR: 2
; COMPUTE_PGM_RSRC2:TRAP_HANDLER: 0
; COMPUTE_PGM_RSRC2:TGID_X_EN: 1
; COMPUTE_PGM_RSRC2:TGID_Y_EN: 0
; COMPUTE_PGM_RSRC2:TGID_Z_EN: 0
; COMPUTE_PGM_RSRC2:TIDIG_COMP_CNT: 0
; COMPUTE_PGM_RSRC3_GFX90A:ACCUM_OFFSET: 0
; COMPUTE_PGM_RSRC3_GFX90A:TG_SPLIT: 0
	.section	.text._ZN7rocprim17ROCPRIM_400000_NS6detail17trampoline_kernelINS0_14default_configENS1_20scan_config_selectorIN3c107complexIfEEEEZZNS1_9scan_implILNS1_25lookback_scan_determinismE0ELb0ELb0ES3_PKS7_PS7_S7_ZZZN2at6native31launch_logcumsumexp_cuda_kernelERKNSE_10TensorBaseESI_lENKUlvE_clEvENKUlvE2_clEvEUlS7_S7_E_S7_EEDaPvRmT3_T4_T5_mT6_P12ihipStream_tbENKUlT_T0_E_clISt17integral_constantIbLb1EESZ_EEDaSU_SV_EUlSU_E0_NS1_11comp_targetILNS1_3genE10ELNS1_11target_archE1200ELNS1_3gpuE4ELNS1_3repE0EEENS1_30default_config_static_selectorELNS0_4arch9wavefront6targetE1EEEvT1_,"axG",@progbits,_ZN7rocprim17ROCPRIM_400000_NS6detail17trampoline_kernelINS0_14default_configENS1_20scan_config_selectorIN3c107complexIfEEEEZZNS1_9scan_implILNS1_25lookback_scan_determinismE0ELb0ELb0ES3_PKS7_PS7_S7_ZZZN2at6native31launch_logcumsumexp_cuda_kernelERKNSE_10TensorBaseESI_lENKUlvE_clEvENKUlvE2_clEvEUlS7_S7_E_S7_EEDaPvRmT3_T4_T5_mT6_P12ihipStream_tbENKUlT_T0_E_clISt17integral_constantIbLb1EESZ_EEDaSU_SV_EUlSU_E0_NS1_11comp_targetILNS1_3genE10ELNS1_11target_archE1200ELNS1_3gpuE4ELNS1_3repE0EEENS1_30default_config_static_selectorELNS0_4arch9wavefront6targetE1EEEvT1_,comdat
	.globl	_ZN7rocprim17ROCPRIM_400000_NS6detail17trampoline_kernelINS0_14default_configENS1_20scan_config_selectorIN3c107complexIfEEEEZZNS1_9scan_implILNS1_25lookback_scan_determinismE0ELb0ELb0ES3_PKS7_PS7_S7_ZZZN2at6native31launch_logcumsumexp_cuda_kernelERKNSE_10TensorBaseESI_lENKUlvE_clEvENKUlvE2_clEvEUlS7_S7_E_S7_EEDaPvRmT3_T4_T5_mT6_P12ihipStream_tbENKUlT_T0_E_clISt17integral_constantIbLb1EESZ_EEDaSU_SV_EUlSU_E0_NS1_11comp_targetILNS1_3genE10ELNS1_11target_archE1200ELNS1_3gpuE4ELNS1_3repE0EEENS1_30default_config_static_selectorELNS0_4arch9wavefront6targetE1EEEvT1_ ; -- Begin function _ZN7rocprim17ROCPRIM_400000_NS6detail17trampoline_kernelINS0_14default_configENS1_20scan_config_selectorIN3c107complexIfEEEEZZNS1_9scan_implILNS1_25lookback_scan_determinismE0ELb0ELb0ES3_PKS7_PS7_S7_ZZZN2at6native31launch_logcumsumexp_cuda_kernelERKNSE_10TensorBaseESI_lENKUlvE_clEvENKUlvE2_clEvEUlS7_S7_E_S7_EEDaPvRmT3_T4_T5_mT6_P12ihipStream_tbENKUlT_T0_E_clISt17integral_constantIbLb1EESZ_EEDaSU_SV_EUlSU_E0_NS1_11comp_targetILNS1_3genE10ELNS1_11target_archE1200ELNS1_3gpuE4ELNS1_3repE0EEENS1_30default_config_static_selectorELNS0_4arch9wavefront6targetE1EEEvT1_
	.p2align	8
	.type	_ZN7rocprim17ROCPRIM_400000_NS6detail17trampoline_kernelINS0_14default_configENS1_20scan_config_selectorIN3c107complexIfEEEEZZNS1_9scan_implILNS1_25lookback_scan_determinismE0ELb0ELb0ES3_PKS7_PS7_S7_ZZZN2at6native31launch_logcumsumexp_cuda_kernelERKNSE_10TensorBaseESI_lENKUlvE_clEvENKUlvE2_clEvEUlS7_S7_E_S7_EEDaPvRmT3_T4_T5_mT6_P12ihipStream_tbENKUlT_T0_E_clISt17integral_constantIbLb1EESZ_EEDaSU_SV_EUlSU_E0_NS1_11comp_targetILNS1_3genE10ELNS1_11target_archE1200ELNS1_3gpuE4ELNS1_3repE0EEENS1_30default_config_static_selectorELNS0_4arch9wavefront6targetE1EEEvT1_,@function
_ZN7rocprim17ROCPRIM_400000_NS6detail17trampoline_kernelINS0_14default_configENS1_20scan_config_selectorIN3c107complexIfEEEEZZNS1_9scan_implILNS1_25lookback_scan_determinismE0ELb0ELb0ES3_PKS7_PS7_S7_ZZZN2at6native31launch_logcumsumexp_cuda_kernelERKNSE_10TensorBaseESI_lENKUlvE_clEvENKUlvE2_clEvEUlS7_S7_E_S7_EEDaPvRmT3_T4_T5_mT6_P12ihipStream_tbENKUlT_T0_E_clISt17integral_constantIbLb1EESZ_EEDaSU_SV_EUlSU_E0_NS1_11comp_targetILNS1_3genE10ELNS1_11target_archE1200ELNS1_3gpuE4ELNS1_3repE0EEENS1_30default_config_static_selectorELNS0_4arch9wavefront6targetE1EEEvT1_: ; @_ZN7rocprim17ROCPRIM_400000_NS6detail17trampoline_kernelINS0_14default_configENS1_20scan_config_selectorIN3c107complexIfEEEEZZNS1_9scan_implILNS1_25lookback_scan_determinismE0ELb0ELb0ES3_PKS7_PS7_S7_ZZZN2at6native31launch_logcumsumexp_cuda_kernelERKNSE_10TensorBaseESI_lENKUlvE_clEvENKUlvE2_clEvEUlS7_S7_E_S7_EEDaPvRmT3_T4_T5_mT6_P12ihipStream_tbENKUlT_T0_E_clISt17integral_constantIbLb1EESZ_EEDaSU_SV_EUlSU_E0_NS1_11comp_targetILNS1_3genE10ELNS1_11target_archE1200ELNS1_3gpuE4ELNS1_3repE0EEENS1_30default_config_static_selectorELNS0_4arch9wavefront6targetE1EEEvT1_
; %bb.0:
	.section	.rodata,"a",@progbits
	.p2align	6, 0x0
	.amdhsa_kernel _ZN7rocprim17ROCPRIM_400000_NS6detail17trampoline_kernelINS0_14default_configENS1_20scan_config_selectorIN3c107complexIfEEEEZZNS1_9scan_implILNS1_25lookback_scan_determinismE0ELb0ELb0ES3_PKS7_PS7_S7_ZZZN2at6native31launch_logcumsumexp_cuda_kernelERKNSE_10TensorBaseESI_lENKUlvE_clEvENKUlvE2_clEvEUlS7_S7_E_S7_EEDaPvRmT3_T4_T5_mT6_P12ihipStream_tbENKUlT_T0_E_clISt17integral_constantIbLb1EESZ_EEDaSU_SV_EUlSU_E0_NS1_11comp_targetILNS1_3genE10ELNS1_11target_archE1200ELNS1_3gpuE4ELNS1_3repE0EEENS1_30default_config_static_selectorELNS0_4arch9wavefront6targetE1EEEvT1_
		.amdhsa_group_segment_fixed_size 0
		.amdhsa_private_segment_fixed_size 0
		.amdhsa_kernarg_size 40
		.amdhsa_user_sgpr_count 2
		.amdhsa_user_sgpr_dispatch_ptr 0
		.amdhsa_user_sgpr_queue_ptr 0
		.amdhsa_user_sgpr_kernarg_segment_ptr 1
		.amdhsa_user_sgpr_dispatch_id 0
		.amdhsa_user_sgpr_kernarg_preload_length 0
		.amdhsa_user_sgpr_kernarg_preload_offset 0
		.amdhsa_user_sgpr_private_segment_size 0
		.amdhsa_uses_dynamic_stack 0
		.amdhsa_enable_private_segment 0
		.amdhsa_system_sgpr_workgroup_id_x 1
		.amdhsa_system_sgpr_workgroup_id_y 0
		.amdhsa_system_sgpr_workgroup_id_z 0
		.amdhsa_system_sgpr_workgroup_info 0
		.amdhsa_system_vgpr_workitem_id 0
		.amdhsa_next_free_vgpr 1
		.amdhsa_next_free_sgpr 0
		.amdhsa_accum_offset 4
		.amdhsa_reserve_vcc 0
		.amdhsa_float_round_mode_32 0
		.amdhsa_float_round_mode_16_64 0
		.amdhsa_float_denorm_mode_32 3
		.amdhsa_float_denorm_mode_16_64 3
		.amdhsa_dx10_clamp 1
		.amdhsa_ieee_mode 1
		.amdhsa_fp16_overflow 0
		.amdhsa_tg_split 0
		.amdhsa_exception_fp_ieee_invalid_op 0
		.amdhsa_exception_fp_denorm_src 0
		.amdhsa_exception_fp_ieee_div_zero 0
		.amdhsa_exception_fp_ieee_overflow 0
		.amdhsa_exception_fp_ieee_underflow 0
		.amdhsa_exception_fp_ieee_inexact 0
		.amdhsa_exception_int_div_zero 0
	.end_amdhsa_kernel
	.section	.text._ZN7rocprim17ROCPRIM_400000_NS6detail17trampoline_kernelINS0_14default_configENS1_20scan_config_selectorIN3c107complexIfEEEEZZNS1_9scan_implILNS1_25lookback_scan_determinismE0ELb0ELb0ES3_PKS7_PS7_S7_ZZZN2at6native31launch_logcumsumexp_cuda_kernelERKNSE_10TensorBaseESI_lENKUlvE_clEvENKUlvE2_clEvEUlS7_S7_E_S7_EEDaPvRmT3_T4_T5_mT6_P12ihipStream_tbENKUlT_T0_E_clISt17integral_constantIbLb1EESZ_EEDaSU_SV_EUlSU_E0_NS1_11comp_targetILNS1_3genE10ELNS1_11target_archE1200ELNS1_3gpuE4ELNS1_3repE0EEENS1_30default_config_static_selectorELNS0_4arch9wavefront6targetE1EEEvT1_,"axG",@progbits,_ZN7rocprim17ROCPRIM_400000_NS6detail17trampoline_kernelINS0_14default_configENS1_20scan_config_selectorIN3c107complexIfEEEEZZNS1_9scan_implILNS1_25lookback_scan_determinismE0ELb0ELb0ES3_PKS7_PS7_S7_ZZZN2at6native31launch_logcumsumexp_cuda_kernelERKNSE_10TensorBaseESI_lENKUlvE_clEvENKUlvE2_clEvEUlS7_S7_E_S7_EEDaPvRmT3_T4_T5_mT6_P12ihipStream_tbENKUlT_T0_E_clISt17integral_constantIbLb1EESZ_EEDaSU_SV_EUlSU_E0_NS1_11comp_targetILNS1_3genE10ELNS1_11target_archE1200ELNS1_3gpuE4ELNS1_3repE0EEENS1_30default_config_static_selectorELNS0_4arch9wavefront6targetE1EEEvT1_,comdat
.Lfunc_end306:
	.size	_ZN7rocprim17ROCPRIM_400000_NS6detail17trampoline_kernelINS0_14default_configENS1_20scan_config_selectorIN3c107complexIfEEEEZZNS1_9scan_implILNS1_25lookback_scan_determinismE0ELb0ELb0ES3_PKS7_PS7_S7_ZZZN2at6native31launch_logcumsumexp_cuda_kernelERKNSE_10TensorBaseESI_lENKUlvE_clEvENKUlvE2_clEvEUlS7_S7_E_S7_EEDaPvRmT3_T4_T5_mT6_P12ihipStream_tbENKUlT_T0_E_clISt17integral_constantIbLb1EESZ_EEDaSU_SV_EUlSU_E0_NS1_11comp_targetILNS1_3genE10ELNS1_11target_archE1200ELNS1_3gpuE4ELNS1_3repE0EEENS1_30default_config_static_selectorELNS0_4arch9wavefront6targetE1EEEvT1_, .Lfunc_end306-_ZN7rocprim17ROCPRIM_400000_NS6detail17trampoline_kernelINS0_14default_configENS1_20scan_config_selectorIN3c107complexIfEEEEZZNS1_9scan_implILNS1_25lookback_scan_determinismE0ELb0ELb0ES3_PKS7_PS7_S7_ZZZN2at6native31launch_logcumsumexp_cuda_kernelERKNSE_10TensorBaseESI_lENKUlvE_clEvENKUlvE2_clEvEUlS7_S7_E_S7_EEDaPvRmT3_T4_T5_mT6_P12ihipStream_tbENKUlT_T0_E_clISt17integral_constantIbLb1EESZ_EEDaSU_SV_EUlSU_E0_NS1_11comp_targetILNS1_3genE10ELNS1_11target_archE1200ELNS1_3gpuE4ELNS1_3repE0EEENS1_30default_config_static_selectorELNS0_4arch9wavefront6targetE1EEEvT1_
                                        ; -- End function
	.set _ZN7rocprim17ROCPRIM_400000_NS6detail17trampoline_kernelINS0_14default_configENS1_20scan_config_selectorIN3c107complexIfEEEEZZNS1_9scan_implILNS1_25lookback_scan_determinismE0ELb0ELb0ES3_PKS7_PS7_S7_ZZZN2at6native31launch_logcumsumexp_cuda_kernelERKNSE_10TensorBaseESI_lENKUlvE_clEvENKUlvE2_clEvEUlS7_S7_E_S7_EEDaPvRmT3_T4_T5_mT6_P12ihipStream_tbENKUlT_T0_E_clISt17integral_constantIbLb1EESZ_EEDaSU_SV_EUlSU_E0_NS1_11comp_targetILNS1_3genE10ELNS1_11target_archE1200ELNS1_3gpuE4ELNS1_3repE0EEENS1_30default_config_static_selectorELNS0_4arch9wavefront6targetE1EEEvT1_.num_vgpr, 0
	.set _ZN7rocprim17ROCPRIM_400000_NS6detail17trampoline_kernelINS0_14default_configENS1_20scan_config_selectorIN3c107complexIfEEEEZZNS1_9scan_implILNS1_25lookback_scan_determinismE0ELb0ELb0ES3_PKS7_PS7_S7_ZZZN2at6native31launch_logcumsumexp_cuda_kernelERKNSE_10TensorBaseESI_lENKUlvE_clEvENKUlvE2_clEvEUlS7_S7_E_S7_EEDaPvRmT3_T4_T5_mT6_P12ihipStream_tbENKUlT_T0_E_clISt17integral_constantIbLb1EESZ_EEDaSU_SV_EUlSU_E0_NS1_11comp_targetILNS1_3genE10ELNS1_11target_archE1200ELNS1_3gpuE4ELNS1_3repE0EEENS1_30default_config_static_selectorELNS0_4arch9wavefront6targetE1EEEvT1_.num_agpr, 0
	.set _ZN7rocprim17ROCPRIM_400000_NS6detail17trampoline_kernelINS0_14default_configENS1_20scan_config_selectorIN3c107complexIfEEEEZZNS1_9scan_implILNS1_25lookback_scan_determinismE0ELb0ELb0ES3_PKS7_PS7_S7_ZZZN2at6native31launch_logcumsumexp_cuda_kernelERKNSE_10TensorBaseESI_lENKUlvE_clEvENKUlvE2_clEvEUlS7_S7_E_S7_EEDaPvRmT3_T4_T5_mT6_P12ihipStream_tbENKUlT_T0_E_clISt17integral_constantIbLb1EESZ_EEDaSU_SV_EUlSU_E0_NS1_11comp_targetILNS1_3genE10ELNS1_11target_archE1200ELNS1_3gpuE4ELNS1_3repE0EEENS1_30default_config_static_selectorELNS0_4arch9wavefront6targetE1EEEvT1_.numbered_sgpr, 0
	.set _ZN7rocprim17ROCPRIM_400000_NS6detail17trampoline_kernelINS0_14default_configENS1_20scan_config_selectorIN3c107complexIfEEEEZZNS1_9scan_implILNS1_25lookback_scan_determinismE0ELb0ELb0ES3_PKS7_PS7_S7_ZZZN2at6native31launch_logcumsumexp_cuda_kernelERKNSE_10TensorBaseESI_lENKUlvE_clEvENKUlvE2_clEvEUlS7_S7_E_S7_EEDaPvRmT3_T4_T5_mT6_P12ihipStream_tbENKUlT_T0_E_clISt17integral_constantIbLb1EESZ_EEDaSU_SV_EUlSU_E0_NS1_11comp_targetILNS1_3genE10ELNS1_11target_archE1200ELNS1_3gpuE4ELNS1_3repE0EEENS1_30default_config_static_selectorELNS0_4arch9wavefront6targetE1EEEvT1_.num_named_barrier, 0
	.set _ZN7rocprim17ROCPRIM_400000_NS6detail17trampoline_kernelINS0_14default_configENS1_20scan_config_selectorIN3c107complexIfEEEEZZNS1_9scan_implILNS1_25lookback_scan_determinismE0ELb0ELb0ES3_PKS7_PS7_S7_ZZZN2at6native31launch_logcumsumexp_cuda_kernelERKNSE_10TensorBaseESI_lENKUlvE_clEvENKUlvE2_clEvEUlS7_S7_E_S7_EEDaPvRmT3_T4_T5_mT6_P12ihipStream_tbENKUlT_T0_E_clISt17integral_constantIbLb1EESZ_EEDaSU_SV_EUlSU_E0_NS1_11comp_targetILNS1_3genE10ELNS1_11target_archE1200ELNS1_3gpuE4ELNS1_3repE0EEENS1_30default_config_static_selectorELNS0_4arch9wavefront6targetE1EEEvT1_.private_seg_size, 0
	.set _ZN7rocprim17ROCPRIM_400000_NS6detail17trampoline_kernelINS0_14default_configENS1_20scan_config_selectorIN3c107complexIfEEEEZZNS1_9scan_implILNS1_25lookback_scan_determinismE0ELb0ELb0ES3_PKS7_PS7_S7_ZZZN2at6native31launch_logcumsumexp_cuda_kernelERKNSE_10TensorBaseESI_lENKUlvE_clEvENKUlvE2_clEvEUlS7_S7_E_S7_EEDaPvRmT3_T4_T5_mT6_P12ihipStream_tbENKUlT_T0_E_clISt17integral_constantIbLb1EESZ_EEDaSU_SV_EUlSU_E0_NS1_11comp_targetILNS1_3genE10ELNS1_11target_archE1200ELNS1_3gpuE4ELNS1_3repE0EEENS1_30default_config_static_selectorELNS0_4arch9wavefront6targetE1EEEvT1_.uses_vcc, 0
	.set _ZN7rocprim17ROCPRIM_400000_NS6detail17trampoline_kernelINS0_14default_configENS1_20scan_config_selectorIN3c107complexIfEEEEZZNS1_9scan_implILNS1_25lookback_scan_determinismE0ELb0ELb0ES3_PKS7_PS7_S7_ZZZN2at6native31launch_logcumsumexp_cuda_kernelERKNSE_10TensorBaseESI_lENKUlvE_clEvENKUlvE2_clEvEUlS7_S7_E_S7_EEDaPvRmT3_T4_T5_mT6_P12ihipStream_tbENKUlT_T0_E_clISt17integral_constantIbLb1EESZ_EEDaSU_SV_EUlSU_E0_NS1_11comp_targetILNS1_3genE10ELNS1_11target_archE1200ELNS1_3gpuE4ELNS1_3repE0EEENS1_30default_config_static_selectorELNS0_4arch9wavefront6targetE1EEEvT1_.uses_flat_scratch, 0
	.set _ZN7rocprim17ROCPRIM_400000_NS6detail17trampoline_kernelINS0_14default_configENS1_20scan_config_selectorIN3c107complexIfEEEEZZNS1_9scan_implILNS1_25lookback_scan_determinismE0ELb0ELb0ES3_PKS7_PS7_S7_ZZZN2at6native31launch_logcumsumexp_cuda_kernelERKNSE_10TensorBaseESI_lENKUlvE_clEvENKUlvE2_clEvEUlS7_S7_E_S7_EEDaPvRmT3_T4_T5_mT6_P12ihipStream_tbENKUlT_T0_E_clISt17integral_constantIbLb1EESZ_EEDaSU_SV_EUlSU_E0_NS1_11comp_targetILNS1_3genE10ELNS1_11target_archE1200ELNS1_3gpuE4ELNS1_3repE0EEENS1_30default_config_static_selectorELNS0_4arch9wavefront6targetE1EEEvT1_.has_dyn_sized_stack, 0
	.set _ZN7rocprim17ROCPRIM_400000_NS6detail17trampoline_kernelINS0_14default_configENS1_20scan_config_selectorIN3c107complexIfEEEEZZNS1_9scan_implILNS1_25lookback_scan_determinismE0ELb0ELb0ES3_PKS7_PS7_S7_ZZZN2at6native31launch_logcumsumexp_cuda_kernelERKNSE_10TensorBaseESI_lENKUlvE_clEvENKUlvE2_clEvEUlS7_S7_E_S7_EEDaPvRmT3_T4_T5_mT6_P12ihipStream_tbENKUlT_T0_E_clISt17integral_constantIbLb1EESZ_EEDaSU_SV_EUlSU_E0_NS1_11comp_targetILNS1_3genE10ELNS1_11target_archE1200ELNS1_3gpuE4ELNS1_3repE0EEENS1_30default_config_static_selectorELNS0_4arch9wavefront6targetE1EEEvT1_.has_recursion, 0
	.set _ZN7rocprim17ROCPRIM_400000_NS6detail17trampoline_kernelINS0_14default_configENS1_20scan_config_selectorIN3c107complexIfEEEEZZNS1_9scan_implILNS1_25lookback_scan_determinismE0ELb0ELb0ES3_PKS7_PS7_S7_ZZZN2at6native31launch_logcumsumexp_cuda_kernelERKNSE_10TensorBaseESI_lENKUlvE_clEvENKUlvE2_clEvEUlS7_S7_E_S7_EEDaPvRmT3_T4_T5_mT6_P12ihipStream_tbENKUlT_T0_E_clISt17integral_constantIbLb1EESZ_EEDaSU_SV_EUlSU_E0_NS1_11comp_targetILNS1_3genE10ELNS1_11target_archE1200ELNS1_3gpuE4ELNS1_3repE0EEENS1_30default_config_static_selectorELNS0_4arch9wavefront6targetE1EEEvT1_.has_indirect_call, 0
	.section	.AMDGPU.csdata,"",@progbits
; Kernel info:
; codeLenInByte = 0
; TotalNumSgprs: 6
; NumVgprs: 0
; NumAgprs: 0
; TotalNumVgprs: 0
; ScratchSize: 0
; MemoryBound: 0
; FloatMode: 240
; IeeeMode: 1
; LDSByteSize: 0 bytes/workgroup (compile time only)
; SGPRBlocks: 0
; VGPRBlocks: 0
; NumSGPRsForWavesPerEU: 6
; NumVGPRsForWavesPerEU: 1
; AccumOffset: 4
; Occupancy: 8
; WaveLimiterHint : 0
; COMPUTE_PGM_RSRC2:SCRATCH_EN: 0
; COMPUTE_PGM_RSRC2:USER_SGPR: 2
; COMPUTE_PGM_RSRC2:TRAP_HANDLER: 0
; COMPUTE_PGM_RSRC2:TGID_X_EN: 1
; COMPUTE_PGM_RSRC2:TGID_Y_EN: 0
; COMPUTE_PGM_RSRC2:TGID_Z_EN: 0
; COMPUTE_PGM_RSRC2:TIDIG_COMP_CNT: 0
; COMPUTE_PGM_RSRC3_GFX90A:ACCUM_OFFSET: 0
; COMPUTE_PGM_RSRC3_GFX90A:TG_SPLIT: 0
	.section	.text._ZN7rocprim17ROCPRIM_400000_NS6detail17trampoline_kernelINS0_14default_configENS1_20scan_config_selectorIN3c107complexIfEEEEZZNS1_9scan_implILNS1_25lookback_scan_determinismE0ELb0ELb0ES3_PKS7_PS7_S7_ZZZN2at6native31launch_logcumsumexp_cuda_kernelERKNSE_10TensorBaseESI_lENKUlvE_clEvENKUlvE2_clEvEUlS7_S7_E_S7_EEDaPvRmT3_T4_T5_mT6_P12ihipStream_tbENKUlT_T0_E_clISt17integral_constantIbLb1EESZ_EEDaSU_SV_EUlSU_E0_NS1_11comp_targetILNS1_3genE9ELNS1_11target_archE1100ELNS1_3gpuE3ELNS1_3repE0EEENS1_30default_config_static_selectorELNS0_4arch9wavefront6targetE1EEEvT1_,"axG",@progbits,_ZN7rocprim17ROCPRIM_400000_NS6detail17trampoline_kernelINS0_14default_configENS1_20scan_config_selectorIN3c107complexIfEEEEZZNS1_9scan_implILNS1_25lookback_scan_determinismE0ELb0ELb0ES3_PKS7_PS7_S7_ZZZN2at6native31launch_logcumsumexp_cuda_kernelERKNSE_10TensorBaseESI_lENKUlvE_clEvENKUlvE2_clEvEUlS7_S7_E_S7_EEDaPvRmT3_T4_T5_mT6_P12ihipStream_tbENKUlT_T0_E_clISt17integral_constantIbLb1EESZ_EEDaSU_SV_EUlSU_E0_NS1_11comp_targetILNS1_3genE9ELNS1_11target_archE1100ELNS1_3gpuE3ELNS1_3repE0EEENS1_30default_config_static_selectorELNS0_4arch9wavefront6targetE1EEEvT1_,comdat
	.globl	_ZN7rocprim17ROCPRIM_400000_NS6detail17trampoline_kernelINS0_14default_configENS1_20scan_config_selectorIN3c107complexIfEEEEZZNS1_9scan_implILNS1_25lookback_scan_determinismE0ELb0ELb0ES3_PKS7_PS7_S7_ZZZN2at6native31launch_logcumsumexp_cuda_kernelERKNSE_10TensorBaseESI_lENKUlvE_clEvENKUlvE2_clEvEUlS7_S7_E_S7_EEDaPvRmT3_T4_T5_mT6_P12ihipStream_tbENKUlT_T0_E_clISt17integral_constantIbLb1EESZ_EEDaSU_SV_EUlSU_E0_NS1_11comp_targetILNS1_3genE9ELNS1_11target_archE1100ELNS1_3gpuE3ELNS1_3repE0EEENS1_30default_config_static_selectorELNS0_4arch9wavefront6targetE1EEEvT1_ ; -- Begin function _ZN7rocprim17ROCPRIM_400000_NS6detail17trampoline_kernelINS0_14default_configENS1_20scan_config_selectorIN3c107complexIfEEEEZZNS1_9scan_implILNS1_25lookback_scan_determinismE0ELb0ELb0ES3_PKS7_PS7_S7_ZZZN2at6native31launch_logcumsumexp_cuda_kernelERKNSE_10TensorBaseESI_lENKUlvE_clEvENKUlvE2_clEvEUlS7_S7_E_S7_EEDaPvRmT3_T4_T5_mT6_P12ihipStream_tbENKUlT_T0_E_clISt17integral_constantIbLb1EESZ_EEDaSU_SV_EUlSU_E0_NS1_11comp_targetILNS1_3genE9ELNS1_11target_archE1100ELNS1_3gpuE3ELNS1_3repE0EEENS1_30default_config_static_selectorELNS0_4arch9wavefront6targetE1EEEvT1_
	.p2align	8
	.type	_ZN7rocprim17ROCPRIM_400000_NS6detail17trampoline_kernelINS0_14default_configENS1_20scan_config_selectorIN3c107complexIfEEEEZZNS1_9scan_implILNS1_25lookback_scan_determinismE0ELb0ELb0ES3_PKS7_PS7_S7_ZZZN2at6native31launch_logcumsumexp_cuda_kernelERKNSE_10TensorBaseESI_lENKUlvE_clEvENKUlvE2_clEvEUlS7_S7_E_S7_EEDaPvRmT3_T4_T5_mT6_P12ihipStream_tbENKUlT_T0_E_clISt17integral_constantIbLb1EESZ_EEDaSU_SV_EUlSU_E0_NS1_11comp_targetILNS1_3genE9ELNS1_11target_archE1100ELNS1_3gpuE3ELNS1_3repE0EEENS1_30default_config_static_selectorELNS0_4arch9wavefront6targetE1EEEvT1_,@function
_ZN7rocprim17ROCPRIM_400000_NS6detail17trampoline_kernelINS0_14default_configENS1_20scan_config_selectorIN3c107complexIfEEEEZZNS1_9scan_implILNS1_25lookback_scan_determinismE0ELb0ELb0ES3_PKS7_PS7_S7_ZZZN2at6native31launch_logcumsumexp_cuda_kernelERKNSE_10TensorBaseESI_lENKUlvE_clEvENKUlvE2_clEvEUlS7_S7_E_S7_EEDaPvRmT3_T4_T5_mT6_P12ihipStream_tbENKUlT_T0_E_clISt17integral_constantIbLb1EESZ_EEDaSU_SV_EUlSU_E0_NS1_11comp_targetILNS1_3genE9ELNS1_11target_archE1100ELNS1_3gpuE3ELNS1_3repE0EEENS1_30default_config_static_selectorELNS0_4arch9wavefront6targetE1EEEvT1_: ; @_ZN7rocprim17ROCPRIM_400000_NS6detail17trampoline_kernelINS0_14default_configENS1_20scan_config_selectorIN3c107complexIfEEEEZZNS1_9scan_implILNS1_25lookback_scan_determinismE0ELb0ELb0ES3_PKS7_PS7_S7_ZZZN2at6native31launch_logcumsumexp_cuda_kernelERKNSE_10TensorBaseESI_lENKUlvE_clEvENKUlvE2_clEvEUlS7_S7_E_S7_EEDaPvRmT3_T4_T5_mT6_P12ihipStream_tbENKUlT_T0_E_clISt17integral_constantIbLb1EESZ_EEDaSU_SV_EUlSU_E0_NS1_11comp_targetILNS1_3genE9ELNS1_11target_archE1100ELNS1_3gpuE3ELNS1_3repE0EEENS1_30default_config_static_selectorELNS0_4arch9wavefront6targetE1EEEvT1_
; %bb.0:
	.section	.rodata,"a",@progbits
	.p2align	6, 0x0
	.amdhsa_kernel _ZN7rocprim17ROCPRIM_400000_NS6detail17trampoline_kernelINS0_14default_configENS1_20scan_config_selectorIN3c107complexIfEEEEZZNS1_9scan_implILNS1_25lookback_scan_determinismE0ELb0ELb0ES3_PKS7_PS7_S7_ZZZN2at6native31launch_logcumsumexp_cuda_kernelERKNSE_10TensorBaseESI_lENKUlvE_clEvENKUlvE2_clEvEUlS7_S7_E_S7_EEDaPvRmT3_T4_T5_mT6_P12ihipStream_tbENKUlT_T0_E_clISt17integral_constantIbLb1EESZ_EEDaSU_SV_EUlSU_E0_NS1_11comp_targetILNS1_3genE9ELNS1_11target_archE1100ELNS1_3gpuE3ELNS1_3repE0EEENS1_30default_config_static_selectorELNS0_4arch9wavefront6targetE1EEEvT1_
		.amdhsa_group_segment_fixed_size 0
		.amdhsa_private_segment_fixed_size 0
		.amdhsa_kernarg_size 40
		.amdhsa_user_sgpr_count 2
		.amdhsa_user_sgpr_dispatch_ptr 0
		.amdhsa_user_sgpr_queue_ptr 0
		.amdhsa_user_sgpr_kernarg_segment_ptr 1
		.amdhsa_user_sgpr_dispatch_id 0
		.amdhsa_user_sgpr_kernarg_preload_length 0
		.amdhsa_user_sgpr_kernarg_preload_offset 0
		.amdhsa_user_sgpr_private_segment_size 0
		.amdhsa_uses_dynamic_stack 0
		.amdhsa_enable_private_segment 0
		.amdhsa_system_sgpr_workgroup_id_x 1
		.amdhsa_system_sgpr_workgroup_id_y 0
		.amdhsa_system_sgpr_workgroup_id_z 0
		.amdhsa_system_sgpr_workgroup_info 0
		.amdhsa_system_vgpr_workitem_id 0
		.amdhsa_next_free_vgpr 1
		.amdhsa_next_free_sgpr 0
		.amdhsa_accum_offset 4
		.amdhsa_reserve_vcc 0
		.amdhsa_float_round_mode_32 0
		.amdhsa_float_round_mode_16_64 0
		.amdhsa_float_denorm_mode_32 3
		.amdhsa_float_denorm_mode_16_64 3
		.amdhsa_dx10_clamp 1
		.amdhsa_ieee_mode 1
		.amdhsa_fp16_overflow 0
		.amdhsa_tg_split 0
		.amdhsa_exception_fp_ieee_invalid_op 0
		.amdhsa_exception_fp_denorm_src 0
		.amdhsa_exception_fp_ieee_div_zero 0
		.amdhsa_exception_fp_ieee_overflow 0
		.amdhsa_exception_fp_ieee_underflow 0
		.amdhsa_exception_fp_ieee_inexact 0
		.amdhsa_exception_int_div_zero 0
	.end_amdhsa_kernel
	.section	.text._ZN7rocprim17ROCPRIM_400000_NS6detail17trampoline_kernelINS0_14default_configENS1_20scan_config_selectorIN3c107complexIfEEEEZZNS1_9scan_implILNS1_25lookback_scan_determinismE0ELb0ELb0ES3_PKS7_PS7_S7_ZZZN2at6native31launch_logcumsumexp_cuda_kernelERKNSE_10TensorBaseESI_lENKUlvE_clEvENKUlvE2_clEvEUlS7_S7_E_S7_EEDaPvRmT3_T4_T5_mT6_P12ihipStream_tbENKUlT_T0_E_clISt17integral_constantIbLb1EESZ_EEDaSU_SV_EUlSU_E0_NS1_11comp_targetILNS1_3genE9ELNS1_11target_archE1100ELNS1_3gpuE3ELNS1_3repE0EEENS1_30default_config_static_selectorELNS0_4arch9wavefront6targetE1EEEvT1_,"axG",@progbits,_ZN7rocprim17ROCPRIM_400000_NS6detail17trampoline_kernelINS0_14default_configENS1_20scan_config_selectorIN3c107complexIfEEEEZZNS1_9scan_implILNS1_25lookback_scan_determinismE0ELb0ELb0ES3_PKS7_PS7_S7_ZZZN2at6native31launch_logcumsumexp_cuda_kernelERKNSE_10TensorBaseESI_lENKUlvE_clEvENKUlvE2_clEvEUlS7_S7_E_S7_EEDaPvRmT3_T4_T5_mT6_P12ihipStream_tbENKUlT_T0_E_clISt17integral_constantIbLb1EESZ_EEDaSU_SV_EUlSU_E0_NS1_11comp_targetILNS1_3genE9ELNS1_11target_archE1100ELNS1_3gpuE3ELNS1_3repE0EEENS1_30default_config_static_selectorELNS0_4arch9wavefront6targetE1EEEvT1_,comdat
.Lfunc_end307:
	.size	_ZN7rocprim17ROCPRIM_400000_NS6detail17trampoline_kernelINS0_14default_configENS1_20scan_config_selectorIN3c107complexIfEEEEZZNS1_9scan_implILNS1_25lookback_scan_determinismE0ELb0ELb0ES3_PKS7_PS7_S7_ZZZN2at6native31launch_logcumsumexp_cuda_kernelERKNSE_10TensorBaseESI_lENKUlvE_clEvENKUlvE2_clEvEUlS7_S7_E_S7_EEDaPvRmT3_T4_T5_mT6_P12ihipStream_tbENKUlT_T0_E_clISt17integral_constantIbLb1EESZ_EEDaSU_SV_EUlSU_E0_NS1_11comp_targetILNS1_3genE9ELNS1_11target_archE1100ELNS1_3gpuE3ELNS1_3repE0EEENS1_30default_config_static_selectorELNS0_4arch9wavefront6targetE1EEEvT1_, .Lfunc_end307-_ZN7rocprim17ROCPRIM_400000_NS6detail17trampoline_kernelINS0_14default_configENS1_20scan_config_selectorIN3c107complexIfEEEEZZNS1_9scan_implILNS1_25lookback_scan_determinismE0ELb0ELb0ES3_PKS7_PS7_S7_ZZZN2at6native31launch_logcumsumexp_cuda_kernelERKNSE_10TensorBaseESI_lENKUlvE_clEvENKUlvE2_clEvEUlS7_S7_E_S7_EEDaPvRmT3_T4_T5_mT6_P12ihipStream_tbENKUlT_T0_E_clISt17integral_constantIbLb1EESZ_EEDaSU_SV_EUlSU_E0_NS1_11comp_targetILNS1_3genE9ELNS1_11target_archE1100ELNS1_3gpuE3ELNS1_3repE0EEENS1_30default_config_static_selectorELNS0_4arch9wavefront6targetE1EEEvT1_
                                        ; -- End function
	.set _ZN7rocprim17ROCPRIM_400000_NS6detail17trampoline_kernelINS0_14default_configENS1_20scan_config_selectorIN3c107complexIfEEEEZZNS1_9scan_implILNS1_25lookback_scan_determinismE0ELb0ELb0ES3_PKS7_PS7_S7_ZZZN2at6native31launch_logcumsumexp_cuda_kernelERKNSE_10TensorBaseESI_lENKUlvE_clEvENKUlvE2_clEvEUlS7_S7_E_S7_EEDaPvRmT3_T4_T5_mT6_P12ihipStream_tbENKUlT_T0_E_clISt17integral_constantIbLb1EESZ_EEDaSU_SV_EUlSU_E0_NS1_11comp_targetILNS1_3genE9ELNS1_11target_archE1100ELNS1_3gpuE3ELNS1_3repE0EEENS1_30default_config_static_selectorELNS0_4arch9wavefront6targetE1EEEvT1_.num_vgpr, 0
	.set _ZN7rocprim17ROCPRIM_400000_NS6detail17trampoline_kernelINS0_14default_configENS1_20scan_config_selectorIN3c107complexIfEEEEZZNS1_9scan_implILNS1_25lookback_scan_determinismE0ELb0ELb0ES3_PKS7_PS7_S7_ZZZN2at6native31launch_logcumsumexp_cuda_kernelERKNSE_10TensorBaseESI_lENKUlvE_clEvENKUlvE2_clEvEUlS7_S7_E_S7_EEDaPvRmT3_T4_T5_mT6_P12ihipStream_tbENKUlT_T0_E_clISt17integral_constantIbLb1EESZ_EEDaSU_SV_EUlSU_E0_NS1_11comp_targetILNS1_3genE9ELNS1_11target_archE1100ELNS1_3gpuE3ELNS1_3repE0EEENS1_30default_config_static_selectorELNS0_4arch9wavefront6targetE1EEEvT1_.num_agpr, 0
	.set _ZN7rocprim17ROCPRIM_400000_NS6detail17trampoline_kernelINS0_14default_configENS1_20scan_config_selectorIN3c107complexIfEEEEZZNS1_9scan_implILNS1_25lookback_scan_determinismE0ELb0ELb0ES3_PKS7_PS7_S7_ZZZN2at6native31launch_logcumsumexp_cuda_kernelERKNSE_10TensorBaseESI_lENKUlvE_clEvENKUlvE2_clEvEUlS7_S7_E_S7_EEDaPvRmT3_T4_T5_mT6_P12ihipStream_tbENKUlT_T0_E_clISt17integral_constantIbLb1EESZ_EEDaSU_SV_EUlSU_E0_NS1_11comp_targetILNS1_3genE9ELNS1_11target_archE1100ELNS1_3gpuE3ELNS1_3repE0EEENS1_30default_config_static_selectorELNS0_4arch9wavefront6targetE1EEEvT1_.numbered_sgpr, 0
	.set _ZN7rocprim17ROCPRIM_400000_NS6detail17trampoline_kernelINS0_14default_configENS1_20scan_config_selectorIN3c107complexIfEEEEZZNS1_9scan_implILNS1_25lookback_scan_determinismE0ELb0ELb0ES3_PKS7_PS7_S7_ZZZN2at6native31launch_logcumsumexp_cuda_kernelERKNSE_10TensorBaseESI_lENKUlvE_clEvENKUlvE2_clEvEUlS7_S7_E_S7_EEDaPvRmT3_T4_T5_mT6_P12ihipStream_tbENKUlT_T0_E_clISt17integral_constantIbLb1EESZ_EEDaSU_SV_EUlSU_E0_NS1_11comp_targetILNS1_3genE9ELNS1_11target_archE1100ELNS1_3gpuE3ELNS1_3repE0EEENS1_30default_config_static_selectorELNS0_4arch9wavefront6targetE1EEEvT1_.num_named_barrier, 0
	.set _ZN7rocprim17ROCPRIM_400000_NS6detail17trampoline_kernelINS0_14default_configENS1_20scan_config_selectorIN3c107complexIfEEEEZZNS1_9scan_implILNS1_25lookback_scan_determinismE0ELb0ELb0ES3_PKS7_PS7_S7_ZZZN2at6native31launch_logcumsumexp_cuda_kernelERKNSE_10TensorBaseESI_lENKUlvE_clEvENKUlvE2_clEvEUlS7_S7_E_S7_EEDaPvRmT3_T4_T5_mT6_P12ihipStream_tbENKUlT_T0_E_clISt17integral_constantIbLb1EESZ_EEDaSU_SV_EUlSU_E0_NS1_11comp_targetILNS1_3genE9ELNS1_11target_archE1100ELNS1_3gpuE3ELNS1_3repE0EEENS1_30default_config_static_selectorELNS0_4arch9wavefront6targetE1EEEvT1_.private_seg_size, 0
	.set _ZN7rocprim17ROCPRIM_400000_NS6detail17trampoline_kernelINS0_14default_configENS1_20scan_config_selectorIN3c107complexIfEEEEZZNS1_9scan_implILNS1_25lookback_scan_determinismE0ELb0ELb0ES3_PKS7_PS7_S7_ZZZN2at6native31launch_logcumsumexp_cuda_kernelERKNSE_10TensorBaseESI_lENKUlvE_clEvENKUlvE2_clEvEUlS7_S7_E_S7_EEDaPvRmT3_T4_T5_mT6_P12ihipStream_tbENKUlT_T0_E_clISt17integral_constantIbLb1EESZ_EEDaSU_SV_EUlSU_E0_NS1_11comp_targetILNS1_3genE9ELNS1_11target_archE1100ELNS1_3gpuE3ELNS1_3repE0EEENS1_30default_config_static_selectorELNS0_4arch9wavefront6targetE1EEEvT1_.uses_vcc, 0
	.set _ZN7rocprim17ROCPRIM_400000_NS6detail17trampoline_kernelINS0_14default_configENS1_20scan_config_selectorIN3c107complexIfEEEEZZNS1_9scan_implILNS1_25lookback_scan_determinismE0ELb0ELb0ES3_PKS7_PS7_S7_ZZZN2at6native31launch_logcumsumexp_cuda_kernelERKNSE_10TensorBaseESI_lENKUlvE_clEvENKUlvE2_clEvEUlS7_S7_E_S7_EEDaPvRmT3_T4_T5_mT6_P12ihipStream_tbENKUlT_T0_E_clISt17integral_constantIbLb1EESZ_EEDaSU_SV_EUlSU_E0_NS1_11comp_targetILNS1_3genE9ELNS1_11target_archE1100ELNS1_3gpuE3ELNS1_3repE0EEENS1_30default_config_static_selectorELNS0_4arch9wavefront6targetE1EEEvT1_.uses_flat_scratch, 0
	.set _ZN7rocprim17ROCPRIM_400000_NS6detail17trampoline_kernelINS0_14default_configENS1_20scan_config_selectorIN3c107complexIfEEEEZZNS1_9scan_implILNS1_25lookback_scan_determinismE0ELb0ELb0ES3_PKS7_PS7_S7_ZZZN2at6native31launch_logcumsumexp_cuda_kernelERKNSE_10TensorBaseESI_lENKUlvE_clEvENKUlvE2_clEvEUlS7_S7_E_S7_EEDaPvRmT3_T4_T5_mT6_P12ihipStream_tbENKUlT_T0_E_clISt17integral_constantIbLb1EESZ_EEDaSU_SV_EUlSU_E0_NS1_11comp_targetILNS1_3genE9ELNS1_11target_archE1100ELNS1_3gpuE3ELNS1_3repE0EEENS1_30default_config_static_selectorELNS0_4arch9wavefront6targetE1EEEvT1_.has_dyn_sized_stack, 0
	.set _ZN7rocprim17ROCPRIM_400000_NS6detail17trampoline_kernelINS0_14default_configENS1_20scan_config_selectorIN3c107complexIfEEEEZZNS1_9scan_implILNS1_25lookback_scan_determinismE0ELb0ELb0ES3_PKS7_PS7_S7_ZZZN2at6native31launch_logcumsumexp_cuda_kernelERKNSE_10TensorBaseESI_lENKUlvE_clEvENKUlvE2_clEvEUlS7_S7_E_S7_EEDaPvRmT3_T4_T5_mT6_P12ihipStream_tbENKUlT_T0_E_clISt17integral_constantIbLb1EESZ_EEDaSU_SV_EUlSU_E0_NS1_11comp_targetILNS1_3genE9ELNS1_11target_archE1100ELNS1_3gpuE3ELNS1_3repE0EEENS1_30default_config_static_selectorELNS0_4arch9wavefront6targetE1EEEvT1_.has_recursion, 0
	.set _ZN7rocprim17ROCPRIM_400000_NS6detail17trampoline_kernelINS0_14default_configENS1_20scan_config_selectorIN3c107complexIfEEEEZZNS1_9scan_implILNS1_25lookback_scan_determinismE0ELb0ELb0ES3_PKS7_PS7_S7_ZZZN2at6native31launch_logcumsumexp_cuda_kernelERKNSE_10TensorBaseESI_lENKUlvE_clEvENKUlvE2_clEvEUlS7_S7_E_S7_EEDaPvRmT3_T4_T5_mT6_P12ihipStream_tbENKUlT_T0_E_clISt17integral_constantIbLb1EESZ_EEDaSU_SV_EUlSU_E0_NS1_11comp_targetILNS1_3genE9ELNS1_11target_archE1100ELNS1_3gpuE3ELNS1_3repE0EEENS1_30default_config_static_selectorELNS0_4arch9wavefront6targetE1EEEvT1_.has_indirect_call, 0
	.section	.AMDGPU.csdata,"",@progbits
; Kernel info:
; codeLenInByte = 0
; TotalNumSgprs: 6
; NumVgprs: 0
; NumAgprs: 0
; TotalNumVgprs: 0
; ScratchSize: 0
; MemoryBound: 0
; FloatMode: 240
; IeeeMode: 1
; LDSByteSize: 0 bytes/workgroup (compile time only)
; SGPRBlocks: 0
; VGPRBlocks: 0
; NumSGPRsForWavesPerEU: 6
; NumVGPRsForWavesPerEU: 1
; AccumOffset: 4
; Occupancy: 8
; WaveLimiterHint : 0
; COMPUTE_PGM_RSRC2:SCRATCH_EN: 0
; COMPUTE_PGM_RSRC2:USER_SGPR: 2
; COMPUTE_PGM_RSRC2:TRAP_HANDLER: 0
; COMPUTE_PGM_RSRC2:TGID_X_EN: 1
; COMPUTE_PGM_RSRC2:TGID_Y_EN: 0
; COMPUTE_PGM_RSRC2:TGID_Z_EN: 0
; COMPUTE_PGM_RSRC2:TIDIG_COMP_CNT: 0
; COMPUTE_PGM_RSRC3_GFX90A:ACCUM_OFFSET: 0
; COMPUTE_PGM_RSRC3_GFX90A:TG_SPLIT: 0
	.section	.text._ZN7rocprim17ROCPRIM_400000_NS6detail17trampoline_kernelINS0_14default_configENS1_20scan_config_selectorIN3c107complexIfEEEEZZNS1_9scan_implILNS1_25lookback_scan_determinismE0ELb0ELb0ES3_PKS7_PS7_S7_ZZZN2at6native31launch_logcumsumexp_cuda_kernelERKNSE_10TensorBaseESI_lENKUlvE_clEvENKUlvE2_clEvEUlS7_S7_E_S7_EEDaPvRmT3_T4_T5_mT6_P12ihipStream_tbENKUlT_T0_E_clISt17integral_constantIbLb1EESZ_EEDaSU_SV_EUlSU_E0_NS1_11comp_targetILNS1_3genE8ELNS1_11target_archE1030ELNS1_3gpuE2ELNS1_3repE0EEENS1_30default_config_static_selectorELNS0_4arch9wavefront6targetE1EEEvT1_,"axG",@progbits,_ZN7rocprim17ROCPRIM_400000_NS6detail17trampoline_kernelINS0_14default_configENS1_20scan_config_selectorIN3c107complexIfEEEEZZNS1_9scan_implILNS1_25lookback_scan_determinismE0ELb0ELb0ES3_PKS7_PS7_S7_ZZZN2at6native31launch_logcumsumexp_cuda_kernelERKNSE_10TensorBaseESI_lENKUlvE_clEvENKUlvE2_clEvEUlS7_S7_E_S7_EEDaPvRmT3_T4_T5_mT6_P12ihipStream_tbENKUlT_T0_E_clISt17integral_constantIbLb1EESZ_EEDaSU_SV_EUlSU_E0_NS1_11comp_targetILNS1_3genE8ELNS1_11target_archE1030ELNS1_3gpuE2ELNS1_3repE0EEENS1_30default_config_static_selectorELNS0_4arch9wavefront6targetE1EEEvT1_,comdat
	.globl	_ZN7rocprim17ROCPRIM_400000_NS6detail17trampoline_kernelINS0_14default_configENS1_20scan_config_selectorIN3c107complexIfEEEEZZNS1_9scan_implILNS1_25lookback_scan_determinismE0ELb0ELb0ES3_PKS7_PS7_S7_ZZZN2at6native31launch_logcumsumexp_cuda_kernelERKNSE_10TensorBaseESI_lENKUlvE_clEvENKUlvE2_clEvEUlS7_S7_E_S7_EEDaPvRmT3_T4_T5_mT6_P12ihipStream_tbENKUlT_T0_E_clISt17integral_constantIbLb1EESZ_EEDaSU_SV_EUlSU_E0_NS1_11comp_targetILNS1_3genE8ELNS1_11target_archE1030ELNS1_3gpuE2ELNS1_3repE0EEENS1_30default_config_static_selectorELNS0_4arch9wavefront6targetE1EEEvT1_ ; -- Begin function _ZN7rocprim17ROCPRIM_400000_NS6detail17trampoline_kernelINS0_14default_configENS1_20scan_config_selectorIN3c107complexIfEEEEZZNS1_9scan_implILNS1_25lookback_scan_determinismE0ELb0ELb0ES3_PKS7_PS7_S7_ZZZN2at6native31launch_logcumsumexp_cuda_kernelERKNSE_10TensorBaseESI_lENKUlvE_clEvENKUlvE2_clEvEUlS7_S7_E_S7_EEDaPvRmT3_T4_T5_mT6_P12ihipStream_tbENKUlT_T0_E_clISt17integral_constantIbLb1EESZ_EEDaSU_SV_EUlSU_E0_NS1_11comp_targetILNS1_3genE8ELNS1_11target_archE1030ELNS1_3gpuE2ELNS1_3repE0EEENS1_30default_config_static_selectorELNS0_4arch9wavefront6targetE1EEEvT1_
	.p2align	8
	.type	_ZN7rocprim17ROCPRIM_400000_NS6detail17trampoline_kernelINS0_14default_configENS1_20scan_config_selectorIN3c107complexIfEEEEZZNS1_9scan_implILNS1_25lookback_scan_determinismE0ELb0ELb0ES3_PKS7_PS7_S7_ZZZN2at6native31launch_logcumsumexp_cuda_kernelERKNSE_10TensorBaseESI_lENKUlvE_clEvENKUlvE2_clEvEUlS7_S7_E_S7_EEDaPvRmT3_T4_T5_mT6_P12ihipStream_tbENKUlT_T0_E_clISt17integral_constantIbLb1EESZ_EEDaSU_SV_EUlSU_E0_NS1_11comp_targetILNS1_3genE8ELNS1_11target_archE1030ELNS1_3gpuE2ELNS1_3repE0EEENS1_30default_config_static_selectorELNS0_4arch9wavefront6targetE1EEEvT1_,@function
_ZN7rocprim17ROCPRIM_400000_NS6detail17trampoline_kernelINS0_14default_configENS1_20scan_config_selectorIN3c107complexIfEEEEZZNS1_9scan_implILNS1_25lookback_scan_determinismE0ELb0ELb0ES3_PKS7_PS7_S7_ZZZN2at6native31launch_logcumsumexp_cuda_kernelERKNSE_10TensorBaseESI_lENKUlvE_clEvENKUlvE2_clEvEUlS7_S7_E_S7_EEDaPvRmT3_T4_T5_mT6_P12ihipStream_tbENKUlT_T0_E_clISt17integral_constantIbLb1EESZ_EEDaSU_SV_EUlSU_E0_NS1_11comp_targetILNS1_3genE8ELNS1_11target_archE1030ELNS1_3gpuE2ELNS1_3repE0EEENS1_30default_config_static_selectorELNS0_4arch9wavefront6targetE1EEEvT1_: ; @_ZN7rocprim17ROCPRIM_400000_NS6detail17trampoline_kernelINS0_14default_configENS1_20scan_config_selectorIN3c107complexIfEEEEZZNS1_9scan_implILNS1_25lookback_scan_determinismE0ELb0ELb0ES3_PKS7_PS7_S7_ZZZN2at6native31launch_logcumsumexp_cuda_kernelERKNSE_10TensorBaseESI_lENKUlvE_clEvENKUlvE2_clEvEUlS7_S7_E_S7_EEDaPvRmT3_T4_T5_mT6_P12ihipStream_tbENKUlT_T0_E_clISt17integral_constantIbLb1EESZ_EEDaSU_SV_EUlSU_E0_NS1_11comp_targetILNS1_3genE8ELNS1_11target_archE1030ELNS1_3gpuE2ELNS1_3repE0EEENS1_30default_config_static_selectorELNS0_4arch9wavefront6targetE1EEEvT1_
; %bb.0:
	.section	.rodata,"a",@progbits
	.p2align	6, 0x0
	.amdhsa_kernel _ZN7rocprim17ROCPRIM_400000_NS6detail17trampoline_kernelINS0_14default_configENS1_20scan_config_selectorIN3c107complexIfEEEEZZNS1_9scan_implILNS1_25lookback_scan_determinismE0ELb0ELb0ES3_PKS7_PS7_S7_ZZZN2at6native31launch_logcumsumexp_cuda_kernelERKNSE_10TensorBaseESI_lENKUlvE_clEvENKUlvE2_clEvEUlS7_S7_E_S7_EEDaPvRmT3_T4_T5_mT6_P12ihipStream_tbENKUlT_T0_E_clISt17integral_constantIbLb1EESZ_EEDaSU_SV_EUlSU_E0_NS1_11comp_targetILNS1_3genE8ELNS1_11target_archE1030ELNS1_3gpuE2ELNS1_3repE0EEENS1_30default_config_static_selectorELNS0_4arch9wavefront6targetE1EEEvT1_
		.amdhsa_group_segment_fixed_size 0
		.amdhsa_private_segment_fixed_size 0
		.amdhsa_kernarg_size 40
		.amdhsa_user_sgpr_count 2
		.amdhsa_user_sgpr_dispatch_ptr 0
		.amdhsa_user_sgpr_queue_ptr 0
		.amdhsa_user_sgpr_kernarg_segment_ptr 1
		.amdhsa_user_sgpr_dispatch_id 0
		.amdhsa_user_sgpr_kernarg_preload_length 0
		.amdhsa_user_sgpr_kernarg_preload_offset 0
		.amdhsa_user_sgpr_private_segment_size 0
		.amdhsa_uses_dynamic_stack 0
		.amdhsa_enable_private_segment 0
		.amdhsa_system_sgpr_workgroup_id_x 1
		.amdhsa_system_sgpr_workgroup_id_y 0
		.amdhsa_system_sgpr_workgroup_id_z 0
		.amdhsa_system_sgpr_workgroup_info 0
		.amdhsa_system_vgpr_workitem_id 0
		.amdhsa_next_free_vgpr 1
		.amdhsa_next_free_sgpr 0
		.amdhsa_accum_offset 4
		.amdhsa_reserve_vcc 0
		.amdhsa_float_round_mode_32 0
		.amdhsa_float_round_mode_16_64 0
		.amdhsa_float_denorm_mode_32 3
		.amdhsa_float_denorm_mode_16_64 3
		.amdhsa_dx10_clamp 1
		.amdhsa_ieee_mode 1
		.amdhsa_fp16_overflow 0
		.amdhsa_tg_split 0
		.amdhsa_exception_fp_ieee_invalid_op 0
		.amdhsa_exception_fp_denorm_src 0
		.amdhsa_exception_fp_ieee_div_zero 0
		.amdhsa_exception_fp_ieee_overflow 0
		.amdhsa_exception_fp_ieee_underflow 0
		.amdhsa_exception_fp_ieee_inexact 0
		.amdhsa_exception_int_div_zero 0
	.end_amdhsa_kernel
	.section	.text._ZN7rocprim17ROCPRIM_400000_NS6detail17trampoline_kernelINS0_14default_configENS1_20scan_config_selectorIN3c107complexIfEEEEZZNS1_9scan_implILNS1_25lookback_scan_determinismE0ELb0ELb0ES3_PKS7_PS7_S7_ZZZN2at6native31launch_logcumsumexp_cuda_kernelERKNSE_10TensorBaseESI_lENKUlvE_clEvENKUlvE2_clEvEUlS7_S7_E_S7_EEDaPvRmT3_T4_T5_mT6_P12ihipStream_tbENKUlT_T0_E_clISt17integral_constantIbLb1EESZ_EEDaSU_SV_EUlSU_E0_NS1_11comp_targetILNS1_3genE8ELNS1_11target_archE1030ELNS1_3gpuE2ELNS1_3repE0EEENS1_30default_config_static_selectorELNS0_4arch9wavefront6targetE1EEEvT1_,"axG",@progbits,_ZN7rocprim17ROCPRIM_400000_NS6detail17trampoline_kernelINS0_14default_configENS1_20scan_config_selectorIN3c107complexIfEEEEZZNS1_9scan_implILNS1_25lookback_scan_determinismE0ELb0ELb0ES3_PKS7_PS7_S7_ZZZN2at6native31launch_logcumsumexp_cuda_kernelERKNSE_10TensorBaseESI_lENKUlvE_clEvENKUlvE2_clEvEUlS7_S7_E_S7_EEDaPvRmT3_T4_T5_mT6_P12ihipStream_tbENKUlT_T0_E_clISt17integral_constantIbLb1EESZ_EEDaSU_SV_EUlSU_E0_NS1_11comp_targetILNS1_3genE8ELNS1_11target_archE1030ELNS1_3gpuE2ELNS1_3repE0EEENS1_30default_config_static_selectorELNS0_4arch9wavefront6targetE1EEEvT1_,comdat
.Lfunc_end308:
	.size	_ZN7rocprim17ROCPRIM_400000_NS6detail17trampoline_kernelINS0_14default_configENS1_20scan_config_selectorIN3c107complexIfEEEEZZNS1_9scan_implILNS1_25lookback_scan_determinismE0ELb0ELb0ES3_PKS7_PS7_S7_ZZZN2at6native31launch_logcumsumexp_cuda_kernelERKNSE_10TensorBaseESI_lENKUlvE_clEvENKUlvE2_clEvEUlS7_S7_E_S7_EEDaPvRmT3_T4_T5_mT6_P12ihipStream_tbENKUlT_T0_E_clISt17integral_constantIbLb1EESZ_EEDaSU_SV_EUlSU_E0_NS1_11comp_targetILNS1_3genE8ELNS1_11target_archE1030ELNS1_3gpuE2ELNS1_3repE0EEENS1_30default_config_static_selectorELNS0_4arch9wavefront6targetE1EEEvT1_, .Lfunc_end308-_ZN7rocprim17ROCPRIM_400000_NS6detail17trampoline_kernelINS0_14default_configENS1_20scan_config_selectorIN3c107complexIfEEEEZZNS1_9scan_implILNS1_25lookback_scan_determinismE0ELb0ELb0ES3_PKS7_PS7_S7_ZZZN2at6native31launch_logcumsumexp_cuda_kernelERKNSE_10TensorBaseESI_lENKUlvE_clEvENKUlvE2_clEvEUlS7_S7_E_S7_EEDaPvRmT3_T4_T5_mT6_P12ihipStream_tbENKUlT_T0_E_clISt17integral_constantIbLb1EESZ_EEDaSU_SV_EUlSU_E0_NS1_11comp_targetILNS1_3genE8ELNS1_11target_archE1030ELNS1_3gpuE2ELNS1_3repE0EEENS1_30default_config_static_selectorELNS0_4arch9wavefront6targetE1EEEvT1_
                                        ; -- End function
	.set _ZN7rocprim17ROCPRIM_400000_NS6detail17trampoline_kernelINS0_14default_configENS1_20scan_config_selectorIN3c107complexIfEEEEZZNS1_9scan_implILNS1_25lookback_scan_determinismE0ELb0ELb0ES3_PKS7_PS7_S7_ZZZN2at6native31launch_logcumsumexp_cuda_kernelERKNSE_10TensorBaseESI_lENKUlvE_clEvENKUlvE2_clEvEUlS7_S7_E_S7_EEDaPvRmT3_T4_T5_mT6_P12ihipStream_tbENKUlT_T0_E_clISt17integral_constantIbLb1EESZ_EEDaSU_SV_EUlSU_E0_NS1_11comp_targetILNS1_3genE8ELNS1_11target_archE1030ELNS1_3gpuE2ELNS1_3repE0EEENS1_30default_config_static_selectorELNS0_4arch9wavefront6targetE1EEEvT1_.num_vgpr, 0
	.set _ZN7rocprim17ROCPRIM_400000_NS6detail17trampoline_kernelINS0_14default_configENS1_20scan_config_selectorIN3c107complexIfEEEEZZNS1_9scan_implILNS1_25lookback_scan_determinismE0ELb0ELb0ES3_PKS7_PS7_S7_ZZZN2at6native31launch_logcumsumexp_cuda_kernelERKNSE_10TensorBaseESI_lENKUlvE_clEvENKUlvE2_clEvEUlS7_S7_E_S7_EEDaPvRmT3_T4_T5_mT6_P12ihipStream_tbENKUlT_T0_E_clISt17integral_constantIbLb1EESZ_EEDaSU_SV_EUlSU_E0_NS1_11comp_targetILNS1_3genE8ELNS1_11target_archE1030ELNS1_3gpuE2ELNS1_3repE0EEENS1_30default_config_static_selectorELNS0_4arch9wavefront6targetE1EEEvT1_.num_agpr, 0
	.set _ZN7rocprim17ROCPRIM_400000_NS6detail17trampoline_kernelINS0_14default_configENS1_20scan_config_selectorIN3c107complexIfEEEEZZNS1_9scan_implILNS1_25lookback_scan_determinismE0ELb0ELb0ES3_PKS7_PS7_S7_ZZZN2at6native31launch_logcumsumexp_cuda_kernelERKNSE_10TensorBaseESI_lENKUlvE_clEvENKUlvE2_clEvEUlS7_S7_E_S7_EEDaPvRmT3_T4_T5_mT6_P12ihipStream_tbENKUlT_T0_E_clISt17integral_constantIbLb1EESZ_EEDaSU_SV_EUlSU_E0_NS1_11comp_targetILNS1_3genE8ELNS1_11target_archE1030ELNS1_3gpuE2ELNS1_3repE0EEENS1_30default_config_static_selectorELNS0_4arch9wavefront6targetE1EEEvT1_.numbered_sgpr, 0
	.set _ZN7rocprim17ROCPRIM_400000_NS6detail17trampoline_kernelINS0_14default_configENS1_20scan_config_selectorIN3c107complexIfEEEEZZNS1_9scan_implILNS1_25lookback_scan_determinismE0ELb0ELb0ES3_PKS7_PS7_S7_ZZZN2at6native31launch_logcumsumexp_cuda_kernelERKNSE_10TensorBaseESI_lENKUlvE_clEvENKUlvE2_clEvEUlS7_S7_E_S7_EEDaPvRmT3_T4_T5_mT6_P12ihipStream_tbENKUlT_T0_E_clISt17integral_constantIbLb1EESZ_EEDaSU_SV_EUlSU_E0_NS1_11comp_targetILNS1_3genE8ELNS1_11target_archE1030ELNS1_3gpuE2ELNS1_3repE0EEENS1_30default_config_static_selectorELNS0_4arch9wavefront6targetE1EEEvT1_.num_named_barrier, 0
	.set _ZN7rocprim17ROCPRIM_400000_NS6detail17trampoline_kernelINS0_14default_configENS1_20scan_config_selectorIN3c107complexIfEEEEZZNS1_9scan_implILNS1_25lookback_scan_determinismE0ELb0ELb0ES3_PKS7_PS7_S7_ZZZN2at6native31launch_logcumsumexp_cuda_kernelERKNSE_10TensorBaseESI_lENKUlvE_clEvENKUlvE2_clEvEUlS7_S7_E_S7_EEDaPvRmT3_T4_T5_mT6_P12ihipStream_tbENKUlT_T0_E_clISt17integral_constantIbLb1EESZ_EEDaSU_SV_EUlSU_E0_NS1_11comp_targetILNS1_3genE8ELNS1_11target_archE1030ELNS1_3gpuE2ELNS1_3repE0EEENS1_30default_config_static_selectorELNS0_4arch9wavefront6targetE1EEEvT1_.private_seg_size, 0
	.set _ZN7rocprim17ROCPRIM_400000_NS6detail17trampoline_kernelINS0_14default_configENS1_20scan_config_selectorIN3c107complexIfEEEEZZNS1_9scan_implILNS1_25lookback_scan_determinismE0ELb0ELb0ES3_PKS7_PS7_S7_ZZZN2at6native31launch_logcumsumexp_cuda_kernelERKNSE_10TensorBaseESI_lENKUlvE_clEvENKUlvE2_clEvEUlS7_S7_E_S7_EEDaPvRmT3_T4_T5_mT6_P12ihipStream_tbENKUlT_T0_E_clISt17integral_constantIbLb1EESZ_EEDaSU_SV_EUlSU_E0_NS1_11comp_targetILNS1_3genE8ELNS1_11target_archE1030ELNS1_3gpuE2ELNS1_3repE0EEENS1_30default_config_static_selectorELNS0_4arch9wavefront6targetE1EEEvT1_.uses_vcc, 0
	.set _ZN7rocprim17ROCPRIM_400000_NS6detail17trampoline_kernelINS0_14default_configENS1_20scan_config_selectorIN3c107complexIfEEEEZZNS1_9scan_implILNS1_25lookback_scan_determinismE0ELb0ELb0ES3_PKS7_PS7_S7_ZZZN2at6native31launch_logcumsumexp_cuda_kernelERKNSE_10TensorBaseESI_lENKUlvE_clEvENKUlvE2_clEvEUlS7_S7_E_S7_EEDaPvRmT3_T4_T5_mT6_P12ihipStream_tbENKUlT_T0_E_clISt17integral_constantIbLb1EESZ_EEDaSU_SV_EUlSU_E0_NS1_11comp_targetILNS1_3genE8ELNS1_11target_archE1030ELNS1_3gpuE2ELNS1_3repE0EEENS1_30default_config_static_selectorELNS0_4arch9wavefront6targetE1EEEvT1_.uses_flat_scratch, 0
	.set _ZN7rocprim17ROCPRIM_400000_NS6detail17trampoline_kernelINS0_14default_configENS1_20scan_config_selectorIN3c107complexIfEEEEZZNS1_9scan_implILNS1_25lookback_scan_determinismE0ELb0ELb0ES3_PKS7_PS7_S7_ZZZN2at6native31launch_logcumsumexp_cuda_kernelERKNSE_10TensorBaseESI_lENKUlvE_clEvENKUlvE2_clEvEUlS7_S7_E_S7_EEDaPvRmT3_T4_T5_mT6_P12ihipStream_tbENKUlT_T0_E_clISt17integral_constantIbLb1EESZ_EEDaSU_SV_EUlSU_E0_NS1_11comp_targetILNS1_3genE8ELNS1_11target_archE1030ELNS1_3gpuE2ELNS1_3repE0EEENS1_30default_config_static_selectorELNS0_4arch9wavefront6targetE1EEEvT1_.has_dyn_sized_stack, 0
	.set _ZN7rocprim17ROCPRIM_400000_NS6detail17trampoline_kernelINS0_14default_configENS1_20scan_config_selectorIN3c107complexIfEEEEZZNS1_9scan_implILNS1_25lookback_scan_determinismE0ELb0ELb0ES3_PKS7_PS7_S7_ZZZN2at6native31launch_logcumsumexp_cuda_kernelERKNSE_10TensorBaseESI_lENKUlvE_clEvENKUlvE2_clEvEUlS7_S7_E_S7_EEDaPvRmT3_T4_T5_mT6_P12ihipStream_tbENKUlT_T0_E_clISt17integral_constantIbLb1EESZ_EEDaSU_SV_EUlSU_E0_NS1_11comp_targetILNS1_3genE8ELNS1_11target_archE1030ELNS1_3gpuE2ELNS1_3repE0EEENS1_30default_config_static_selectorELNS0_4arch9wavefront6targetE1EEEvT1_.has_recursion, 0
	.set _ZN7rocprim17ROCPRIM_400000_NS6detail17trampoline_kernelINS0_14default_configENS1_20scan_config_selectorIN3c107complexIfEEEEZZNS1_9scan_implILNS1_25lookback_scan_determinismE0ELb0ELb0ES3_PKS7_PS7_S7_ZZZN2at6native31launch_logcumsumexp_cuda_kernelERKNSE_10TensorBaseESI_lENKUlvE_clEvENKUlvE2_clEvEUlS7_S7_E_S7_EEDaPvRmT3_T4_T5_mT6_P12ihipStream_tbENKUlT_T0_E_clISt17integral_constantIbLb1EESZ_EEDaSU_SV_EUlSU_E0_NS1_11comp_targetILNS1_3genE8ELNS1_11target_archE1030ELNS1_3gpuE2ELNS1_3repE0EEENS1_30default_config_static_selectorELNS0_4arch9wavefront6targetE1EEEvT1_.has_indirect_call, 0
	.section	.AMDGPU.csdata,"",@progbits
; Kernel info:
; codeLenInByte = 0
; TotalNumSgprs: 6
; NumVgprs: 0
; NumAgprs: 0
; TotalNumVgprs: 0
; ScratchSize: 0
; MemoryBound: 0
; FloatMode: 240
; IeeeMode: 1
; LDSByteSize: 0 bytes/workgroup (compile time only)
; SGPRBlocks: 0
; VGPRBlocks: 0
; NumSGPRsForWavesPerEU: 6
; NumVGPRsForWavesPerEU: 1
; AccumOffset: 4
; Occupancy: 8
; WaveLimiterHint : 0
; COMPUTE_PGM_RSRC2:SCRATCH_EN: 0
; COMPUTE_PGM_RSRC2:USER_SGPR: 2
; COMPUTE_PGM_RSRC2:TRAP_HANDLER: 0
; COMPUTE_PGM_RSRC2:TGID_X_EN: 1
; COMPUTE_PGM_RSRC2:TGID_Y_EN: 0
; COMPUTE_PGM_RSRC2:TGID_Z_EN: 0
; COMPUTE_PGM_RSRC2:TIDIG_COMP_CNT: 0
; COMPUTE_PGM_RSRC3_GFX90A:ACCUM_OFFSET: 0
; COMPUTE_PGM_RSRC3_GFX90A:TG_SPLIT: 0
	.section	.text._ZN7rocprim17ROCPRIM_400000_NS6detail31init_lookback_scan_state_kernelINS1_19lookback_scan_stateIN3c107complexIfEELb1ELb1EEENS1_16block_id_wrapperIjLb0EEEEEvT_jT0_jPNSA_10value_typeE,"axG",@progbits,_ZN7rocprim17ROCPRIM_400000_NS6detail31init_lookback_scan_state_kernelINS1_19lookback_scan_stateIN3c107complexIfEELb1ELb1EEENS1_16block_id_wrapperIjLb0EEEEEvT_jT0_jPNSA_10value_typeE,comdat
	.protected	_ZN7rocprim17ROCPRIM_400000_NS6detail31init_lookback_scan_state_kernelINS1_19lookback_scan_stateIN3c107complexIfEELb1ELb1EEENS1_16block_id_wrapperIjLb0EEEEEvT_jT0_jPNSA_10value_typeE ; -- Begin function _ZN7rocprim17ROCPRIM_400000_NS6detail31init_lookback_scan_state_kernelINS1_19lookback_scan_stateIN3c107complexIfEELb1ELb1EEENS1_16block_id_wrapperIjLb0EEEEEvT_jT0_jPNSA_10value_typeE
	.globl	_ZN7rocprim17ROCPRIM_400000_NS6detail31init_lookback_scan_state_kernelINS1_19lookback_scan_stateIN3c107complexIfEELb1ELb1EEENS1_16block_id_wrapperIjLb0EEEEEvT_jT0_jPNSA_10value_typeE
	.p2align	8
	.type	_ZN7rocprim17ROCPRIM_400000_NS6detail31init_lookback_scan_state_kernelINS1_19lookback_scan_stateIN3c107complexIfEELb1ELb1EEENS1_16block_id_wrapperIjLb0EEEEEvT_jT0_jPNSA_10value_typeE,@function
_ZN7rocprim17ROCPRIM_400000_NS6detail31init_lookback_scan_state_kernelINS1_19lookback_scan_stateIN3c107complexIfEELb1ELb1EEENS1_16block_id_wrapperIjLb0EEEEEvT_jT0_jPNSA_10value_typeE: ; @_ZN7rocprim17ROCPRIM_400000_NS6detail31init_lookback_scan_state_kernelINS1_19lookback_scan_stateIN3c107complexIfEELb1ELb1EEENS1_16block_id_wrapperIjLb0EEEEEvT_jT0_jPNSA_10value_typeE
; %bb.0:
	s_load_dword s3, s[0:1], 0x2c
	s_load_dwordx2 s[6:7], s[0:1], 0x18
	s_load_dwordx2 s[4:5], s[0:1], 0x0
	s_load_dword s12, s[0:1], 0x8
	s_waitcnt lgkmcnt(0)
	s_and_b32 s3, s3, 0xffff
	s_mul_i32 s2, s2, s3
	s_cmp_eq_u64 s[6:7], 0
	v_add_u32_e32 v0, s2, v0
	s_cbranch_scc1 .LBB309_10
; %bb.1:
	s_load_dword s2, s[0:1], 0x10
	s_mov_b32 s3, 0
	s_waitcnt lgkmcnt(0)
	s_cmp_lt_u32 s2, s12
	s_cselect_b32 s0, s2, 0
	v_cmp_eq_u32_e32 vcc, s0, v0
	s_and_saveexec_b64 s[0:1], vcc
	s_cbranch_execz .LBB309_9
; %bb.2:
	s_add_i32 s2, s2, 64
	s_lshl_b64 s[2:3], s[2:3], 4
	s_add_u32 s10, s4, s2
	s_addc_u32 s11, s5, s3
	v_mov_b64_e32 v[2:3], s[10:11]
	;;#ASMSTART
	global_load_dwordx4 v[2:5], v[2:3] off sc1	
s_waitcnt vmcnt(0)
	;;#ASMEND
	v_mov_b32_e32 v7, 0
	v_and_b32_e32 v6, 0xff, v4
	s_mov_b64 s[8:9], 0
	v_cmp_eq_u64_e32 vcc, 0, v[6:7]
	s_and_saveexec_b64 s[2:3], vcc
	s_cbranch_execz .LBB309_8
; %bb.3:
	s_mov_b32 s13, 1
	v_mov_b64_e32 v[8:9], s[10:11]
.LBB309_4:                              ; =>This Loop Header: Depth=1
                                        ;     Child Loop BB309_5 Depth 2
	s_mov_b32 s10, s13
.LBB309_5:                              ;   Parent Loop BB309_4 Depth=1
                                        ; =>  This Inner Loop Header: Depth=2
	s_add_i32 s10, s10, -1
	s_cmp_eq_u32 s10, 0
	s_sleep 1
	s_cbranch_scc0 .LBB309_5
; %bb.6:                                ;   in Loop: Header=BB309_4 Depth=1
	s_cmp_lt_u32 s13, 32
	s_cselect_b64 s[10:11], -1, 0
	s_cmp_lg_u64 s[10:11], 0
	;;#ASMSTART
	global_load_dwordx4 v[2:5], v[8:9] off sc1	
s_waitcnt vmcnt(0)
	;;#ASMEND
	s_addc_u32 s13, s13, 0
	v_and_b32_e32 v6, 0xff, v4
	v_cmp_ne_u64_e32 vcc, 0, v[6:7]
	s_or_b64 s[8:9], vcc, s[8:9]
	s_andn2_b64 exec, exec, s[8:9]
	s_cbranch_execnz .LBB309_4
; %bb.7:
	s_or_b64 exec, exec, s[8:9]
.LBB309_8:
	s_or_b64 exec, exec, s[2:3]
	v_mov_b32_e32 v1, 0
	global_store_dwordx2 v1, v[2:3], s[6:7]
.LBB309_9:
	s_or_b64 exec, exec, s[0:1]
.LBB309_10:
	v_cmp_gt_u32_e32 vcc, s12, v0
	s_and_saveexec_b64 s[0:1], vcc
	s_cbranch_execnz .LBB309_13
; %bb.11:
	s_or_b64 exec, exec, s[0:1]
	v_cmp_gt_u32_e32 vcc, 64, v0
	s_and_saveexec_b64 s[0:1], vcc
	s_cbranch_execnz .LBB309_14
.LBB309_12:
	s_endpgm
.LBB309_13:
	v_add_u32_e32 v2, 64, v0
	v_mov_b32_e32 v3, 0
	v_lshl_add_u64 v[6:7], v[2:3], 4, s[4:5]
	v_mov_b32_e32 v2, v3
	v_mov_b32_e32 v4, v3
	v_mov_b32_e32 v5, v3
	global_store_dwordx4 v[6:7], v[2:5], off
	s_or_b64 exec, exec, s[0:1]
	v_cmp_gt_u32_e32 vcc, 64, v0
	s_and_saveexec_b64 s[0:1], vcc
	s_cbranch_execz .LBB309_12
.LBB309_14:
	v_mov_b32_e32 v1, 0
	v_lshl_add_u64 v[4:5], v[0:1], 4, s[4:5]
	v_mov_b32_e32 v2, 0xff
	v_mov_b32_e32 v0, v1
	v_mov_b32_e32 v3, v1
	global_store_dwordx4 v[4:5], v[0:3], off
	s_endpgm
	.section	.rodata,"a",@progbits
	.p2align	6, 0x0
	.amdhsa_kernel _ZN7rocprim17ROCPRIM_400000_NS6detail31init_lookback_scan_state_kernelINS1_19lookback_scan_stateIN3c107complexIfEELb1ELb1EEENS1_16block_id_wrapperIjLb0EEEEEvT_jT0_jPNSA_10value_typeE
		.amdhsa_group_segment_fixed_size 0
		.amdhsa_private_segment_fixed_size 0
		.amdhsa_kernarg_size 288
		.amdhsa_user_sgpr_count 2
		.amdhsa_user_sgpr_dispatch_ptr 0
		.amdhsa_user_sgpr_queue_ptr 0
		.amdhsa_user_sgpr_kernarg_segment_ptr 1
		.amdhsa_user_sgpr_dispatch_id 0
		.amdhsa_user_sgpr_kernarg_preload_length 0
		.amdhsa_user_sgpr_kernarg_preload_offset 0
		.amdhsa_user_sgpr_private_segment_size 0
		.amdhsa_uses_dynamic_stack 0
		.amdhsa_enable_private_segment 0
		.amdhsa_system_sgpr_workgroup_id_x 1
		.amdhsa_system_sgpr_workgroup_id_y 0
		.amdhsa_system_sgpr_workgroup_id_z 0
		.amdhsa_system_sgpr_workgroup_info 0
		.amdhsa_system_vgpr_workitem_id 0
		.amdhsa_next_free_vgpr 10
		.amdhsa_next_free_sgpr 14
		.amdhsa_accum_offset 12
		.amdhsa_reserve_vcc 1
		.amdhsa_float_round_mode_32 0
		.amdhsa_float_round_mode_16_64 0
		.amdhsa_float_denorm_mode_32 3
		.amdhsa_float_denorm_mode_16_64 3
		.amdhsa_dx10_clamp 1
		.amdhsa_ieee_mode 1
		.amdhsa_fp16_overflow 0
		.amdhsa_tg_split 0
		.amdhsa_exception_fp_ieee_invalid_op 0
		.amdhsa_exception_fp_denorm_src 0
		.amdhsa_exception_fp_ieee_div_zero 0
		.amdhsa_exception_fp_ieee_overflow 0
		.amdhsa_exception_fp_ieee_underflow 0
		.amdhsa_exception_fp_ieee_inexact 0
		.amdhsa_exception_int_div_zero 0
	.end_amdhsa_kernel
	.section	.text._ZN7rocprim17ROCPRIM_400000_NS6detail31init_lookback_scan_state_kernelINS1_19lookback_scan_stateIN3c107complexIfEELb1ELb1EEENS1_16block_id_wrapperIjLb0EEEEEvT_jT0_jPNSA_10value_typeE,"axG",@progbits,_ZN7rocprim17ROCPRIM_400000_NS6detail31init_lookback_scan_state_kernelINS1_19lookback_scan_stateIN3c107complexIfEELb1ELb1EEENS1_16block_id_wrapperIjLb0EEEEEvT_jT0_jPNSA_10value_typeE,comdat
.Lfunc_end309:
	.size	_ZN7rocprim17ROCPRIM_400000_NS6detail31init_lookback_scan_state_kernelINS1_19lookback_scan_stateIN3c107complexIfEELb1ELb1EEENS1_16block_id_wrapperIjLb0EEEEEvT_jT0_jPNSA_10value_typeE, .Lfunc_end309-_ZN7rocprim17ROCPRIM_400000_NS6detail31init_lookback_scan_state_kernelINS1_19lookback_scan_stateIN3c107complexIfEELb1ELb1EEENS1_16block_id_wrapperIjLb0EEEEEvT_jT0_jPNSA_10value_typeE
                                        ; -- End function
	.set _ZN7rocprim17ROCPRIM_400000_NS6detail31init_lookback_scan_state_kernelINS1_19lookback_scan_stateIN3c107complexIfEELb1ELb1EEENS1_16block_id_wrapperIjLb0EEEEEvT_jT0_jPNSA_10value_typeE.num_vgpr, 10
	.set _ZN7rocprim17ROCPRIM_400000_NS6detail31init_lookback_scan_state_kernelINS1_19lookback_scan_stateIN3c107complexIfEELb1ELb1EEENS1_16block_id_wrapperIjLb0EEEEEvT_jT0_jPNSA_10value_typeE.num_agpr, 0
	.set _ZN7rocprim17ROCPRIM_400000_NS6detail31init_lookback_scan_state_kernelINS1_19lookback_scan_stateIN3c107complexIfEELb1ELb1EEENS1_16block_id_wrapperIjLb0EEEEEvT_jT0_jPNSA_10value_typeE.numbered_sgpr, 14
	.set _ZN7rocprim17ROCPRIM_400000_NS6detail31init_lookback_scan_state_kernelINS1_19lookback_scan_stateIN3c107complexIfEELb1ELb1EEENS1_16block_id_wrapperIjLb0EEEEEvT_jT0_jPNSA_10value_typeE.num_named_barrier, 0
	.set _ZN7rocprim17ROCPRIM_400000_NS6detail31init_lookback_scan_state_kernelINS1_19lookback_scan_stateIN3c107complexIfEELb1ELb1EEENS1_16block_id_wrapperIjLb0EEEEEvT_jT0_jPNSA_10value_typeE.private_seg_size, 0
	.set _ZN7rocprim17ROCPRIM_400000_NS6detail31init_lookback_scan_state_kernelINS1_19lookback_scan_stateIN3c107complexIfEELb1ELb1EEENS1_16block_id_wrapperIjLb0EEEEEvT_jT0_jPNSA_10value_typeE.uses_vcc, 1
	.set _ZN7rocprim17ROCPRIM_400000_NS6detail31init_lookback_scan_state_kernelINS1_19lookback_scan_stateIN3c107complexIfEELb1ELb1EEENS1_16block_id_wrapperIjLb0EEEEEvT_jT0_jPNSA_10value_typeE.uses_flat_scratch, 0
	.set _ZN7rocprim17ROCPRIM_400000_NS6detail31init_lookback_scan_state_kernelINS1_19lookback_scan_stateIN3c107complexIfEELb1ELb1EEENS1_16block_id_wrapperIjLb0EEEEEvT_jT0_jPNSA_10value_typeE.has_dyn_sized_stack, 0
	.set _ZN7rocprim17ROCPRIM_400000_NS6detail31init_lookback_scan_state_kernelINS1_19lookback_scan_stateIN3c107complexIfEELb1ELb1EEENS1_16block_id_wrapperIjLb0EEEEEvT_jT0_jPNSA_10value_typeE.has_recursion, 0
	.set _ZN7rocprim17ROCPRIM_400000_NS6detail31init_lookback_scan_state_kernelINS1_19lookback_scan_stateIN3c107complexIfEELb1ELb1EEENS1_16block_id_wrapperIjLb0EEEEEvT_jT0_jPNSA_10value_typeE.has_indirect_call, 0
	.section	.AMDGPU.csdata,"",@progbits
; Kernel info:
; codeLenInByte = 424
; TotalNumSgprs: 20
; NumVgprs: 10
; NumAgprs: 0
; TotalNumVgprs: 10
; ScratchSize: 0
; MemoryBound: 0
; FloatMode: 240
; IeeeMode: 1
; LDSByteSize: 0 bytes/workgroup (compile time only)
; SGPRBlocks: 2
; VGPRBlocks: 1
; NumSGPRsForWavesPerEU: 20
; NumVGPRsForWavesPerEU: 10
; AccumOffset: 12
; Occupancy: 8
; WaveLimiterHint : 0
; COMPUTE_PGM_RSRC2:SCRATCH_EN: 0
; COMPUTE_PGM_RSRC2:USER_SGPR: 2
; COMPUTE_PGM_RSRC2:TRAP_HANDLER: 0
; COMPUTE_PGM_RSRC2:TGID_X_EN: 1
; COMPUTE_PGM_RSRC2:TGID_Y_EN: 0
; COMPUTE_PGM_RSRC2:TGID_Z_EN: 0
; COMPUTE_PGM_RSRC2:TIDIG_COMP_CNT: 0
; COMPUTE_PGM_RSRC3_GFX90A:ACCUM_OFFSET: 2
; COMPUTE_PGM_RSRC3_GFX90A:TG_SPLIT: 0
	.section	.text._ZN7rocprim17ROCPRIM_400000_NS6detail17trampoline_kernelINS0_14default_configENS1_20scan_config_selectorIN3c107complexIfEEEEZZNS1_9scan_implILNS1_25lookback_scan_determinismE0ELb0ELb0ES3_PKS7_PS7_S7_ZZZN2at6native31launch_logcumsumexp_cuda_kernelERKNSE_10TensorBaseESI_lENKUlvE_clEvENKUlvE2_clEvEUlS7_S7_E_S7_EEDaPvRmT3_T4_T5_mT6_P12ihipStream_tbENKUlT_T0_E_clISt17integral_constantIbLb1EESY_IbLb0EEEEDaSU_SV_EUlSU_E_NS1_11comp_targetILNS1_3genE0ELNS1_11target_archE4294967295ELNS1_3gpuE0ELNS1_3repE0EEENS1_30default_config_static_selectorELNS0_4arch9wavefront6targetE1EEEvT1_,"axG",@progbits,_ZN7rocprim17ROCPRIM_400000_NS6detail17trampoline_kernelINS0_14default_configENS1_20scan_config_selectorIN3c107complexIfEEEEZZNS1_9scan_implILNS1_25lookback_scan_determinismE0ELb0ELb0ES3_PKS7_PS7_S7_ZZZN2at6native31launch_logcumsumexp_cuda_kernelERKNSE_10TensorBaseESI_lENKUlvE_clEvENKUlvE2_clEvEUlS7_S7_E_S7_EEDaPvRmT3_T4_T5_mT6_P12ihipStream_tbENKUlT_T0_E_clISt17integral_constantIbLb1EESY_IbLb0EEEEDaSU_SV_EUlSU_E_NS1_11comp_targetILNS1_3genE0ELNS1_11target_archE4294967295ELNS1_3gpuE0ELNS1_3repE0EEENS1_30default_config_static_selectorELNS0_4arch9wavefront6targetE1EEEvT1_,comdat
	.globl	_ZN7rocprim17ROCPRIM_400000_NS6detail17trampoline_kernelINS0_14default_configENS1_20scan_config_selectorIN3c107complexIfEEEEZZNS1_9scan_implILNS1_25lookback_scan_determinismE0ELb0ELb0ES3_PKS7_PS7_S7_ZZZN2at6native31launch_logcumsumexp_cuda_kernelERKNSE_10TensorBaseESI_lENKUlvE_clEvENKUlvE2_clEvEUlS7_S7_E_S7_EEDaPvRmT3_T4_T5_mT6_P12ihipStream_tbENKUlT_T0_E_clISt17integral_constantIbLb1EESY_IbLb0EEEEDaSU_SV_EUlSU_E_NS1_11comp_targetILNS1_3genE0ELNS1_11target_archE4294967295ELNS1_3gpuE0ELNS1_3repE0EEENS1_30default_config_static_selectorELNS0_4arch9wavefront6targetE1EEEvT1_ ; -- Begin function _ZN7rocprim17ROCPRIM_400000_NS6detail17trampoline_kernelINS0_14default_configENS1_20scan_config_selectorIN3c107complexIfEEEEZZNS1_9scan_implILNS1_25lookback_scan_determinismE0ELb0ELb0ES3_PKS7_PS7_S7_ZZZN2at6native31launch_logcumsumexp_cuda_kernelERKNSE_10TensorBaseESI_lENKUlvE_clEvENKUlvE2_clEvEUlS7_S7_E_S7_EEDaPvRmT3_T4_T5_mT6_P12ihipStream_tbENKUlT_T0_E_clISt17integral_constantIbLb1EESY_IbLb0EEEEDaSU_SV_EUlSU_E_NS1_11comp_targetILNS1_3genE0ELNS1_11target_archE4294967295ELNS1_3gpuE0ELNS1_3repE0EEENS1_30default_config_static_selectorELNS0_4arch9wavefront6targetE1EEEvT1_
	.p2align	8
	.type	_ZN7rocprim17ROCPRIM_400000_NS6detail17trampoline_kernelINS0_14default_configENS1_20scan_config_selectorIN3c107complexIfEEEEZZNS1_9scan_implILNS1_25lookback_scan_determinismE0ELb0ELb0ES3_PKS7_PS7_S7_ZZZN2at6native31launch_logcumsumexp_cuda_kernelERKNSE_10TensorBaseESI_lENKUlvE_clEvENKUlvE2_clEvEUlS7_S7_E_S7_EEDaPvRmT3_T4_T5_mT6_P12ihipStream_tbENKUlT_T0_E_clISt17integral_constantIbLb1EESY_IbLb0EEEEDaSU_SV_EUlSU_E_NS1_11comp_targetILNS1_3genE0ELNS1_11target_archE4294967295ELNS1_3gpuE0ELNS1_3repE0EEENS1_30default_config_static_selectorELNS0_4arch9wavefront6targetE1EEEvT1_,@function
_ZN7rocprim17ROCPRIM_400000_NS6detail17trampoline_kernelINS0_14default_configENS1_20scan_config_selectorIN3c107complexIfEEEEZZNS1_9scan_implILNS1_25lookback_scan_determinismE0ELb0ELb0ES3_PKS7_PS7_S7_ZZZN2at6native31launch_logcumsumexp_cuda_kernelERKNSE_10TensorBaseESI_lENKUlvE_clEvENKUlvE2_clEvEUlS7_S7_E_S7_EEDaPvRmT3_T4_T5_mT6_P12ihipStream_tbENKUlT_T0_E_clISt17integral_constantIbLb1EESY_IbLb0EEEEDaSU_SV_EUlSU_E_NS1_11comp_targetILNS1_3genE0ELNS1_11target_archE4294967295ELNS1_3gpuE0ELNS1_3repE0EEENS1_30default_config_static_selectorELNS0_4arch9wavefront6targetE1EEEvT1_: ; @_ZN7rocprim17ROCPRIM_400000_NS6detail17trampoline_kernelINS0_14default_configENS1_20scan_config_selectorIN3c107complexIfEEEEZZNS1_9scan_implILNS1_25lookback_scan_determinismE0ELb0ELb0ES3_PKS7_PS7_S7_ZZZN2at6native31launch_logcumsumexp_cuda_kernelERKNSE_10TensorBaseESI_lENKUlvE_clEvENKUlvE2_clEvEUlS7_S7_E_S7_EEDaPvRmT3_T4_T5_mT6_P12ihipStream_tbENKUlT_T0_E_clISt17integral_constantIbLb1EESY_IbLb0EEEEDaSU_SV_EUlSU_E_NS1_11comp_targetILNS1_3genE0ELNS1_11target_archE4294967295ELNS1_3gpuE0ELNS1_3repE0EEENS1_30default_config_static_selectorELNS0_4arch9wavefront6targetE1EEEvT1_
; %bb.0:
	s_endpgm
	.section	.rodata,"a",@progbits
	.p2align	6, 0x0
	.amdhsa_kernel _ZN7rocprim17ROCPRIM_400000_NS6detail17trampoline_kernelINS0_14default_configENS1_20scan_config_selectorIN3c107complexIfEEEEZZNS1_9scan_implILNS1_25lookback_scan_determinismE0ELb0ELb0ES3_PKS7_PS7_S7_ZZZN2at6native31launch_logcumsumexp_cuda_kernelERKNSE_10TensorBaseESI_lENKUlvE_clEvENKUlvE2_clEvEUlS7_S7_E_S7_EEDaPvRmT3_T4_T5_mT6_P12ihipStream_tbENKUlT_T0_E_clISt17integral_constantIbLb1EESY_IbLb0EEEEDaSU_SV_EUlSU_E_NS1_11comp_targetILNS1_3genE0ELNS1_11target_archE4294967295ELNS1_3gpuE0ELNS1_3repE0EEENS1_30default_config_static_selectorELNS0_4arch9wavefront6targetE1EEEvT1_
		.amdhsa_group_segment_fixed_size 0
		.amdhsa_private_segment_fixed_size 0
		.amdhsa_kernarg_size 104
		.amdhsa_user_sgpr_count 2
		.amdhsa_user_sgpr_dispatch_ptr 0
		.amdhsa_user_sgpr_queue_ptr 0
		.amdhsa_user_sgpr_kernarg_segment_ptr 1
		.amdhsa_user_sgpr_dispatch_id 0
		.amdhsa_user_sgpr_kernarg_preload_length 0
		.amdhsa_user_sgpr_kernarg_preload_offset 0
		.amdhsa_user_sgpr_private_segment_size 0
		.amdhsa_uses_dynamic_stack 0
		.amdhsa_enable_private_segment 0
		.amdhsa_system_sgpr_workgroup_id_x 1
		.amdhsa_system_sgpr_workgroup_id_y 0
		.amdhsa_system_sgpr_workgroup_id_z 0
		.amdhsa_system_sgpr_workgroup_info 0
		.amdhsa_system_vgpr_workitem_id 0
		.amdhsa_next_free_vgpr 1
		.amdhsa_next_free_sgpr 0
		.amdhsa_accum_offset 4
		.amdhsa_reserve_vcc 0
		.amdhsa_float_round_mode_32 0
		.amdhsa_float_round_mode_16_64 0
		.amdhsa_float_denorm_mode_32 3
		.amdhsa_float_denorm_mode_16_64 3
		.amdhsa_dx10_clamp 1
		.amdhsa_ieee_mode 1
		.amdhsa_fp16_overflow 0
		.amdhsa_tg_split 0
		.amdhsa_exception_fp_ieee_invalid_op 0
		.amdhsa_exception_fp_denorm_src 0
		.amdhsa_exception_fp_ieee_div_zero 0
		.amdhsa_exception_fp_ieee_overflow 0
		.amdhsa_exception_fp_ieee_underflow 0
		.amdhsa_exception_fp_ieee_inexact 0
		.amdhsa_exception_int_div_zero 0
	.end_amdhsa_kernel
	.section	.text._ZN7rocprim17ROCPRIM_400000_NS6detail17trampoline_kernelINS0_14default_configENS1_20scan_config_selectorIN3c107complexIfEEEEZZNS1_9scan_implILNS1_25lookback_scan_determinismE0ELb0ELb0ES3_PKS7_PS7_S7_ZZZN2at6native31launch_logcumsumexp_cuda_kernelERKNSE_10TensorBaseESI_lENKUlvE_clEvENKUlvE2_clEvEUlS7_S7_E_S7_EEDaPvRmT3_T4_T5_mT6_P12ihipStream_tbENKUlT_T0_E_clISt17integral_constantIbLb1EESY_IbLb0EEEEDaSU_SV_EUlSU_E_NS1_11comp_targetILNS1_3genE0ELNS1_11target_archE4294967295ELNS1_3gpuE0ELNS1_3repE0EEENS1_30default_config_static_selectorELNS0_4arch9wavefront6targetE1EEEvT1_,"axG",@progbits,_ZN7rocprim17ROCPRIM_400000_NS6detail17trampoline_kernelINS0_14default_configENS1_20scan_config_selectorIN3c107complexIfEEEEZZNS1_9scan_implILNS1_25lookback_scan_determinismE0ELb0ELb0ES3_PKS7_PS7_S7_ZZZN2at6native31launch_logcumsumexp_cuda_kernelERKNSE_10TensorBaseESI_lENKUlvE_clEvENKUlvE2_clEvEUlS7_S7_E_S7_EEDaPvRmT3_T4_T5_mT6_P12ihipStream_tbENKUlT_T0_E_clISt17integral_constantIbLb1EESY_IbLb0EEEEDaSU_SV_EUlSU_E_NS1_11comp_targetILNS1_3genE0ELNS1_11target_archE4294967295ELNS1_3gpuE0ELNS1_3repE0EEENS1_30default_config_static_selectorELNS0_4arch9wavefront6targetE1EEEvT1_,comdat
.Lfunc_end310:
	.size	_ZN7rocprim17ROCPRIM_400000_NS6detail17trampoline_kernelINS0_14default_configENS1_20scan_config_selectorIN3c107complexIfEEEEZZNS1_9scan_implILNS1_25lookback_scan_determinismE0ELb0ELb0ES3_PKS7_PS7_S7_ZZZN2at6native31launch_logcumsumexp_cuda_kernelERKNSE_10TensorBaseESI_lENKUlvE_clEvENKUlvE2_clEvEUlS7_S7_E_S7_EEDaPvRmT3_T4_T5_mT6_P12ihipStream_tbENKUlT_T0_E_clISt17integral_constantIbLb1EESY_IbLb0EEEEDaSU_SV_EUlSU_E_NS1_11comp_targetILNS1_3genE0ELNS1_11target_archE4294967295ELNS1_3gpuE0ELNS1_3repE0EEENS1_30default_config_static_selectorELNS0_4arch9wavefront6targetE1EEEvT1_, .Lfunc_end310-_ZN7rocprim17ROCPRIM_400000_NS6detail17trampoline_kernelINS0_14default_configENS1_20scan_config_selectorIN3c107complexIfEEEEZZNS1_9scan_implILNS1_25lookback_scan_determinismE0ELb0ELb0ES3_PKS7_PS7_S7_ZZZN2at6native31launch_logcumsumexp_cuda_kernelERKNSE_10TensorBaseESI_lENKUlvE_clEvENKUlvE2_clEvEUlS7_S7_E_S7_EEDaPvRmT3_T4_T5_mT6_P12ihipStream_tbENKUlT_T0_E_clISt17integral_constantIbLb1EESY_IbLb0EEEEDaSU_SV_EUlSU_E_NS1_11comp_targetILNS1_3genE0ELNS1_11target_archE4294967295ELNS1_3gpuE0ELNS1_3repE0EEENS1_30default_config_static_selectorELNS0_4arch9wavefront6targetE1EEEvT1_
                                        ; -- End function
	.set _ZN7rocprim17ROCPRIM_400000_NS6detail17trampoline_kernelINS0_14default_configENS1_20scan_config_selectorIN3c107complexIfEEEEZZNS1_9scan_implILNS1_25lookback_scan_determinismE0ELb0ELb0ES3_PKS7_PS7_S7_ZZZN2at6native31launch_logcumsumexp_cuda_kernelERKNSE_10TensorBaseESI_lENKUlvE_clEvENKUlvE2_clEvEUlS7_S7_E_S7_EEDaPvRmT3_T4_T5_mT6_P12ihipStream_tbENKUlT_T0_E_clISt17integral_constantIbLb1EESY_IbLb0EEEEDaSU_SV_EUlSU_E_NS1_11comp_targetILNS1_3genE0ELNS1_11target_archE4294967295ELNS1_3gpuE0ELNS1_3repE0EEENS1_30default_config_static_selectorELNS0_4arch9wavefront6targetE1EEEvT1_.num_vgpr, 0
	.set _ZN7rocprim17ROCPRIM_400000_NS6detail17trampoline_kernelINS0_14default_configENS1_20scan_config_selectorIN3c107complexIfEEEEZZNS1_9scan_implILNS1_25lookback_scan_determinismE0ELb0ELb0ES3_PKS7_PS7_S7_ZZZN2at6native31launch_logcumsumexp_cuda_kernelERKNSE_10TensorBaseESI_lENKUlvE_clEvENKUlvE2_clEvEUlS7_S7_E_S7_EEDaPvRmT3_T4_T5_mT6_P12ihipStream_tbENKUlT_T0_E_clISt17integral_constantIbLb1EESY_IbLb0EEEEDaSU_SV_EUlSU_E_NS1_11comp_targetILNS1_3genE0ELNS1_11target_archE4294967295ELNS1_3gpuE0ELNS1_3repE0EEENS1_30default_config_static_selectorELNS0_4arch9wavefront6targetE1EEEvT1_.num_agpr, 0
	.set _ZN7rocprim17ROCPRIM_400000_NS6detail17trampoline_kernelINS0_14default_configENS1_20scan_config_selectorIN3c107complexIfEEEEZZNS1_9scan_implILNS1_25lookback_scan_determinismE0ELb0ELb0ES3_PKS7_PS7_S7_ZZZN2at6native31launch_logcumsumexp_cuda_kernelERKNSE_10TensorBaseESI_lENKUlvE_clEvENKUlvE2_clEvEUlS7_S7_E_S7_EEDaPvRmT3_T4_T5_mT6_P12ihipStream_tbENKUlT_T0_E_clISt17integral_constantIbLb1EESY_IbLb0EEEEDaSU_SV_EUlSU_E_NS1_11comp_targetILNS1_3genE0ELNS1_11target_archE4294967295ELNS1_3gpuE0ELNS1_3repE0EEENS1_30default_config_static_selectorELNS0_4arch9wavefront6targetE1EEEvT1_.numbered_sgpr, 0
	.set _ZN7rocprim17ROCPRIM_400000_NS6detail17trampoline_kernelINS0_14default_configENS1_20scan_config_selectorIN3c107complexIfEEEEZZNS1_9scan_implILNS1_25lookback_scan_determinismE0ELb0ELb0ES3_PKS7_PS7_S7_ZZZN2at6native31launch_logcumsumexp_cuda_kernelERKNSE_10TensorBaseESI_lENKUlvE_clEvENKUlvE2_clEvEUlS7_S7_E_S7_EEDaPvRmT3_T4_T5_mT6_P12ihipStream_tbENKUlT_T0_E_clISt17integral_constantIbLb1EESY_IbLb0EEEEDaSU_SV_EUlSU_E_NS1_11comp_targetILNS1_3genE0ELNS1_11target_archE4294967295ELNS1_3gpuE0ELNS1_3repE0EEENS1_30default_config_static_selectorELNS0_4arch9wavefront6targetE1EEEvT1_.num_named_barrier, 0
	.set _ZN7rocprim17ROCPRIM_400000_NS6detail17trampoline_kernelINS0_14default_configENS1_20scan_config_selectorIN3c107complexIfEEEEZZNS1_9scan_implILNS1_25lookback_scan_determinismE0ELb0ELb0ES3_PKS7_PS7_S7_ZZZN2at6native31launch_logcumsumexp_cuda_kernelERKNSE_10TensorBaseESI_lENKUlvE_clEvENKUlvE2_clEvEUlS7_S7_E_S7_EEDaPvRmT3_T4_T5_mT6_P12ihipStream_tbENKUlT_T0_E_clISt17integral_constantIbLb1EESY_IbLb0EEEEDaSU_SV_EUlSU_E_NS1_11comp_targetILNS1_3genE0ELNS1_11target_archE4294967295ELNS1_3gpuE0ELNS1_3repE0EEENS1_30default_config_static_selectorELNS0_4arch9wavefront6targetE1EEEvT1_.private_seg_size, 0
	.set _ZN7rocprim17ROCPRIM_400000_NS6detail17trampoline_kernelINS0_14default_configENS1_20scan_config_selectorIN3c107complexIfEEEEZZNS1_9scan_implILNS1_25lookback_scan_determinismE0ELb0ELb0ES3_PKS7_PS7_S7_ZZZN2at6native31launch_logcumsumexp_cuda_kernelERKNSE_10TensorBaseESI_lENKUlvE_clEvENKUlvE2_clEvEUlS7_S7_E_S7_EEDaPvRmT3_T4_T5_mT6_P12ihipStream_tbENKUlT_T0_E_clISt17integral_constantIbLb1EESY_IbLb0EEEEDaSU_SV_EUlSU_E_NS1_11comp_targetILNS1_3genE0ELNS1_11target_archE4294967295ELNS1_3gpuE0ELNS1_3repE0EEENS1_30default_config_static_selectorELNS0_4arch9wavefront6targetE1EEEvT1_.uses_vcc, 0
	.set _ZN7rocprim17ROCPRIM_400000_NS6detail17trampoline_kernelINS0_14default_configENS1_20scan_config_selectorIN3c107complexIfEEEEZZNS1_9scan_implILNS1_25lookback_scan_determinismE0ELb0ELb0ES3_PKS7_PS7_S7_ZZZN2at6native31launch_logcumsumexp_cuda_kernelERKNSE_10TensorBaseESI_lENKUlvE_clEvENKUlvE2_clEvEUlS7_S7_E_S7_EEDaPvRmT3_T4_T5_mT6_P12ihipStream_tbENKUlT_T0_E_clISt17integral_constantIbLb1EESY_IbLb0EEEEDaSU_SV_EUlSU_E_NS1_11comp_targetILNS1_3genE0ELNS1_11target_archE4294967295ELNS1_3gpuE0ELNS1_3repE0EEENS1_30default_config_static_selectorELNS0_4arch9wavefront6targetE1EEEvT1_.uses_flat_scratch, 0
	.set _ZN7rocprim17ROCPRIM_400000_NS6detail17trampoline_kernelINS0_14default_configENS1_20scan_config_selectorIN3c107complexIfEEEEZZNS1_9scan_implILNS1_25lookback_scan_determinismE0ELb0ELb0ES3_PKS7_PS7_S7_ZZZN2at6native31launch_logcumsumexp_cuda_kernelERKNSE_10TensorBaseESI_lENKUlvE_clEvENKUlvE2_clEvEUlS7_S7_E_S7_EEDaPvRmT3_T4_T5_mT6_P12ihipStream_tbENKUlT_T0_E_clISt17integral_constantIbLb1EESY_IbLb0EEEEDaSU_SV_EUlSU_E_NS1_11comp_targetILNS1_3genE0ELNS1_11target_archE4294967295ELNS1_3gpuE0ELNS1_3repE0EEENS1_30default_config_static_selectorELNS0_4arch9wavefront6targetE1EEEvT1_.has_dyn_sized_stack, 0
	.set _ZN7rocprim17ROCPRIM_400000_NS6detail17trampoline_kernelINS0_14default_configENS1_20scan_config_selectorIN3c107complexIfEEEEZZNS1_9scan_implILNS1_25lookback_scan_determinismE0ELb0ELb0ES3_PKS7_PS7_S7_ZZZN2at6native31launch_logcumsumexp_cuda_kernelERKNSE_10TensorBaseESI_lENKUlvE_clEvENKUlvE2_clEvEUlS7_S7_E_S7_EEDaPvRmT3_T4_T5_mT6_P12ihipStream_tbENKUlT_T0_E_clISt17integral_constantIbLb1EESY_IbLb0EEEEDaSU_SV_EUlSU_E_NS1_11comp_targetILNS1_3genE0ELNS1_11target_archE4294967295ELNS1_3gpuE0ELNS1_3repE0EEENS1_30default_config_static_selectorELNS0_4arch9wavefront6targetE1EEEvT1_.has_recursion, 0
	.set _ZN7rocprim17ROCPRIM_400000_NS6detail17trampoline_kernelINS0_14default_configENS1_20scan_config_selectorIN3c107complexIfEEEEZZNS1_9scan_implILNS1_25lookback_scan_determinismE0ELb0ELb0ES3_PKS7_PS7_S7_ZZZN2at6native31launch_logcumsumexp_cuda_kernelERKNSE_10TensorBaseESI_lENKUlvE_clEvENKUlvE2_clEvEUlS7_S7_E_S7_EEDaPvRmT3_T4_T5_mT6_P12ihipStream_tbENKUlT_T0_E_clISt17integral_constantIbLb1EESY_IbLb0EEEEDaSU_SV_EUlSU_E_NS1_11comp_targetILNS1_3genE0ELNS1_11target_archE4294967295ELNS1_3gpuE0ELNS1_3repE0EEENS1_30default_config_static_selectorELNS0_4arch9wavefront6targetE1EEEvT1_.has_indirect_call, 0
	.section	.AMDGPU.csdata,"",@progbits
; Kernel info:
; codeLenInByte = 4
; TotalNumSgprs: 6
; NumVgprs: 0
; NumAgprs: 0
; TotalNumVgprs: 0
; ScratchSize: 0
; MemoryBound: 0
; FloatMode: 240
; IeeeMode: 1
; LDSByteSize: 0 bytes/workgroup (compile time only)
; SGPRBlocks: 0
; VGPRBlocks: 0
; NumSGPRsForWavesPerEU: 6
; NumVGPRsForWavesPerEU: 1
; AccumOffset: 4
; Occupancy: 8
; WaveLimiterHint : 0
; COMPUTE_PGM_RSRC2:SCRATCH_EN: 0
; COMPUTE_PGM_RSRC2:USER_SGPR: 2
; COMPUTE_PGM_RSRC2:TRAP_HANDLER: 0
; COMPUTE_PGM_RSRC2:TGID_X_EN: 1
; COMPUTE_PGM_RSRC2:TGID_Y_EN: 0
; COMPUTE_PGM_RSRC2:TGID_Z_EN: 0
; COMPUTE_PGM_RSRC2:TIDIG_COMP_CNT: 0
; COMPUTE_PGM_RSRC3_GFX90A:ACCUM_OFFSET: 0
; COMPUTE_PGM_RSRC3_GFX90A:TG_SPLIT: 0
	.section	.text._ZN7rocprim17ROCPRIM_400000_NS6detail17trampoline_kernelINS0_14default_configENS1_20scan_config_selectorIN3c107complexIfEEEEZZNS1_9scan_implILNS1_25lookback_scan_determinismE0ELb0ELb0ES3_PKS7_PS7_S7_ZZZN2at6native31launch_logcumsumexp_cuda_kernelERKNSE_10TensorBaseESI_lENKUlvE_clEvENKUlvE2_clEvEUlS7_S7_E_S7_EEDaPvRmT3_T4_T5_mT6_P12ihipStream_tbENKUlT_T0_E_clISt17integral_constantIbLb1EESY_IbLb0EEEEDaSU_SV_EUlSU_E_NS1_11comp_targetILNS1_3genE5ELNS1_11target_archE942ELNS1_3gpuE9ELNS1_3repE0EEENS1_30default_config_static_selectorELNS0_4arch9wavefront6targetE1EEEvT1_,"axG",@progbits,_ZN7rocprim17ROCPRIM_400000_NS6detail17trampoline_kernelINS0_14default_configENS1_20scan_config_selectorIN3c107complexIfEEEEZZNS1_9scan_implILNS1_25lookback_scan_determinismE0ELb0ELb0ES3_PKS7_PS7_S7_ZZZN2at6native31launch_logcumsumexp_cuda_kernelERKNSE_10TensorBaseESI_lENKUlvE_clEvENKUlvE2_clEvEUlS7_S7_E_S7_EEDaPvRmT3_T4_T5_mT6_P12ihipStream_tbENKUlT_T0_E_clISt17integral_constantIbLb1EESY_IbLb0EEEEDaSU_SV_EUlSU_E_NS1_11comp_targetILNS1_3genE5ELNS1_11target_archE942ELNS1_3gpuE9ELNS1_3repE0EEENS1_30default_config_static_selectorELNS0_4arch9wavefront6targetE1EEEvT1_,comdat
	.globl	_ZN7rocprim17ROCPRIM_400000_NS6detail17trampoline_kernelINS0_14default_configENS1_20scan_config_selectorIN3c107complexIfEEEEZZNS1_9scan_implILNS1_25lookback_scan_determinismE0ELb0ELb0ES3_PKS7_PS7_S7_ZZZN2at6native31launch_logcumsumexp_cuda_kernelERKNSE_10TensorBaseESI_lENKUlvE_clEvENKUlvE2_clEvEUlS7_S7_E_S7_EEDaPvRmT3_T4_T5_mT6_P12ihipStream_tbENKUlT_T0_E_clISt17integral_constantIbLb1EESY_IbLb0EEEEDaSU_SV_EUlSU_E_NS1_11comp_targetILNS1_3genE5ELNS1_11target_archE942ELNS1_3gpuE9ELNS1_3repE0EEENS1_30default_config_static_selectorELNS0_4arch9wavefront6targetE1EEEvT1_ ; -- Begin function _ZN7rocprim17ROCPRIM_400000_NS6detail17trampoline_kernelINS0_14default_configENS1_20scan_config_selectorIN3c107complexIfEEEEZZNS1_9scan_implILNS1_25lookback_scan_determinismE0ELb0ELb0ES3_PKS7_PS7_S7_ZZZN2at6native31launch_logcumsumexp_cuda_kernelERKNSE_10TensorBaseESI_lENKUlvE_clEvENKUlvE2_clEvEUlS7_S7_E_S7_EEDaPvRmT3_T4_T5_mT6_P12ihipStream_tbENKUlT_T0_E_clISt17integral_constantIbLb1EESY_IbLb0EEEEDaSU_SV_EUlSU_E_NS1_11comp_targetILNS1_3genE5ELNS1_11target_archE942ELNS1_3gpuE9ELNS1_3repE0EEENS1_30default_config_static_selectorELNS0_4arch9wavefront6targetE1EEEvT1_
	.p2align	8
	.type	_ZN7rocprim17ROCPRIM_400000_NS6detail17trampoline_kernelINS0_14default_configENS1_20scan_config_selectorIN3c107complexIfEEEEZZNS1_9scan_implILNS1_25lookback_scan_determinismE0ELb0ELb0ES3_PKS7_PS7_S7_ZZZN2at6native31launch_logcumsumexp_cuda_kernelERKNSE_10TensorBaseESI_lENKUlvE_clEvENKUlvE2_clEvEUlS7_S7_E_S7_EEDaPvRmT3_T4_T5_mT6_P12ihipStream_tbENKUlT_T0_E_clISt17integral_constantIbLb1EESY_IbLb0EEEEDaSU_SV_EUlSU_E_NS1_11comp_targetILNS1_3genE5ELNS1_11target_archE942ELNS1_3gpuE9ELNS1_3repE0EEENS1_30default_config_static_selectorELNS0_4arch9wavefront6targetE1EEEvT1_,@function
_ZN7rocprim17ROCPRIM_400000_NS6detail17trampoline_kernelINS0_14default_configENS1_20scan_config_selectorIN3c107complexIfEEEEZZNS1_9scan_implILNS1_25lookback_scan_determinismE0ELb0ELb0ES3_PKS7_PS7_S7_ZZZN2at6native31launch_logcumsumexp_cuda_kernelERKNSE_10TensorBaseESI_lENKUlvE_clEvENKUlvE2_clEvEUlS7_S7_E_S7_EEDaPvRmT3_T4_T5_mT6_P12ihipStream_tbENKUlT_T0_E_clISt17integral_constantIbLb1EESY_IbLb0EEEEDaSU_SV_EUlSU_E_NS1_11comp_targetILNS1_3genE5ELNS1_11target_archE942ELNS1_3gpuE9ELNS1_3repE0EEENS1_30default_config_static_selectorELNS0_4arch9wavefront6targetE1EEEvT1_: ; @_ZN7rocprim17ROCPRIM_400000_NS6detail17trampoline_kernelINS0_14default_configENS1_20scan_config_selectorIN3c107complexIfEEEEZZNS1_9scan_implILNS1_25lookback_scan_determinismE0ELb0ELb0ES3_PKS7_PS7_S7_ZZZN2at6native31launch_logcumsumexp_cuda_kernelERKNSE_10TensorBaseESI_lENKUlvE_clEvENKUlvE2_clEvEUlS7_S7_E_S7_EEDaPvRmT3_T4_T5_mT6_P12ihipStream_tbENKUlT_T0_E_clISt17integral_constantIbLb1EESY_IbLb0EEEEDaSU_SV_EUlSU_E_NS1_11comp_targetILNS1_3genE5ELNS1_11target_archE942ELNS1_3gpuE9ELNS1_3repE0EEENS1_30default_config_static_selectorELNS0_4arch9wavefront6targetE1EEEvT1_
; %bb.0:
	.section	.rodata,"a",@progbits
	.p2align	6, 0x0
	.amdhsa_kernel _ZN7rocprim17ROCPRIM_400000_NS6detail17trampoline_kernelINS0_14default_configENS1_20scan_config_selectorIN3c107complexIfEEEEZZNS1_9scan_implILNS1_25lookback_scan_determinismE0ELb0ELb0ES3_PKS7_PS7_S7_ZZZN2at6native31launch_logcumsumexp_cuda_kernelERKNSE_10TensorBaseESI_lENKUlvE_clEvENKUlvE2_clEvEUlS7_S7_E_S7_EEDaPvRmT3_T4_T5_mT6_P12ihipStream_tbENKUlT_T0_E_clISt17integral_constantIbLb1EESY_IbLb0EEEEDaSU_SV_EUlSU_E_NS1_11comp_targetILNS1_3genE5ELNS1_11target_archE942ELNS1_3gpuE9ELNS1_3repE0EEENS1_30default_config_static_selectorELNS0_4arch9wavefront6targetE1EEEvT1_
		.amdhsa_group_segment_fixed_size 0
		.amdhsa_private_segment_fixed_size 0
		.amdhsa_kernarg_size 104
		.amdhsa_user_sgpr_count 2
		.amdhsa_user_sgpr_dispatch_ptr 0
		.amdhsa_user_sgpr_queue_ptr 0
		.amdhsa_user_sgpr_kernarg_segment_ptr 1
		.amdhsa_user_sgpr_dispatch_id 0
		.amdhsa_user_sgpr_kernarg_preload_length 0
		.amdhsa_user_sgpr_kernarg_preload_offset 0
		.amdhsa_user_sgpr_private_segment_size 0
		.amdhsa_uses_dynamic_stack 0
		.amdhsa_enable_private_segment 0
		.amdhsa_system_sgpr_workgroup_id_x 1
		.amdhsa_system_sgpr_workgroup_id_y 0
		.amdhsa_system_sgpr_workgroup_id_z 0
		.amdhsa_system_sgpr_workgroup_info 0
		.amdhsa_system_vgpr_workitem_id 0
		.amdhsa_next_free_vgpr 1
		.amdhsa_next_free_sgpr 0
		.amdhsa_accum_offset 4
		.amdhsa_reserve_vcc 0
		.amdhsa_float_round_mode_32 0
		.amdhsa_float_round_mode_16_64 0
		.amdhsa_float_denorm_mode_32 3
		.amdhsa_float_denorm_mode_16_64 3
		.amdhsa_dx10_clamp 1
		.amdhsa_ieee_mode 1
		.amdhsa_fp16_overflow 0
		.amdhsa_tg_split 0
		.amdhsa_exception_fp_ieee_invalid_op 0
		.amdhsa_exception_fp_denorm_src 0
		.amdhsa_exception_fp_ieee_div_zero 0
		.amdhsa_exception_fp_ieee_overflow 0
		.amdhsa_exception_fp_ieee_underflow 0
		.amdhsa_exception_fp_ieee_inexact 0
		.amdhsa_exception_int_div_zero 0
	.end_amdhsa_kernel
	.section	.text._ZN7rocprim17ROCPRIM_400000_NS6detail17trampoline_kernelINS0_14default_configENS1_20scan_config_selectorIN3c107complexIfEEEEZZNS1_9scan_implILNS1_25lookback_scan_determinismE0ELb0ELb0ES3_PKS7_PS7_S7_ZZZN2at6native31launch_logcumsumexp_cuda_kernelERKNSE_10TensorBaseESI_lENKUlvE_clEvENKUlvE2_clEvEUlS7_S7_E_S7_EEDaPvRmT3_T4_T5_mT6_P12ihipStream_tbENKUlT_T0_E_clISt17integral_constantIbLb1EESY_IbLb0EEEEDaSU_SV_EUlSU_E_NS1_11comp_targetILNS1_3genE5ELNS1_11target_archE942ELNS1_3gpuE9ELNS1_3repE0EEENS1_30default_config_static_selectorELNS0_4arch9wavefront6targetE1EEEvT1_,"axG",@progbits,_ZN7rocprim17ROCPRIM_400000_NS6detail17trampoline_kernelINS0_14default_configENS1_20scan_config_selectorIN3c107complexIfEEEEZZNS1_9scan_implILNS1_25lookback_scan_determinismE0ELb0ELb0ES3_PKS7_PS7_S7_ZZZN2at6native31launch_logcumsumexp_cuda_kernelERKNSE_10TensorBaseESI_lENKUlvE_clEvENKUlvE2_clEvEUlS7_S7_E_S7_EEDaPvRmT3_T4_T5_mT6_P12ihipStream_tbENKUlT_T0_E_clISt17integral_constantIbLb1EESY_IbLb0EEEEDaSU_SV_EUlSU_E_NS1_11comp_targetILNS1_3genE5ELNS1_11target_archE942ELNS1_3gpuE9ELNS1_3repE0EEENS1_30default_config_static_selectorELNS0_4arch9wavefront6targetE1EEEvT1_,comdat
.Lfunc_end311:
	.size	_ZN7rocprim17ROCPRIM_400000_NS6detail17trampoline_kernelINS0_14default_configENS1_20scan_config_selectorIN3c107complexIfEEEEZZNS1_9scan_implILNS1_25lookback_scan_determinismE0ELb0ELb0ES3_PKS7_PS7_S7_ZZZN2at6native31launch_logcumsumexp_cuda_kernelERKNSE_10TensorBaseESI_lENKUlvE_clEvENKUlvE2_clEvEUlS7_S7_E_S7_EEDaPvRmT3_T4_T5_mT6_P12ihipStream_tbENKUlT_T0_E_clISt17integral_constantIbLb1EESY_IbLb0EEEEDaSU_SV_EUlSU_E_NS1_11comp_targetILNS1_3genE5ELNS1_11target_archE942ELNS1_3gpuE9ELNS1_3repE0EEENS1_30default_config_static_selectorELNS0_4arch9wavefront6targetE1EEEvT1_, .Lfunc_end311-_ZN7rocprim17ROCPRIM_400000_NS6detail17trampoline_kernelINS0_14default_configENS1_20scan_config_selectorIN3c107complexIfEEEEZZNS1_9scan_implILNS1_25lookback_scan_determinismE0ELb0ELb0ES3_PKS7_PS7_S7_ZZZN2at6native31launch_logcumsumexp_cuda_kernelERKNSE_10TensorBaseESI_lENKUlvE_clEvENKUlvE2_clEvEUlS7_S7_E_S7_EEDaPvRmT3_T4_T5_mT6_P12ihipStream_tbENKUlT_T0_E_clISt17integral_constantIbLb1EESY_IbLb0EEEEDaSU_SV_EUlSU_E_NS1_11comp_targetILNS1_3genE5ELNS1_11target_archE942ELNS1_3gpuE9ELNS1_3repE0EEENS1_30default_config_static_selectorELNS0_4arch9wavefront6targetE1EEEvT1_
                                        ; -- End function
	.set _ZN7rocprim17ROCPRIM_400000_NS6detail17trampoline_kernelINS0_14default_configENS1_20scan_config_selectorIN3c107complexIfEEEEZZNS1_9scan_implILNS1_25lookback_scan_determinismE0ELb0ELb0ES3_PKS7_PS7_S7_ZZZN2at6native31launch_logcumsumexp_cuda_kernelERKNSE_10TensorBaseESI_lENKUlvE_clEvENKUlvE2_clEvEUlS7_S7_E_S7_EEDaPvRmT3_T4_T5_mT6_P12ihipStream_tbENKUlT_T0_E_clISt17integral_constantIbLb1EESY_IbLb0EEEEDaSU_SV_EUlSU_E_NS1_11comp_targetILNS1_3genE5ELNS1_11target_archE942ELNS1_3gpuE9ELNS1_3repE0EEENS1_30default_config_static_selectorELNS0_4arch9wavefront6targetE1EEEvT1_.num_vgpr, 0
	.set _ZN7rocprim17ROCPRIM_400000_NS6detail17trampoline_kernelINS0_14default_configENS1_20scan_config_selectorIN3c107complexIfEEEEZZNS1_9scan_implILNS1_25lookback_scan_determinismE0ELb0ELb0ES3_PKS7_PS7_S7_ZZZN2at6native31launch_logcumsumexp_cuda_kernelERKNSE_10TensorBaseESI_lENKUlvE_clEvENKUlvE2_clEvEUlS7_S7_E_S7_EEDaPvRmT3_T4_T5_mT6_P12ihipStream_tbENKUlT_T0_E_clISt17integral_constantIbLb1EESY_IbLb0EEEEDaSU_SV_EUlSU_E_NS1_11comp_targetILNS1_3genE5ELNS1_11target_archE942ELNS1_3gpuE9ELNS1_3repE0EEENS1_30default_config_static_selectorELNS0_4arch9wavefront6targetE1EEEvT1_.num_agpr, 0
	.set _ZN7rocprim17ROCPRIM_400000_NS6detail17trampoline_kernelINS0_14default_configENS1_20scan_config_selectorIN3c107complexIfEEEEZZNS1_9scan_implILNS1_25lookback_scan_determinismE0ELb0ELb0ES3_PKS7_PS7_S7_ZZZN2at6native31launch_logcumsumexp_cuda_kernelERKNSE_10TensorBaseESI_lENKUlvE_clEvENKUlvE2_clEvEUlS7_S7_E_S7_EEDaPvRmT3_T4_T5_mT6_P12ihipStream_tbENKUlT_T0_E_clISt17integral_constantIbLb1EESY_IbLb0EEEEDaSU_SV_EUlSU_E_NS1_11comp_targetILNS1_3genE5ELNS1_11target_archE942ELNS1_3gpuE9ELNS1_3repE0EEENS1_30default_config_static_selectorELNS0_4arch9wavefront6targetE1EEEvT1_.numbered_sgpr, 0
	.set _ZN7rocprim17ROCPRIM_400000_NS6detail17trampoline_kernelINS0_14default_configENS1_20scan_config_selectorIN3c107complexIfEEEEZZNS1_9scan_implILNS1_25lookback_scan_determinismE0ELb0ELb0ES3_PKS7_PS7_S7_ZZZN2at6native31launch_logcumsumexp_cuda_kernelERKNSE_10TensorBaseESI_lENKUlvE_clEvENKUlvE2_clEvEUlS7_S7_E_S7_EEDaPvRmT3_T4_T5_mT6_P12ihipStream_tbENKUlT_T0_E_clISt17integral_constantIbLb1EESY_IbLb0EEEEDaSU_SV_EUlSU_E_NS1_11comp_targetILNS1_3genE5ELNS1_11target_archE942ELNS1_3gpuE9ELNS1_3repE0EEENS1_30default_config_static_selectorELNS0_4arch9wavefront6targetE1EEEvT1_.num_named_barrier, 0
	.set _ZN7rocprim17ROCPRIM_400000_NS6detail17trampoline_kernelINS0_14default_configENS1_20scan_config_selectorIN3c107complexIfEEEEZZNS1_9scan_implILNS1_25lookback_scan_determinismE0ELb0ELb0ES3_PKS7_PS7_S7_ZZZN2at6native31launch_logcumsumexp_cuda_kernelERKNSE_10TensorBaseESI_lENKUlvE_clEvENKUlvE2_clEvEUlS7_S7_E_S7_EEDaPvRmT3_T4_T5_mT6_P12ihipStream_tbENKUlT_T0_E_clISt17integral_constantIbLb1EESY_IbLb0EEEEDaSU_SV_EUlSU_E_NS1_11comp_targetILNS1_3genE5ELNS1_11target_archE942ELNS1_3gpuE9ELNS1_3repE0EEENS1_30default_config_static_selectorELNS0_4arch9wavefront6targetE1EEEvT1_.private_seg_size, 0
	.set _ZN7rocprim17ROCPRIM_400000_NS6detail17trampoline_kernelINS0_14default_configENS1_20scan_config_selectorIN3c107complexIfEEEEZZNS1_9scan_implILNS1_25lookback_scan_determinismE0ELb0ELb0ES3_PKS7_PS7_S7_ZZZN2at6native31launch_logcumsumexp_cuda_kernelERKNSE_10TensorBaseESI_lENKUlvE_clEvENKUlvE2_clEvEUlS7_S7_E_S7_EEDaPvRmT3_T4_T5_mT6_P12ihipStream_tbENKUlT_T0_E_clISt17integral_constantIbLb1EESY_IbLb0EEEEDaSU_SV_EUlSU_E_NS1_11comp_targetILNS1_3genE5ELNS1_11target_archE942ELNS1_3gpuE9ELNS1_3repE0EEENS1_30default_config_static_selectorELNS0_4arch9wavefront6targetE1EEEvT1_.uses_vcc, 0
	.set _ZN7rocprim17ROCPRIM_400000_NS6detail17trampoline_kernelINS0_14default_configENS1_20scan_config_selectorIN3c107complexIfEEEEZZNS1_9scan_implILNS1_25lookback_scan_determinismE0ELb0ELb0ES3_PKS7_PS7_S7_ZZZN2at6native31launch_logcumsumexp_cuda_kernelERKNSE_10TensorBaseESI_lENKUlvE_clEvENKUlvE2_clEvEUlS7_S7_E_S7_EEDaPvRmT3_T4_T5_mT6_P12ihipStream_tbENKUlT_T0_E_clISt17integral_constantIbLb1EESY_IbLb0EEEEDaSU_SV_EUlSU_E_NS1_11comp_targetILNS1_3genE5ELNS1_11target_archE942ELNS1_3gpuE9ELNS1_3repE0EEENS1_30default_config_static_selectorELNS0_4arch9wavefront6targetE1EEEvT1_.uses_flat_scratch, 0
	.set _ZN7rocprim17ROCPRIM_400000_NS6detail17trampoline_kernelINS0_14default_configENS1_20scan_config_selectorIN3c107complexIfEEEEZZNS1_9scan_implILNS1_25lookback_scan_determinismE0ELb0ELb0ES3_PKS7_PS7_S7_ZZZN2at6native31launch_logcumsumexp_cuda_kernelERKNSE_10TensorBaseESI_lENKUlvE_clEvENKUlvE2_clEvEUlS7_S7_E_S7_EEDaPvRmT3_T4_T5_mT6_P12ihipStream_tbENKUlT_T0_E_clISt17integral_constantIbLb1EESY_IbLb0EEEEDaSU_SV_EUlSU_E_NS1_11comp_targetILNS1_3genE5ELNS1_11target_archE942ELNS1_3gpuE9ELNS1_3repE0EEENS1_30default_config_static_selectorELNS0_4arch9wavefront6targetE1EEEvT1_.has_dyn_sized_stack, 0
	.set _ZN7rocprim17ROCPRIM_400000_NS6detail17trampoline_kernelINS0_14default_configENS1_20scan_config_selectorIN3c107complexIfEEEEZZNS1_9scan_implILNS1_25lookback_scan_determinismE0ELb0ELb0ES3_PKS7_PS7_S7_ZZZN2at6native31launch_logcumsumexp_cuda_kernelERKNSE_10TensorBaseESI_lENKUlvE_clEvENKUlvE2_clEvEUlS7_S7_E_S7_EEDaPvRmT3_T4_T5_mT6_P12ihipStream_tbENKUlT_T0_E_clISt17integral_constantIbLb1EESY_IbLb0EEEEDaSU_SV_EUlSU_E_NS1_11comp_targetILNS1_3genE5ELNS1_11target_archE942ELNS1_3gpuE9ELNS1_3repE0EEENS1_30default_config_static_selectorELNS0_4arch9wavefront6targetE1EEEvT1_.has_recursion, 0
	.set _ZN7rocprim17ROCPRIM_400000_NS6detail17trampoline_kernelINS0_14default_configENS1_20scan_config_selectorIN3c107complexIfEEEEZZNS1_9scan_implILNS1_25lookback_scan_determinismE0ELb0ELb0ES3_PKS7_PS7_S7_ZZZN2at6native31launch_logcumsumexp_cuda_kernelERKNSE_10TensorBaseESI_lENKUlvE_clEvENKUlvE2_clEvEUlS7_S7_E_S7_EEDaPvRmT3_T4_T5_mT6_P12ihipStream_tbENKUlT_T0_E_clISt17integral_constantIbLb1EESY_IbLb0EEEEDaSU_SV_EUlSU_E_NS1_11comp_targetILNS1_3genE5ELNS1_11target_archE942ELNS1_3gpuE9ELNS1_3repE0EEENS1_30default_config_static_selectorELNS0_4arch9wavefront6targetE1EEEvT1_.has_indirect_call, 0
	.section	.AMDGPU.csdata,"",@progbits
; Kernel info:
; codeLenInByte = 0
; TotalNumSgprs: 6
; NumVgprs: 0
; NumAgprs: 0
; TotalNumVgprs: 0
; ScratchSize: 0
; MemoryBound: 0
; FloatMode: 240
; IeeeMode: 1
; LDSByteSize: 0 bytes/workgroup (compile time only)
; SGPRBlocks: 0
; VGPRBlocks: 0
; NumSGPRsForWavesPerEU: 6
; NumVGPRsForWavesPerEU: 1
; AccumOffset: 4
; Occupancy: 8
; WaveLimiterHint : 0
; COMPUTE_PGM_RSRC2:SCRATCH_EN: 0
; COMPUTE_PGM_RSRC2:USER_SGPR: 2
; COMPUTE_PGM_RSRC2:TRAP_HANDLER: 0
; COMPUTE_PGM_RSRC2:TGID_X_EN: 1
; COMPUTE_PGM_RSRC2:TGID_Y_EN: 0
; COMPUTE_PGM_RSRC2:TGID_Z_EN: 0
; COMPUTE_PGM_RSRC2:TIDIG_COMP_CNT: 0
; COMPUTE_PGM_RSRC3_GFX90A:ACCUM_OFFSET: 0
; COMPUTE_PGM_RSRC3_GFX90A:TG_SPLIT: 0
	.section	.text._ZN7rocprim17ROCPRIM_400000_NS6detail17trampoline_kernelINS0_14default_configENS1_20scan_config_selectorIN3c107complexIfEEEEZZNS1_9scan_implILNS1_25lookback_scan_determinismE0ELb0ELb0ES3_PKS7_PS7_S7_ZZZN2at6native31launch_logcumsumexp_cuda_kernelERKNSE_10TensorBaseESI_lENKUlvE_clEvENKUlvE2_clEvEUlS7_S7_E_S7_EEDaPvRmT3_T4_T5_mT6_P12ihipStream_tbENKUlT_T0_E_clISt17integral_constantIbLb1EESY_IbLb0EEEEDaSU_SV_EUlSU_E_NS1_11comp_targetILNS1_3genE4ELNS1_11target_archE910ELNS1_3gpuE8ELNS1_3repE0EEENS1_30default_config_static_selectorELNS0_4arch9wavefront6targetE1EEEvT1_,"axG",@progbits,_ZN7rocprim17ROCPRIM_400000_NS6detail17trampoline_kernelINS0_14default_configENS1_20scan_config_selectorIN3c107complexIfEEEEZZNS1_9scan_implILNS1_25lookback_scan_determinismE0ELb0ELb0ES3_PKS7_PS7_S7_ZZZN2at6native31launch_logcumsumexp_cuda_kernelERKNSE_10TensorBaseESI_lENKUlvE_clEvENKUlvE2_clEvEUlS7_S7_E_S7_EEDaPvRmT3_T4_T5_mT6_P12ihipStream_tbENKUlT_T0_E_clISt17integral_constantIbLb1EESY_IbLb0EEEEDaSU_SV_EUlSU_E_NS1_11comp_targetILNS1_3genE4ELNS1_11target_archE910ELNS1_3gpuE8ELNS1_3repE0EEENS1_30default_config_static_selectorELNS0_4arch9wavefront6targetE1EEEvT1_,comdat
	.globl	_ZN7rocprim17ROCPRIM_400000_NS6detail17trampoline_kernelINS0_14default_configENS1_20scan_config_selectorIN3c107complexIfEEEEZZNS1_9scan_implILNS1_25lookback_scan_determinismE0ELb0ELb0ES3_PKS7_PS7_S7_ZZZN2at6native31launch_logcumsumexp_cuda_kernelERKNSE_10TensorBaseESI_lENKUlvE_clEvENKUlvE2_clEvEUlS7_S7_E_S7_EEDaPvRmT3_T4_T5_mT6_P12ihipStream_tbENKUlT_T0_E_clISt17integral_constantIbLb1EESY_IbLb0EEEEDaSU_SV_EUlSU_E_NS1_11comp_targetILNS1_3genE4ELNS1_11target_archE910ELNS1_3gpuE8ELNS1_3repE0EEENS1_30default_config_static_selectorELNS0_4arch9wavefront6targetE1EEEvT1_ ; -- Begin function _ZN7rocprim17ROCPRIM_400000_NS6detail17trampoline_kernelINS0_14default_configENS1_20scan_config_selectorIN3c107complexIfEEEEZZNS1_9scan_implILNS1_25lookback_scan_determinismE0ELb0ELb0ES3_PKS7_PS7_S7_ZZZN2at6native31launch_logcumsumexp_cuda_kernelERKNSE_10TensorBaseESI_lENKUlvE_clEvENKUlvE2_clEvEUlS7_S7_E_S7_EEDaPvRmT3_T4_T5_mT6_P12ihipStream_tbENKUlT_T0_E_clISt17integral_constantIbLb1EESY_IbLb0EEEEDaSU_SV_EUlSU_E_NS1_11comp_targetILNS1_3genE4ELNS1_11target_archE910ELNS1_3gpuE8ELNS1_3repE0EEENS1_30default_config_static_selectorELNS0_4arch9wavefront6targetE1EEEvT1_
	.p2align	8
	.type	_ZN7rocprim17ROCPRIM_400000_NS6detail17trampoline_kernelINS0_14default_configENS1_20scan_config_selectorIN3c107complexIfEEEEZZNS1_9scan_implILNS1_25lookback_scan_determinismE0ELb0ELb0ES3_PKS7_PS7_S7_ZZZN2at6native31launch_logcumsumexp_cuda_kernelERKNSE_10TensorBaseESI_lENKUlvE_clEvENKUlvE2_clEvEUlS7_S7_E_S7_EEDaPvRmT3_T4_T5_mT6_P12ihipStream_tbENKUlT_T0_E_clISt17integral_constantIbLb1EESY_IbLb0EEEEDaSU_SV_EUlSU_E_NS1_11comp_targetILNS1_3genE4ELNS1_11target_archE910ELNS1_3gpuE8ELNS1_3repE0EEENS1_30default_config_static_selectorELNS0_4arch9wavefront6targetE1EEEvT1_,@function
_ZN7rocprim17ROCPRIM_400000_NS6detail17trampoline_kernelINS0_14default_configENS1_20scan_config_selectorIN3c107complexIfEEEEZZNS1_9scan_implILNS1_25lookback_scan_determinismE0ELb0ELb0ES3_PKS7_PS7_S7_ZZZN2at6native31launch_logcumsumexp_cuda_kernelERKNSE_10TensorBaseESI_lENKUlvE_clEvENKUlvE2_clEvEUlS7_S7_E_S7_EEDaPvRmT3_T4_T5_mT6_P12ihipStream_tbENKUlT_T0_E_clISt17integral_constantIbLb1EESY_IbLb0EEEEDaSU_SV_EUlSU_E_NS1_11comp_targetILNS1_3genE4ELNS1_11target_archE910ELNS1_3gpuE8ELNS1_3repE0EEENS1_30default_config_static_selectorELNS0_4arch9wavefront6targetE1EEEvT1_: ; @_ZN7rocprim17ROCPRIM_400000_NS6detail17trampoline_kernelINS0_14default_configENS1_20scan_config_selectorIN3c107complexIfEEEEZZNS1_9scan_implILNS1_25lookback_scan_determinismE0ELb0ELb0ES3_PKS7_PS7_S7_ZZZN2at6native31launch_logcumsumexp_cuda_kernelERKNSE_10TensorBaseESI_lENKUlvE_clEvENKUlvE2_clEvEUlS7_S7_E_S7_EEDaPvRmT3_T4_T5_mT6_P12ihipStream_tbENKUlT_T0_E_clISt17integral_constantIbLb1EESY_IbLb0EEEEDaSU_SV_EUlSU_E_NS1_11comp_targetILNS1_3genE4ELNS1_11target_archE910ELNS1_3gpuE8ELNS1_3repE0EEENS1_30default_config_static_selectorELNS0_4arch9wavefront6targetE1EEEvT1_
; %bb.0:
	.section	.rodata,"a",@progbits
	.p2align	6, 0x0
	.amdhsa_kernel _ZN7rocprim17ROCPRIM_400000_NS6detail17trampoline_kernelINS0_14default_configENS1_20scan_config_selectorIN3c107complexIfEEEEZZNS1_9scan_implILNS1_25lookback_scan_determinismE0ELb0ELb0ES3_PKS7_PS7_S7_ZZZN2at6native31launch_logcumsumexp_cuda_kernelERKNSE_10TensorBaseESI_lENKUlvE_clEvENKUlvE2_clEvEUlS7_S7_E_S7_EEDaPvRmT3_T4_T5_mT6_P12ihipStream_tbENKUlT_T0_E_clISt17integral_constantIbLb1EESY_IbLb0EEEEDaSU_SV_EUlSU_E_NS1_11comp_targetILNS1_3genE4ELNS1_11target_archE910ELNS1_3gpuE8ELNS1_3repE0EEENS1_30default_config_static_selectorELNS0_4arch9wavefront6targetE1EEEvT1_
		.amdhsa_group_segment_fixed_size 0
		.amdhsa_private_segment_fixed_size 0
		.amdhsa_kernarg_size 104
		.amdhsa_user_sgpr_count 2
		.amdhsa_user_sgpr_dispatch_ptr 0
		.amdhsa_user_sgpr_queue_ptr 0
		.amdhsa_user_sgpr_kernarg_segment_ptr 1
		.amdhsa_user_sgpr_dispatch_id 0
		.amdhsa_user_sgpr_kernarg_preload_length 0
		.amdhsa_user_sgpr_kernarg_preload_offset 0
		.amdhsa_user_sgpr_private_segment_size 0
		.amdhsa_uses_dynamic_stack 0
		.amdhsa_enable_private_segment 0
		.amdhsa_system_sgpr_workgroup_id_x 1
		.amdhsa_system_sgpr_workgroup_id_y 0
		.amdhsa_system_sgpr_workgroup_id_z 0
		.amdhsa_system_sgpr_workgroup_info 0
		.amdhsa_system_vgpr_workitem_id 0
		.amdhsa_next_free_vgpr 1
		.amdhsa_next_free_sgpr 0
		.amdhsa_accum_offset 4
		.amdhsa_reserve_vcc 0
		.amdhsa_float_round_mode_32 0
		.amdhsa_float_round_mode_16_64 0
		.amdhsa_float_denorm_mode_32 3
		.amdhsa_float_denorm_mode_16_64 3
		.amdhsa_dx10_clamp 1
		.amdhsa_ieee_mode 1
		.amdhsa_fp16_overflow 0
		.amdhsa_tg_split 0
		.amdhsa_exception_fp_ieee_invalid_op 0
		.amdhsa_exception_fp_denorm_src 0
		.amdhsa_exception_fp_ieee_div_zero 0
		.amdhsa_exception_fp_ieee_overflow 0
		.amdhsa_exception_fp_ieee_underflow 0
		.amdhsa_exception_fp_ieee_inexact 0
		.amdhsa_exception_int_div_zero 0
	.end_amdhsa_kernel
	.section	.text._ZN7rocprim17ROCPRIM_400000_NS6detail17trampoline_kernelINS0_14default_configENS1_20scan_config_selectorIN3c107complexIfEEEEZZNS1_9scan_implILNS1_25lookback_scan_determinismE0ELb0ELb0ES3_PKS7_PS7_S7_ZZZN2at6native31launch_logcumsumexp_cuda_kernelERKNSE_10TensorBaseESI_lENKUlvE_clEvENKUlvE2_clEvEUlS7_S7_E_S7_EEDaPvRmT3_T4_T5_mT6_P12ihipStream_tbENKUlT_T0_E_clISt17integral_constantIbLb1EESY_IbLb0EEEEDaSU_SV_EUlSU_E_NS1_11comp_targetILNS1_3genE4ELNS1_11target_archE910ELNS1_3gpuE8ELNS1_3repE0EEENS1_30default_config_static_selectorELNS0_4arch9wavefront6targetE1EEEvT1_,"axG",@progbits,_ZN7rocprim17ROCPRIM_400000_NS6detail17trampoline_kernelINS0_14default_configENS1_20scan_config_selectorIN3c107complexIfEEEEZZNS1_9scan_implILNS1_25lookback_scan_determinismE0ELb0ELb0ES3_PKS7_PS7_S7_ZZZN2at6native31launch_logcumsumexp_cuda_kernelERKNSE_10TensorBaseESI_lENKUlvE_clEvENKUlvE2_clEvEUlS7_S7_E_S7_EEDaPvRmT3_T4_T5_mT6_P12ihipStream_tbENKUlT_T0_E_clISt17integral_constantIbLb1EESY_IbLb0EEEEDaSU_SV_EUlSU_E_NS1_11comp_targetILNS1_3genE4ELNS1_11target_archE910ELNS1_3gpuE8ELNS1_3repE0EEENS1_30default_config_static_selectorELNS0_4arch9wavefront6targetE1EEEvT1_,comdat
.Lfunc_end312:
	.size	_ZN7rocprim17ROCPRIM_400000_NS6detail17trampoline_kernelINS0_14default_configENS1_20scan_config_selectorIN3c107complexIfEEEEZZNS1_9scan_implILNS1_25lookback_scan_determinismE0ELb0ELb0ES3_PKS7_PS7_S7_ZZZN2at6native31launch_logcumsumexp_cuda_kernelERKNSE_10TensorBaseESI_lENKUlvE_clEvENKUlvE2_clEvEUlS7_S7_E_S7_EEDaPvRmT3_T4_T5_mT6_P12ihipStream_tbENKUlT_T0_E_clISt17integral_constantIbLb1EESY_IbLb0EEEEDaSU_SV_EUlSU_E_NS1_11comp_targetILNS1_3genE4ELNS1_11target_archE910ELNS1_3gpuE8ELNS1_3repE0EEENS1_30default_config_static_selectorELNS0_4arch9wavefront6targetE1EEEvT1_, .Lfunc_end312-_ZN7rocprim17ROCPRIM_400000_NS6detail17trampoline_kernelINS0_14default_configENS1_20scan_config_selectorIN3c107complexIfEEEEZZNS1_9scan_implILNS1_25lookback_scan_determinismE0ELb0ELb0ES3_PKS7_PS7_S7_ZZZN2at6native31launch_logcumsumexp_cuda_kernelERKNSE_10TensorBaseESI_lENKUlvE_clEvENKUlvE2_clEvEUlS7_S7_E_S7_EEDaPvRmT3_T4_T5_mT6_P12ihipStream_tbENKUlT_T0_E_clISt17integral_constantIbLb1EESY_IbLb0EEEEDaSU_SV_EUlSU_E_NS1_11comp_targetILNS1_3genE4ELNS1_11target_archE910ELNS1_3gpuE8ELNS1_3repE0EEENS1_30default_config_static_selectorELNS0_4arch9wavefront6targetE1EEEvT1_
                                        ; -- End function
	.set _ZN7rocprim17ROCPRIM_400000_NS6detail17trampoline_kernelINS0_14default_configENS1_20scan_config_selectorIN3c107complexIfEEEEZZNS1_9scan_implILNS1_25lookback_scan_determinismE0ELb0ELb0ES3_PKS7_PS7_S7_ZZZN2at6native31launch_logcumsumexp_cuda_kernelERKNSE_10TensorBaseESI_lENKUlvE_clEvENKUlvE2_clEvEUlS7_S7_E_S7_EEDaPvRmT3_T4_T5_mT6_P12ihipStream_tbENKUlT_T0_E_clISt17integral_constantIbLb1EESY_IbLb0EEEEDaSU_SV_EUlSU_E_NS1_11comp_targetILNS1_3genE4ELNS1_11target_archE910ELNS1_3gpuE8ELNS1_3repE0EEENS1_30default_config_static_selectorELNS0_4arch9wavefront6targetE1EEEvT1_.num_vgpr, 0
	.set _ZN7rocprim17ROCPRIM_400000_NS6detail17trampoline_kernelINS0_14default_configENS1_20scan_config_selectorIN3c107complexIfEEEEZZNS1_9scan_implILNS1_25lookback_scan_determinismE0ELb0ELb0ES3_PKS7_PS7_S7_ZZZN2at6native31launch_logcumsumexp_cuda_kernelERKNSE_10TensorBaseESI_lENKUlvE_clEvENKUlvE2_clEvEUlS7_S7_E_S7_EEDaPvRmT3_T4_T5_mT6_P12ihipStream_tbENKUlT_T0_E_clISt17integral_constantIbLb1EESY_IbLb0EEEEDaSU_SV_EUlSU_E_NS1_11comp_targetILNS1_3genE4ELNS1_11target_archE910ELNS1_3gpuE8ELNS1_3repE0EEENS1_30default_config_static_selectorELNS0_4arch9wavefront6targetE1EEEvT1_.num_agpr, 0
	.set _ZN7rocprim17ROCPRIM_400000_NS6detail17trampoline_kernelINS0_14default_configENS1_20scan_config_selectorIN3c107complexIfEEEEZZNS1_9scan_implILNS1_25lookback_scan_determinismE0ELb0ELb0ES3_PKS7_PS7_S7_ZZZN2at6native31launch_logcumsumexp_cuda_kernelERKNSE_10TensorBaseESI_lENKUlvE_clEvENKUlvE2_clEvEUlS7_S7_E_S7_EEDaPvRmT3_T4_T5_mT6_P12ihipStream_tbENKUlT_T0_E_clISt17integral_constantIbLb1EESY_IbLb0EEEEDaSU_SV_EUlSU_E_NS1_11comp_targetILNS1_3genE4ELNS1_11target_archE910ELNS1_3gpuE8ELNS1_3repE0EEENS1_30default_config_static_selectorELNS0_4arch9wavefront6targetE1EEEvT1_.numbered_sgpr, 0
	.set _ZN7rocprim17ROCPRIM_400000_NS6detail17trampoline_kernelINS0_14default_configENS1_20scan_config_selectorIN3c107complexIfEEEEZZNS1_9scan_implILNS1_25lookback_scan_determinismE0ELb0ELb0ES3_PKS7_PS7_S7_ZZZN2at6native31launch_logcumsumexp_cuda_kernelERKNSE_10TensorBaseESI_lENKUlvE_clEvENKUlvE2_clEvEUlS7_S7_E_S7_EEDaPvRmT3_T4_T5_mT6_P12ihipStream_tbENKUlT_T0_E_clISt17integral_constantIbLb1EESY_IbLb0EEEEDaSU_SV_EUlSU_E_NS1_11comp_targetILNS1_3genE4ELNS1_11target_archE910ELNS1_3gpuE8ELNS1_3repE0EEENS1_30default_config_static_selectorELNS0_4arch9wavefront6targetE1EEEvT1_.num_named_barrier, 0
	.set _ZN7rocprim17ROCPRIM_400000_NS6detail17trampoline_kernelINS0_14default_configENS1_20scan_config_selectorIN3c107complexIfEEEEZZNS1_9scan_implILNS1_25lookback_scan_determinismE0ELb0ELb0ES3_PKS7_PS7_S7_ZZZN2at6native31launch_logcumsumexp_cuda_kernelERKNSE_10TensorBaseESI_lENKUlvE_clEvENKUlvE2_clEvEUlS7_S7_E_S7_EEDaPvRmT3_T4_T5_mT6_P12ihipStream_tbENKUlT_T0_E_clISt17integral_constantIbLb1EESY_IbLb0EEEEDaSU_SV_EUlSU_E_NS1_11comp_targetILNS1_3genE4ELNS1_11target_archE910ELNS1_3gpuE8ELNS1_3repE0EEENS1_30default_config_static_selectorELNS0_4arch9wavefront6targetE1EEEvT1_.private_seg_size, 0
	.set _ZN7rocprim17ROCPRIM_400000_NS6detail17trampoline_kernelINS0_14default_configENS1_20scan_config_selectorIN3c107complexIfEEEEZZNS1_9scan_implILNS1_25lookback_scan_determinismE0ELb0ELb0ES3_PKS7_PS7_S7_ZZZN2at6native31launch_logcumsumexp_cuda_kernelERKNSE_10TensorBaseESI_lENKUlvE_clEvENKUlvE2_clEvEUlS7_S7_E_S7_EEDaPvRmT3_T4_T5_mT6_P12ihipStream_tbENKUlT_T0_E_clISt17integral_constantIbLb1EESY_IbLb0EEEEDaSU_SV_EUlSU_E_NS1_11comp_targetILNS1_3genE4ELNS1_11target_archE910ELNS1_3gpuE8ELNS1_3repE0EEENS1_30default_config_static_selectorELNS0_4arch9wavefront6targetE1EEEvT1_.uses_vcc, 0
	.set _ZN7rocprim17ROCPRIM_400000_NS6detail17trampoline_kernelINS0_14default_configENS1_20scan_config_selectorIN3c107complexIfEEEEZZNS1_9scan_implILNS1_25lookback_scan_determinismE0ELb0ELb0ES3_PKS7_PS7_S7_ZZZN2at6native31launch_logcumsumexp_cuda_kernelERKNSE_10TensorBaseESI_lENKUlvE_clEvENKUlvE2_clEvEUlS7_S7_E_S7_EEDaPvRmT3_T4_T5_mT6_P12ihipStream_tbENKUlT_T0_E_clISt17integral_constantIbLb1EESY_IbLb0EEEEDaSU_SV_EUlSU_E_NS1_11comp_targetILNS1_3genE4ELNS1_11target_archE910ELNS1_3gpuE8ELNS1_3repE0EEENS1_30default_config_static_selectorELNS0_4arch9wavefront6targetE1EEEvT1_.uses_flat_scratch, 0
	.set _ZN7rocprim17ROCPRIM_400000_NS6detail17trampoline_kernelINS0_14default_configENS1_20scan_config_selectorIN3c107complexIfEEEEZZNS1_9scan_implILNS1_25lookback_scan_determinismE0ELb0ELb0ES3_PKS7_PS7_S7_ZZZN2at6native31launch_logcumsumexp_cuda_kernelERKNSE_10TensorBaseESI_lENKUlvE_clEvENKUlvE2_clEvEUlS7_S7_E_S7_EEDaPvRmT3_T4_T5_mT6_P12ihipStream_tbENKUlT_T0_E_clISt17integral_constantIbLb1EESY_IbLb0EEEEDaSU_SV_EUlSU_E_NS1_11comp_targetILNS1_3genE4ELNS1_11target_archE910ELNS1_3gpuE8ELNS1_3repE0EEENS1_30default_config_static_selectorELNS0_4arch9wavefront6targetE1EEEvT1_.has_dyn_sized_stack, 0
	.set _ZN7rocprim17ROCPRIM_400000_NS6detail17trampoline_kernelINS0_14default_configENS1_20scan_config_selectorIN3c107complexIfEEEEZZNS1_9scan_implILNS1_25lookback_scan_determinismE0ELb0ELb0ES3_PKS7_PS7_S7_ZZZN2at6native31launch_logcumsumexp_cuda_kernelERKNSE_10TensorBaseESI_lENKUlvE_clEvENKUlvE2_clEvEUlS7_S7_E_S7_EEDaPvRmT3_T4_T5_mT6_P12ihipStream_tbENKUlT_T0_E_clISt17integral_constantIbLb1EESY_IbLb0EEEEDaSU_SV_EUlSU_E_NS1_11comp_targetILNS1_3genE4ELNS1_11target_archE910ELNS1_3gpuE8ELNS1_3repE0EEENS1_30default_config_static_selectorELNS0_4arch9wavefront6targetE1EEEvT1_.has_recursion, 0
	.set _ZN7rocprim17ROCPRIM_400000_NS6detail17trampoline_kernelINS0_14default_configENS1_20scan_config_selectorIN3c107complexIfEEEEZZNS1_9scan_implILNS1_25lookback_scan_determinismE0ELb0ELb0ES3_PKS7_PS7_S7_ZZZN2at6native31launch_logcumsumexp_cuda_kernelERKNSE_10TensorBaseESI_lENKUlvE_clEvENKUlvE2_clEvEUlS7_S7_E_S7_EEDaPvRmT3_T4_T5_mT6_P12ihipStream_tbENKUlT_T0_E_clISt17integral_constantIbLb1EESY_IbLb0EEEEDaSU_SV_EUlSU_E_NS1_11comp_targetILNS1_3genE4ELNS1_11target_archE910ELNS1_3gpuE8ELNS1_3repE0EEENS1_30default_config_static_selectorELNS0_4arch9wavefront6targetE1EEEvT1_.has_indirect_call, 0
	.section	.AMDGPU.csdata,"",@progbits
; Kernel info:
; codeLenInByte = 0
; TotalNumSgprs: 6
; NumVgprs: 0
; NumAgprs: 0
; TotalNumVgprs: 0
; ScratchSize: 0
; MemoryBound: 0
; FloatMode: 240
; IeeeMode: 1
; LDSByteSize: 0 bytes/workgroup (compile time only)
; SGPRBlocks: 0
; VGPRBlocks: 0
; NumSGPRsForWavesPerEU: 6
; NumVGPRsForWavesPerEU: 1
; AccumOffset: 4
; Occupancy: 8
; WaveLimiterHint : 0
; COMPUTE_PGM_RSRC2:SCRATCH_EN: 0
; COMPUTE_PGM_RSRC2:USER_SGPR: 2
; COMPUTE_PGM_RSRC2:TRAP_HANDLER: 0
; COMPUTE_PGM_RSRC2:TGID_X_EN: 1
; COMPUTE_PGM_RSRC2:TGID_Y_EN: 0
; COMPUTE_PGM_RSRC2:TGID_Z_EN: 0
; COMPUTE_PGM_RSRC2:TIDIG_COMP_CNT: 0
; COMPUTE_PGM_RSRC3_GFX90A:ACCUM_OFFSET: 0
; COMPUTE_PGM_RSRC3_GFX90A:TG_SPLIT: 0
	.section	.text._ZN7rocprim17ROCPRIM_400000_NS6detail17trampoline_kernelINS0_14default_configENS1_20scan_config_selectorIN3c107complexIfEEEEZZNS1_9scan_implILNS1_25lookback_scan_determinismE0ELb0ELb0ES3_PKS7_PS7_S7_ZZZN2at6native31launch_logcumsumexp_cuda_kernelERKNSE_10TensorBaseESI_lENKUlvE_clEvENKUlvE2_clEvEUlS7_S7_E_S7_EEDaPvRmT3_T4_T5_mT6_P12ihipStream_tbENKUlT_T0_E_clISt17integral_constantIbLb1EESY_IbLb0EEEEDaSU_SV_EUlSU_E_NS1_11comp_targetILNS1_3genE3ELNS1_11target_archE908ELNS1_3gpuE7ELNS1_3repE0EEENS1_30default_config_static_selectorELNS0_4arch9wavefront6targetE1EEEvT1_,"axG",@progbits,_ZN7rocprim17ROCPRIM_400000_NS6detail17trampoline_kernelINS0_14default_configENS1_20scan_config_selectorIN3c107complexIfEEEEZZNS1_9scan_implILNS1_25lookback_scan_determinismE0ELb0ELb0ES3_PKS7_PS7_S7_ZZZN2at6native31launch_logcumsumexp_cuda_kernelERKNSE_10TensorBaseESI_lENKUlvE_clEvENKUlvE2_clEvEUlS7_S7_E_S7_EEDaPvRmT3_T4_T5_mT6_P12ihipStream_tbENKUlT_T0_E_clISt17integral_constantIbLb1EESY_IbLb0EEEEDaSU_SV_EUlSU_E_NS1_11comp_targetILNS1_3genE3ELNS1_11target_archE908ELNS1_3gpuE7ELNS1_3repE0EEENS1_30default_config_static_selectorELNS0_4arch9wavefront6targetE1EEEvT1_,comdat
	.globl	_ZN7rocprim17ROCPRIM_400000_NS6detail17trampoline_kernelINS0_14default_configENS1_20scan_config_selectorIN3c107complexIfEEEEZZNS1_9scan_implILNS1_25lookback_scan_determinismE0ELb0ELb0ES3_PKS7_PS7_S7_ZZZN2at6native31launch_logcumsumexp_cuda_kernelERKNSE_10TensorBaseESI_lENKUlvE_clEvENKUlvE2_clEvEUlS7_S7_E_S7_EEDaPvRmT3_T4_T5_mT6_P12ihipStream_tbENKUlT_T0_E_clISt17integral_constantIbLb1EESY_IbLb0EEEEDaSU_SV_EUlSU_E_NS1_11comp_targetILNS1_3genE3ELNS1_11target_archE908ELNS1_3gpuE7ELNS1_3repE0EEENS1_30default_config_static_selectorELNS0_4arch9wavefront6targetE1EEEvT1_ ; -- Begin function _ZN7rocprim17ROCPRIM_400000_NS6detail17trampoline_kernelINS0_14default_configENS1_20scan_config_selectorIN3c107complexIfEEEEZZNS1_9scan_implILNS1_25lookback_scan_determinismE0ELb0ELb0ES3_PKS7_PS7_S7_ZZZN2at6native31launch_logcumsumexp_cuda_kernelERKNSE_10TensorBaseESI_lENKUlvE_clEvENKUlvE2_clEvEUlS7_S7_E_S7_EEDaPvRmT3_T4_T5_mT6_P12ihipStream_tbENKUlT_T0_E_clISt17integral_constantIbLb1EESY_IbLb0EEEEDaSU_SV_EUlSU_E_NS1_11comp_targetILNS1_3genE3ELNS1_11target_archE908ELNS1_3gpuE7ELNS1_3repE0EEENS1_30default_config_static_selectorELNS0_4arch9wavefront6targetE1EEEvT1_
	.p2align	8
	.type	_ZN7rocprim17ROCPRIM_400000_NS6detail17trampoline_kernelINS0_14default_configENS1_20scan_config_selectorIN3c107complexIfEEEEZZNS1_9scan_implILNS1_25lookback_scan_determinismE0ELb0ELb0ES3_PKS7_PS7_S7_ZZZN2at6native31launch_logcumsumexp_cuda_kernelERKNSE_10TensorBaseESI_lENKUlvE_clEvENKUlvE2_clEvEUlS7_S7_E_S7_EEDaPvRmT3_T4_T5_mT6_P12ihipStream_tbENKUlT_T0_E_clISt17integral_constantIbLb1EESY_IbLb0EEEEDaSU_SV_EUlSU_E_NS1_11comp_targetILNS1_3genE3ELNS1_11target_archE908ELNS1_3gpuE7ELNS1_3repE0EEENS1_30default_config_static_selectorELNS0_4arch9wavefront6targetE1EEEvT1_,@function
_ZN7rocprim17ROCPRIM_400000_NS6detail17trampoline_kernelINS0_14default_configENS1_20scan_config_selectorIN3c107complexIfEEEEZZNS1_9scan_implILNS1_25lookback_scan_determinismE0ELb0ELb0ES3_PKS7_PS7_S7_ZZZN2at6native31launch_logcumsumexp_cuda_kernelERKNSE_10TensorBaseESI_lENKUlvE_clEvENKUlvE2_clEvEUlS7_S7_E_S7_EEDaPvRmT3_T4_T5_mT6_P12ihipStream_tbENKUlT_T0_E_clISt17integral_constantIbLb1EESY_IbLb0EEEEDaSU_SV_EUlSU_E_NS1_11comp_targetILNS1_3genE3ELNS1_11target_archE908ELNS1_3gpuE7ELNS1_3repE0EEENS1_30default_config_static_selectorELNS0_4arch9wavefront6targetE1EEEvT1_: ; @_ZN7rocprim17ROCPRIM_400000_NS6detail17trampoline_kernelINS0_14default_configENS1_20scan_config_selectorIN3c107complexIfEEEEZZNS1_9scan_implILNS1_25lookback_scan_determinismE0ELb0ELb0ES3_PKS7_PS7_S7_ZZZN2at6native31launch_logcumsumexp_cuda_kernelERKNSE_10TensorBaseESI_lENKUlvE_clEvENKUlvE2_clEvEUlS7_S7_E_S7_EEDaPvRmT3_T4_T5_mT6_P12ihipStream_tbENKUlT_T0_E_clISt17integral_constantIbLb1EESY_IbLb0EEEEDaSU_SV_EUlSU_E_NS1_11comp_targetILNS1_3genE3ELNS1_11target_archE908ELNS1_3gpuE7ELNS1_3repE0EEENS1_30default_config_static_selectorELNS0_4arch9wavefront6targetE1EEEvT1_
; %bb.0:
	.section	.rodata,"a",@progbits
	.p2align	6, 0x0
	.amdhsa_kernel _ZN7rocprim17ROCPRIM_400000_NS6detail17trampoline_kernelINS0_14default_configENS1_20scan_config_selectorIN3c107complexIfEEEEZZNS1_9scan_implILNS1_25lookback_scan_determinismE0ELb0ELb0ES3_PKS7_PS7_S7_ZZZN2at6native31launch_logcumsumexp_cuda_kernelERKNSE_10TensorBaseESI_lENKUlvE_clEvENKUlvE2_clEvEUlS7_S7_E_S7_EEDaPvRmT3_T4_T5_mT6_P12ihipStream_tbENKUlT_T0_E_clISt17integral_constantIbLb1EESY_IbLb0EEEEDaSU_SV_EUlSU_E_NS1_11comp_targetILNS1_3genE3ELNS1_11target_archE908ELNS1_3gpuE7ELNS1_3repE0EEENS1_30default_config_static_selectorELNS0_4arch9wavefront6targetE1EEEvT1_
		.amdhsa_group_segment_fixed_size 0
		.amdhsa_private_segment_fixed_size 0
		.amdhsa_kernarg_size 104
		.amdhsa_user_sgpr_count 2
		.amdhsa_user_sgpr_dispatch_ptr 0
		.amdhsa_user_sgpr_queue_ptr 0
		.amdhsa_user_sgpr_kernarg_segment_ptr 1
		.amdhsa_user_sgpr_dispatch_id 0
		.amdhsa_user_sgpr_kernarg_preload_length 0
		.amdhsa_user_sgpr_kernarg_preload_offset 0
		.amdhsa_user_sgpr_private_segment_size 0
		.amdhsa_uses_dynamic_stack 0
		.amdhsa_enable_private_segment 0
		.amdhsa_system_sgpr_workgroup_id_x 1
		.amdhsa_system_sgpr_workgroup_id_y 0
		.amdhsa_system_sgpr_workgroup_id_z 0
		.amdhsa_system_sgpr_workgroup_info 0
		.amdhsa_system_vgpr_workitem_id 0
		.amdhsa_next_free_vgpr 1
		.amdhsa_next_free_sgpr 0
		.amdhsa_accum_offset 4
		.amdhsa_reserve_vcc 0
		.amdhsa_float_round_mode_32 0
		.amdhsa_float_round_mode_16_64 0
		.amdhsa_float_denorm_mode_32 3
		.amdhsa_float_denorm_mode_16_64 3
		.amdhsa_dx10_clamp 1
		.amdhsa_ieee_mode 1
		.amdhsa_fp16_overflow 0
		.amdhsa_tg_split 0
		.amdhsa_exception_fp_ieee_invalid_op 0
		.amdhsa_exception_fp_denorm_src 0
		.amdhsa_exception_fp_ieee_div_zero 0
		.amdhsa_exception_fp_ieee_overflow 0
		.amdhsa_exception_fp_ieee_underflow 0
		.amdhsa_exception_fp_ieee_inexact 0
		.amdhsa_exception_int_div_zero 0
	.end_amdhsa_kernel
	.section	.text._ZN7rocprim17ROCPRIM_400000_NS6detail17trampoline_kernelINS0_14default_configENS1_20scan_config_selectorIN3c107complexIfEEEEZZNS1_9scan_implILNS1_25lookback_scan_determinismE0ELb0ELb0ES3_PKS7_PS7_S7_ZZZN2at6native31launch_logcumsumexp_cuda_kernelERKNSE_10TensorBaseESI_lENKUlvE_clEvENKUlvE2_clEvEUlS7_S7_E_S7_EEDaPvRmT3_T4_T5_mT6_P12ihipStream_tbENKUlT_T0_E_clISt17integral_constantIbLb1EESY_IbLb0EEEEDaSU_SV_EUlSU_E_NS1_11comp_targetILNS1_3genE3ELNS1_11target_archE908ELNS1_3gpuE7ELNS1_3repE0EEENS1_30default_config_static_selectorELNS0_4arch9wavefront6targetE1EEEvT1_,"axG",@progbits,_ZN7rocprim17ROCPRIM_400000_NS6detail17trampoline_kernelINS0_14default_configENS1_20scan_config_selectorIN3c107complexIfEEEEZZNS1_9scan_implILNS1_25lookback_scan_determinismE0ELb0ELb0ES3_PKS7_PS7_S7_ZZZN2at6native31launch_logcumsumexp_cuda_kernelERKNSE_10TensorBaseESI_lENKUlvE_clEvENKUlvE2_clEvEUlS7_S7_E_S7_EEDaPvRmT3_T4_T5_mT6_P12ihipStream_tbENKUlT_T0_E_clISt17integral_constantIbLb1EESY_IbLb0EEEEDaSU_SV_EUlSU_E_NS1_11comp_targetILNS1_3genE3ELNS1_11target_archE908ELNS1_3gpuE7ELNS1_3repE0EEENS1_30default_config_static_selectorELNS0_4arch9wavefront6targetE1EEEvT1_,comdat
.Lfunc_end313:
	.size	_ZN7rocprim17ROCPRIM_400000_NS6detail17trampoline_kernelINS0_14default_configENS1_20scan_config_selectorIN3c107complexIfEEEEZZNS1_9scan_implILNS1_25lookback_scan_determinismE0ELb0ELb0ES3_PKS7_PS7_S7_ZZZN2at6native31launch_logcumsumexp_cuda_kernelERKNSE_10TensorBaseESI_lENKUlvE_clEvENKUlvE2_clEvEUlS7_S7_E_S7_EEDaPvRmT3_T4_T5_mT6_P12ihipStream_tbENKUlT_T0_E_clISt17integral_constantIbLb1EESY_IbLb0EEEEDaSU_SV_EUlSU_E_NS1_11comp_targetILNS1_3genE3ELNS1_11target_archE908ELNS1_3gpuE7ELNS1_3repE0EEENS1_30default_config_static_selectorELNS0_4arch9wavefront6targetE1EEEvT1_, .Lfunc_end313-_ZN7rocprim17ROCPRIM_400000_NS6detail17trampoline_kernelINS0_14default_configENS1_20scan_config_selectorIN3c107complexIfEEEEZZNS1_9scan_implILNS1_25lookback_scan_determinismE0ELb0ELb0ES3_PKS7_PS7_S7_ZZZN2at6native31launch_logcumsumexp_cuda_kernelERKNSE_10TensorBaseESI_lENKUlvE_clEvENKUlvE2_clEvEUlS7_S7_E_S7_EEDaPvRmT3_T4_T5_mT6_P12ihipStream_tbENKUlT_T0_E_clISt17integral_constantIbLb1EESY_IbLb0EEEEDaSU_SV_EUlSU_E_NS1_11comp_targetILNS1_3genE3ELNS1_11target_archE908ELNS1_3gpuE7ELNS1_3repE0EEENS1_30default_config_static_selectorELNS0_4arch9wavefront6targetE1EEEvT1_
                                        ; -- End function
	.set _ZN7rocprim17ROCPRIM_400000_NS6detail17trampoline_kernelINS0_14default_configENS1_20scan_config_selectorIN3c107complexIfEEEEZZNS1_9scan_implILNS1_25lookback_scan_determinismE0ELb0ELb0ES3_PKS7_PS7_S7_ZZZN2at6native31launch_logcumsumexp_cuda_kernelERKNSE_10TensorBaseESI_lENKUlvE_clEvENKUlvE2_clEvEUlS7_S7_E_S7_EEDaPvRmT3_T4_T5_mT6_P12ihipStream_tbENKUlT_T0_E_clISt17integral_constantIbLb1EESY_IbLb0EEEEDaSU_SV_EUlSU_E_NS1_11comp_targetILNS1_3genE3ELNS1_11target_archE908ELNS1_3gpuE7ELNS1_3repE0EEENS1_30default_config_static_selectorELNS0_4arch9wavefront6targetE1EEEvT1_.num_vgpr, 0
	.set _ZN7rocprim17ROCPRIM_400000_NS6detail17trampoline_kernelINS0_14default_configENS1_20scan_config_selectorIN3c107complexIfEEEEZZNS1_9scan_implILNS1_25lookback_scan_determinismE0ELb0ELb0ES3_PKS7_PS7_S7_ZZZN2at6native31launch_logcumsumexp_cuda_kernelERKNSE_10TensorBaseESI_lENKUlvE_clEvENKUlvE2_clEvEUlS7_S7_E_S7_EEDaPvRmT3_T4_T5_mT6_P12ihipStream_tbENKUlT_T0_E_clISt17integral_constantIbLb1EESY_IbLb0EEEEDaSU_SV_EUlSU_E_NS1_11comp_targetILNS1_3genE3ELNS1_11target_archE908ELNS1_3gpuE7ELNS1_3repE0EEENS1_30default_config_static_selectorELNS0_4arch9wavefront6targetE1EEEvT1_.num_agpr, 0
	.set _ZN7rocprim17ROCPRIM_400000_NS6detail17trampoline_kernelINS0_14default_configENS1_20scan_config_selectorIN3c107complexIfEEEEZZNS1_9scan_implILNS1_25lookback_scan_determinismE0ELb0ELb0ES3_PKS7_PS7_S7_ZZZN2at6native31launch_logcumsumexp_cuda_kernelERKNSE_10TensorBaseESI_lENKUlvE_clEvENKUlvE2_clEvEUlS7_S7_E_S7_EEDaPvRmT3_T4_T5_mT6_P12ihipStream_tbENKUlT_T0_E_clISt17integral_constantIbLb1EESY_IbLb0EEEEDaSU_SV_EUlSU_E_NS1_11comp_targetILNS1_3genE3ELNS1_11target_archE908ELNS1_3gpuE7ELNS1_3repE0EEENS1_30default_config_static_selectorELNS0_4arch9wavefront6targetE1EEEvT1_.numbered_sgpr, 0
	.set _ZN7rocprim17ROCPRIM_400000_NS6detail17trampoline_kernelINS0_14default_configENS1_20scan_config_selectorIN3c107complexIfEEEEZZNS1_9scan_implILNS1_25lookback_scan_determinismE0ELb0ELb0ES3_PKS7_PS7_S7_ZZZN2at6native31launch_logcumsumexp_cuda_kernelERKNSE_10TensorBaseESI_lENKUlvE_clEvENKUlvE2_clEvEUlS7_S7_E_S7_EEDaPvRmT3_T4_T5_mT6_P12ihipStream_tbENKUlT_T0_E_clISt17integral_constantIbLb1EESY_IbLb0EEEEDaSU_SV_EUlSU_E_NS1_11comp_targetILNS1_3genE3ELNS1_11target_archE908ELNS1_3gpuE7ELNS1_3repE0EEENS1_30default_config_static_selectorELNS0_4arch9wavefront6targetE1EEEvT1_.num_named_barrier, 0
	.set _ZN7rocprim17ROCPRIM_400000_NS6detail17trampoline_kernelINS0_14default_configENS1_20scan_config_selectorIN3c107complexIfEEEEZZNS1_9scan_implILNS1_25lookback_scan_determinismE0ELb0ELb0ES3_PKS7_PS7_S7_ZZZN2at6native31launch_logcumsumexp_cuda_kernelERKNSE_10TensorBaseESI_lENKUlvE_clEvENKUlvE2_clEvEUlS7_S7_E_S7_EEDaPvRmT3_T4_T5_mT6_P12ihipStream_tbENKUlT_T0_E_clISt17integral_constantIbLb1EESY_IbLb0EEEEDaSU_SV_EUlSU_E_NS1_11comp_targetILNS1_3genE3ELNS1_11target_archE908ELNS1_3gpuE7ELNS1_3repE0EEENS1_30default_config_static_selectorELNS0_4arch9wavefront6targetE1EEEvT1_.private_seg_size, 0
	.set _ZN7rocprim17ROCPRIM_400000_NS6detail17trampoline_kernelINS0_14default_configENS1_20scan_config_selectorIN3c107complexIfEEEEZZNS1_9scan_implILNS1_25lookback_scan_determinismE0ELb0ELb0ES3_PKS7_PS7_S7_ZZZN2at6native31launch_logcumsumexp_cuda_kernelERKNSE_10TensorBaseESI_lENKUlvE_clEvENKUlvE2_clEvEUlS7_S7_E_S7_EEDaPvRmT3_T4_T5_mT6_P12ihipStream_tbENKUlT_T0_E_clISt17integral_constantIbLb1EESY_IbLb0EEEEDaSU_SV_EUlSU_E_NS1_11comp_targetILNS1_3genE3ELNS1_11target_archE908ELNS1_3gpuE7ELNS1_3repE0EEENS1_30default_config_static_selectorELNS0_4arch9wavefront6targetE1EEEvT1_.uses_vcc, 0
	.set _ZN7rocprim17ROCPRIM_400000_NS6detail17trampoline_kernelINS0_14default_configENS1_20scan_config_selectorIN3c107complexIfEEEEZZNS1_9scan_implILNS1_25lookback_scan_determinismE0ELb0ELb0ES3_PKS7_PS7_S7_ZZZN2at6native31launch_logcumsumexp_cuda_kernelERKNSE_10TensorBaseESI_lENKUlvE_clEvENKUlvE2_clEvEUlS7_S7_E_S7_EEDaPvRmT3_T4_T5_mT6_P12ihipStream_tbENKUlT_T0_E_clISt17integral_constantIbLb1EESY_IbLb0EEEEDaSU_SV_EUlSU_E_NS1_11comp_targetILNS1_3genE3ELNS1_11target_archE908ELNS1_3gpuE7ELNS1_3repE0EEENS1_30default_config_static_selectorELNS0_4arch9wavefront6targetE1EEEvT1_.uses_flat_scratch, 0
	.set _ZN7rocprim17ROCPRIM_400000_NS6detail17trampoline_kernelINS0_14default_configENS1_20scan_config_selectorIN3c107complexIfEEEEZZNS1_9scan_implILNS1_25lookback_scan_determinismE0ELb0ELb0ES3_PKS7_PS7_S7_ZZZN2at6native31launch_logcumsumexp_cuda_kernelERKNSE_10TensorBaseESI_lENKUlvE_clEvENKUlvE2_clEvEUlS7_S7_E_S7_EEDaPvRmT3_T4_T5_mT6_P12ihipStream_tbENKUlT_T0_E_clISt17integral_constantIbLb1EESY_IbLb0EEEEDaSU_SV_EUlSU_E_NS1_11comp_targetILNS1_3genE3ELNS1_11target_archE908ELNS1_3gpuE7ELNS1_3repE0EEENS1_30default_config_static_selectorELNS0_4arch9wavefront6targetE1EEEvT1_.has_dyn_sized_stack, 0
	.set _ZN7rocprim17ROCPRIM_400000_NS6detail17trampoline_kernelINS0_14default_configENS1_20scan_config_selectorIN3c107complexIfEEEEZZNS1_9scan_implILNS1_25lookback_scan_determinismE0ELb0ELb0ES3_PKS7_PS7_S7_ZZZN2at6native31launch_logcumsumexp_cuda_kernelERKNSE_10TensorBaseESI_lENKUlvE_clEvENKUlvE2_clEvEUlS7_S7_E_S7_EEDaPvRmT3_T4_T5_mT6_P12ihipStream_tbENKUlT_T0_E_clISt17integral_constantIbLb1EESY_IbLb0EEEEDaSU_SV_EUlSU_E_NS1_11comp_targetILNS1_3genE3ELNS1_11target_archE908ELNS1_3gpuE7ELNS1_3repE0EEENS1_30default_config_static_selectorELNS0_4arch9wavefront6targetE1EEEvT1_.has_recursion, 0
	.set _ZN7rocprim17ROCPRIM_400000_NS6detail17trampoline_kernelINS0_14default_configENS1_20scan_config_selectorIN3c107complexIfEEEEZZNS1_9scan_implILNS1_25lookback_scan_determinismE0ELb0ELb0ES3_PKS7_PS7_S7_ZZZN2at6native31launch_logcumsumexp_cuda_kernelERKNSE_10TensorBaseESI_lENKUlvE_clEvENKUlvE2_clEvEUlS7_S7_E_S7_EEDaPvRmT3_T4_T5_mT6_P12ihipStream_tbENKUlT_T0_E_clISt17integral_constantIbLb1EESY_IbLb0EEEEDaSU_SV_EUlSU_E_NS1_11comp_targetILNS1_3genE3ELNS1_11target_archE908ELNS1_3gpuE7ELNS1_3repE0EEENS1_30default_config_static_selectorELNS0_4arch9wavefront6targetE1EEEvT1_.has_indirect_call, 0
	.section	.AMDGPU.csdata,"",@progbits
; Kernel info:
; codeLenInByte = 0
; TotalNumSgprs: 6
; NumVgprs: 0
; NumAgprs: 0
; TotalNumVgprs: 0
; ScratchSize: 0
; MemoryBound: 0
; FloatMode: 240
; IeeeMode: 1
; LDSByteSize: 0 bytes/workgroup (compile time only)
; SGPRBlocks: 0
; VGPRBlocks: 0
; NumSGPRsForWavesPerEU: 6
; NumVGPRsForWavesPerEU: 1
; AccumOffset: 4
; Occupancy: 8
; WaveLimiterHint : 0
; COMPUTE_PGM_RSRC2:SCRATCH_EN: 0
; COMPUTE_PGM_RSRC2:USER_SGPR: 2
; COMPUTE_PGM_RSRC2:TRAP_HANDLER: 0
; COMPUTE_PGM_RSRC2:TGID_X_EN: 1
; COMPUTE_PGM_RSRC2:TGID_Y_EN: 0
; COMPUTE_PGM_RSRC2:TGID_Z_EN: 0
; COMPUTE_PGM_RSRC2:TIDIG_COMP_CNT: 0
; COMPUTE_PGM_RSRC3_GFX90A:ACCUM_OFFSET: 0
; COMPUTE_PGM_RSRC3_GFX90A:TG_SPLIT: 0
	.section	.text._ZN7rocprim17ROCPRIM_400000_NS6detail17trampoline_kernelINS0_14default_configENS1_20scan_config_selectorIN3c107complexIfEEEEZZNS1_9scan_implILNS1_25lookback_scan_determinismE0ELb0ELb0ES3_PKS7_PS7_S7_ZZZN2at6native31launch_logcumsumexp_cuda_kernelERKNSE_10TensorBaseESI_lENKUlvE_clEvENKUlvE2_clEvEUlS7_S7_E_S7_EEDaPvRmT3_T4_T5_mT6_P12ihipStream_tbENKUlT_T0_E_clISt17integral_constantIbLb1EESY_IbLb0EEEEDaSU_SV_EUlSU_E_NS1_11comp_targetILNS1_3genE2ELNS1_11target_archE906ELNS1_3gpuE6ELNS1_3repE0EEENS1_30default_config_static_selectorELNS0_4arch9wavefront6targetE1EEEvT1_,"axG",@progbits,_ZN7rocprim17ROCPRIM_400000_NS6detail17trampoline_kernelINS0_14default_configENS1_20scan_config_selectorIN3c107complexIfEEEEZZNS1_9scan_implILNS1_25lookback_scan_determinismE0ELb0ELb0ES3_PKS7_PS7_S7_ZZZN2at6native31launch_logcumsumexp_cuda_kernelERKNSE_10TensorBaseESI_lENKUlvE_clEvENKUlvE2_clEvEUlS7_S7_E_S7_EEDaPvRmT3_T4_T5_mT6_P12ihipStream_tbENKUlT_T0_E_clISt17integral_constantIbLb1EESY_IbLb0EEEEDaSU_SV_EUlSU_E_NS1_11comp_targetILNS1_3genE2ELNS1_11target_archE906ELNS1_3gpuE6ELNS1_3repE0EEENS1_30default_config_static_selectorELNS0_4arch9wavefront6targetE1EEEvT1_,comdat
	.globl	_ZN7rocprim17ROCPRIM_400000_NS6detail17trampoline_kernelINS0_14default_configENS1_20scan_config_selectorIN3c107complexIfEEEEZZNS1_9scan_implILNS1_25lookback_scan_determinismE0ELb0ELb0ES3_PKS7_PS7_S7_ZZZN2at6native31launch_logcumsumexp_cuda_kernelERKNSE_10TensorBaseESI_lENKUlvE_clEvENKUlvE2_clEvEUlS7_S7_E_S7_EEDaPvRmT3_T4_T5_mT6_P12ihipStream_tbENKUlT_T0_E_clISt17integral_constantIbLb1EESY_IbLb0EEEEDaSU_SV_EUlSU_E_NS1_11comp_targetILNS1_3genE2ELNS1_11target_archE906ELNS1_3gpuE6ELNS1_3repE0EEENS1_30default_config_static_selectorELNS0_4arch9wavefront6targetE1EEEvT1_ ; -- Begin function _ZN7rocprim17ROCPRIM_400000_NS6detail17trampoline_kernelINS0_14default_configENS1_20scan_config_selectorIN3c107complexIfEEEEZZNS1_9scan_implILNS1_25lookback_scan_determinismE0ELb0ELb0ES3_PKS7_PS7_S7_ZZZN2at6native31launch_logcumsumexp_cuda_kernelERKNSE_10TensorBaseESI_lENKUlvE_clEvENKUlvE2_clEvEUlS7_S7_E_S7_EEDaPvRmT3_T4_T5_mT6_P12ihipStream_tbENKUlT_T0_E_clISt17integral_constantIbLb1EESY_IbLb0EEEEDaSU_SV_EUlSU_E_NS1_11comp_targetILNS1_3genE2ELNS1_11target_archE906ELNS1_3gpuE6ELNS1_3repE0EEENS1_30default_config_static_selectorELNS0_4arch9wavefront6targetE1EEEvT1_
	.p2align	8
	.type	_ZN7rocprim17ROCPRIM_400000_NS6detail17trampoline_kernelINS0_14default_configENS1_20scan_config_selectorIN3c107complexIfEEEEZZNS1_9scan_implILNS1_25lookback_scan_determinismE0ELb0ELb0ES3_PKS7_PS7_S7_ZZZN2at6native31launch_logcumsumexp_cuda_kernelERKNSE_10TensorBaseESI_lENKUlvE_clEvENKUlvE2_clEvEUlS7_S7_E_S7_EEDaPvRmT3_T4_T5_mT6_P12ihipStream_tbENKUlT_T0_E_clISt17integral_constantIbLb1EESY_IbLb0EEEEDaSU_SV_EUlSU_E_NS1_11comp_targetILNS1_3genE2ELNS1_11target_archE906ELNS1_3gpuE6ELNS1_3repE0EEENS1_30default_config_static_selectorELNS0_4arch9wavefront6targetE1EEEvT1_,@function
_ZN7rocprim17ROCPRIM_400000_NS6detail17trampoline_kernelINS0_14default_configENS1_20scan_config_selectorIN3c107complexIfEEEEZZNS1_9scan_implILNS1_25lookback_scan_determinismE0ELb0ELb0ES3_PKS7_PS7_S7_ZZZN2at6native31launch_logcumsumexp_cuda_kernelERKNSE_10TensorBaseESI_lENKUlvE_clEvENKUlvE2_clEvEUlS7_S7_E_S7_EEDaPvRmT3_T4_T5_mT6_P12ihipStream_tbENKUlT_T0_E_clISt17integral_constantIbLb1EESY_IbLb0EEEEDaSU_SV_EUlSU_E_NS1_11comp_targetILNS1_3genE2ELNS1_11target_archE906ELNS1_3gpuE6ELNS1_3repE0EEENS1_30default_config_static_selectorELNS0_4arch9wavefront6targetE1EEEvT1_: ; @_ZN7rocprim17ROCPRIM_400000_NS6detail17trampoline_kernelINS0_14default_configENS1_20scan_config_selectorIN3c107complexIfEEEEZZNS1_9scan_implILNS1_25lookback_scan_determinismE0ELb0ELb0ES3_PKS7_PS7_S7_ZZZN2at6native31launch_logcumsumexp_cuda_kernelERKNSE_10TensorBaseESI_lENKUlvE_clEvENKUlvE2_clEvEUlS7_S7_E_S7_EEDaPvRmT3_T4_T5_mT6_P12ihipStream_tbENKUlT_T0_E_clISt17integral_constantIbLb1EESY_IbLb0EEEEDaSU_SV_EUlSU_E_NS1_11comp_targetILNS1_3genE2ELNS1_11target_archE906ELNS1_3gpuE6ELNS1_3repE0EEENS1_30default_config_static_selectorELNS0_4arch9wavefront6targetE1EEEvT1_
; %bb.0:
	.section	.rodata,"a",@progbits
	.p2align	6, 0x0
	.amdhsa_kernel _ZN7rocprim17ROCPRIM_400000_NS6detail17trampoline_kernelINS0_14default_configENS1_20scan_config_selectorIN3c107complexIfEEEEZZNS1_9scan_implILNS1_25lookback_scan_determinismE0ELb0ELb0ES3_PKS7_PS7_S7_ZZZN2at6native31launch_logcumsumexp_cuda_kernelERKNSE_10TensorBaseESI_lENKUlvE_clEvENKUlvE2_clEvEUlS7_S7_E_S7_EEDaPvRmT3_T4_T5_mT6_P12ihipStream_tbENKUlT_T0_E_clISt17integral_constantIbLb1EESY_IbLb0EEEEDaSU_SV_EUlSU_E_NS1_11comp_targetILNS1_3genE2ELNS1_11target_archE906ELNS1_3gpuE6ELNS1_3repE0EEENS1_30default_config_static_selectorELNS0_4arch9wavefront6targetE1EEEvT1_
		.amdhsa_group_segment_fixed_size 0
		.amdhsa_private_segment_fixed_size 0
		.amdhsa_kernarg_size 104
		.amdhsa_user_sgpr_count 2
		.amdhsa_user_sgpr_dispatch_ptr 0
		.amdhsa_user_sgpr_queue_ptr 0
		.amdhsa_user_sgpr_kernarg_segment_ptr 1
		.amdhsa_user_sgpr_dispatch_id 0
		.amdhsa_user_sgpr_kernarg_preload_length 0
		.amdhsa_user_sgpr_kernarg_preload_offset 0
		.amdhsa_user_sgpr_private_segment_size 0
		.amdhsa_uses_dynamic_stack 0
		.amdhsa_enable_private_segment 0
		.amdhsa_system_sgpr_workgroup_id_x 1
		.amdhsa_system_sgpr_workgroup_id_y 0
		.amdhsa_system_sgpr_workgroup_id_z 0
		.amdhsa_system_sgpr_workgroup_info 0
		.amdhsa_system_vgpr_workitem_id 0
		.amdhsa_next_free_vgpr 1
		.amdhsa_next_free_sgpr 0
		.amdhsa_accum_offset 4
		.amdhsa_reserve_vcc 0
		.amdhsa_float_round_mode_32 0
		.amdhsa_float_round_mode_16_64 0
		.amdhsa_float_denorm_mode_32 3
		.amdhsa_float_denorm_mode_16_64 3
		.amdhsa_dx10_clamp 1
		.amdhsa_ieee_mode 1
		.amdhsa_fp16_overflow 0
		.amdhsa_tg_split 0
		.amdhsa_exception_fp_ieee_invalid_op 0
		.amdhsa_exception_fp_denorm_src 0
		.amdhsa_exception_fp_ieee_div_zero 0
		.amdhsa_exception_fp_ieee_overflow 0
		.amdhsa_exception_fp_ieee_underflow 0
		.amdhsa_exception_fp_ieee_inexact 0
		.amdhsa_exception_int_div_zero 0
	.end_amdhsa_kernel
	.section	.text._ZN7rocprim17ROCPRIM_400000_NS6detail17trampoline_kernelINS0_14default_configENS1_20scan_config_selectorIN3c107complexIfEEEEZZNS1_9scan_implILNS1_25lookback_scan_determinismE0ELb0ELb0ES3_PKS7_PS7_S7_ZZZN2at6native31launch_logcumsumexp_cuda_kernelERKNSE_10TensorBaseESI_lENKUlvE_clEvENKUlvE2_clEvEUlS7_S7_E_S7_EEDaPvRmT3_T4_T5_mT6_P12ihipStream_tbENKUlT_T0_E_clISt17integral_constantIbLb1EESY_IbLb0EEEEDaSU_SV_EUlSU_E_NS1_11comp_targetILNS1_3genE2ELNS1_11target_archE906ELNS1_3gpuE6ELNS1_3repE0EEENS1_30default_config_static_selectorELNS0_4arch9wavefront6targetE1EEEvT1_,"axG",@progbits,_ZN7rocprim17ROCPRIM_400000_NS6detail17trampoline_kernelINS0_14default_configENS1_20scan_config_selectorIN3c107complexIfEEEEZZNS1_9scan_implILNS1_25lookback_scan_determinismE0ELb0ELb0ES3_PKS7_PS7_S7_ZZZN2at6native31launch_logcumsumexp_cuda_kernelERKNSE_10TensorBaseESI_lENKUlvE_clEvENKUlvE2_clEvEUlS7_S7_E_S7_EEDaPvRmT3_T4_T5_mT6_P12ihipStream_tbENKUlT_T0_E_clISt17integral_constantIbLb1EESY_IbLb0EEEEDaSU_SV_EUlSU_E_NS1_11comp_targetILNS1_3genE2ELNS1_11target_archE906ELNS1_3gpuE6ELNS1_3repE0EEENS1_30default_config_static_selectorELNS0_4arch9wavefront6targetE1EEEvT1_,comdat
.Lfunc_end314:
	.size	_ZN7rocprim17ROCPRIM_400000_NS6detail17trampoline_kernelINS0_14default_configENS1_20scan_config_selectorIN3c107complexIfEEEEZZNS1_9scan_implILNS1_25lookback_scan_determinismE0ELb0ELb0ES3_PKS7_PS7_S7_ZZZN2at6native31launch_logcumsumexp_cuda_kernelERKNSE_10TensorBaseESI_lENKUlvE_clEvENKUlvE2_clEvEUlS7_S7_E_S7_EEDaPvRmT3_T4_T5_mT6_P12ihipStream_tbENKUlT_T0_E_clISt17integral_constantIbLb1EESY_IbLb0EEEEDaSU_SV_EUlSU_E_NS1_11comp_targetILNS1_3genE2ELNS1_11target_archE906ELNS1_3gpuE6ELNS1_3repE0EEENS1_30default_config_static_selectorELNS0_4arch9wavefront6targetE1EEEvT1_, .Lfunc_end314-_ZN7rocprim17ROCPRIM_400000_NS6detail17trampoline_kernelINS0_14default_configENS1_20scan_config_selectorIN3c107complexIfEEEEZZNS1_9scan_implILNS1_25lookback_scan_determinismE0ELb0ELb0ES3_PKS7_PS7_S7_ZZZN2at6native31launch_logcumsumexp_cuda_kernelERKNSE_10TensorBaseESI_lENKUlvE_clEvENKUlvE2_clEvEUlS7_S7_E_S7_EEDaPvRmT3_T4_T5_mT6_P12ihipStream_tbENKUlT_T0_E_clISt17integral_constantIbLb1EESY_IbLb0EEEEDaSU_SV_EUlSU_E_NS1_11comp_targetILNS1_3genE2ELNS1_11target_archE906ELNS1_3gpuE6ELNS1_3repE0EEENS1_30default_config_static_selectorELNS0_4arch9wavefront6targetE1EEEvT1_
                                        ; -- End function
	.set _ZN7rocprim17ROCPRIM_400000_NS6detail17trampoline_kernelINS0_14default_configENS1_20scan_config_selectorIN3c107complexIfEEEEZZNS1_9scan_implILNS1_25lookback_scan_determinismE0ELb0ELb0ES3_PKS7_PS7_S7_ZZZN2at6native31launch_logcumsumexp_cuda_kernelERKNSE_10TensorBaseESI_lENKUlvE_clEvENKUlvE2_clEvEUlS7_S7_E_S7_EEDaPvRmT3_T4_T5_mT6_P12ihipStream_tbENKUlT_T0_E_clISt17integral_constantIbLb1EESY_IbLb0EEEEDaSU_SV_EUlSU_E_NS1_11comp_targetILNS1_3genE2ELNS1_11target_archE906ELNS1_3gpuE6ELNS1_3repE0EEENS1_30default_config_static_selectorELNS0_4arch9wavefront6targetE1EEEvT1_.num_vgpr, 0
	.set _ZN7rocprim17ROCPRIM_400000_NS6detail17trampoline_kernelINS0_14default_configENS1_20scan_config_selectorIN3c107complexIfEEEEZZNS1_9scan_implILNS1_25lookback_scan_determinismE0ELb0ELb0ES3_PKS7_PS7_S7_ZZZN2at6native31launch_logcumsumexp_cuda_kernelERKNSE_10TensorBaseESI_lENKUlvE_clEvENKUlvE2_clEvEUlS7_S7_E_S7_EEDaPvRmT3_T4_T5_mT6_P12ihipStream_tbENKUlT_T0_E_clISt17integral_constantIbLb1EESY_IbLb0EEEEDaSU_SV_EUlSU_E_NS1_11comp_targetILNS1_3genE2ELNS1_11target_archE906ELNS1_3gpuE6ELNS1_3repE0EEENS1_30default_config_static_selectorELNS0_4arch9wavefront6targetE1EEEvT1_.num_agpr, 0
	.set _ZN7rocprim17ROCPRIM_400000_NS6detail17trampoline_kernelINS0_14default_configENS1_20scan_config_selectorIN3c107complexIfEEEEZZNS1_9scan_implILNS1_25lookback_scan_determinismE0ELb0ELb0ES3_PKS7_PS7_S7_ZZZN2at6native31launch_logcumsumexp_cuda_kernelERKNSE_10TensorBaseESI_lENKUlvE_clEvENKUlvE2_clEvEUlS7_S7_E_S7_EEDaPvRmT3_T4_T5_mT6_P12ihipStream_tbENKUlT_T0_E_clISt17integral_constantIbLb1EESY_IbLb0EEEEDaSU_SV_EUlSU_E_NS1_11comp_targetILNS1_3genE2ELNS1_11target_archE906ELNS1_3gpuE6ELNS1_3repE0EEENS1_30default_config_static_selectorELNS0_4arch9wavefront6targetE1EEEvT1_.numbered_sgpr, 0
	.set _ZN7rocprim17ROCPRIM_400000_NS6detail17trampoline_kernelINS0_14default_configENS1_20scan_config_selectorIN3c107complexIfEEEEZZNS1_9scan_implILNS1_25lookback_scan_determinismE0ELb0ELb0ES3_PKS7_PS7_S7_ZZZN2at6native31launch_logcumsumexp_cuda_kernelERKNSE_10TensorBaseESI_lENKUlvE_clEvENKUlvE2_clEvEUlS7_S7_E_S7_EEDaPvRmT3_T4_T5_mT6_P12ihipStream_tbENKUlT_T0_E_clISt17integral_constantIbLb1EESY_IbLb0EEEEDaSU_SV_EUlSU_E_NS1_11comp_targetILNS1_3genE2ELNS1_11target_archE906ELNS1_3gpuE6ELNS1_3repE0EEENS1_30default_config_static_selectorELNS0_4arch9wavefront6targetE1EEEvT1_.num_named_barrier, 0
	.set _ZN7rocprim17ROCPRIM_400000_NS6detail17trampoline_kernelINS0_14default_configENS1_20scan_config_selectorIN3c107complexIfEEEEZZNS1_9scan_implILNS1_25lookback_scan_determinismE0ELb0ELb0ES3_PKS7_PS7_S7_ZZZN2at6native31launch_logcumsumexp_cuda_kernelERKNSE_10TensorBaseESI_lENKUlvE_clEvENKUlvE2_clEvEUlS7_S7_E_S7_EEDaPvRmT3_T4_T5_mT6_P12ihipStream_tbENKUlT_T0_E_clISt17integral_constantIbLb1EESY_IbLb0EEEEDaSU_SV_EUlSU_E_NS1_11comp_targetILNS1_3genE2ELNS1_11target_archE906ELNS1_3gpuE6ELNS1_3repE0EEENS1_30default_config_static_selectorELNS0_4arch9wavefront6targetE1EEEvT1_.private_seg_size, 0
	.set _ZN7rocprim17ROCPRIM_400000_NS6detail17trampoline_kernelINS0_14default_configENS1_20scan_config_selectorIN3c107complexIfEEEEZZNS1_9scan_implILNS1_25lookback_scan_determinismE0ELb0ELb0ES3_PKS7_PS7_S7_ZZZN2at6native31launch_logcumsumexp_cuda_kernelERKNSE_10TensorBaseESI_lENKUlvE_clEvENKUlvE2_clEvEUlS7_S7_E_S7_EEDaPvRmT3_T4_T5_mT6_P12ihipStream_tbENKUlT_T0_E_clISt17integral_constantIbLb1EESY_IbLb0EEEEDaSU_SV_EUlSU_E_NS1_11comp_targetILNS1_3genE2ELNS1_11target_archE906ELNS1_3gpuE6ELNS1_3repE0EEENS1_30default_config_static_selectorELNS0_4arch9wavefront6targetE1EEEvT1_.uses_vcc, 0
	.set _ZN7rocprim17ROCPRIM_400000_NS6detail17trampoline_kernelINS0_14default_configENS1_20scan_config_selectorIN3c107complexIfEEEEZZNS1_9scan_implILNS1_25lookback_scan_determinismE0ELb0ELb0ES3_PKS7_PS7_S7_ZZZN2at6native31launch_logcumsumexp_cuda_kernelERKNSE_10TensorBaseESI_lENKUlvE_clEvENKUlvE2_clEvEUlS7_S7_E_S7_EEDaPvRmT3_T4_T5_mT6_P12ihipStream_tbENKUlT_T0_E_clISt17integral_constantIbLb1EESY_IbLb0EEEEDaSU_SV_EUlSU_E_NS1_11comp_targetILNS1_3genE2ELNS1_11target_archE906ELNS1_3gpuE6ELNS1_3repE0EEENS1_30default_config_static_selectorELNS0_4arch9wavefront6targetE1EEEvT1_.uses_flat_scratch, 0
	.set _ZN7rocprim17ROCPRIM_400000_NS6detail17trampoline_kernelINS0_14default_configENS1_20scan_config_selectorIN3c107complexIfEEEEZZNS1_9scan_implILNS1_25lookback_scan_determinismE0ELb0ELb0ES3_PKS7_PS7_S7_ZZZN2at6native31launch_logcumsumexp_cuda_kernelERKNSE_10TensorBaseESI_lENKUlvE_clEvENKUlvE2_clEvEUlS7_S7_E_S7_EEDaPvRmT3_T4_T5_mT6_P12ihipStream_tbENKUlT_T0_E_clISt17integral_constantIbLb1EESY_IbLb0EEEEDaSU_SV_EUlSU_E_NS1_11comp_targetILNS1_3genE2ELNS1_11target_archE906ELNS1_3gpuE6ELNS1_3repE0EEENS1_30default_config_static_selectorELNS0_4arch9wavefront6targetE1EEEvT1_.has_dyn_sized_stack, 0
	.set _ZN7rocprim17ROCPRIM_400000_NS6detail17trampoline_kernelINS0_14default_configENS1_20scan_config_selectorIN3c107complexIfEEEEZZNS1_9scan_implILNS1_25lookback_scan_determinismE0ELb0ELb0ES3_PKS7_PS7_S7_ZZZN2at6native31launch_logcumsumexp_cuda_kernelERKNSE_10TensorBaseESI_lENKUlvE_clEvENKUlvE2_clEvEUlS7_S7_E_S7_EEDaPvRmT3_T4_T5_mT6_P12ihipStream_tbENKUlT_T0_E_clISt17integral_constantIbLb1EESY_IbLb0EEEEDaSU_SV_EUlSU_E_NS1_11comp_targetILNS1_3genE2ELNS1_11target_archE906ELNS1_3gpuE6ELNS1_3repE0EEENS1_30default_config_static_selectorELNS0_4arch9wavefront6targetE1EEEvT1_.has_recursion, 0
	.set _ZN7rocprim17ROCPRIM_400000_NS6detail17trampoline_kernelINS0_14default_configENS1_20scan_config_selectorIN3c107complexIfEEEEZZNS1_9scan_implILNS1_25lookback_scan_determinismE0ELb0ELb0ES3_PKS7_PS7_S7_ZZZN2at6native31launch_logcumsumexp_cuda_kernelERKNSE_10TensorBaseESI_lENKUlvE_clEvENKUlvE2_clEvEUlS7_S7_E_S7_EEDaPvRmT3_T4_T5_mT6_P12ihipStream_tbENKUlT_T0_E_clISt17integral_constantIbLb1EESY_IbLb0EEEEDaSU_SV_EUlSU_E_NS1_11comp_targetILNS1_3genE2ELNS1_11target_archE906ELNS1_3gpuE6ELNS1_3repE0EEENS1_30default_config_static_selectorELNS0_4arch9wavefront6targetE1EEEvT1_.has_indirect_call, 0
	.section	.AMDGPU.csdata,"",@progbits
; Kernel info:
; codeLenInByte = 0
; TotalNumSgprs: 6
; NumVgprs: 0
; NumAgprs: 0
; TotalNumVgprs: 0
; ScratchSize: 0
; MemoryBound: 0
; FloatMode: 240
; IeeeMode: 1
; LDSByteSize: 0 bytes/workgroup (compile time only)
; SGPRBlocks: 0
; VGPRBlocks: 0
; NumSGPRsForWavesPerEU: 6
; NumVGPRsForWavesPerEU: 1
; AccumOffset: 4
; Occupancy: 8
; WaveLimiterHint : 0
; COMPUTE_PGM_RSRC2:SCRATCH_EN: 0
; COMPUTE_PGM_RSRC2:USER_SGPR: 2
; COMPUTE_PGM_RSRC2:TRAP_HANDLER: 0
; COMPUTE_PGM_RSRC2:TGID_X_EN: 1
; COMPUTE_PGM_RSRC2:TGID_Y_EN: 0
; COMPUTE_PGM_RSRC2:TGID_Z_EN: 0
; COMPUTE_PGM_RSRC2:TIDIG_COMP_CNT: 0
; COMPUTE_PGM_RSRC3_GFX90A:ACCUM_OFFSET: 0
; COMPUTE_PGM_RSRC3_GFX90A:TG_SPLIT: 0
	.section	.text._ZN7rocprim17ROCPRIM_400000_NS6detail17trampoline_kernelINS0_14default_configENS1_20scan_config_selectorIN3c107complexIfEEEEZZNS1_9scan_implILNS1_25lookback_scan_determinismE0ELb0ELb0ES3_PKS7_PS7_S7_ZZZN2at6native31launch_logcumsumexp_cuda_kernelERKNSE_10TensorBaseESI_lENKUlvE_clEvENKUlvE2_clEvEUlS7_S7_E_S7_EEDaPvRmT3_T4_T5_mT6_P12ihipStream_tbENKUlT_T0_E_clISt17integral_constantIbLb1EESY_IbLb0EEEEDaSU_SV_EUlSU_E_NS1_11comp_targetILNS1_3genE10ELNS1_11target_archE1201ELNS1_3gpuE5ELNS1_3repE0EEENS1_30default_config_static_selectorELNS0_4arch9wavefront6targetE1EEEvT1_,"axG",@progbits,_ZN7rocprim17ROCPRIM_400000_NS6detail17trampoline_kernelINS0_14default_configENS1_20scan_config_selectorIN3c107complexIfEEEEZZNS1_9scan_implILNS1_25lookback_scan_determinismE0ELb0ELb0ES3_PKS7_PS7_S7_ZZZN2at6native31launch_logcumsumexp_cuda_kernelERKNSE_10TensorBaseESI_lENKUlvE_clEvENKUlvE2_clEvEUlS7_S7_E_S7_EEDaPvRmT3_T4_T5_mT6_P12ihipStream_tbENKUlT_T0_E_clISt17integral_constantIbLb1EESY_IbLb0EEEEDaSU_SV_EUlSU_E_NS1_11comp_targetILNS1_3genE10ELNS1_11target_archE1201ELNS1_3gpuE5ELNS1_3repE0EEENS1_30default_config_static_selectorELNS0_4arch9wavefront6targetE1EEEvT1_,comdat
	.globl	_ZN7rocprim17ROCPRIM_400000_NS6detail17trampoline_kernelINS0_14default_configENS1_20scan_config_selectorIN3c107complexIfEEEEZZNS1_9scan_implILNS1_25lookback_scan_determinismE0ELb0ELb0ES3_PKS7_PS7_S7_ZZZN2at6native31launch_logcumsumexp_cuda_kernelERKNSE_10TensorBaseESI_lENKUlvE_clEvENKUlvE2_clEvEUlS7_S7_E_S7_EEDaPvRmT3_T4_T5_mT6_P12ihipStream_tbENKUlT_T0_E_clISt17integral_constantIbLb1EESY_IbLb0EEEEDaSU_SV_EUlSU_E_NS1_11comp_targetILNS1_3genE10ELNS1_11target_archE1201ELNS1_3gpuE5ELNS1_3repE0EEENS1_30default_config_static_selectorELNS0_4arch9wavefront6targetE1EEEvT1_ ; -- Begin function _ZN7rocprim17ROCPRIM_400000_NS6detail17trampoline_kernelINS0_14default_configENS1_20scan_config_selectorIN3c107complexIfEEEEZZNS1_9scan_implILNS1_25lookback_scan_determinismE0ELb0ELb0ES3_PKS7_PS7_S7_ZZZN2at6native31launch_logcumsumexp_cuda_kernelERKNSE_10TensorBaseESI_lENKUlvE_clEvENKUlvE2_clEvEUlS7_S7_E_S7_EEDaPvRmT3_T4_T5_mT6_P12ihipStream_tbENKUlT_T0_E_clISt17integral_constantIbLb1EESY_IbLb0EEEEDaSU_SV_EUlSU_E_NS1_11comp_targetILNS1_3genE10ELNS1_11target_archE1201ELNS1_3gpuE5ELNS1_3repE0EEENS1_30default_config_static_selectorELNS0_4arch9wavefront6targetE1EEEvT1_
	.p2align	8
	.type	_ZN7rocprim17ROCPRIM_400000_NS6detail17trampoline_kernelINS0_14default_configENS1_20scan_config_selectorIN3c107complexIfEEEEZZNS1_9scan_implILNS1_25lookback_scan_determinismE0ELb0ELb0ES3_PKS7_PS7_S7_ZZZN2at6native31launch_logcumsumexp_cuda_kernelERKNSE_10TensorBaseESI_lENKUlvE_clEvENKUlvE2_clEvEUlS7_S7_E_S7_EEDaPvRmT3_T4_T5_mT6_P12ihipStream_tbENKUlT_T0_E_clISt17integral_constantIbLb1EESY_IbLb0EEEEDaSU_SV_EUlSU_E_NS1_11comp_targetILNS1_3genE10ELNS1_11target_archE1201ELNS1_3gpuE5ELNS1_3repE0EEENS1_30default_config_static_selectorELNS0_4arch9wavefront6targetE1EEEvT1_,@function
_ZN7rocprim17ROCPRIM_400000_NS6detail17trampoline_kernelINS0_14default_configENS1_20scan_config_selectorIN3c107complexIfEEEEZZNS1_9scan_implILNS1_25lookback_scan_determinismE0ELb0ELb0ES3_PKS7_PS7_S7_ZZZN2at6native31launch_logcumsumexp_cuda_kernelERKNSE_10TensorBaseESI_lENKUlvE_clEvENKUlvE2_clEvEUlS7_S7_E_S7_EEDaPvRmT3_T4_T5_mT6_P12ihipStream_tbENKUlT_T0_E_clISt17integral_constantIbLb1EESY_IbLb0EEEEDaSU_SV_EUlSU_E_NS1_11comp_targetILNS1_3genE10ELNS1_11target_archE1201ELNS1_3gpuE5ELNS1_3repE0EEENS1_30default_config_static_selectorELNS0_4arch9wavefront6targetE1EEEvT1_: ; @_ZN7rocprim17ROCPRIM_400000_NS6detail17trampoline_kernelINS0_14default_configENS1_20scan_config_selectorIN3c107complexIfEEEEZZNS1_9scan_implILNS1_25lookback_scan_determinismE0ELb0ELb0ES3_PKS7_PS7_S7_ZZZN2at6native31launch_logcumsumexp_cuda_kernelERKNSE_10TensorBaseESI_lENKUlvE_clEvENKUlvE2_clEvEUlS7_S7_E_S7_EEDaPvRmT3_T4_T5_mT6_P12ihipStream_tbENKUlT_T0_E_clISt17integral_constantIbLb1EESY_IbLb0EEEEDaSU_SV_EUlSU_E_NS1_11comp_targetILNS1_3genE10ELNS1_11target_archE1201ELNS1_3gpuE5ELNS1_3repE0EEENS1_30default_config_static_selectorELNS0_4arch9wavefront6targetE1EEEvT1_
; %bb.0:
	.section	.rodata,"a",@progbits
	.p2align	6, 0x0
	.amdhsa_kernel _ZN7rocprim17ROCPRIM_400000_NS6detail17trampoline_kernelINS0_14default_configENS1_20scan_config_selectorIN3c107complexIfEEEEZZNS1_9scan_implILNS1_25lookback_scan_determinismE0ELb0ELb0ES3_PKS7_PS7_S7_ZZZN2at6native31launch_logcumsumexp_cuda_kernelERKNSE_10TensorBaseESI_lENKUlvE_clEvENKUlvE2_clEvEUlS7_S7_E_S7_EEDaPvRmT3_T4_T5_mT6_P12ihipStream_tbENKUlT_T0_E_clISt17integral_constantIbLb1EESY_IbLb0EEEEDaSU_SV_EUlSU_E_NS1_11comp_targetILNS1_3genE10ELNS1_11target_archE1201ELNS1_3gpuE5ELNS1_3repE0EEENS1_30default_config_static_selectorELNS0_4arch9wavefront6targetE1EEEvT1_
		.amdhsa_group_segment_fixed_size 0
		.amdhsa_private_segment_fixed_size 0
		.amdhsa_kernarg_size 104
		.amdhsa_user_sgpr_count 2
		.amdhsa_user_sgpr_dispatch_ptr 0
		.amdhsa_user_sgpr_queue_ptr 0
		.amdhsa_user_sgpr_kernarg_segment_ptr 1
		.amdhsa_user_sgpr_dispatch_id 0
		.amdhsa_user_sgpr_kernarg_preload_length 0
		.amdhsa_user_sgpr_kernarg_preload_offset 0
		.amdhsa_user_sgpr_private_segment_size 0
		.amdhsa_uses_dynamic_stack 0
		.amdhsa_enable_private_segment 0
		.amdhsa_system_sgpr_workgroup_id_x 1
		.amdhsa_system_sgpr_workgroup_id_y 0
		.amdhsa_system_sgpr_workgroup_id_z 0
		.amdhsa_system_sgpr_workgroup_info 0
		.amdhsa_system_vgpr_workitem_id 0
		.amdhsa_next_free_vgpr 1
		.amdhsa_next_free_sgpr 0
		.amdhsa_accum_offset 4
		.amdhsa_reserve_vcc 0
		.amdhsa_float_round_mode_32 0
		.amdhsa_float_round_mode_16_64 0
		.amdhsa_float_denorm_mode_32 3
		.amdhsa_float_denorm_mode_16_64 3
		.amdhsa_dx10_clamp 1
		.amdhsa_ieee_mode 1
		.amdhsa_fp16_overflow 0
		.amdhsa_tg_split 0
		.amdhsa_exception_fp_ieee_invalid_op 0
		.amdhsa_exception_fp_denorm_src 0
		.amdhsa_exception_fp_ieee_div_zero 0
		.amdhsa_exception_fp_ieee_overflow 0
		.amdhsa_exception_fp_ieee_underflow 0
		.amdhsa_exception_fp_ieee_inexact 0
		.amdhsa_exception_int_div_zero 0
	.end_amdhsa_kernel
	.section	.text._ZN7rocprim17ROCPRIM_400000_NS6detail17trampoline_kernelINS0_14default_configENS1_20scan_config_selectorIN3c107complexIfEEEEZZNS1_9scan_implILNS1_25lookback_scan_determinismE0ELb0ELb0ES3_PKS7_PS7_S7_ZZZN2at6native31launch_logcumsumexp_cuda_kernelERKNSE_10TensorBaseESI_lENKUlvE_clEvENKUlvE2_clEvEUlS7_S7_E_S7_EEDaPvRmT3_T4_T5_mT6_P12ihipStream_tbENKUlT_T0_E_clISt17integral_constantIbLb1EESY_IbLb0EEEEDaSU_SV_EUlSU_E_NS1_11comp_targetILNS1_3genE10ELNS1_11target_archE1201ELNS1_3gpuE5ELNS1_3repE0EEENS1_30default_config_static_selectorELNS0_4arch9wavefront6targetE1EEEvT1_,"axG",@progbits,_ZN7rocprim17ROCPRIM_400000_NS6detail17trampoline_kernelINS0_14default_configENS1_20scan_config_selectorIN3c107complexIfEEEEZZNS1_9scan_implILNS1_25lookback_scan_determinismE0ELb0ELb0ES3_PKS7_PS7_S7_ZZZN2at6native31launch_logcumsumexp_cuda_kernelERKNSE_10TensorBaseESI_lENKUlvE_clEvENKUlvE2_clEvEUlS7_S7_E_S7_EEDaPvRmT3_T4_T5_mT6_P12ihipStream_tbENKUlT_T0_E_clISt17integral_constantIbLb1EESY_IbLb0EEEEDaSU_SV_EUlSU_E_NS1_11comp_targetILNS1_3genE10ELNS1_11target_archE1201ELNS1_3gpuE5ELNS1_3repE0EEENS1_30default_config_static_selectorELNS0_4arch9wavefront6targetE1EEEvT1_,comdat
.Lfunc_end315:
	.size	_ZN7rocprim17ROCPRIM_400000_NS6detail17trampoline_kernelINS0_14default_configENS1_20scan_config_selectorIN3c107complexIfEEEEZZNS1_9scan_implILNS1_25lookback_scan_determinismE0ELb0ELb0ES3_PKS7_PS7_S7_ZZZN2at6native31launch_logcumsumexp_cuda_kernelERKNSE_10TensorBaseESI_lENKUlvE_clEvENKUlvE2_clEvEUlS7_S7_E_S7_EEDaPvRmT3_T4_T5_mT6_P12ihipStream_tbENKUlT_T0_E_clISt17integral_constantIbLb1EESY_IbLb0EEEEDaSU_SV_EUlSU_E_NS1_11comp_targetILNS1_3genE10ELNS1_11target_archE1201ELNS1_3gpuE5ELNS1_3repE0EEENS1_30default_config_static_selectorELNS0_4arch9wavefront6targetE1EEEvT1_, .Lfunc_end315-_ZN7rocprim17ROCPRIM_400000_NS6detail17trampoline_kernelINS0_14default_configENS1_20scan_config_selectorIN3c107complexIfEEEEZZNS1_9scan_implILNS1_25lookback_scan_determinismE0ELb0ELb0ES3_PKS7_PS7_S7_ZZZN2at6native31launch_logcumsumexp_cuda_kernelERKNSE_10TensorBaseESI_lENKUlvE_clEvENKUlvE2_clEvEUlS7_S7_E_S7_EEDaPvRmT3_T4_T5_mT6_P12ihipStream_tbENKUlT_T0_E_clISt17integral_constantIbLb1EESY_IbLb0EEEEDaSU_SV_EUlSU_E_NS1_11comp_targetILNS1_3genE10ELNS1_11target_archE1201ELNS1_3gpuE5ELNS1_3repE0EEENS1_30default_config_static_selectorELNS0_4arch9wavefront6targetE1EEEvT1_
                                        ; -- End function
	.set _ZN7rocprim17ROCPRIM_400000_NS6detail17trampoline_kernelINS0_14default_configENS1_20scan_config_selectorIN3c107complexIfEEEEZZNS1_9scan_implILNS1_25lookback_scan_determinismE0ELb0ELb0ES3_PKS7_PS7_S7_ZZZN2at6native31launch_logcumsumexp_cuda_kernelERKNSE_10TensorBaseESI_lENKUlvE_clEvENKUlvE2_clEvEUlS7_S7_E_S7_EEDaPvRmT3_T4_T5_mT6_P12ihipStream_tbENKUlT_T0_E_clISt17integral_constantIbLb1EESY_IbLb0EEEEDaSU_SV_EUlSU_E_NS1_11comp_targetILNS1_3genE10ELNS1_11target_archE1201ELNS1_3gpuE5ELNS1_3repE0EEENS1_30default_config_static_selectorELNS0_4arch9wavefront6targetE1EEEvT1_.num_vgpr, 0
	.set _ZN7rocprim17ROCPRIM_400000_NS6detail17trampoline_kernelINS0_14default_configENS1_20scan_config_selectorIN3c107complexIfEEEEZZNS1_9scan_implILNS1_25lookback_scan_determinismE0ELb0ELb0ES3_PKS7_PS7_S7_ZZZN2at6native31launch_logcumsumexp_cuda_kernelERKNSE_10TensorBaseESI_lENKUlvE_clEvENKUlvE2_clEvEUlS7_S7_E_S7_EEDaPvRmT3_T4_T5_mT6_P12ihipStream_tbENKUlT_T0_E_clISt17integral_constantIbLb1EESY_IbLb0EEEEDaSU_SV_EUlSU_E_NS1_11comp_targetILNS1_3genE10ELNS1_11target_archE1201ELNS1_3gpuE5ELNS1_3repE0EEENS1_30default_config_static_selectorELNS0_4arch9wavefront6targetE1EEEvT1_.num_agpr, 0
	.set _ZN7rocprim17ROCPRIM_400000_NS6detail17trampoline_kernelINS0_14default_configENS1_20scan_config_selectorIN3c107complexIfEEEEZZNS1_9scan_implILNS1_25lookback_scan_determinismE0ELb0ELb0ES3_PKS7_PS7_S7_ZZZN2at6native31launch_logcumsumexp_cuda_kernelERKNSE_10TensorBaseESI_lENKUlvE_clEvENKUlvE2_clEvEUlS7_S7_E_S7_EEDaPvRmT3_T4_T5_mT6_P12ihipStream_tbENKUlT_T0_E_clISt17integral_constantIbLb1EESY_IbLb0EEEEDaSU_SV_EUlSU_E_NS1_11comp_targetILNS1_3genE10ELNS1_11target_archE1201ELNS1_3gpuE5ELNS1_3repE0EEENS1_30default_config_static_selectorELNS0_4arch9wavefront6targetE1EEEvT1_.numbered_sgpr, 0
	.set _ZN7rocprim17ROCPRIM_400000_NS6detail17trampoline_kernelINS0_14default_configENS1_20scan_config_selectorIN3c107complexIfEEEEZZNS1_9scan_implILNS1_25lookback_scan_determinismE0ELb0ELb0ES3_PKS7_PS7_S7_ZZZN2at6native31launch_logcumsumexp_cuda_kernelERKNSE_10TensorBaseESI_lENKUlvE_clEvENKUlvE2_clEvEUlS7_S7_E_S7_EEDaPvRmT3_T4_T5_mT6_P12ihipStream_tbENKUlT_T0_E_clISt17integral_constantIbLb1EESY_IbLb0EEEEDaSU_SV_EUlSU_E_NS1_11comp_targetILNS1_3genE10ELNS1_11target_archE1201ELNS1_3gpuE5ELNS1_3repE0EEENS1_30default_config_static_selectorELNS0_4arch9wavefront6targetE1EEEvT1_.num_named_barrier, 0
	.set _ZN7rocprim17ROCPRIM_400000_NS6detail17trampoline_kernelINS0_14default_configENS1_20scan_config_selectorIN3c107complexIfEEEEZZNS1_9scan_implILNS1_25lookback_scan_determinismE0ELb0ELb0ES3_PKS7_PS7_S7_ZZZN2at6native31launch_logcumsumexp_cuda_kernelERKNSE_10TensorBaseESI_lENKUlvE_clEvENKUlvE2_clEvEUlS7_S7_E_S7_EEDaPvRmT3_T4_T5_mT6_P12ihipStream_tbENKUlT_T0_E_clISt17integral_constantIbLb1EESY_IbLb0EEEEDaSU_SV_EUlSU_E_NS1_11comp_targetILNS1_3genE10ELNS1_11target_archE1201ELNS1_3gpuE5ELNS1_3repE0EEENS1_30default_config_static_selectorELNS0_4arch9wavefront6targetE1EEEvT1_.private_seg_size, 0
	.set _ZN7rocprim17ROCPRIM_400000_NS6detail17trampoline_kernelINS0_14default_configENS1_20scan_config_selectorIN3c107complexIfEEEEZZNS1_9scan_implILNS1_25lookback_scan_determinismE0ELb0ELb0ES3_PKS7_PS7_S7_ZZZN2at6native31launch_logcumsumexp_cuda_kernelERKNSE_10TensorBaseESI_lENKUlvE_clEvENKUlvE2_clEvEUlS7_S7_E_S7_EEDaPvRmT3_T4_T5_mT6_P12ihipStream_tbENKUlT_T0_E_clISt17integral_constantIbLb1EESY_IbLb0EEEEDaSU_SV_EUlSU_E_NS1_11comp_targetILNS1_3genE10ELNS1_11target_archE1201ELNS1_3gpuE5ELNS1_3repE0EEENS1_30default_config_static_selectorELNS0_4arch9wavefront6targetE1EEEvT1_.uses_vcc, 0
	.set _ZN7rocprim17ROCPRIM_400000_NS6detail17trampoline_kernelINS0_14default_configENS1_20scan_config_selectorIN3c107complexIfEEEEZZNS1_9scan_implILNS1_25lookback_scan_determinismE0ELb0ELb0ES3_PKS7_PS7_S7_ZZZN2at6native31launch_logcumsumexp_cuda_kernelERKNSE_10TensorBaseESI_lENKUlvE_clEvENKUlvE2_clEvEUlS7_S7_E_S7_EEDaPvRmT3_T4_T5_mT6_P12ihipStream_tbENKUlT_T0_E_clISt17integral_constantIbLb1EESY_IbLb0EEEEDaSU_SV_EUlSU_E_NS1_11comp_targetILNS1_3genE10ELNS1_11target_archE1201ELNS1_3gpuE5ELNS1_3repE0EEENS1_30default_config_static_selectorELNS0_4arch9wavefront6targetE1EEEvT1_.uses_flat_scratch, 0
	.set _ZN7rocprim17ROCPRIM_400000_NS6detail17trampoline_kernelINS0_14default_configENS1_20scan_config_selectorIN3c107complexIfEEEEZZNS1_9scan_implILNS1_25lookback_scan_determinismE0ELb0ELb0ES3_PKS7_PS7_S7_ZZZN2at6native31launch_logcumsumexp_cuda_kernelERKNSE_10TensorBaseESI_lENKUlvE_clEvENKUlvE2_clEvEUlS7_S7_E_S7_EEDaPvRmT3_T4_T5_mT6_P12ihipStream_tbENKUlT_T0_E_clISt17integral_constantIbLb1EESY_IbLb0EEEEDaSU_SV_EUlSU_E_NS1_11comp_targetILNS1_3genE10ELNS1_11target_archE1201ELNS1_3gpuE5ELNS1_3repE0EEENS1_30default_config_static_selectorELNS0_4arch9wavefront6targetE1EEEvT1_.has_dyn_sized_stack, 0
	.set _ZN7rocprim17ROCPRIM_400000_NS6detail17trampoline_kernelINS0_14default_configENS1_20scan_config_selectorIN3c107complexIfEEEEZZNS1_9scan_implILNS1_25lookback_scan_determinismE0ELb0ELb0ES3_PKS7_PS7_S7_ZZZN2at6native31launch_logcumsumexp_cuda_kernelERKNSE_10TensorBaseESI_lENKUlvE_clEvENKUlvE2_clEvEUlS7_S7_E_S7_EEDaPvRmT3_T4_T5_mT6_P12ihipStream_tbENKUlT_T0_E_clISt17integral_constantIbLb1EESY_IbLb0EEEEDaSU_SV_EUlSU_E_NS1_11comp_targetILNS1_3genE10ELNS1_11target_archE1201ELNS1_3gpuE5ELNS1_3repE0EEENS1_30default_config_static_selectorELNS0_4arch9wavefront6targetE1EEEvT1_.has_recursion, 0
	.set _ZN7rocprim17ROCPRIM_400000_NS6detail17trampoline_kernelINS0_14default_configENS1_20scan_config_selectorIN3c107complexIfEEEEZZNS1_9scan_implILNS1_25lookback_scan_determinismE0ELb0ELb0ES3_PKS7_PS7_S7_ZZZN2at6native31launch_logcumsumexp_cuda_kernelERKNSE_10TensorBaseESI_lENKUlvE_clEvENKUlvE2_clEvEUlS7_S7_E_S7_EEDaPvRmT3_T4_T5_mT6_P12ihipStream_tbENKUlT_T0_E_clISt17integral_constantIbLb1EESY_IbLb0EEEEDaSU_SV_EUlSU_E_NS1_11comp_targetILNS1_3genE10ELNS1_11target_archE1201ELNS1_3gpuE5ELNS1_3repE0EEENS1_30default_config_static_selectorELNS0_4arch9wavefront6targetE1EEEvT1_.has_indirect_call, 0
	.section	.AMDGPU.csdata,"",@progbits
; Kernel info:
; codeLenInByte = 0
; TotalNumSgprs: 6
; NumVgprs: 0
; NumAgprs: 0
; TotalNumVgprs: 0
; ScratchSize: 0
; MemoryBound: 0
; FloatMode: 240
; IeeeMode: 1
; LDSByteSize: 0 bytes/workgroup (compile time only)
; SGPRBlocks: 0
; VGPRBlocks: 0
; NumSGPRsForWavesPerEU: 6
; NumVGPRsForWavesPerEU: 1
; AccumOffset: 4
; Occupancy: 8
; WaveLimiterHint : 0
; COMPUTE_PGM_RSRC2:SCRATCH_EN: 0
; COMPUTE_PGM_RSRC2:USER_SGPR: 2
; COMPUTE_PGM_RSRC2:TRAP_HANDLER: 0
; COMPUTE_PGM_RSRC2:TGID_X_EN: 1
; COMPUTE_PGM_RSRC2:TGID_Y_EN: 0
; COMPUTE_PGM_RSRC2:TGID_Z_EN: 0
; COMPUTE_PGM_RSRC2:TIDIG_COMP_CNT: 0
; COMPUTE_PGM_RSRC3_GFX90A:ACCUM_OFFSET: 0
; COMPUTE_PGM_RSRC3_GFX90A:TG_SPLIT: 0
	.section	.text._ZN7rocprim17ROCPRIM_400000_NS6detail17trampoline_kernelINS0_14default_configENS1_20scan_config_selectorIN3c107complexIfEEEEZZNS1_9scan_implILNS1_25lookback_scan_determinismE0ELb0ELb0ES3_PKS7_PS7_S7_ZZZN2at6native31launch_logcumsumexp_cuda_kernelERKNSE_10TensorBaseESI_lENKUlvE_clEvENKUlvE2_clEvEUlS7_S7_E_S7_EEDaPvRmT3_T4_T5_mT6_P12ihipStream_tbENKUlT_T0_E_clISt17integral_constantIbLb1EESY_IbLb0EEEEDaSU_SV_EUlSU_E_NS1_11comp_targetILNS1_3genE10ELNS1_11target_archE1200ELNS1_3gpuE4ELNS1_3repE0EEENS1_30default_config_static_selectorELNS0_4arch9wavefront6targetE1EEEvT1_,"axG",@progbits,_ZN7rocprim17ROCPRIM_400000_NS6detail17trampoline_kernelINS0_14default_configENS1_20scan_config_selectorIN3c107complexIfEEEEZZNS1_9scan_implILNS1_25lookback_scan_determinismE0ELb0ELb0ES3_PKS7_PS7_S7_ZZZN2at6native31launch_logcumsumexp_cuda_kernelERKNSE_10TensorBaseESI_lENKUlvE_clEvENKUlvE2_clEvEUlS7_S7_E_S7_EEDaPvRmT3_T4_T5_mT6_P12ihipStream_tbENKUlT_T0_E_clISt17integral_constantIbLb1EESY_IbLb0EEEEDaSU_SV_EUlSU_E_NS1_11comp_targetILNS1_3genE10ELNS1_11target_archE1200ELNS1_3gpuE4ELNS1_3repE0EEENS1_30default_config_static_selectorELNS0_4arch9wavefront6targetE1EEEvT1_,comdat
	.globl	_ZN7rocprim17ROCPRIM_400000_NS6detail17trampoline_kernelINS0_14default_configENS1_20scan_config_selectorIN3c107complexIfEEEEZZNS1_9scan_implILNS1_25lookback_scan_determinismE0ELb0ELb0ES3_PKS7_PS7_S7_ZZZN2at6native31launch_logcumsumexp_cuda_kernelERKNSE_10TensorBaseESI_lENKUlvE_clEvENKUlvE2_clEvEUlS7_S7_E_S7_EEDaPvRmT3_T4_T5_mT6_P12ihipStream_tbENKUlT_T0_E_clISt17integral_constantIbLb1EESY_IbLb0EEEEDaSU_SV_EUlSU_E_NS1_11comp_targetILNS1_3genE10ELNS1_11target_archE1200ELNS1_3gpuE4ELNS1_3repE0EEENS1_30default_config_static_selectorELNS0_4arch9wavefront6targetE1EEEvT1_ ; -- Begin function _ZN7rocprim17ROCPRIM_400000_NS6detail17trampoline_kernelINS0_14default_configENS1_20scan_config_selectorIN3c107complexIfEEEEZZNS1_9scan_implILNS1_25lookback_scan_determinismE0ELb0ELb0ES3_PKS7_PS7_S7_ZZZN2at6native31launch_logcumsumexp_cuda_kernelERKNSE_10TensorBaseESI_lENKUlvE_clEvENKUlvE2_clEvEUlS7_S7_E_S7_EEDaPvRmT3_T4_T5_mT6_P12ihipStream_tbENKUlT_T0_E_clISt17integral_constantIbLb1EESY_IbLb0EEEEDaSU_SV_EUlSU_E_NS1_11comp_targetILNS1_3genE10ELNS1_11target_archE1200ELNS1_3gpuE4ELNS1_3repE0EEENS1_30default_config_static_selectorELNS0_4arch9wavefront6targetE1EEEvT1_
	.p2align	8
	.type	_ZN7rocprim17ROCPRIM_400000_NS6detail17trampoline_kernelINS0_14default_configENS1_20scan_config_selectorIN3c107complexIfEEEEZZNS1_9scan_implILNS1_25lookback_scan_determinismE0ELb0ELb0ES3_PKS7_PS7_S7_ZZZN2at6native31launch_logcumsumexp_cuda_kernelERKNSE_10TensorBaseESI_lENKUlvE_clEvENKUlvE2_clEvEUlS7_S7_E_S7_EEDaPvRmT3_T4_T5_mT6_P12ihipStream_tbENKUlT_T0_E_clISt17integral_constantIbLb1EESY_IbLb0EEEEDaSU_SV_EUlSU_E_NS1_11comp_targetILNS1_3genE10ELNS1_11target_archE1200ELNS1_3gpuE4ELNS1_3repE0EEENS1_30default_config_static_selectorELNS0_4arch9wavefront6targetE1EEEvT1_,@function
_ZN7rocprim17ROCPRIM_400000_NS6detail17trampoline_kernelINS0_14default_configENS1_20scan_config_selectorIN3c107complexIfEEEEZZNS1_9scan_implILNS1_25lookback_scan_determinismE0ELb0ELb0ES3_PKS7_PS7_S7_ZZZN2at6native31launch_logcumsumexp_cuda_kernelERKNSE_10TensorBaseESI_lENKUlvE_clEvENKUlvE2_clEvEUlS7_S7_E_S7_EEDaPvRmT3_T4_T5_mT6_P12ihipStream_tbENKUlT_T0_E_clISt17integral_constantIbLb1EESY_IbLb0EEEEDaSU_SV_EUlSU_E_NS1_11comp_targetILNS1_3genE10ELNS1_11target_archE1200ELNS1_3gpuE4ELNS1_3repE0EEENS1_30default_config_static_selectorELNS0_4arch9wavefront6targetE1EEEvT1_: ; @_ZN7rocprim17ROCPRIM_400000_NS6detail17trampoline_kernelINS0_14default_configENS1_20scan_config_selectorIN3c107complexIfEEEEZZNS1_9scan_implILNS1_25lookback_scan_determinismE0ELb0ELb0ES3_PKS7_PS7_S7_ZZZN2at6native31launch_logcumsumexp_cuda_kernelERKNSE_10TensorBaseESI_lENKUlvE_clEvENKUlvE2_clEvEUlS7_S7_E_S7_EEDaPvRmT3_T4_T5_mT6_P12ihipStream_tbENKUlT_T0_E_clISt17integral_constantIbLb1EESY_IbLb0EEEEDaSU_SV_EUlSU_E_NS1_11comp_targetILNS1_3genE10ELNS1_11target_archE1200ELNS1_3gpuE4ELNS1_3repE0EEENS1_30default_config_static_selectorELNS0_4arch9wavefront6targetE1EEEvT1_
; %bb.0:
	.section	.rodata,"a",@progbits
	.p2align	6, 0x0
	.amdhsa_kernel _ZN7rocprim17ROCPRIM_400000_NS6detail17trampoline_kernelINS0_14default_configENS1_20scan_config_selectorIN3c107complexIfEEEEZZNS1_9scan_implILNS1_25lookback_scan_determinismE0ELb0ELb0ES3_PKS7_PS7_S7_ZZZN2at6native31launch_logcumsumexp_cuda_kernelERKNSE_10TensorBaseESI_lENKUlvE_clEvENKUlvE2_clEvEUlS7_S7_E_S7_EEDaPvRmT3_T4_T5_mT6_P12ihipStream_tbENKUlT_T0_E_clISt17integral_constantIbLb1EESY_IbLb0EEEEDaSU_SV_EUlSU_E_NS1_11comp_targetILNS1_3genE10ELNS1_11target_archE1200ELNS1_3gpuE4ELNS1_3repE0EEENS1_30default_config_static_selectorELNS0_4arch9wavefront6targetE1EEEvT1_
		.amdhsa_group_segment_fixed_size 0
		.amdhsa_private_segment_fixed_size 0
		.amdhsa_kernarg_size 104
		.amdhsa_user_sgpr_count 2
		.amdhsa_user_sgpr_dispatch_ptr 0
		.amdhsa_user_sgpr_queue_ptr 0
		.amdhsa_user_sgpr_kernarg_segment_ptr 1
		.amdhsa_user_sgpr_dispatch_id 0
		.amdhsa_user_sgpr_kernarg_preload_length 0
		.amdhsa_user_sgpr_kernarg_preload_offset 0
		.amdhsa_user_sgpr_private_segment_size 0
		.amdhsa_uses_dynamic_stack 0
		.amdhsa_enable_private_segment 0
		.amdhsa_system_sgpr_workgroup_id_x 1
		.amdhsa_system_sgpr_workgroup_id_y 0
		.amdhsa_system_sgpr_workgroup_id_z 0
		.amdhsa_system_sgpr_workgroup_info 0
		.amdhsa_system_vgpr_workitem_id 0
		.amdhsa_next_free_vgpr 1
		.amdhsa_next_free_sgpr 0
		.amdhsa_accum_offset 4
		.amdhsa_reserve_vcc 0
		.amdhsa_float_round_mode_32 0
		.amdhsa_float_round_mode_16_64 0
		.amdhsa_float_denorm_mode_32 3
		.amdhsa_float_denorm_mode_16_64 3
		.amdhsa_dx10_clamp 1
		.amdhsa_ieee_mode 1
		.amdhsa_fp16_overflow 0
		.amdhsa_tg_split 0
		.amdhsa_exception_fp_ieee_invalid_op 0
		.amdhsa_exception_fp_denorm_src 0
		.amdhsa_exception_fp_ieee_div_zero 0
		.amdhsa_exception_fp_ieee_overflow 0
		.amdhsa_exception_fp_ieee_underflow 0
		.amdhsa_exception_fp_ieee_inexact 0
		.amdhsa_exception_int_div_zero 0
	.end_amdhsa_kernel
	.section	.text._ZN7rocprim17ROCPRIM_400000_NS6detail17trampoline_kernelINS0_14default_configENS1_20scan_config_selectorIN3c107complexIfEEEEZZNS1_9scan_implILNS1_25lookback_scan_determinismE0ELb0ELb0ES3_PKS7_PS7_S7_ZZZN2at6native31launch_logcumsumexp_cuda_kernelERKNSE_10TensorBaseESI_lENKUlvE_clEvENKUlvE2_clEvEUlS7_S7_E_S7_EEDaPvRmT3_T4_T5_mT6_P12ihipStream_tbENKUlT_T0_E_clISt17integral_constantIbLb1EESY_IbLb0EEEEDaSU_SV_EUlSU_E_NS1_11comp_targetILNS1_3genE10ELNS1_11target_archE1200ELNS1_3gpuE4ELNS1_3repE0EEENS1_30default_config_static_selectorELNS0_4arch9wavefront6targetE1EEEvT1_,"axG",@progbits,_ZN7rocprim17ROCPRIM_400000_NS6detail17trampoline_kernelINS0_14default_configENS1_20scan_config_selectorIN3c107complexIfEEEEZZNS1_9scan_implILNS1_25lookback_scan_determinismE0ELb0ELb0ES3_PKS7_PS7_S7_ZZZN2at6native31launch_logcumsumexp_cuda_kernelERKNSE_10TensorBaseESI_lENKUlvE_clEvENKUlvE2_clEvEUlS7_S7_E_S7_EEDaPvRmT3_T4_T5_mT6_P12ihipStream_tbENKUlT_T0_E_clISt17integral_constantIbLb1EESY_IbLb0EEEEDaSU_SV_EUlSU_E_NS1_11comp_targetILNS1_3genE10ELNS1_11target_archE1200ELNS1_3gpuE4ELNS1_3repE0EEENS1_30default_config_static_selectorELNS0_4arch9wavefront6targetE1EEEvT1_,comdat
.Lfunc_end316:
	.size	_ZN7rocprim17ROCPRIM_400000_NS6detail17trampoline_kernelINS0_14default_configENS1_20scan_config_selectorIN3c107complexIfEEEEZZNS1_9scan_implILNS1_25lookback_scan_determinismE0ELb0ELb0ES3_PKS7_PS7_S7_ZZZN2at6native31launch_logcumsumexp_cuda_kernelERKNSE_10TensorBaseESI_lENKUlvE_clEvENKUlvE2_clEvEUlS7_S7_E_S7_EEDaPvRmT3_T4_T5_mT6_P12ihipStream_tbENKUlT_T0_E_clISt17integral_constantIbLb1EESY_IbLb0EEEEDaSU_SV_EUlSU_E_NS1_11comp_targetILNS1_3genE10ELNS1_11target_archE1200ELNS1_3gpuE4ELNS1_3repE0EEENS1_30default_config_static_selectorELNS0_4arch9wavefront6targetE1EEEvT1_, .Lfunc_end316-_ZN7rocprim17ROCPRIM_400000_NS6detail17trampoline_kernelINS0_14default_configENS1_20scan_config_selectorIN3c107complexIfEEEEZZNS1_9scan_implILNS1_25lookback_scan_determinismE0ELb0ELb0ES3_PKS7_PS7_S7_ZZZN2at6native31launch_logcumsumexp_cuda_kernelERKNSE_10TensorBaseESI_lENKUlvE_clEvENKUlvE2_clEvEUlS7_S7_E_S7_EEDaPvRmT3_T4_T5_mT6_P12ihipStream_tbENKUlT_T0_E_clISt17integral_constantIbLb1EESY_IbLb0EEEEDaSU_SV_EUlSU_E_NS1_11comp_targetILNS1_3genE10ELNS1_11target_archE1200ELNS1_3gpuE4ELNS1_3repE0EEENS1_30default_config_static_selectorELNS0_4arch9wavefront6targetE1EEEvT1_
                                        ; -- End function
	.set _ZN7rocprim17ROCPRIM_400000_NS6detail17trampoline_kernelINS0_14default_configENS1_20scan_config_selectorIN3c107complexIfEEEEZZNS1_9scan_implILNS1_25lookback_scan_determinismE0ELb0ELb0ES3_PKS7_PS7_S7_ZZZN2at6native31launch_logcumsumexp_cuda_kernelERKNSE_10TensorBaseESI_lENKUlvE_clEvENKUlvE2_clEvEUlS7_S7_E_S7_EEDaPvRmT3_T4_T5_mT6_P12ihipStream_tbENKUlT_T0_E_clISt17integral_constantIbLb1EESY_IbLb0EEEEDaSU_SV_EUlSU_E_NS1_11comp_targetILNS1_3genE10ELNS1_11target_archE1200ELNS1_3gpuE4ELNS1_3repE0EEENS1_30default_config_static_selectorELNS0_4arch9wavefront6targetE1EEEvT1_.num_vgpr, 0
	.set _ZN7rocprim17ROCPRIM_400000_NS6detail17trampoline_kernelINS0_14default_configENS1_20scan_config_selectorIN3c107complexIfEEEEZZNS1_9scan_implILNS1_25lookback_scan_determinismE0ELb0ELb0ES3_PKS7_PS7_S7_ZZZN2at6native31launch_logcumsumexp_cuda_kernelERKNSE_10TensorBaseESI_lENKUlvE_clEvENKUlvE2_clEvEUlS7_S7_E_S7_EEDaPvRmT3_T4_T5_mT6_P12ihipStream_tbENKUlT_T0_E_clISt17integral_constantIbLb1EESY_IbLb0EEEEDaSU_SV_EUlSU_E_NS1_11comp_targetILNS1_3genE10ELNS1_11target_archE1200ELNS1_3gpuE4ELNS1_3repE0EEENS1_30default_config_static_selectorELNS0_4arch9wavefront6targetE1EEEvT1_.num_agpr, 0
	.set _ZN7rocprim17ROCPRIM_400000_NS6detail17trampoline_kernelINS0_14default_configENS1_20scan_config_selectorIN3c107complexIfEEEEZZNS1_9scan_implILNS1_25lookback_scan_determinismE0ELb0ELb0ES3_PKS7_PS7_S7_ZZZN2at6native31launch_logcumsumexp_cuda_kernelERKNSE_10TensorBaseESI_lENKUlvE_clEvENKUlvE2_clEvEUlS7_S7_E_S7_EEDaPvRmT3_T4_T5_mT6_P12ihipStream_tbENKUlT_T0_E_clISt17integral_constantIbLb1EESY_IbLb0EEEEDaSU_SV_EUlSU_E_NS1_11comp_targetILNS1_3genE10ELNS1_11target_archE1200ELNS1_3gpuE4ELNS1_3repE0EEENS1_30default_config_static_selectorELNS0_4arch9wavefront6targetE1EEEvT1_.numbered_sgpr, 0
	.set _ZN7rocprim17ROCPRIM_400000_NS6detail17trampoline_kernelINS0_14default_configENS1_20scan_config_selectorIN3c107complexIfEEEEZZNS1_9scan_implILNS1_25lookback_scan_determinismE0ELb0ELb0ES3_PKS7_PS7_S7_ZZZN2at6native31launch_logcumsumexp_cuda_kernelERKNSE_10TensorBaseESI_lENKUlvE_clEvENKUlvE2_clEvEUlS7_S7_E_S7_EEDaPvRmT3_T4_T5_mT6_P12ihipStream_tbENKUlT_T0_E_clISt17integral_constantIbLb1EESY_IbLb0EEEEDaSU_SV_EUlSU_E_NS1_11comp_targetILNS1_3genE10ELNS1_11target_archE1200ELNS1_3gpuE4ELNS1_3repE0EEENS1_30default_config_static_selectorELNS0_4arch9wavefront6targetE1EEEvT1_.num_named_barrier, 0
	.set _ZN7rocprim17ROCPRIM_400000_NS6detail17trampoline_kernelINS0_14default_configENS1_20scan_config_selectorIN3c107complexIfEEEEZZNS1_9scan_implILNS1_25lookback_scan_determinismE0ELb0ELb0ES3_PKS7_PS7_S7_ZZZN2at6native31launch_logcumsumexp_cuda_kernelERKNSE_10TensorBaseESI_lENKUlvE_clEvENKUlvE2_clEvEUlS7_S7_E_S7_EEDaPvRmT3_T4_T5_mT6_P12ihipStream_tbENKUlT_T0_E_clISt17integral_constantIbLb1EESY_IbLb0EEEEDaSU_SV_EUlSU_E_NS1_11comp_targetILNS1_3genE10ELNS1_11target_archE1200ELNS1_3gpuE4ELNS1_3repE0EEENS1_30default_config_static_selectorELNS0_4arch9wavefront6targetE1EEEvT1_.private_seg_size, 0
	.set _ZN7rocprim17ROCPRIM_400000_NS6detail17trampoline_kernelINS0_14default_configENS1_20scan_config_selectorIN3c107complexIfEEEEZZNS1_9scan_implILNS1_25lookback_scan_determinismE0ELb0ELb0ES3_PKS7_PS7_S7_ZZZN2at6native31launch_logcumsumexp_cuda_kernelERKNSE_10TensorBaseESI_lENKUlvE_clEvENKUlvE2_clEvEUlS7_S7_E_S7_EEDaPvRmT3_T4_T5_mT6_P12ihipStream_tbENKUlT_T0_E_clISt17integral_constantIbLb1EESY_IbLb0EEEEDaSU_SV_EUlSU_E_NS1_11comp_targetILNS1_3genE10ELNS1_11target_archE1200ELNS1_3gpuE4ELNS1_3repE0EEENS1_30default_config_static_selectorELNS0_4arch9wavefront6targetE1EEEvT1_.uses_vcc, 0
	.set _ZN7rocprim17ROCPRIM_400000_NS6detail17trampoline_kernelINS0_14default_configENS1_20scan_config_selectorIN3c107complexIfEEEEZZNS1_9scan_implILNS1_25lookback_scan_determinismE0ELb0ELb0ES3_PKS7_PS7_S7_ZZZN2at6native31launch_logcumsumexp_cuda_kernelERKNSE_10TensorBaseESI_lENKUlvE_clEvENKUlvE2_clEvEUlS7_S7_E_S7_EEDaPvRmT3_T4_T5_mT6_P12ihipStream_tbENKUlT_T0_E_clISt17integral_constantIbLb1EESY_IbLb0EEEEDaSU_SV_EUlSU_E_NS1_11comp_targetILNS1_3genE10ELNS1_11target_archE1200ELNS1_3gpuE4ELNS1_3repE0EEENS1_30default_config_static_selectorELNS0_4arch9wavefront6targetE1EEEvT1_.uses_flat_scratch, 0
	.set _ZN7rocprim17ROCPRIM_400000_NS6detail17trampoline_kernelINS0_14default_configENS1_20scan_config_selectorIN3c107complexIfEEEEZZNS1_9scan_implILNS1_25lookback_scan_determinismE0ELb0ELb0ES3_PKS7_PS7_S7_ZZZN2at6native31launch_logcumsumexp_cuda_kernelERKNSE_10TensorBaseESI_lENKUlvE_clEvENKUlvE2_clEvEUlS7_S7_E_S7_EEDaPvRmT3_T4_T5_mT6_P12ihipStream_tbENKUlT_T0_E_clISt17integral_constantIbLb1EESY_IbLb0EEEEDaSU_SV_EUlSU_E_NS1_11comp_targetILNS1_3genE10ELNS1_11target_archE1200ELNS1_3gpuE4ELNS1_3repE0EEENS1_30default_config_static_selectorELNS0_4arch9wavefront6targetE1EEEvT1_.has_dyn_sized_stack, 0
	.set _ZN7rocprim17ROCPRIM_400000_NS6detail17trampoline_kernelINS0_14default_configENS1_20scan_config_selectorIN3c107complexIfEEEEZZNS1_9scan_implILNS1_25lookback_scan_determinismE0ELb0ELb0ES3_PKS7_PS7_S7_ZZZN2at6native31launch_logcumsumexp_cuda_kernelERKNSE_10TensorBaseESI_lENKUlvE_clEvENKUlvE2_clEvEUlS7_S7_E_S7_EEDaPvRmT3_T4_T5_mT6_P12ihipStream_tbENKUlT_T0_E_clISt17integral_constantIbLb1EESY_IbLb0EEEEDaSU_SV_EUlSU_E_NS1_11comp_targetILNS1_3genE10ELNS1_11target_archE1200ELNS1_3gpuE4ELNS1_3repE0EEENS1_30default_config_static_selectorELNS0_4arch9wavefront6targetE1EEEvT1_.has_recursion, 0
	.set _ZN7rocprim17ROCPRIM_400000_NS6detail17trampoline_kernelINS0_14default_configENS1_20scan_config_selectorIN3c107complexIfEEEEZZNS1_9scan_implILNS1_25lookback_scan_determinismE0ELb0ELb0ES3_PKS7_PS7_S7_ZZZN2at6native31launch_logcumsumexp_cuda_kernelERKNSE_10TensorBaseESI_lENKUlvE_clEvENKUlvE2_clEvEUlS7_S7_E_S7_EEDaPvRmT3_T4_T5_mT6_P12ihipStream_tbENKUlT_T0_E_clISt17integral_constantIbLb1EESY_IbLb0EEEEDaSU_SV_EUlSU_E_NS1_11comp_targetILNS1_3genE10ELNS1_11target_archE1200ELNS1_3gpuE4ELNS1_3repE0EEENS1_30default_config_static_selectorELNS0_4arch9wavefront6targetE1EEEvT1_.has_indirect_call, 0
	.section	.AMDGPU.csdata,"",@progbits
; Kernel info:
; codeLenInByte = 0
; TotalNumSgprs: 6
; NumVgprs: 0
; NumAgprs: 0
; TotalNumVgprs: 0
; ScratchSize: 0
; MemoryBound: 0
; FloatMode: 240
; IeeeMode: 1
; LDSByteSize: 0 bytes/workgroup (compile time only)
; SGPRBlocks: 0
; VGPRBlocks: 0
; NumSGPRsForWavesPerEU: 6
; NumVGPRsForWavesPerEU: 1
; AccumOffset: 4
; Occupancy: 8
; WaveLimiterHint : 0
; COMPUTE_PGM_RSRC2:SCRATCH_EN: 0
; COMPUTE_PGM_RSRC2:USER_SGPR: 2
; COMPUTE_PGM_RSRC2:TRAP_HANDLER: 0
; COMPUTE_PGM_RSRC2:TGID_X_EN: 1
; COMPUTE_PGM_RSRC2:TGID_Y_EN: 0
; COMPUTE_PGM_RSRC2:TGID_Z_EN: 0
; COMPUTE_PGM_RSRC2:TIDIG_COMP_CNT: 0
; COMPUTE_PGM_RSRC3_GFX90A:ACCUM_OFFSET: 0
; COMPUTE_PGM_RSRC3_GFX90A:TG_SPLIT: 0
	.section	.text._ZN7rocprim17ROCPRIM_400000_NS6detail17trampoline_kernelINS0_14default_configENS1_20scan_config_selectorIN3c107complexIfEEEEZZNS1_9scan_implILNS1_25lookback_scan_determinismE0ELb0ELb0ES3_PKS7_PS7_S7_ZZZN2at6native31launch_logcumsumexp_cuda_kernelERKNSE_10TensorBaseESI_lENKUlvE_clEvENKUlvE2_clEvEUlS7_S7_E_S7_EEDaPvRmT3_T4_T5_mT6_P12ihipStream_tbENKUlT_T0_E_clISt17integral_constantIbLb1EESY_IbLb0EEEEDaSU_SV_EUlSU_E_NS1_11comp_targetILNS1_3genE9ELNS1_11target_archE1100ELNS1_3gpuE3ELNS1_3repE0EEENS1_30default_config_static_selectorELNS0_4arch9wavefront6targetE1EEEvT1_,"axG",@progbits,_ZN7rocprim17ROCPRIM_400000_NS6detail17trampoline_kernelINS0_14default_configENS1_20scan_config_selectorIN3c107complexIfEEEEZZNS1_9scan_implILNS1_25lookback_scan_determinismE0ELb0ELb0ES3_PKS7_PS7_S7_ZZZN2at6native31launch_logcumsumexp_cuda_kernelERKNSE_10TensorBaseESI_lENKUlvE_clEvENKUlvE2_clEvEUlS7_S7_E_S7_EEDaPvRmT3_T4_T5_mT6_P12ihipStream_tbENKUlT_T0_E_clISt17integral_constantIbLb1EESY_IbLb0EEEEDaSU_SV_EUlSU_E_NS1_11comp_targetILNS1_3genE9ELNS1_11target_archE1100ELNS1_3gpuE3ELNS1_3repE0EEENS1_30default_config_static_selectorELNS0_4arch9wavefront6targetE1EEEvT1_,comdat
	.globl	_ZN7rocprim17ROCPRIM_400000_NS6detail17trampoline_kernelINS0_14default_configENS1_20scan_config_selectorIN3c107complexIfEEEEZZNS1_9scan_implILNS1_25lookback_scan_determinismE0ELb0ELb0ES3_PKS7_PS7_S7_ZZZN2at6native31launch_logcumsumexp_cuda_kernelERKNSE_10TensorBaseESI_lENKUlvE_clEvENKUlvE2_clEvEUlS7_S7_E_S7_EEDaPvRmT3_T4_T5_mT6_P12ihipStream_tbENKUlT_T0_E_clISt17integral_constantIbLb1EESY_IbLb0EEEEDaSU_SV_EUlSU_E_NS1_11comp_targetILNS1_3genE9ELNS1_11target_archE1100ELNS1_3gpuE3ELNS1_3repE0EEENS1_30default_config_static_selectorELNS0_4arch9wavefront6targetE1EEEvT1_ ; -- Begin function _ZN7rocprim17ROCPRIM_400000_NS6detail17trampoline_kernelINS0_14default_configENS1_20scan_config_selectorIN3c107complexIfEEEEZZNS1_9scan_implILNS1_25lookback_scan_determinismE0ELb0ELb0ES3_PKS7_PS7_S7_ZZZN2at6native31launch_logcumsumexp_cuda_kernelERKNSE_10TensorBaseESI_lENKUlvE_clEvENKUlvE2_clEvEUlS7_S7_E_S7_EEDaPvRmT3_T4_T5_mT6_P12ihipStream_tbENKUlT_T0_E_clISt17integral_constantIbLb1EESY_IbLb0EEEEDaSU_SV_EUlSU_E_NS1_11comp_targetILNS1_3genE9ELNS1_11target_archE1100ELNS1_3gpuE3ELNS1_3repE0EEENS1_30default_config_static_selectorELNS0_4arch9wavefront6targetE1EEEvT1_
	.p2align	8
	.type	_ZN7rocprim17ROCPRIM_400000_NS6detail17trampoline_kernelINS0_14default_configENS1_20scan_config_selectorIN3c107complexIfEEEEZZNS1_9scan_implILNS1_25lookback_scan_determinismE0ELb0ELb0ES3_PKS7_PS7_S7_ZZZN2at6native31launch_logcumsumexp_cuda_kernelERKNSE_10TensorBaseESI_lENKUlvE_clEvENKUlvE2_clEvEUlS7_S7_E_S7_EEDaPvRmT3_T4_T5_mT6_P12ihipStream_tbENKUlT_T0_E_clISt17integral_constantIbLb1EESY_IbLb0EEEEDaSU_SV_EUlSU_E_NS1_11comp_targetILNS1_3genE9ELNS1_11target_archE1100ELNS1_3gpuE3ELNS1_3repE0EEENS1_30default_config_static_selectorELNS0_4arch9wavefront6targetE1EEEvT1_,@function
_ZN7rocprim17ROCPRIM_400000_NS6detail17trampoline_kernelINS0_14default_configENS1_20scan_config_selectorIN3c107complexIfEEEEZZNS1_9scan_implILNS1_25lookback_scan_determinismE0ELb0ELb0ES3_PKS7_PS7_S7_ZZZN2at6native31launch_logcumsumexp_cuda_kernelERKNSE_10TensorBaseESI_lENKUlvE_clEvENKUlvE2_clEvEUlS7_S7_E_S7_EEDaPvRmT3_T4_T5_mT6_P12ihipStream_tbENKUlT_T0_E_clISt17integral_constantIbLb1EESY_IbLb0EEEEDaSU_SV_EUlSU_E_NS1_11comp_targetILNS1_3genE9ELNS1_11target_archE1100ELNS1_3gpuE3ELNS1_3repE0EEENS1_30default_config_static_selectorELNS0_4arch9wavefront6targetE1EEEvT1_: ; @_ZN7rocprim17ROCPRIM_400000_NS6detail17trampoline_kernelINS0_14default_configENS1_20scan_config_selectorIN3c107complexIfEEEEZZNS1_9scan_implILNS1_25lookback_scan_determinismE0ELb0ELb0ES3_PKS7_PS7_S7_ZZZN2at6native31launch_logcumsumexp_cuda_kernelERKNSE_10TensorBaseESI_lENKUlvE_clEvENKUlvE2_clEvEUlS7_S7_E_S7_EEDaPvRmT3_T4_T5_mT6_P12ihipStream_tbENKUlT_T0_E_clISt17integral_constantIbLb1EESY_IbLb0EEEEDaSU_SV_EUlSU_E_NS1_11comp_targetILNS1_3genE9ELNS1_11target_archE1100ELNS1_3gpuE3ELNS1_3repE0EEENS1_30default_config_static_selectorELNS0_4arch9wavefront6targetE1EEEvT1_
; %bb.0:
	.section	.rodata,"a",@progbits
	.p2align	6, 0x0
	.amdhsa_kernel _ZN7rocprim17ROCPRIM_400000_NS6detail17trampoline_kernelINS0_14default_configENS1_20scan_config_selectorIN3c107complexIfEEEEZZNS1_9scan_implILNS1_25lookback_scan_determinismE0ELb0ELb0ES3_PKS7_PS7_S7_ZZZN2at6native31launch_logcumsumexp_cuda_kernelERKNSE_10TensorBaseESI_lENKUlvE_clEvENKUlvE2_clEvEUlS7_S7_E_S7_EEDaPvRmT3_T4_T5_mT6_P12ihipStream_tbENKUlT_T0_E_clISt17integral_constantIbLb1EESY_IbLb0EEEEDaSU_SV_EUlSU_E_NS1_11comp_targetILNS1_3genE9ELNS1_11target_archE1100ELNS1_3gpuE3ELNS1_3repE0EEENS1_30default_config_static_selectorELNS0_4arch9wavefront6targetE1EEEvT1_
		.amdhsa_group_segment_fixed_size 0
		.amdhsa_private_segment_fixed_size 0
		.amdhsa_kernarg_size 104
		.amdhsa_user_sgpr_count 2
		.amdhsa_user_sgpr_dispatch_ptr 0
		.amdhsa_user_sgpr_queue_ptr 0
		.amdhsa_user_sgpr_kernarg_segment_ptr 1
		.amdhsa_user_sgpr_dispatch_id 0
		.amdhsa_user_sgpr_kernarg_preload_length 0
		.amdhsa_user_sgpr_kernarg_preload_offset 0
		.amdhsa_user_sgpr_private_segment_size 0
		.amdhsa_uses_dynamic_stack 0
		.amdhsa_enable_private_segment 0
		.amdhsa_system_sgpr_workgroup_id_x 1
		.amdhsa_system_sgpr_workgroup_id_y 0
		.amdhsa_system_sgpr_workgroup_id_z 0
		.amdhsa_system_sgpr_workgroup_info 0
		.amdhsa_system_vgpr_workitem_id 0
		.amdhsa_next_free_vgpr 1
		.amdhsa_next_free_sgpr 0
		.amdhsa_accum_offset 4
		.amdhsa_reserve_vcc 0
		.amdhsa_float_round_mode_32 0
		.amdhsa_float_round_mode_16_64 0
		.amdhsa_float_denorm_mode_32 3
		.amdhsa_float_denorm_mode_16_64 3
		.amdhsa_dx10_clamp 1
		.amdhsa_ieee_mode 1
		.amdhsa_fp16_overflow 0
		.amdhsa_tg_split 0
		.amdhsa_exception_fp_ieee_invalid_op 0
		.amdhsa_exception_fp_denorm_src 0
		.amdhsa_exception_fp_ieee_div_zero 0
		.amdhsa_exception_fp_ieee_overflow 0
		.amdhsa_exception_fp_ieee_underflow 0
		.amdhsa_exception_fp_ieee_inexact 0
		.amdhsa_exception_int_div_zero 0
	.end_amdhsa_kernel
	.section	.text._ZN7rocprim17ROCPRIM_400000_NS6detail17trampoline_kernelINS0_14default_configENS1_20scan_config_selectorIN3c107complexIfEEEEZZNS1_9scan_implILNS1_25lookback_scan_determinismE0ELb0ELb0ES3_PKS7_PS7_S7_ZZZN2at6native31launch_logcumsumexp_cuda_kernelERKNSE_10TensorBaseESI_lENKUlvE_clEvENKUlvE2_clEvEUlS7_S7_E_S7_EEDaPvRmT3_T4_T5_mT6_P12ihipStream_tbENKUlT_T0_E_clISt17integral_constantIbLb1EESY_IbLb0EEEEDaSU_SV_EUlSU_E_NS1_11comp_targetILNS1_3genE9ELNS1_11target_archE1100ELNS1_3gpuE3ELNS1_3repE0EEENS1_30default_config_static_selectorELNS0_4arch9wavefront6targetE1EEEvT1_,"axG",@progbits,_ZN7rocprim17ROCPRIM_400000_NS6detail17trampoline_kernelINS0_14default_configENS1_20scan_config_selectorIN3c107complexIfEEEEZZNS1_9scan_implILNS1_25lookback_scan_determinismE0ELb0ELb0ES3_PKS7_PS7_S7_ZZZN2at6native31launch_logcumsumexp_cuda_kernelERKNSE_10TensorBaseESI_lENKUlvE_clEvENKUlvE2_clEvEUlS7_S7_E_S7_EEDaPvRmT3_T4_T5_mT6_P12ihipStream_tbENKUlT_T0_E_clISt17integral_constantIbLb1EESY_IbLb0EEEEDaSU_SV_EUlSU_E_NS1_11comp_targetILNS1_3genE9ELNS1_11target_archE1100ELNS1_3gpuE3ELNS1_3repE0EEENS1_30default_config_static_selectorELNS0_4arch9wavefront6targetE1EEEvT1_,comdat
.Lfunc_end317:
	.size	_ZN7rocprim17ROCPRIM_400000_NS6detail17trampoline_kernelINS0_14default_configENS1_20scan_config_selectorIN3c107complexIfEEEEZZNS1_9scan_implILNS1_25lookback_scan_determinismE0ELb0ELb0ES3_PKS7_PS7_S7_ZZZN2at6native31launch_logcumsumexp_cuda_kernelERKNSE_10TensorBaseESI_lENKUlvE_clEvENKUlvE2_clEvEUlS7_S7_E_S7_EEDaPvRmT3_T4_T5_mT6_P12ihipStream_tbENKUlT_T0_E_clISt17integral_constantIbLb1EESY_IbLb0EEEEDaSU_SV_EUlSU_E_NS1_11comp_targetILNS1_3genE9ELNS1_11target_archE1100ELNS1_3gpuE3ELNS1_3repE0EEENS1_30default_config_static_selectorELNS0_4arch9wavefront6targetE1EEEvT1_, .Lfunc_end317-_ZN7rocprim17ROCPRIM_400000_NS6detail17trampoline_kernelINS0_14default_configENS1_20scan_config_selectorIN3c107complexIfEEEEZZNS1_9scan_implILNS1_25lookback_scan_determinismE0ELb0ELb0ES3_PKS7_PS7_S7_ZZZN2at6native31launch_logcumsumexp_cuda_kernelERKNSE_10TensorBaseESI_lENKUlvE_clEvENKUlvE2_clEvEUlS7_S7_E_S7_EEDaPvRmT3_T4_T5_mT6_P12ihipStream_tbENKUlT_T0_E_clISt17integral_constantIbLb1EESY_IbLb0EEEEDaSU_SV_EUlSU_E_NS1_11comp_targetILNS1_3genE9ELNS1_11target_archE1100ELNS1_3gpuE3ELNS1_3repE0EEENS1_30default_config_static_selectorELNS0_4arch9wavefront6targetE1EEEvT1_
                                        ; -- End function
	.set _ZN7rocprim17ROCPRIM_400000_NS6detail17trampoline_kernelINS0_14default_configENS1_20scan_config_selectorIN3c107complexIfEEEEZZNS1_9scan_implILNS1_25lookback_scan_determinismE0ELb0ELb0ES3_PKS7_PS7_S7_ZZZN2at6native31launch_logcumsumexp_cuda_kernelERKNSE_10TensorBaseESI_lENKUlvE_clEvENKUlvE2_clEvEUlS7_S7_E_S7_EEDaPvRmT3_T4_T5_mT6_P12ihipStream_tbENKUlT_T0_E_clISt17integral_constantIbLb1EESY_IbLb0EEEEDaSU_SV_EUlSU_E_NS1_11comp_targetILNS1_3genE9ELNS1_11target_archE1100ELNS1_3gpuE3ELNS1_3repE0EEENS1_30default_config_static_selectorELNS0_4arch9wavefront6targetE1EEEvT1_.num_vgpr, 0
	.set _ZN7rocprim17ROCPRIM_400000_NS6detail17trampoline_kernelINS0_14default_configENS1_20scan_config_selectorIN3c107complexIfEEEEZZNS1_9scan_implILNS1_25lookback_scan_determinismE0ELb0ELb0ES3_PKS7_PS7_S7_ZZZN2at6native31launch_logcumsumexp_cuda_kernelERKNSE_10TensorBaseESI_lENKUlvE_clEvENKUlvE2_clEvEUlS7_S7_E_S7_EEDaPvRmT3_T4_T5_mT6_P12ihipStream_tbENKUlT_T0_E_clISt17integral_constantIbLb1EESY_IbLb0EEEEDaSU_SV_EUlSU_E_NS1_11comp_targetILNS1_3genE9ELNS1_11target_archE1100ELNS1_3gpuE3ELNS1_3repE0EEENS1_30default_config_static_selectorELNS0_4arch9wavefront6targetE1EEEvT1_.num_agpr, 0
	.set _ZN7rocprim17ROCPRIM_400000_NS6detail17trampoline_kernelINS0_14default_configENS1_20scan_config_selectorIN3c107complexIfEEEEZZNS1_9scan_implILNS1_25lookback_scan_determinismE0ELb0ELb0ES3_PKS7_PS7_S7_ZZZN2at6native31launch_logcumsumexp_cuda_kernelERKNSE_10TensorBaseESI_lENKUlvE_clEvENKUlvE2_clEvEUlS7_S7_E_S7_EEDaPvRmT3_T4_T5_mT6_P12ihipStream_tbENKUlT_T0_E_clISt17integral_constantIbLb1EESY_IbLb0EEEEDaSU_SV_EUlSU_E_NS1_11comp_targetILNS1_3genE9ELNS1_11target_archE1100ELNS1_3gpuE3ELNS1_3repE0EEENS1_30default_config_static_selectorELNS0_4arch9wavefront6targetE1EEEvT1_.numbered_sgpr, 0
	.set _ZN7rocprim17ROCPRIM_400000_NS6detail17trampoline_kernelINS0_14default_configENS1_20scan_config_selectorIN3c107complexIfEEEEZZNS1_9scan_implILNS1_25lookback_scan_determinismE0ELb0ELb0ES3_PKS7_PS7_S7_ZZZN2at6native31launch_logcumsumexp_cuda_kernelERKNSE_10TensorBaseESI_lENKUlvE_clEvENKUlvE2_clEvEUlS7_S7_E_S7_EEDaPvRmT3_T4_T5_mT6_P12ihipStream_tbENKUlT_T0_E_clISt17integral_constantIbLb1EESY_IbLb0EEEEDaSU_SV_EUlSU_E_NS1_11comp_targetILNS1_3genE9ELNS1_11target_archE1100ELNS1_3gpuE3ELNS1_3repE0EEENS1_30default_config_static_selectorELNS0_4arch9wavefront6targetE1EEEvT1_.num_named_barrier, 0
	.set _ZN7rocprim17ROCPRIM_400000_NS6detail17trampoline_kernelINS0_14default_configENS1_20scan_config_selectorIN3c107complexIfEEEEZZNS1_9scan_implILNS1_25lookback_scan_determinismE0ELb0ELb0ES3_PKS7_PS7_S7_ZZZN2at6native31launch_logcumsumexp_cuda_kernelERKNSE_10TensorBaseESI_lENKUlvE_clEvENKUlvE2_clEvEUlS7_S7_E_S7_EEDaPvRmT3_T4_T5_mT6_P12ihipStream_tbENKUlT_T0_E_clISt17integral_constantIbLb1EESY_IbLb0EEEEDaSU_SV_EUlSU_E_NS1_11comp_targetILNS1_3genE9ELNS1_11target_archE1100ELNS1_3gpuE3ELNS1_3repE0EEENS1_30default_config_static_selectorELNS0_4arch9wavefront6targetE1EEEvT1_.private_seg_size, 0
	.set _ZN7rocprim17ROCPRIM_400000_NS6detail17trampoline_kernelINS0_14default_configENS1_20scan_config_selectorIN3c107complexIfEEEEZZNS1_9scan_implILNS1_25lookback_scan_determinismE0ELb0ELb0ES3_PKS7_PS7_S7_ZZZN2at6native31launch_logcumsumexp_cuda_kernelERKNSE_10TensorBaseESI_lENKUlvE_clEvENKUlvE2_clEvEUlS7_S7_E_S7_EEDaPvRmT3_T4_T5_mT6_P12ihipStream_tbENKUlT_T0_E_clISt17integral_constantIbLb1EESY_IbLb0EEEEDaSU_SV_EUlSU_E_NS1_11comp_targetILNS1_3genE9ELNS1_11target_archE1100ELNS1_3gpuE3ELNS1_3repE0EEENS1_30default_config_static_selectorELNS0_4arch9wavefront6targetE1EEEvT1_.uses_vcc, 0
	.set _ZN7rocprim17ROCPRIM_400000_NS6detail17trampoline_kernelINS0_14default_configENS1_20scan_config_selectorIN3c107complexIfEEEEZZNS1_9scan_implILNS1_25lookback_scan_determinismE0ELb0ELb0ES3_PKS7_PS7_S7_ZZZN2at6native31launch_logcumsumexp_cuda_kernelERKNSE_10TensorBaseESI_lENKUlvE_clEvENKUlvE2_clEvEUlS7_S7_E_S7_EEDaPvRmT3_T4_T5_mT6_P12ihipStream_tbENKUlT_T0_E_clISt17integral_constantIbLb1EESY_IbLb0EEEEDaSU_SV_EUlSU_E_NS1_11comp_targetILNS1_3genE9ELNS1_11target_archE1100ELNS1_3gpuE3ELNS1_3repE0EEENS1_30default_config_static_selectorELNS0_4arch9wavefront6targetE1EEEvT1_.uses_flat_scratch, 0
	.set _ZN7rocprim17ROCPRIM_400000_NS6detail17trampoline_kernelINS0_14default_configENS1_20scan_config_selectorIN3c107complexIfEEEEZZNS1_9scan_implILNS1_25lookback_scan_determinismE0ELb0ELb0ES3_PKS7_PS7_S7_ZZZN2at6native31launch_logcumsumexp_cuda_kernelERKNSE_10TensorBaseESI_lENKUlvE_clEvENKUlvE2_clEvEUlS7_S7_E_S7_EEDaPvRmT3_T4_T5_mT6_P12ihipStream_tbENKUlT_T0_E_clISt17integral_constantIbLb1EESY_IbLb0EEEEDaSU_SV_EUlSU_E_NS1_11comp_targetILNS1_3genE9ELNS1_11target_archE1100ELNS1_3gpuE3ELNS1_3repE0EEENS1_30default_config_static_selectorELNS0_4arch9wavefront6targetE1EEEvT1_.has_dyn_sized_stack, 0
	.set _ZN7rocprim17ROCPRIM_400000_NS6detail17trampoline_kernelINS0_14default_configENS1_20scan_config_selectorIN3c107complexIfEEEEZZNS1_9scan_implILNS1_25lookback_scan_determinismE0ELb0ELb0ES3_PKS7_PS7_S7_ZZZN2at6native31launch_logcumsumexp_cuda_kernelERKNSE_10TensorBaseESI_lENKUlvE_clEvENKUlvE2_clEvEUlS7_S7_E_S7_EEDaPvRmT3_T4_T5_mT6_P12ihipStream_tbENKUlT_T0_E_clISt17integral_constantIbLb1EESY_IbLb0EEEEDaSU_SV_EUlSU_E_NS1_11comp_targetILNS1_3genE9ELNS1_11target_archE1100ELNS1_3gpuE3ELNS1_3repE0EEENS1_30default_config_static_selectorELNS0_4arch9wavefront6targetE1EEEvT1_.has_recursion, 0
	.set _ZN7rocprim17ROCPRIM_400000_NS6detail17trampoline_kernelINS0_14default_configENS1_20scan_config_selectorIN3c107complexIfEEEEZZNS1_9scan_implILNS1_25lookback_scan_determinismE0ELb0ELb0ES3_PKS7_PS7_S7_ZZZN2at6native31launch_logcumsumexp_cuda_kernelERKNSE_10TensorBaseESI_lENKUlvE_clEvENKUlvE2_clEvEUlS7_S7_E_S7_EEDaPvRmT3_T4_T5_mT6_P12ihipStream_tbENKUlT_T0_E_clISt17integral_constantIbLb1EESY_IbLb0EEEEDaSU_SV_EUlSU_E_NS1_11comp_targetILNS1_3genE9ELNS1_11target_archE1100ELNS1_3gpuE3ELNS1_3repE0EEENS1_30default_config_static_selectorELNS0_4arch9wavefront6targetE1EEEvT1_.has_indirect_call, 0
	.section	.AMDGPU.csdata,"",@progbits
; Kernel info:
; codeLenInByte = 0
; TotalNumSgprs: 6
; NumVgprs: 0
; NumAgprs: 0
; TotalNumVgprs: 0
; ScratchSize: 0
; MemoryBound: 0
; FloatMode: 240
; IeeeMode: 1
; LDSByteSize: 0 bytes/workgroup (compile time only)
; SGPRBlocks: 0
; VGPRBlocks: 0
; NumSGPRsForWavesPerEU: 6
; NumVGPRsForWavesPerEU: 1
; AccumOffset: 4
; Occupancy: 8
; WaveLimiterHint : 0
; COMPUTE_PGM_RSRC2:SCRATCH_EN: 0
; COMPUTE_PGM_RSRC2:USER_SGPR: 2
; COMPUTE_PGM_RSRC2:TRAP_HANDLER: 0
; COMPUTE_PGM_RSRC2:TGID_X_EN: 1
; COMPUTE_PGM_RSRC2:TGID_Y_EN: 0
; COMPUTE_PGM_RSRC2:TGID_Z_EN: 0
; COMPUTE_PGM_RSRC2:TIDIG_COMP_CNT: 0
; COMPUTE_PGM_RSRC3_GFX90A:ACCUM_OFFSET: 0
; COMPUTE_PGM_RSRC3_GFX90A:TG_SPLIT: 0
	.section	.text._ZN7rocprim17ROCPRIM_400000_NS6detail17trampoline_kernelINS0_14default_configENS1_20scan_config_selectorIN3c107complexIfEEEEZZNS1_9scan_implILNS1_25lookback_scan_determinismE0ELb0ELb0ES3_PKS7_PS7_S7_ZZZN2at6native31launch_logcumsumexp_cuda_kernelERKNSE_10TensorBaseESI_lENKUlvE_clEvENKUlvE2_clEvEUlS7_S7_E_S7_EEDaPvRmT3_T4_T5_mT6_P12ihipStream_tbENKUlT_T0_E_clISt17integral_constantIbLb1EESY_IbLb0EEEEDaSU_SV_EUlSU_E_NS1_11comp_targetILNS1_3genE8ELNS1_11target_archE1030ELNS1_3gpuE2ELNS1_3repE0EEENS1_30default_config_static_selectorELNS0_4arch9wavefront6targetE1EEEvT1_,"axG",@progbits,_ZN7rocprim17ROCPRIM_400000_NS6detail17trampoline_kernelINS0_14default_configENS1_20scan_config_selectorIN3c107complexIfEEEEZZNS1_9scan_implILNS1_25lookback_scan_determinismE0ELb0ELb0ES3_PKS7_PS7_S7_ZZZN2at6native31launch_logcumsumexp_cuda_kernelERKNSE_10TensorBaseESI_lENKUlvE_clEvENKUlvE2_clEvEUlS7_S7_E_S7_EEDaPvRmT3_T4_T5_mT6_P12ihipStream_tbENKUlT_T0_E_clISt17integral_constantIbLb1EESY_IbLb0EEEEDaSU_SV_EUlSU_E_NS1_11comp_targetILNS1_3genE8ELNS1_11target_archE1030ELNS1_3gpuE2ELNS1_3repE0EEENS1_30default_config_static_selectorELNS0_4arch9wavefront6targetE1EEEvT1_,comdat
	.globl	_ZN7rocprim17ROCPRIM_400000_NS6detail17trampoline_kernelINS0_14default_configENS1_20scan_config_selectorIN3c107complexIfEEEEZZNS1_9scan_implILNS1_25lookback_scan_determinismE0ELb0ELb0ES3_PKS7_PS7_S7_ZZZN2at6native31launch_logcumsumexp_cuda_kernelERKNSE_10TensorBaseESI_lENKUlvE_clEvENKUlvE2_clEvEUlS7_S7_E_S7_EEDaPvRmT3_T4_T5_mT6_P12ihipStream_tbENKUlT_T0_E_clISt17integral_constantIbLb1EESY_IbLb0EEEEDaSU_SV_EUlSU_E_NS1_11comp_targetILNS1_3genE8ELNS1_11target_archE1030ELNS1_3gpuE2ELNS1_3repE0EEENS1_30default_config_static_selectorELNS0_4arch9wavefront6targetE1EEEvT1_ ; -- Begin function _ZN7rocprim17ROCPRIM_400000_NS6detail17trampoline_kernelINS0_14default_configENS1_20scan_config_selectorIN3c107complexIfEEEEZZNS1_9scan_implILNS1_25lookback_scan_determinismE0ELb0ELb0ES3_PKS7_PS7_S7_ZZZN2at6native31launch_logcumsumexp_cuda_kernelERKNSE_10TensorBaseESI_lENKUlvE_clEvENKUlvE2_clEvEUlS7_S7_E_S7_EEDaPvRmT3_T4_T5_mT6_P12ihipStream_tbENKUlT_T0_E_clISt17integral_constantIbLb1EESY_IbLb0EEEEDaSU_SV_EUlSU_E_NS1_11comp_targetILNS1_3genE8ELNS1_11target_archE1030ELNS1_3gpuE2ELNS1_3repE0EEENS1_30default_config_static_selectorELNS0_4arch9wavefront6targetE1EEEvT1_
	.p2align	8
	.type	_ZN7rocprim17ROCPRIM_400000_NS6detail17trampoline_kernelINS0_14default_configENS1_20scan_config_selectorIN3c107complexIfEEEEZZNS1_9scan_implILNS1_25lookback_scan_determinismE0ELb0ELb0ES3_PKS7_PS7_S7_ZZZN2at6native31launch_logcumsumexp_cuda_kernelERKNSE_10TensorBaseESI_lENKUlvE_clEvENKUlvE2_clEvEUlS7_S7_E_S7_EEDaPvRmT3_T4_T5_mT6_P12ihipStream_tbENKUlT_T0_E_clISt17integral_constantIbLb1EESY_IbLb0EEEEDaSU_SV_EUlSU_E_NS1_11comp_targetILNS1_3genE8ELNS1_11target_archE1030ELNS1_3gpuE2ELNS1_3repE0EEENS1_30default_config_static_selectorELNS0_4arch9wavefront6targetE1EEEvT1_,@function
_ZN7rocprim17ROCPRIM_400000_NS6detail17trampoline_kernelINS0_14default_configENS1_20scan_config_selectorIN3c107complexIfEEEEZZNS1_9scan_implILNS1_25lookback_scan_determinismE0ELb0ELb0ES3_PKS7_PS7_S7_ZZZN2at6native31launch_logcumsumexp_cuda_kernelERKNSE_10TensorBaseESI_lENKUlvE_clEvENKUlvE2_clEvEUlS7_S7_E_S7_EEDaPvRmT3_T4_T5_mT6_P12ihipStream_tbENKUlT_T0_E_clISt17integral_constantIbLb1EESY_IbLb0EEEEDaSU_SV_EUlSU_E_NS1_11comp_targetILNS1_3genE8ELNS1_11target_archE1030ELNS1_3gpuE2ELNS1_3repE0EEENS1_30default_config_static_selectorELNS0_4arch9wavefront6targetE1EEEvT1_: ; @_ZN7rocprim17ROCPRIM_400000_NS6detail17trampoline_kernelINS0_14default_configENS1_20scan_config_selectorIN3c107complexIfEEEEZZNS1_9scan_implILNS1_25lookback_scan_determinismE0ELb0ELb0ES3_PKS7_PS7_S7_ZZZN2at6native31launch_logcumsumexp_cuda_kernelERKNSE_10TensorBaseESI_lENKUlvE_clEvENKUlvE2_clEvEUlS7_S7_E_S7_EEDaPvRmT3_T4_T5_mT6_P12ihipStream_tbENKUlT_T0_E_clISt17integral_constantIbLb1EESY_IbLb0EEEEDaSU_SV_EUlSU_E_NS1_11comp_targetILNS1_3genE8ELNS1_11target_archE1030ELNS1_3gpuE2ELNS1_3repE0EEENS1_30default_config_static_selectorELNS0_4arch9wavefront6targetE1EEEvT1_
; %bb.0:
	.section	.rodata,"a",@progbits
	.p2align	6, 0x0
	.amdhsa_kernel _ZN7rocprim17ROCPRIM_400000_NS6detail17trampoline_kernelINS0_14default_configENS1_20scan_config_selectorIN3c107complexIfEEEEZZNS1_9scan_implILNS1_25lookback_scan_determinismE0ELb0ELb0ES3_PKS7_PS7_S7_ZZZN2at6native31launch_logcumsumexp_cuda_kernelERKNSE_10TensorBaseESI_lENKUlvE_clEvENKUlvE2_clEvEUlS7_S7_E_S7_EEDaPvRmT3_T4_T5_mT6_P12ihipStream_tbENKUlT_T0_E_clISt17integral_constantIbLb1EESY_IbLb0EEEEDaSU_SV_EUlSU_E_NS1_11comp_targetILNS1_3genE8ELNS1_11target_archE1030ELNS1_3gpuE2ELNS1_3repE0EEENS1_30default_config_static_selectorELNS0_4arch9wavefront6targetE1EEEvT1_
		.amdhsa_group_segment_fixed_size 0
		.amdhsa_private_segment_fixed_size 0
		.amdhsa_kernarg_size 104
		.amdhsa_user_sgpr_count 2
		.amdhsa_user_sgpr_dispatch_ptr 0
		.amdhsa_user_sgpr_queue_ptr 0
		.amdhsa_user_sgpr_kernarg_segment_ptr 1
		.amdhsa_user_sgpr_dispatch_id 0
		.amdhsa_user_sgpr_kernarg_preload_length 0
		.amdhsa_user_sgpr_kernarg_preload_offset 0
		.amdhsa_user_sgpr_private_segment_size 0
		.amdhsa_uses_dynamic_stack 0
		.amdhsa_enable_private_segment 0
		.amdhsa_system_sgpr_workgroup_id_x 1
		.amdhsa_system_sgpr_workgroup_id_y 0
		.amdhsa_system_sgpr_workgroup_id_z 0
		.amdhsa_system_sgpr_workgroup_info 0
		.amdhsa_system_vgpr_workitem_id 0
		.amdhsa_next_free_vgpr 1
		.amdhsa_next_free_sgpr 0
		.amdhsa_accum_offset 4
		.amdhsa_reserve_vcc 0
		.amdhsa_float_round_mode_32 0
		.amdhsa_float_round_mode_16_64 0
		.amdhsa_float_denorm_mode_32 3
		.amdhsa_float_denorm_mode_16_64 3
		.amdhsa_dx10_clamp 1
		.amdhsa_ieee_mode 1
		.amdhsa_fp16_overflow 0
		.amdhsa_tg_split 0
		.amdhsa_exception_fp_ieee_invalid_op 0
		.amdhsa_exception_fp_denorm_src 0
		.amdhsa_exception_fp_ieee_div_zero 0
		.amdhsa_exception_fp_ieee_overflow 0
		.amdhsa_exception_fp_ieee_underflow 0
		.amdhsa_exception_fp_ieee_inexact 0
		.amdhsa_exception_int_div_zero 0
	.end_amdhsa_kernel
	.section	.text._ZN7rocprim17ROCPRIM_400000_NS6detail17trampoline_kernelINS0_14default_configENS1_20scan_config_selectorIN3c107complexIfEEEEZZNS1_9scan_implILNS1_25lookback_scan_determinismE0ELb0ELb0ES3_PKS7_PS7_S7_ZZZN2at6native31launch_logcumsumexp_cuda_kernelERKNSE_10TensorBaseESI_lENKUlvE_clEvENKUlvE2_clEvEUlS7_S7_E_S7_EEDaPvRmT3_T4_T5_mT6_P12ihipStream_tbENKUlT_T0_E_clISt17integral_constantIbLb1EESY_IbLb0EEEEDaSU_SV_EUlSU_E_NS1_11comp_targetILNS1_3genE8ELNS1_11target_archE1030ELNS1_3gpuE2ELNS1_3repE0EEENS1_30default_config_static_selectorELNS0_4arch9wavefront6targetE1EEEvT1_,"axG",@progbits,_ZN7rocprim17ROCPRIM_400000_NS6detail17trampoline_kernelINS0_14default_configENS1_20scan_config_selectorIN3c107complexIfEEEEZZNS1_9scan_implILNS1_25lookback_scan_determinismE0ELb0ELb0ES3_PKS7_PS7_S7_ZZZN2at6native31launch_logcumsumexp_cuda_kernelERKNSE_10TensorBaseESI_lENKUlvE_clEvENKUlvE2_clEvEUlS7_S7_E_S7_EEDaPvRmT3_T4_T5_mT6_P12ihipStream_tbENKUlT_T0_E_clISt17integral_constantIbLb1EESY_IbLb0EEEEDaSU_SV_EUlSU_E_NS1_11comp_targetILNS1_3genE8ELNS1_11target_archE1030ELNS1_3gpuE2ELNS1_3repE0EEENS1_30default_config_static_selectorELNS0_4arch9wavefront6targetE1EEEvT1_,comdat
.Lfunc_end318:
	.size	_ZN7rocprim17ROCPRIM_400000_NS6detail17trampoline_kernelINS0_14default_configENS1_20scan_config_selectorIN3c107complexIfEEEEZZNS1_9scan_implILNS1_25lookback_scan_determinismE0ELb0ELb0ES3_PKS7_PS7_S7_ZZZN2at6native31launch_logcumsumexp_cuda_kernelERKNSE_10TensorBaseESI_lENKUlvE_clEvENKUlvE2_clEvEUlS7_S7_E_S7_EEDaPvRmT3_T4_T5_mT6_P12ihipStream_tbENKUlT_T0_E_clISt17integral_constantIbLb1EESY_IbLb0EEEEDaSU_SV_EUlSU_E_NS1_11comp_targetILNS1_3genE8ELNS1_11target_archE1030ELNS1_3gpuE2ELNS1_3repE0EEENS1_30default_config_static_selectorELNS0_4arch9wavefront6targetE1EEEvT1_, .Lfunc_end318-_ZN7rocprim17ROCPRIM_400000_NS6detail17trampoline_kernelINS0_14default_configENS1_20scan_config_selectorIN3c107complexIfEEEEZZNS1_9scan_implILNS1_25lookback_scan_determinismE0ELb0ELb0ES3_PKS7_PS7_S7_ZZZN2at6native31launch_logcumsumexp_cuda_kernelERKNSE_10TensorBaseESI_lENKUlvE_clEvENKUlvE2_clEvEUlS7_S7_E_S7_EEDaPvRmT3_T4_T5_mT6_P12ihipStream_tbENKUlT_T0_E_clISt17integral_constantIbLb1EESY_IbLb0EEEEDaSU_SV_EUlSU_E_NS1_11comp_targetILNS1_3genE8ELNS1_11target_archE1030ELNS1_3gpuE2ELNS1_3repE0EEENS1_30default_config_static_selectorELNS0_4arch9wavefront6targetE1EEEvT1_
                                        ; -- End function
	.set _ZN7rocprim17ROCPRIM_400000_NS6detail17trampoline_kernelINS0_14default_configENS1_20scan_config_selectorIN3c107complexIfEEEEZZNS1_9scan_implILNS1_25lookback_scan_determinismE0ELb0ELb0ES3_PKS7_PS7_S7_ZZZN2at6native31launch_logcumsumexp_cuda_kernelERKNSE_10TensorBaseESI_lENKUlvE_clEvENKUlvE2_clEvEUlS7_S7_E_S7_EEDaPvRmT3_T4_T5_mT6_P12ihipStream_tbENKUlT_T0_E_clISt17integral_constantIbLb1EESY_IbLb0EEEEDaSU_SV_EUlSU_E_NS1_11comp_targetILNS1_3genE8ELNS1_11target_archE1030ELNS1_3gpuE2ELNS1_3repE0EEENS1_30default_config_static_selectorELNS0_4arch9wavefront6targetE1EEEvT1_.num_vgpr, 0
	.set _ZN7rocprim17ROCPRIM_400000_NS6detail17trampoline_kernelINS0_14default_configENS1_20scan_config_selectorIN3c107complexIfEEEEZZNS1_9scan_implILNS1_25lookback_scan_determinismE0ELb0ELb0ES3_PKS7_PS7_S7_ZZZN2at6native31launch_logcumsumexp_cuda_kernelERKNSE_10TensorBaseESI_lENKUlvE_clEvENKUlvE2_clEvEUlS7_S7_E_S7_EEDaPvRmT3_T4_T5_mT6_P12ihipStream_tbENKUlT_T0_E_clISt17integral_constantIbLb1EESY_IbLb0EEEEDaSU_SV_EUlSU_E_NS1_11comp_targetILNS1_3genE8ELNS1_11target_archE1030ELNS1_3gpuE2ELNS1_3repE0EEENS1_30default_config_static_selectorELNS0_4arch9wavefront6targetE1EEEvT1_.num_agpr, 0
	.set _ZN7rocprim17ROCPRIM_400000_NS6detail17trampoline_kernelINS0_14default_configENS1_20scan_config_selectorIN3c107complexIfEEEEZZNS1_9scan_implILNS1_25lookback_scan_determinismE0ELb0ELb0ES3_PKS7_PS7_S7_ZZZN2at6native31launch_logcumsumexp_cuda_kernelERKNSE_10TensorBaseESI_lENKUlvE_clEvENKUlvE2_clEvEUlS7_S7_E_S7_EEDaPvRmT3_T4_T5_mT6_P12ihipStream_tbENKUlT_T0_E_clISt17integral_constantIbLb1EESY_IbLb0EEEEDaSU_SV_EUlSU_E_NS1_11comp_targetILNS1_3genE8ELNS1_11target_archE1030ELNS1_3gpuE2ELNS1_3repE0EEENS1_30default_config_static_selectorELNS0_4arch9wavefront6targetE1EEEvT1_.numbered_sgpr, 0
	.set _ZN7rocprim17ROCPRIM_400000_NS6detail17trampoline_kernelINS0_14default_configENS1_20scan_config_selectorIN3c107complexIfEEEEZZNS1_9scan_implILNS1_25lookback_scan_determinismE0ELb0ELb0ES3_PKS7_PS7_S7_ZZZN2at6native31launch_logcumsumexp_cuda_kernelERKNSE_10TensorBaseESI_lENKUlvE_clEvENKUlvE2_clEvEUlS7_S7_E_S7_EEDaPvRmT3_T4_T5_mT6_P12ihipStream_tbENKUlT_T0_E_clISt17integral_constantIbLb1EESY_IbLb0EEEEDaSU_SV_EUlSU_E_NS1_11comp_targetILNS1_3genE8ELNS1_11target_archE1030ELNS1_3gpuE2ELNS1_3repE0EEENS1_30default_config_static_selectorELNS0_4arch9wavefront6targetE1EEEvT1_.num_named_barrier, 0
	.set _ZN7rocprim17ROCPRIM_400000_NS6detail17trampoline_kernelINS0_14default_configENS1_20scan_config_selectorIN3c107complexIfEEEEZZNS1_9scan_implILNS1_25lookback_scan_determinismE0ELb0ELb0ES3_PKS7_PS7_S7_ZZZN2at6native31launch_logcumsumexp_cuda_kernelERKNSE_10TensorBaseESI_lENKUlvE_clEvENKUlvE2_clEvEUlS7_S7_E_S7_EEDaPvRmT3_T4_T5_mT6_P12ihipStream_tbENKUlT_T0_E_clISt17integral_constantIbLb1EESY_IbLb0EEEEDaSU_SV_EUlSU_E_NS1_11comp_targetILNS1_3genE8ELNS1_11target_archE1030ELNS1_3gpuE2ELNS1_3repE0EEENS1_30default_config_static_selectorELNS0_4arch9wavefront6targetE1EEEvT1_.private_seg_size, 0
	.set _ZN7rocprim17ROCPRIM_400000_NS6detail17trampoline_kernelINS0_14default_configENS1_20scan_config_selectorIN3c107complexIfEEEEZZNS1_9scan_implILNS1_25lookback_scan_determinismE0ELb0ELb0ES3_PKS7_PS7_S7_ZZZN2at6native31launch_logcumsumexp_cuda_kernelERKNSE_10TensorBaseESI_lENKUlvE_clEvENKUlvE2_clEvEUlS7_S7_E_S7_EEDaPvRmT3_T4_T5_mT6_P12ihipStream_tbENKUlT_T0_E_clISt17integral_constantIbLb1EESY_IbLb0EEEEDaSU_SV_EUlSU_E_NS1_11comp_targetILNS1_3genE8ELNS1_11target_archE1030ELNS1_3gpuE2ELNS1_3repE0EEENS1_30default_config_static_selectorELNS0_4arch9wavefront6targetE1EEEvT1_.uses_vcc, 0
	.set _ZN7rocprim17ROCPRIM_400000_NS6detail17trampoline_kernelINS0_14default_configENS1_20scan_config_selectorIN3c107complexIfEEEEZZNS1_9scan_implILNS1_25lookback_scan_determinismE0ELb0ELb0ES3_PKS7_PS7_S7_ZZZN2at6native31launch_logcumsumexp_cuda_kernelERKNSE_10TensorBaseESI_lENKUlvE_clEvENKUlvE2_clEvEUlS7_S7_E_S7_EEDaPvRmT3_T4_T5_mT6_P12ihipStream_tbENKUlT_T0_E_clISt17integral_constantIbLb1EESY_IbLb0EEEEDaSU_SV_EUlSU_E_NS1_11comp_targetILNS1_3genE8ELNS1_11target_archE1030ELNS1_3gpuE2ELNS1_3repE0EEENS1_30default_config_static_selectorELNS0_4arch9wavefront6targetE1EEEvT1_.uses_flat_scratch, 0
	.set _ZN7rocprim17ROCPRIM_400000_NS6detail17trampoline_kernelINS0_14default_configENS1_20scan_config_selectorIN3c107complexIfEEEEZZNS1_9scan_implILNS1_25lookback_scan_determinismE0ELb0ELb0ES3_PKS7_PS7_S7_ZZZN2at6native31launch_logcumsumexp_cuda_kernelERKNSE_10TensorBaseESI_lENKUlvE_clEvENKUlvE2_clEvEUlS7_S7_E_S7_EEDaPvRmT3_T4_T5_mT6_P12ihipStream_tbENKUlT_T0_E_clISt17integral_constantIbLb1EESY_IbLb0EEEEDaSU_SV_EUlSU_E_NS1_11comp_targetILNS1_3genE8ELNS1_11target_archE1030ELNS1_3gpuE2ELNS1_3repE0EEENS1_30default_config_static_selectorELNS0_4arch9wavefront6targetE1EEEvT1_.has_dyn_sized_stack, 0
	.set _ZN7rocprim17ROCPRIM_400000_NS6detail17trampoline_kernelINS0_14default_configENS1_20scan_config_selectorIN3c107complexIfEEEEZZNS1_9scan_implILNS1_25lookback_scan_determinismE0ELb0ELb0ES3_PKS7_PS7_S7_ZZZN2at6native31launch_logcumsumexp_cuda_kernelERKNSE_10TensorBaseESI_lENKUlvE_clEvENKUlvE2_clEvEUlS7_S7_E_S7_EEDaPvRmT3_T4_T5_mT6_P12ihipStream_tbENKUlT_T0_E_clISt17integral_constantIbLb1EESY_IbLb0EEEEDaSU_SV_EUlSU_E_NS1_11comp_targetILNS1_3genE8ELNS1_11target_archE1030ELNS1_3gpuE2ELNS1_3repE0EEENS1_30default_config_static_selectorELNS0_4arch9wavefront6targetE1EEEvT1_.has_recursion, 0
	.set _ZN7rocprim17ROCPRIM_400000_NS6detail17trampoline_kernelINS0_14default_configENS1_20scan_config_selectorIN3c107complexIfEEEEZZNS1_9scan_implILNS1_25lookback_scan_determinismE0ELb0ELb0ES3_PKS7_PS7_S7_ZZZN2at6native31launch_logcumsumexp_cuda_kernelERKNSE_10TensorBaseESI_lENKUlvE_clEvENKUlvE2_clEvEUlS7_S7_E_S7_EEDaPvRmT3_T4_T5_mT6_P12ihipStream_tbENKUlT_T0_E_clISt17integral_constantIbLb1EESY_IbLb0EEEEDaSU_SV_EUlSU_E_NS1_11comp_targetILNS1_3genE8ELNS1_11target_archE1030ELNS1_3gpuE2ELNS1_3repE0EEENS1_30default_config_static_selectorELNS0_4arch9wavefront6targetE1EEEvT1_.has_indirect_call, 0
	.section	.AMDGPU.csdata,"",@progbits
; Kernel info:
; codeLenInByte = 0
; TotalNumSgprs: 6
; NumVgprs: 0
; NumAgprs: 0
; TotalNumVgprs: 0
; ScratchSize: 0
; MemoryBound: 0
; FloatMode: 240
; IeeeMode: 1
; LDSByteSize: 0 bytes/workgroup (compile time only)
; SGPRBlocks: 0
; VGPRBlocks: 0
; NumSGPRsForWavesPerEU: 6
; NumVGPRsForWavesPerEU: 1
; AccumOffset: 4
; Occupancy: 8
; WaveLimiterHint : 0
; COMPUTE_PGM_RSRC2:SCRATCH_EN: 0
; COMPUTE_PGM_RSRC2:USER_SGPR: 2
; COMPUTE_PGM_RSRC2:TRAP_HANDLER: 0
; COMPUTE_PGM_RSRC2:TGID_X_EN: 1
; COMPUTE_PGM_RSRC2:TGID_Y_EN: 0
; COMPUTE_PGM_RSRC2:TGID_Z_EN: 0
; COMPUTE_PGM_RSRC2:TIDIG_COMP_CNT: 0
; COMPUTE_PGM_RSRC3_GFX90A:ACCUM_OFFSET: 0
; COMPUTE_PGM_RSRC3_GFX90A:TG_SPLIT: 0
	.section	.text._ZN7rocprim17ROCPRIM_400000_NS6detail17trampoline_kernelINS0_14default_configENS1_20scan_config_selectorIN3c107complexIfEEEEZZNS1_9scan_implILNS1_25lookback_scan_determinismE0ELb0ELb0ES3_PKS7_PS7_S7_ZZZN2at6native31launch_logcumsumexp_cuda_kernelERKNSE_10TensorBaseESI_lENKUlvE_clEvENKUlvE2_clEvEUlS7_S7_E_S7_EEDaPvRmT3_T4_T5_mT6_P12ihipStream_tbENKUlT_T0_E_clISt17integral_constantIbLb1EESY_IbLb0EEEEDaSU_SV_EUlSU_E0_NS1_11comp_targetILNS1_3genE0ELNS1_11target_archE4294967295ELNS1_3gpuE0ELNS1_3repE0EEENS1_30default_config_static_selectorELNS0_4arch9wavefront6targetE1EEEvT1_,"axG",@progbits,_ZN7rocprim17ROCPRIM_400000_NS6detail17trampoline_kernelINS0_14default_configENS1_20scan_config_selectorIN3c107complexIfEEEEZZNS1_9scan_implILNS1_25lookback_scan_determinismE0ELb0ELb0ES3_PKS7_PS7_S7_ZZZN2at6native31launch_logcumsumexp_cuda_kernelERKNSE_10TensorBaseESI_lENKUlvE_clEvENKUlvE2_clEvEUlS7_S7_E_S7_EEDaPvRmT3_T4_T5_mT6_P12ihipStream_tbENKUlT_T0_E_clISt17integral_constantIbLb1EESY_IbLb0EEEEDaSU_SV_EUlSU_E0_NS1_11comp_targetILNS1_3genE0ELNS1_11target_archE4294967295ELNS1_3gpuE0ELNS1_3repE0EEENS1_30default_config_static_selectorELNS0_4arch9wavefront6targetE1EEEvT1_,comdat
	.globl	_ZN7rocprim17ROCPRIM_400000_NS6detail17trampoline_kernelINS0_14default_configENS1_20scan_config_selectorIN3c107complexIfEEEEZZNS1_9scan_implILNS1_25lookback_scan_determinismE0ELb0ELb0ES3_PKS7_PS7_S7_ZZZN2at6native31launch_logcumsumexp_cuda_kernelERKNSE_10TensorBaseESI_lENKUlvE_clEvENKUlvE2_clEvEUlS7_S7_E_S7_EEDaPvRmT3_T4_T5_mT6_P12ihipStream_tbENKUlT_T0_E_clISt17integral_constantIbLb1EESY_IbLb0EEEEDaSU_SV_EUlSU_E0_NS1_11comp_targetILNS1_3genE0ELNS1_11target_archE4294967295ELNS1_3gpuE0ELNS1_3repE0EEENS1_30default_config_static_selectorELNS0_4arch9wavefront6targetE1EEEvT1_ ; -- Begin function _ZN7rocprim17ROCPRIM_400000_NS6detail17trampoline_kernelINS0_14default_configENS1_20scan_config_selectorIN3c107complexIfEEEEZZNS1_9scan_implILNS1_25lookback_scan_determinismE0ELb0ELb0ES3_PKS7_PS7_S7_ZZZN2at6native31launch_logcumsumexp_cuda_kernelERKNSE_10TensorBaseESI_lENKUlvE_clEvENKUlvE2_clEvEUlS7_S7_E_S7_EEDaPvRmT3_T4_T5_mT6_P12ihipStream_tbENKUlT_T0_E_clISt17integral_constantIbLb1EESY_IbLb0EEEEDaSU_SV_EUlSU_E0_NS1_11comp_targetILNS1_3genE0ELNS1_11target_archE4294967295ELNS1_3gpuE0ELNS1_3repE0EEENS1_30default_config_static_selectorELNS0_4arch9wavefront6targetE1EEEvT1_
	.p2align	8
	.type	_ZN7rocprim17ROCPRIM_400000_NS6detail17trampoline_kernelINS0_14default_configENS1_20scan_config_selectorIN3c107complexIfEEEEZZNS1_9scan_implILNS1_25lookback_scan_determinismE0ELb0ELb0ES3_PKS7_PS7_S7_ZZZN2at6native31launch_logcumsumexp_cuda_kernelERKNSE_10TensorBaseESI_lENKUlvE_clEvENKUlvE2_clEvEUlS7_S7_E_S7_EEDaPvRmT3_T4_T5_mT6_P12ihipStream_tbENKUlT_T0_E_clISt17integral_constantIbLb1EESY_IbLb0EEEEDaSU_SV_EUlSU_E0_NS1_11comp_targetILNS1_3genE0ELNS1_11target_archE4294967295ELNS1_3gpuE0ELNS1_3repE0EEENS1_30default_config_static_selectorELNS0_4arch9wavefront6targetE1EEEvT1_,@function
_ZN7rocprim17ROCPRIM_400000_NS6detail17trampoline_kernelINS0_14default_configENS1_20scan_config_selectorIN3c107complexIfEEEEZZNS1_9scan_implILNS1_25lookback_scan_determinismE0ELb0ELb0ES3_PKS7_PS7_S7_ZZZN2at6native31launch_logcumsumexp_cuda_kernelERKNSE_10TensorBaseESI_lENKUlvE_clEvENKUlvE2_clEvEUlS7_S7_E_S7_EEDaPvRmT3_T4_T5_mT6_P12ihipStream_tbENKUlT_T0_E_clISt17integral_constantIbLb1EESY_IbLb0EEEEDaSU_SV_EUlSU_E0_NS1_11comp_targetILNS1_3genE0ELNS1_11target_archE4294967295ELNS1_3gpuE0ELNS1_3repE0EEENS1_30default_config_static_selectorELNS0_4arch9wavefront6targetE1EEEvT1_: ; @_ZN7rocprim17ROCPRIM_400000_NS6detail17trampoline_kernelINS0_14default_configENS1_20scan_config_selectorIN3c107complexIfEEEEZZNS1_9scan_implILNS1_25lookback_scan_determinismE0ELb0ELb0ES3_PKS7_PS7_S7_ZZZN2at6native31launch_logcumsumexp_cuda_kernelERKNSE_10TensorBaseESI_lENKUlvE_clEvENKUlvE2_clEvEUlS7_S7_E_S7_EEDaPvRmT3_T4_T5_mT6_P12ihipStream_tbENKUlT_T0_E_clISt17integral_constantIbLb1EESY_IbLb0EEEEDaSU_SV_EUlSU_E0_NS1_11comp_targetILNS1_3genE0ELNS1_11target_archE4294967295ELNS1_3gpuE0ELNS1_3repE0EEENS1_30default_config_static_selectorELNS0_4arch9wavefront6targetE1EEEvT1_
; %bb.0:
	s_mov_b64 s[28:29], s[0:1]
	s_load_dwordx4 s[0:3], s[28:29], 0x0
	v_mov_b32_e32 v27, v0
	v_lshlrev_b32_e32 v54, 3, v27
	s_mov_b32 s32, 0
	s_waitcnt lgkmcnt(0)
	s_load_dwordx2 s[4:5], s[0:1], 0x0
	v_cmp_gt_u32_e64 s[16:17], s2, v27
	s_waitcnt lgkmcnt(0)
	v_mov_b64_e32 v[0:1], s[4:5]
	s_and_saveexec_b64 s[6:7], s[16:17]
	s_cbranch_execz .LBB319_2
; %bb.1:
	global_load_dwordx2 v[0:1], v54, s[0:1]
.LBB319_2:
	s_or_b64 exec, exec, s[6:7]
	v_or_b32_e32 v2, 0x100, v27
	v_cmp_gt_u32_e64 s[18:19], s2, v2
	v_mov_b64_e32 v[2:3], s[4:5]
	s_and_saveexec_b64 s[6:7], s[18:19]
	s_cbranch_execz .LBB319_4
; %bb.3:
	global_load_dwordx2 v[2:3], v54, s[0:1] offset:2048
.LBB319_4:
	s_or_b64 exec, exec, s[6:7]
	v_or_b32_e32 v6, 0x200, v27
	v_cmp_gt_u32_e64 s[20:21], s2, v6
	v_mov_b64_e32 v[4:5], s[4:5]
	s_and_saveexec_b64 s[6:7], s[20:21]
	s_cbranch_execz .LBB319_6
; %bb.5:
	v_lshlrev_b32_e32 v4, 3, v6
	global_load_dwordx2 v[4:5], v4, s[0:1]
.LBB319_6:
	s_or_b64 exec, exec, s[6:7]
	v_or_b32_e32 v8, 0x300, v27
	v_cmp_gt_u32_e64 s[22:23], s2, v8
	v_mov_b64_e32 v[6:7], s[4:5]
	s_and_saveexec_b64 s[6:7], s[22:23]
	s_cbranch_execz .LBB319_8
; %bb.7:
	v_lshlrev_b32_e32 v6, 3, v8
	global_load_dwordx2 v[6:7], v6, s[0:1]
.LBB319_8:
	;; [unrolled: 10-line block ×4, first 2 shown]
	s_or_b64 exec, exec, s[2:3]
	s_waitcnt vmcnt(0)
	ds_write2st64_b64 v54, v[0:1], v[2:3] offset1:4
	ds_write2st64_b64 v54, v[4:5], v[6:7] offset0:8 offset1:12
	ds_write2st64_b64 v54, v[8:9], v[10:11] offset0:16 offset1:20
	v_mad_u32_u24 v0, v27, 40, v54
	s_waitcnt lgkmcnt(0)
	s_barrier
	ds_read_b128 v[32:35], v0
	ds_read_b128 v[48:51], v0 offset:16
	ds_read_b128 v[40:43], v0 offset:32
	s_getpc_b64 s[34:35]
	s_add_u32 s34, s34, _ZZZZN2at6native31launch_logcumsumexp_cuda_kernelERKNS_10TensorBaseES3_lENKUlvE_clEvENKUlvE2_clEvENKUlN3c107complexIfEES8_E_clES8_S8_@rel32@lo+4
	s_addc_u32 s35, s35, _ZZZZN2at6native31launch_logcumsumexp_cuda_kernelERKNS_10TensorBaseES3_lENKUlvE_clEvENKUlvE2_clEvENKUlN3c107complexIfEES8_E_clES8_S8_@rel32@hi+12
	s_waitcnt lgkmcnt(0)
	v_mov_b32_e32 v0, v32
	v_mov_b32_e32 v1, v33
	;; [unrolled: 1-line block ×4, first 2 shown]
	s_barrier
	s_swappc_b64 s[30:31], s[34:35]
	v_mov_b32_e32 v2, v48
	v_mov_b32_e32 v3, v49
	v_mov_b32_e32 v52, v0
	v_mov_b32_e32 v53, v1
	s_swappc_b64 s[30:31], s[34:35]
	v_mov_b32_e32 v2, v50
	v_mov_b32_e32 v3, v51
	v_mov_b32_e32 v36, v0
	v_mov_b32_e32 v37, v1
	;; [unrolled: 5-line block ×4, first 2 shown]
	s_swappc_b64 s[30:31], s[34:35]
	v_mov_b32_e32 v31, v0
	v_mbcnt_lo_u32_b32 v0, -1, 0
	v_mov_b32_e32 v30, v1
	v_mbcnt_hi_u32_b32 v55, -1, v0
	v_and_b32_e32 v28, 15, v55
	v_mov_b32_e32 v46, v31
	v_mov_b32_e32 v47, v30
	v_mov_b32_dpp v0, v31 row_shr:1 row_mask:0xf bank_mask:0xf
	v_mov_b32_dpp v1, v30 row_shr:1 row_mask:0xf bank_mask:0xf
	v_cmp_ne_u32_e32 vcc, 0, v28
	v_mov_b64_e32 v[2:3], v[46:47]
	s_and_saveexec_b64 s[36:37], vcc
	s_cbranch_execz .LBB319_14
; %bb.13:
	v_mov_b32_e32 v2, v31
	v_mov_b32_e32 v3, v30
	s_swappc_b64 s[30:31], s[34:35]
	v_mov_b32_e32 v2, v0
	v_mov_b32_e32 v3, v1
	;; [unrolled: 1-line block ×4, first 2 shown]
.LBB319_14:
	s_or_b64 exec, exec, s[36:37]
	v_mov_b32_dpp v0, v31 row_shr:2 row_mask:0xf bank_mask:0xf
	v_mov_b32_dpp v1, v30 row_shr:2 row_mask:0xf bank_mask:0xf
	v_cmp_lt_u32_e32 vcc, 1, v28
	s_and_saveexec_b64 s[34:35], vcc
	s_cbranch_execz .LBB319_16
; %bb.15:
	s_getpc_b64 s[0:1]
	s_add_u32 s0, s0, _ZZZZN2at6native31launch_logcumsumexp_cuda_kernelERKNS_10TensorBaseES3_lENKUlvE_clEvENKUlvE2_clEvENKUlN3c107complexIfEES8_E_clES8_S8_@rel32@lo+4
	s_addc_u32 s1, s1, _ZZZZN2at6native31launch_logcumsumexp_cuda_kernelERKNS_10TensorBaseES3_lENKUlvE_clEvENKUlvE2_clEvENKUlN3c107complexIfEES8_E_clES8_S8_@rel32@hi+12
	v_mov_b32_e32 v2, v31
	v_mov_b32_e32 v3, v30
	s_swappc_b64 s[30:31], s[0:1]
	v_mov_b32_e32 v2, v0
	v_mov_b32_e32 v3, v1
	;; [unrolled: 1-line block ×4, first 2 shown]
.LBB319_16:
	s_or_b64 exec, exec, s[34:35]
	s_nop 0
	v_mov_b32_dpp v0, v31 row_shr:4 row_mask:0xf bank_mask:0xf
	v_mov_b32_dpp v1, v30 row_shr:4 row_mask:0xf bank_mask:0xf
	v_cmp_lt_u32_e32 vcc, 3, v28
	s_and_saveexec_b64 s[34:35], vcc
	s_cbranch_execz .LBB319_18
; %bb.17:
	s_getpc_b64 s[0:1]
	s_add_u32 s0, s0, _ZZZZN2at6native31launch_logcumsumexp_cuda_kernelERKNS_10TensorBaseES3_lENKUlvE_clEvENKUlvE2_clEvENKUlN3c107complexIfEES8_E_clES8_S8_@rel32@lo+4
	s_addc_u32 s1, s1, _ZZZZN2at6native31launch_logcumsumexp_cuda_kernelERKNS_10TensorBaseES3_lENKUlvE_clEvENKUlvE2_clEvENKUlN3c107complexIfEES8_E_clES8_S8_@rel32@hi+12
	v_mov_b32_e32 v2, v31
	v_mov_b32_e32 v3, v30
	s_swappc_b64 s[30:31], s[0:1]
	v_mov_b32_e32 v2, v0
	v_mov_b32_e32 v3, v1
	;; [unrolled: 1-line block ×4, first 2 shown]
.LBB319_18:
	s_or_b64 exec, exec, s[34:35]
	s_nop 0
	v_mov_b32_dpp v0, v31 row_shr:8 row_mask:0xf bank_mask:0xf
	v_mov_b32_dpp v1, v30 row_shr:8 row_mask:0xf bank_mask:0xf
	v_cmp_lt_u32_e32 vcc, 7, v28
	s_and_saveexec_b64 s[34:35], vcc
	s_cbranch_execz .LBB319_20
; %bb.19:
	s_getpc_b64 s[0:1]
	s_add_u32 s0, s0, _ZZZZN2at6native31launch_logcumsumexp_cuda_kernelERKNS_10TensorBaseES3_lENKUlvE_clEvENKUlvE2_clEvENKUlN3c107complexIfEES8_E_clES8_S8_@rel32@lo+4
	s_addc_u32 s1, s1, _ZZZZN2at6native31launch_logcumsumexp_cuda_kernelERKNS_10TensorBaseES3_lENKUlvE_clEvENKUlvE2_clEvENKUlN3c107complexIfEES8_E_clES8_S8_@rel32@hi+12
	v_mov_b32_e32 v2, v31
	v_mov_b32_e32 v3, v30
	s_swappc_b64 s[30:31], s[0:1]
	v_mov_b32_e32 v2, v0
	v_mov_b32_e32 v3, v1
	;; [unrolled: 1-line block ×4, first 2 shown]
.LBB319_20:
	s_or_b64 exec, exec, s[34:35]
	v_and_b32_e32 v4, 16, v55
	v_mov_b32_dpp v0, v31 row_bcast:15 row_mask:0xf bank_mask:0xf
	v_mov_b32_dpp v1, v30 row_bcast:15 row_mask:0xf bank_mask:0xf
	v_cmp_ne_u32_e32 vcc, 0, v4
	s_and_saveexec_b64 s[34:35], vcc
	s_cbranch_execz .LBB319_22
; %bb.21:
	s_getpc_b64 s[0:1]
	s_add_u32 s0, s0, _ZZZZN2at6native31launch_logcumsumexp_cuda_kernelERKNS_10TensorBaseES3_lENKUlvE_clEvENKUlvE2_clEvENKUlN3c107complexIfEES8_E_clES8_S8_@rel32@lo+4
	s_addc_u32 s1, s1, _ZZZZN2at6native31launch_logcumsumexp_cuda_kernelERKNS_10TensorBaseES3_lENKUlvE_clEvENKUlvE2_clEvENKUlN3c107complexIfEES8_E_clES8_S8_@rel32@hi+12
	v_mov_b32_e32 v2, v31
	v_mov_b32_e32 v3, v30
	s_swappc_b64 s[30:31], s[0:1]
	v_mov_b32_e32 v2, v0
	v_mov_b32_e32 v3, v1
	;; [unrolled: 1-line block ×4, first 2 shown]
.LBB319_22:
	s_or_b64 exec, exec, s[34:35]
	s_nop 0
	v_mov_b32_dpp v0, v31 row_bcast:31 row_mask:0xf bank_mask:0xf
	v_mov_b32_dpp v1, v30 row_bcast:31 row_mask:0xf bank_mask:0xf
	v_cmp_lt_u32_e32 vcc, 31, v55
	s_and_saveexec_b64 s[34:35], vcc
	s_cbranch_execz .LBB319_24
; %bb.23:
	s_getpc_b64 s[0:1]
	s_add_u32 s0, s0, _ZZZZN2at6native31launch_logcumsumexp_cuda_kernelERKNS_10TensorBaseES3_lENKUlvE_clEvENKUlvE2_clEvENKUlN3c107complexIfEES8_E_clES8_S8_@rel32@lo+4
	s_addc_u32 s1, s1, _ZZZZN2at6native31launch_logcumsumexp_cuda_kernelERKNS_10TensorBaseES3_lENKUlvE_clEvENKUlvE2_clEvENKUlN3c107complexIfEES8_E_clES8_S8_@rel32@hi+12
	v_mov_b32_e32 v2, v31
	v_mov_b32_e32 v3, v30
	s_swappc_b64 s[30:31], s[0:1]
	v_mov_b32_e32 v2, v0
	v_mov_b32_e32 v3, v1
	;; [unrolled: 1-line block ×4, first 2 shown]
.LBB319_24:
	s_or_b64 exec, exec, s[34:35]
	v_or_b32_e32 v0, 63, v27
	v_lshrrev_b32_e32 v57, 6, v27
	v_cmp_eq_u32_e32 vcc, v27, v0
	s_and_saveexec_b64 s[0:1], vcc
; %bb.25:
	v_lshlrev_b32_e32 v0, 3, v57
	ds_write_b64 v0, v[2:3]
; %bb.26:
	s_or_b64 exec, exec, s[0:1]
	v_cmp_gt_u32_e32 vcc, 4, v27
	s_waitcnt lgkmcnt(0)
	s_barrier
	s_and_saveexec_b64 s[34:35], vcc
	s_cbranch_execz .LBB319_32
; %bb.27:
	ds_read_b64 v[2:3], v54
	v_and_b32_e32 v28, 3, v55
	v_cmp_ne_u32_e32 vcc, 0, v28
	s_waitcnt lgkmcnt(0)
	v_mov_b32_dpp v0, v2 row_shr:1 row_mask:0xf bank_mask:0xf
	v_mov_b32_dpp v1, v3 row_shr:1 row_mask:0xf bank_mask:0xf
	s_and_saveexec_b64 s[36:37], vcc
	s_cbranch_execz .LBB319_29
; %bb.28:
	s_getpc_b64 s[0:1]
	s_add_u32 s0, s0, _ZZZZN2at6native31launch_logcumsumexp_cuda_kernelERKNS_10TensorBaseES3_lENKUlvE_clEvENKUlvE2_clEvENKUlN3c107complexIfEES8_E_clES8_S8_@rel32@lo+4
	s_addc_u32 s1, s1, _ZZZZN2at6native31launch_logcumsumexp_cuda_kernelERKNS_10TensorBaseES3_lENKUlvE_clEvENKUlvE2_clEvENKUlN3c107complexIfEES8_E_clES8_S8_@rel32@hi+12
	s_swappc_b64 s[30:31], s[0:1]
	v_mov_b32_e32 v2, v0
	v_mov_b32_e32 v3, v1
.LBB319_29:
	s_or_b64 exec, exec, s[36:37]
	v_mov_b32_dpp v0, v2 row_shr:2 row_mask:0xf bank_mask:0xf
	v_mov_b32_dpp v1, v3 row_shr:2 row_mask:0xf bank_mask:0xf
	v_cmp_lt_u32_e32 vcc, 1, v28
	s_and_saveexec_b64 s[36:37], vcc
	s_cbranch_execz .LBB319_31
; %bb.30:
	s_getpc_b64 s[0:1]
	s_add_u32 s0, s0, _ZZZZN2at6native31launch_logcumsumexp_cuda_kernelERKNS_10TensorBaseES3_lENKUlvE_clEvENKUlvE2_clEvENKUlN3c107complexIfEES8_E_clES8_S8_@rel32@lo+4
	s_addc_u32 s1, s1, _ZZZZN2at6native31launch_logcumsumexp_cuda_kernelERKNS_10TensorBaseES3_lENKUlvE_clEvENKUlvE2_clEvENKUlN3c107complexIfEES8_E_clES8_S8_@rel32@hi+12
	s_swappc_b64 s[30:31], s[0:1]
	v_mov_b32_e32 v2, v0
	v_mov_b32_e32 v3, v1
.LBB319_31:
	s_or_b64 exec, exec, s[36:37]
	ds_write_b64 v54, v[2:3]
.LBB319_32:
	s_or_b64 exec, exec, s[34:35]
	s_load_dwordx2 s[28:29], s[28:29], 0x20
	v_mul_u32_u24_e32 v56, 40, v27
	v_cmp_lt_u32_e32 vcc, 63, v27
	v_mov_b32_e32 v28, 0
	v_mov_b32_e32 v29, 0
	s_waitcnt lgkmcnt(0)
	s_barrier
	s_and_saveexec_b64 s[34:35], vcc
	s_cbranch_execz .LBB319_34
; %bb.33:
	v_lshl_add_u32 v0, v57, 3, -8
	ds_read_b64 v[28:29], v0
	s_getpc_b64 s[0:1]
	s_add_u32 s0, s0, _ZZZZN2at6native31launch_logcumsumexp_cuda_kernelERKNS_10TensorBaseES3_lENKUlvE_clEvENKUlvE2_clEvENKUlN3c107complexIfEES8_E_clES8_S8_@rel32@lo+4
	s_addc_u32 s1, s1, _ZZZZN2at6native31launch_logcumsumexp_cuda_kernelERKNS_10TensorBaseES3_lENKUlvE_clEvENKUlvE2_clEvENKUlN3c107complexIfEES8_E_clES8_S8_@rel32@hi+12
	v_mov_b32_e32 v2, v31
	v_mov_b32_e32 v3, v30
	s_waitcnt lgkmcnt(0)
	v_mov_b32_e32 v0, v28
	v_mov_b32_e32 v1, v29
	s_swappc_b64 s[30:31], s[0:1]
	v_mov_b32_e32 v31, v0
	v_mov_b32_e32 v30, v1
.LBB319_34:
	s_or_b64 exec, exec, s[34:35]
	v_add_u32_e32 v0, -1, v55
	v_and_b32_e32 v1, 64, v55
	v_cmp_lt_i32_e32 vcc, v0, v1
	s_nop 1
	v_cndmask_b32_e32 v0, v0, v55, vcc
	v_lshlrev_b32_e32 v1, 2, v0
	ds_bpermute_b32 v0, v1, v31
	ds_bpermute_b32 v1, v1, v30
	v_cmp_ne_u32_e32 vcc, 0, v27
	s_and_saveexec_b64 s[0:1], vcc
	s_xor_b64 s[34:35], exec, s[0:1]
	s_cbranch_execz .LBB319_36
; %bb.35:
	v_cmp_eq_u32_e32 vcc, 0, v55
	s_getpc_b64 s[36:37]
	s_add_u32 s36, s36, _ZZZZN2at6native31launch_logcumsumexp_cuda_kernelERKNS_10TensorBaseES3_lENKUlvE_clEvENKUlvE2_clEvENKUlN3c107complexIfEES8_E_clES8_S8_@rel32@lo+4
	s_addc_u32 s37, s37, _ZZZZN2at6native31launch_logcumsumexp_cuda_kernelERKNS_10TensorBaseES3_lENKUlvE_clEvENKUlvE2_clEvENKUlN3c107complexIfEES8_E_clES8_S8_@rel32@hi+12
	s_waitcnt lgkmcnt(1)
	v_cndmask_b32_e32 v0, v0, v28, vcc
	s_waitcnt lgkmcnt(0)
	v_cndmask_b32_e32 v1, v1, v29, vcc
	v_mov_b32_e32 v2, v32
	v_mov_b32_e32 v3, v33
	s_swappc_b64 s[30:31], s[36:37]
	v_mov_b32_e32 v2, v34
	v_mov_b32_e32 v3, v35
	;; [unrolled: 1-line block ×4, first 2 shown]
	;;#ASMSTART
	;;#ASMEND
	s_swappc_b64 s[30:31], s[36:37]
	v_mov_b32_e32 v2, v48
	v_mov_b32_e32 v3, v49
	v_mov_b32_e32 v34, v0
	v_mov_b32_e32 v35, v1
	s_swappc_b64 s[30:31], s[36:37]
	v_mov_b32_e32 v2, v50
	v_mov_b32_e32 v3, v51
	v_mov_b32_e32 v36, v0
	v_mov_b32_e32 v37, v1
	;; [unrolled: 5-line block ×4, first 2 shown]
	s_swappc_b64 s[30:31], s[36:37]
	v_mov_b32_e32 v46, v0
	v_mov_b32_e32 v47, v1
                                        ; implicit-def: $vgpr52
                                        ; implicit-def: $vgpr53
.LBB319_36:
	s_andn2_saveexec_b64 s[0:1], s[34:35]
; %bb.37:
	v_mov_b32_e32 v34, v52
	v_mov_b32_e32 v35, v53
; %bb.38:
	s_or_b64 exec, exec, s[0:1]
	s_waitcnt lgkmcnt(1)
	v_add_u32_e32 v0, v54, v56
	s_waitcnt lgkmcnt(0)
	s_barrier
	ds_write_b128 v0, v[32:35]
	ds_write_b128 v0, v[36:39] offset:16
	ds_write_b128 v0, v[44:47] offset:32
	s_waitcnt lgkmcnt(0)
	s_barrier
	ds_read2st64_b64 v[4:7], v54 offset0:4 offset1:8
	ds_read2st64_b64 v[0:3], v54 offset0:12 offset1:16
	ds_read_b64 v[8:9], v54 offset:10240
	v_mov_b32_e32 v55, 0
	v_lshl_add_u64 v[10:11], s[28:29], 0, v[54:55]
	s_and_saveexec_b64 s[0:1], s[16:17]
	s_cbranch_execnz .LBB319_45
; %bb.39:
	s_or_b64 exec, exec, s[0:1]
	s_and_saveexec_b64 s[0:1], s[18:19]
	s_cbranch_execnz .LBB319_46
.LBB319_40:
	s_or_b64 exec, exec, s[0:1]
	s_and_saveexec_b64 s[0:1], s[20:21]
	s_cbranch_execnz .LBB319_47
.LBB319_41:
	s_or_b64 exec, exec, s[0:1]
	s_and_saveexec_b64 s[0:1], s[22:23]
	s_cbranch_execnz .LBB319_48
.LBB319_42:
	s_or_b64 exec, exec, s[0:1]
	s_and_saveexec_b64 s[0:1], s[24:25]
	s_cbranch_execnz .LBB319_49
.LBB319_43:
	s_or_b64 exec, exec, s[0:1]
	s_and_saveexec_b64 s[0:1], s[26:27]
	s_cbranch_execnz .LBB319_50
.LBB319_44:
	s_endpgm
.LBB319_45:
	ds_read_b64 v[12:13], v54
	s_waitcnt lgkmcnt(0)
	global_store_dwordx2 v[10:11], v[12:13], off
	s_or_b64 exec, exec, s[0:1]
	s_and_saveexec_b64 s[0:1], s[18:19]
	s_cbranch_execz .LBB319_40
.LBB319_46:
	s_waitcnt lgkmcnt(2)
	global_store_dwordx2 v[10:11], v[4:5], off offset:2048
	s_or_b64 exec, exec, s[0:1]
	s_and_saveexec_b64 s[0:1], s[20:21]
	s_cbranch_execz .LBB319_41
.LBB319_47:
	s_waitcnt lgkmcnt(2)
	v_add_co_u32_e32 v4, vcc, 0x1000, v10
	s_nop 1
	v_addc_co_u32_e32 v5, vcc, 0, v11, vcc
	global_store_dwordx2 v[4:5], v[6:7], off
	s_or_b64 exec, exec, s[0:1]
	s_and_saveexec_b64 s[0:1], s[22:23]
	s_cbranch_execz .LBB319_42
.LBB319_48:
	s_waitcnt lgkmcnt(2)
	v_add_co_u32_e32 v4, vcc, 0x1000, v10
	s_nop 1
	v_addc_co_u32_e32 v5, vcc, 0, v11, vcc
	s_waitcnt lgkmcnt(1)
	global_store_dwordx2 v[4:5], v[0:1], off offset:2048
	s_or_b64 exec, exec, s[0:1]
	s_and_saveexec_b64 s[0:1], s[24:25]
	s_cbranch_execz .LBB319_43
.LBB319_49:
	s_waitcnt lgkmcnt(1)
	v_add_co_u32_e32 v0, vcc, 0x2000, v10
	s_nop 1
	v_addc_co_u32_e32 v1, vcc, 0, v11, vcc
	global_store_dwordx2 v[0:1], v[2:3], off
	s_or_b64 exec, exec, s[0:1]
	s_and_saveexec_b64 s[0:1], s[26:27]
	s_cbranch_execz .LBB319_44
.LBB319_50:
	s_waitcnt lgkmcnt(1)
	v_add_co_u32_e32 v0, vcc, 0x2000, v10
	s_nop 1
	v_addc_co_u32_e32 v1, vcc, 0, v11, vcc
	s_waitcnt lgkmcnt(0)
	global_store_dwordx2 v[0:1], v[8:9], off offset:2048
	s_endpgm
	.section	.rodata,"a",@progbits
	.p2align	6, 0x0
	.amdhsa_kernel _ZN7rocprim17ROCPRIM_400000_NS6detail17trampoline_kernelINS0_14default_configENS1_20scan_config_selectorIN3c107complexIfEEEEZZNS1_9scan_implILNS1_25lookback_scan_determinismE0ELb0ELb0ES3_PKS7_PS7_S7_ZZZN2at6native31launch_logcumsumexp_cuda_kernelERKNSE_10TensorBaseESI_lENKUlvE_clEvENKUlvE2_clEvEUlS7_S7_E_S7_EEDaPvRmT3_T4_T5_mT6_P12ihipStream_tbENKUlT_T0_E_clISt17integral_constantIbLb1EESY_IbLb0EEEEDaSU_SV_EUlSU_E0_NS1_11comp_targetILNS1_3genE0ELNS1_11target_archE4294967295ELNS1_3gpuE0ELNS1_3repE0EEENS1_30default_config_static_selectorELNS0_4arch9wavefront6targetE1EEEvT1_
		.amdhsa_group_segment_fixed_size 12288
		.amdhsa_private_segment_fixed_size 0
		.amdhsa_kernarg_size 40
		.amdhsa_user_sgpr_count 2
		.amdhsa_user_sgpr_dispatch_ptr 0
		.amdhsa_user_sgpr_queue_ptr 0
		.amdhsa_user_sgpr_kernarg_segment_ptr 1
		.amdhsa_user_sgpr_dispatch_id 0
		.amdhsa_user_sgpr_kernarg_preload_length 0
		.amdhsa_user_sgpr_kernarg_preload_offset 0
		.amdhsa_user_sgpr_private_segment_size 0
		.amdhsa_uses_dynamic_stack 0
		.amdhsa_enable_private_segment 0
		.amdhsa_system_sgpr_workgroup_id_x 1
		.amdhsa_system_sgpr_workgroup_id_y 0
		.amdhsa_system_sgpr_workgroup_id_z 0
		.amdhsa_system_sgpr_workgroup_info 0
		.amdhsa_system_vgpr_workitem_id 0
		.amdhsa_next_free_vgpr 58
		.amdhsa_next_free_sgpr 38
		.amdhsa_accum_offset 60
		.amdhsa_reserve_vcc 1
		.amdhsa_float_round_mode_32 0
		.amdhsa_float_round_mode_16_64 0
		.amdhsa_float_denorm_mode_32 3
		.amdhsa_float_denorm_mode_16_64 3
		.amdhsa_dx10_clamp 1
		.amdhsa_ieee_mode 1
		.amdhsa_fp16_overflow 0
		.amdhsa_tg_split 0
		.amdhsa_exception_fp_ieee_invalid_op 0
		.amdhsa_exception_fp_denorm_src 0
		.amdhsa_exception_fp_ieee_div_zero 0
		.amdhsa_exception_fp_ieee_overflow 0
		.amdhsa_exception_fp_ieee_underflow 0
		.amdhsa_exception_fp_ieee_inexact 0
		.amdhsa_exception_int_div_zero 0
	.end_amdhsa_kernel
	.section	.text._ZN7rocprim17ROCPRIM_400000_NS6detail17trampoline_kernelINS0_14default_configENS1_20scan_config_selectorIN3c107complexIfEEEEZZNS1_9scan_implILNS1_25lookback_scan_determinismE0ELb0ELb0ES3_PKS7_PS7_S7_ZZZN2at6native31launch_logcumsumexp_cuda_kernelERKNSE_10TensorBaseESI_lENKUlvE_clEvENKUlvE2_clEvEUlS7_S7_E_S7_EEDaPvRmT3_T4_T5_mT6_P12ihipStream_tbENKUlT_T0_E_clISt17integral_constantIbLb1EESY_IbLb0EEEEDaSU_SV_EUlSU_E0_NS1_11comp_targetILNS1_3genE0ELNS1_11target_archE4294967295ELNS1_3gpuE0ELNS1_3repE0EEENS1_30default_config_static_selectorELNS0_4arch9wavefront6targetE1EEEvT1_,"axG",@progbits,_ZN7rocprim17ROCPRIM_400000_NS6detail17trampoline_kernelINS0_14default_configENS1_20scan_config_selectorIN3c107complexIfEEEEZZNS1_9scan_implILNS1_25lookback_scan_determinismE0ELb0ELb0ES3_PKS7_PS7_S7_ZZZN2at6native31launch_logcumsumexp_cuda_kernelERKNSE_10TensorBaseESI_lENKUlvE_clEvENKUlvE2_clEvEUlS7_S7_E_S7_EEDaPvRmT3_T4_T5_mT6_P12ihipStream_tbENKUlT_T0_E_clISt17integral_constantIbLb1EESY_IbLb0EEEEDaSU_SV_EUlSU_E0_NS1_11comp_targetILNS1_3genE0ELNS1_11target_archE4294967295ELNS1_3gpuE0ELNS1_3repE0EEENS1_30default_config_static_selectorELNS0_4arch9wavefront6targetE1EEEvT1_,comdat
.Lfunc_end319:
	.size	_ZN7rocprim17ROCPRIM_400000_NS6detail17trampoline_kernelINS0_14default_configENS1_20scan_config_selectorIN3c107complexIfEEEEZZNS1_9scan_implILNS1_25lookback_scan_determinismE0ELb0ELb0ES3_PKS7_PS7_S7_ZZZN2at6native31launch_logcumsumexp_cuda_kernelERKNSE_10TensorBaseESI_lENKUlvE_clEvENKUlvE2_clEvEUlS7_S7_E_S7_EEDaPvRmT3_T4_T5_mT6_P12ihipStream_tbENKUlT_T0_E_clISt17integral_constantIbLb1EESY_IbLb0EEEEDaSU_SV_EUlSU_E0_NS1_11comp_targetILNS1_3genE0ELNS1_11target_archE4294967295ELNS1_3gpuE0ELNS1_3repE0EEENS1_30default_config_static_selectorELNS0_4arch9wavefront6targetE1EEEvT1_, .Lfunc_end319-_ZN7rocprim17ROCPRIM_400000_NS6detail17trampoline_kernelINS0_14default_configENS1_20scan_config_selectorIN3c107complexIfEEEEZZNS1_9scan_implILNS1_25lookback_scan_determinismE0ELb0ELb0ES3_PKS7_PS7_S7_ZZZN2at6native31launch_logcumsumexp_cuda_kernelERKNSE_10TensorBaseESI_lENKUlvE_clEvENKUlvE2_clEvEUlS7_S7_E_S7_EEDaPvRmT3_T4_T5_mT6_P12ihipStream_tbENKUlT_T0_E_clISt17integral_constantIbLb1EESY_IbLb0EEEEDaSU_SV_EUlSU_E0_NS1_11comp_targetILNS1_3genE0ELNS1_11target_archE4294967295ELNS1_3gpuE0ELNS1_3repE0EEENS1_30default_config_static_selectorELNS0_4arch9wavefront6targetE1EEEvT1_
                                        ; -- End function
	.set _ZN7rocprim17ROCPRIM_400000_NS6detail17trampoline_kernelINS0_14default_configENS1_20scan_config_selectorIN3c107complexIfEEEEZZNS1_9scan_implILNS1_25lookback_scan_determinismE0ELb0ELb0ES3_PKS7_PS7_S7_ZZZN2at6native31launch_logcumsumexp_cuda_kernelERKNSE_10TensorBaseESI_lENKUlvE_clEvENKUlvE2_clEvEUlS7_S7_E_S7_EEDaPvRmT3_T4_T5_mT6_P12ihipStream_tbENKUlT_T0_E_clISt17integral_constantIbLb1EESY_IbLb0EEEEDaSU_SV_EUlSU_E0_NS1_11comp_targetILNS1_3genE0ELNS1_11target_archE4294967295ELNS1_3gpuE0ELNS1_3repE0EEENS1_30default_config_static_selectorELNS0_4arch9wavefront6targetE1EEEvT1_.num_vgpr, max(58, .L_ZZZZN2at6native31launch_logcumsumexp_cuda_kernelERKNS_10TensorBaseES3_lENKUlvE_clEvENKUlvE2_clEvENKUlN3c107complexIfEES8_E_clES8_S8_.num_vgpr)
	.set _ZN7rocprim17ROCPRIM_400000_NS6detail17trampoline_kernelINS0_14default_configENS1_20scan_config_selectorIN3c107complexIfEEEEZZNS1_9scan_implILNS1_25lookback_scan_determinismE0ELb0ELb0ES3_PKS7_PS7_S7_ZZZN2at6native31launch_logcumsumexp_cuda_kernelERKNSE_10TensorBaseESI_lENKUlvE_clEvENKUlvE2_clEvEUlS7_S7_E_S7_EEDaPvRmT3_T4_T5_mT6_P12ihipStream_tbENKUlT_T0_E_clISt17integral_constantIbLb1EESY_IbLb0EEEEDaSU_SV_EUlSU_E0_NS1_11comp_targetILNS1_3genE0ELNS1_11target_archE4294967295ELNS1_3gpuE0ELNS1_3repE0EEENS1_30default_config_static_selectorELNS0_4arch9wavefront6targetE1EEEvT1_.num_agpr, max(0, .L_ZZZZN2at6native31launch_logcumsumexp_cuda_kernelERKNS_10TensorBaseES3_lENKUlvE_clEvENKUlvE2_clEvENKUlN3c107complexIfEES8_E_clES8_S8_.num_agpr)
	.set _ZN7rocprim17ROCPRIM_400000_NS6detail17trampoline_kernelINS0_14default_configENS1_20scan_config_selectorIN3c107complexIfEEEEZZNS1_9scan_implILNS1_25lookback_scan_determinismE0ELb0ELb0ES3_PKS7_PS7_S7_ZZZN2at6native31launch_logcumsumexp_cuda_kernelERKNSE_10TensorBaseESI_lENKUlvE_clEvENKUlvE2_clEvEUlS7_S7_E_S7_EEDaPvRmT3_T4_T5_mT6_P12ihipStream_tbENKUlT_T0_E_clISt17integral_constantIbLb1EESY_IbLb0EEEEDaSU_SV_EUlSU_E0_NS1_11comp_targetILNS1_3genE0ELNS1_11target_archE4294967295ELNS1_3gpuE0ELNS1_3repE0EEENS1_30default_config_static_selectorELNS0_4arch9wavefront6targetE1EEEvT1_.numbered_sgpr, max(38, .L_ZZZZN2at6native31launch_logcumsumexp_cuda_kernelERKNS_10TensorBaseES3_lENKUlvE_clEvENKUlvE2_clEvENKUlN3c107complexIfEES8_E_clES8_S8_.numbered_sgpr)
	.set _ZN7rocprim17ROCPRIM_400000_NS6detail17trampoline_kernelINS0_14default_configENS1_20scan_config_selectorIN3c107complexIfEEEEZZNS1_9scan_implILNS1_25lookback_scan_determinismE0ELb0ELb0ES3_PKS7_PS7_S7_ZZZN2at6native31launch_logcumsumexp_cuda_kernelERKNSE_10TensorBaseESI_lENKUlvE_clEvENKUlvE2_clEvEUlS7_S7_E_S7_EEDaPvRmT3_T4_T5_mT6_P12ihipStream_tbENKUlT_T0_E_clISt17integral_constantIbLb1EESY_IbLb0EEEEDaSU_SV_EUlSU_E0_NS1_11comp_targetILNS1_3genE0ELNS1_11target_archE4294967295ELNS1_3gpuE0ELNS1_3repE0EEENS1_30default_config_static_selectorELNS0_4arch9wavefront6targetE1EEEvT1_.num_named_barrier, max(0, .L_ZZZZN2at6native31launch_logcumsumexp_cuda_kernelERKNS_10TensorBaseES3_lENKUlvE_clEvENKUlvE2_clEvENKUlN3c107complexIfEES8_E_clES8_S8_.num_named_barrier)
	.set _ZN7rocprim17ROCPRIM_400000_NS6detail17trampoline_kernelINS0_14default_configENS1_20scan_config_selectorIN3c107complexIfEEEEZZNS1_9scan_implILNS1_25lookback_scan_determinismE0ELb0ELb0ES3_PKS7_PS7_S7_ZZZN2at6native31launch_logcumsumexp_cuda_kernelERKNSE_10TensorBaseESI_lENKUlvE_clEvENKUlvE2_clEvEUlS7_S7_E_S7_EEDaPvRmT3_T4_T5_mT6_P12ihipStream_tbENKUlT_T0_E_clISt17integral_constantIbLb1EESY_IbLb0EEEEDaSU_SV_EUlSU_E0_NS1_11comp_targetILNS1_3genE0ELNS1_11target_archE4294967295ELNS1_3gpuE0ELNS1_3repE0EEENS1_30default_config_static_selectorELNS0_4arch9wavefront6targetE1EEEvT1_.private_seg_size, 0+max(.L_ZZZZN2at6native31launch_logcumsumexp_cuda_kernelERKNS_10TensorBaseES3_lENKUlvE_clEvENKUlvE2_clEvENKUlN3c107complexIfEES8_E_clES8_S8_.private_seg_size)
	.set _ZN7rocprim17ROCPRIM_400000_NS6detail17trampoline_kernelINS0_14default_configENS1_20scan_config_selectorIN3c107complexIfEEEEZZNS1_9scan_implILNS1_25lookback_scan_determinismE0ELb0ELb0ES3_PKS7_PS7_S7_ZZZN2at6native31launch_logcumsumexp_cuda_kernelERKNSE_10TensorBaseESI_lENKUlvE_clEvENKUlvE2_clEvEUlS7_S7_E_S7_EEDaPvRmT3_T4_T5_mT6_P12ihipStream_tbENKUlT_T0_E_clISt17integral_constantIbLb1EESY_IbLb0EEEEDaSU_SV_EUlSU_E0_NS1_11comp_targetILNS1_3genE0ELNS1_11target_archE4294967295ELNS1_3gpuE0ELNS1_3repE0EEENS1_30default_config_static_selectorELNS0_4arch9wavefront6targetE1EEEvT1_.uses_vcc, or(1, .L_ZZZZN2at6native31launch_logcumsumexp_cuda_kernelERKNS_10TensorBaseES3_lENKUlvE_clEvENKUlvE2_clEvENKUlN3c107complexIfEES8_E_clES8_S8_.uses_vcc)
	.set _ZN7rocprim17ROCPRIM_400000_NS6detail17trampoline_kernelINS0_14default_configENS1_20scan_config_selectorIN3c107complexIfEEEEZZNS1_9scan_implILNS1_25lookback_scan_determinismE0ELb0ELb0ES3_PKS7_PS7_S7_ZZZN2at6native31launch_logcumsumexp_cuda_kernelERKNSE_10TensorBaseESI_lENKUlvE_clEvENKUlvE2_clEvEUlS7_S7_E_S7_EEDaPvRmT3_T4_T5_mT6_P12ihipStream_tbENKUlT_T0_E_clISt17integral_constantIbLb1EESY_IbLb0EEEEDaSU_SV_EUlSU_E0_NS1_11comp_targetILNS1_3genE0ELNS1_11target_archE4294967295ELNS1_3gpuE0ELNS1_3repE0EEENS1_30default_config_static_selectorELNS0_4arch9wavefront6targetE1EEEvT1_.uses_flat_scratch, or(0, .L_ZZZZN2at6native31launch_logcumsumexp_cuda_kernelERKNS_10TensorBaseES3_lENKUlvE_clEvENKUlvE2_clEvENKUlN3c107complexIfEES8_E_clES8_S8_.uses_flat_scratch)
	.set _ZN7rocprim17ROCPRIM_400000_NS6detail17trampoline_kernelINS0_14default_configENS1_20scan_config_selectorIN3c107complexIfEEEEZZNS1_9scan_implILNS1_25lookback_scan_determinismE0ELb0ELb0ES3_PKS7_PS7_S7_ZZZN2at6native31launch_logcumsumexp_cuda_kernelERKNSE_10TensorBaseESI_lENKUlvE_clEvENKUlvE2_clEvEUlS7_S7_E_S7_EEDaPvRmT3_T4_T5_mT6_P12ihipStream_tbENKUlT_T0_E_clISt17integral_constantIbLb1EESY_IbLb0EEEEDaSU_SV_EUlSU_E0_NS1_11comp_targetILNS1_3genE0ELNS1_11target_archE4294967295ELNS1_3gpuE0ELNS1_3repE0EEENS1_30default_config_static_selectorELNS0_4arch9wavefront6targetE1EEEvT1_.has_dyn_sized_stack, or(0, .L_ZZZZN2at6native31launch_logcumsumexp_cuda_kernelERKNS_10TensorBaseES3_lENKUlvE_clEvENKUlvE2_clEvENKUlN3c107complexIfEES8_E_clES8_S8_.has_dyn_sized_stack)
	.set _ZN7rocprim17ROCPRIM_400000_NS6detail17trampoline_kernelINS0_14default_configENS1_20scan_config_selectorIN3c107complexIfEEEEZZNS1_9scan_implILNS1_25lookback_scan_determinismE0ELb0ELb0ES3_PKS7_PS7_S7_ZZZN2at6native31launch_logcumsumexp_cuda_kernelERKNSE_10TensorBaseESI_lENKUlvE_clEvENKUlvE2_clEvEUlS7_S7_E_S7_EEDaPvRmT3_T4_T5_mT6_P12ihipStream_tbENKUlT_T0_E_clISt17integral_constantIbLb1EESY_IbLb0EEEEDaSU_SV_EUlSU_E0_NS1_11comp_targetILNS1_3genE0ELNS1_11target_archE4294967295ELNS1_3gpuE0ELNS1_3repE0EEENS1_30default_config_static_selectorELNS0_4arch9wavefront6targetE1EEEvT1_.has_recursion, or(0, .L_ZZZZN2at6native31launch_logcumsumexp_cuda_kernelERKNS_10TensorBaseES3_lENKUlvE_clEvENKUlvE2_clEvENKUlN3c107complexIfEES8_E_clES8_S8_.has_recursion)
	.set _ZN7rocprim17ROCPRIM_400000_NS6detail17trampoline_kernelINS0_14default_configENS1_20scan_config_selectorIN3c107complexIfEEEEZZNS1_9scan_implILNS1_25lookback_scan_determinismE0ELb0ELb0ES3_PKS7_PS7_S7_ZZZN2at6native31launch_logcumsumexp_cuda_kernelERKNSE_10TensorBaseESI_lENKUlvE_clEvENKUlvE2_clEvEUlS7_S7_E_S7_EEDaPvRmT3_T4_T5_mT6_P12ihipStream_tbENKUlT_T0_E_clISt17integral_constantIbLb1EESY_IbLb0EEEEDaSU_SV_EUlSU_E0_NS1_11comp_targetILNS1_3genE0ELNS1_11target_archE4294967295ELNS1_3gpuE0ELNS1_3repE0EEENS1_30default_config_static_selectorELNS0_4arch9wavefront6targetE1EEEvT1_.has_indirect_call, or(0, .L_ZZZZN2at6native31launch_logcumsumexp_cuda_kernelERKNS_10TensorBaseES3_lENKUlvE_clEvENKUlvE2_clEvENKUlN3c107complexIfEES8_E_clES8_S8_.has_indirect_call)
	.section	.AMDGPU.csdata,"",@progbits
; Kernel info:
; codeLenInByte = 1924
; TotalNumSgprs: 44
; NumVgprs: 58
; NumAgprs: 0
; TotalNumVgprs: 58
; ScratchSize: 0
; MemoryBound: 0
; FloatMode: 240
; IeeeMode: 1
; LDSByteSize: 12288 bytes/workgroup (compile time only)
; SGPRBlocks: 5
; VGPRBlocks: 7
; NumSGPRsForWavesPerEU: 44
; NumVGPRsForWavesPerEU: 58
; AccumOffset: 60
; Occupancy: 8
; WaveLimiterHint : 0
; COMPUTE_PGM_RSRC2:SCRATCH_EN: 0
; COMPUTE_PGM_RSRC2:USER_SGPR: 2
; COMPUTE_PGM_RSRC2:TRAP_HANDLER: 0
; COMPUTE_PGM_RSRC2:TGID_X_EN: 1
; COMPUTE_PGM_RSRC2:TGID_Y_EN: 0
; COMPUTE_PGM_RSRC2:TGID_Z_EN: 0
; COMPUTE_PGM_RSRC2:TIDIG_COMP_CNT: 0
; COMPUTE_PGM_RSRC3_GFX90A:ACCUM_OFFSET: 14
; COMPUTE_PGM_RSRC3_GFX90A:TG_SPLIT: 0
	.section	.text._ZN7rocprim17ROCPRIM_400000_NS6detail17trampoline_kernelINS0_14default_configENS1_20scan_config_selectorIN3c107complexIfEEEEZZNS1_9scan_implILNS1_25lookback_scan_determinismE0ELb0ELb0ES3_PKS7_PS7_S7_ZZZN2at6native31launch_logcumsumexp_cuda_kernelERKNSE_10TensorBaseESI_lENKUlvE_clEvENKUlvE2_clEvEUlS7_S7_E_S7_EEDaPvRmT3_T4_T5_mT6_P12ihipStream_tbENKUlT_T0_E_clISt17integral_constantIbLb1EESY_IbLb0EEEEDaSU_SV_EUlSU_E0_NS1_11comp_targetILNS1_3genE5ELNS1_11target_archE942ELNS1_3gpuE9ELNS1_3repE0EEENS1_30default_config_static_selectorELNS0_4arch9wavefront6targetE1EEEvT1_,"axG",@progbits,_ZN7rocprim17ROCPRIM_400000_NS6detail17trampoline_kernelINS0_14default_configENS1_20scan_config_selectorIN3c107complexIfEEEEZZNS1_9scan_implILNS1_25lookback_scan_determinismE0ELb0ELb0ES3_PKS7_PS7_S7_ZZZN2at6native31launch_logcumsumexp_cuda_kernelERKNSE_10TensorBaseESI_lENKUlvE_clEvENKUlvE2_clEvEUlS7_S7_E_S7_EEDaPvRmT3_T4_T5_mT6_P12ihipStream_tbENKUlT_T0_E_clISt17integral_constantIbLb1EESY_IbLb0EEEEDaSU_SV_EUlSU_E0_NS1_11comp_targetILNS1_3genE5ELNS1_11target_archE942ELNS1_3gpuE9ELNS1_3repE0EEENS1_30default_config_static_selectorELNS0_4arch9wavefront6targetE1EEEvT1_,comdat
	.globl	_ZN7rocprim17ROCPRIM_400000_NS6detail17trampoline_kernelINS0_14default_configENS1_20scan_config_selectorIN3c107complexIfEEEEZZNS1_9scan_implILNS1_25lookback_scan_determinismE0ELb0ELb0ES3_PKS7_PS7_S7_ZZZN2at6native31launch_logcumsumexp_cuda_kernelERKNSE_10TensorBaseESI_lENKUlvE_clEvENKUlvE2_clEvEUlS7_S7_E_S7_EEDaPvRmT3_T4_T5_mT6_P12ihipStream_tbENKUlT_T0_E_clISt17integral_constantIbLb1EESY_IbLb0EEEEDaSU_SV_EUlSU_E0_NS1_11comp_targetILNS1_3genE5ELNS1_11target_archE942ELNS1_3gpuE9ELNS1_3repE0EEENS1_30default_config_static_selectorELNS0_4arch9wavefront6targetE1EEEvT1_ ; -- Begin function _ZN7rocprim17ROCPRIM_400000_NS6detail17trampoline_kernelINS0_14default_configENS1_20scan_config_selectorIN3c107complexIfEEEEZZNS1_9scan_implILNS1_25lookback_scan_determinismE0ELb0ELb0ES3_PKS7_PS7_S7_ZZZN2at6native31launch_logcumsumexp_cuda_kernelERKNSE_10TensorBaseESI_lENKUlvE_clEvENKUlvE2_clEvEUlS7_S7_E_S7_EEDaPvRmT3_T4_T5_mT6_P12ihipStream_tbENKUlT_T0_E_clISt17integral_constantIbLb1EESY_IbLb0EEEEDaSU_SV_EUlSU_E0_NS1_11comp_targetILNS1_3genE5ELNS1_11target_archE942ELNS1_3gpuE9ELNS1_3repE0EEENS1_30default_config_static_selectorELNS0_4arch9wavefront6targetE1EEEvT1_
	.p2align	8
	.type	_ZN7rocprim17ROCPRIM_400000_NS6detail17trampoline_kernelINS0_14default_configENS1_20scan_config_selectorIN3c107complexIfEEEEZZNS1_9scan_implILNS1_25lookback_scan_determinismE0ELb0ELb0ES3_PKS7_PS7_S7_ZZZN2at6native31launch_logcumsumexp_cuda_kernelERKNSE_10TensorBaseESI_lENKUlvE_clEvENKUlvE2_clEvEUlS7_S7_E_S7_EEDaPvRmT3_T4_T5_mT6_P12ihipStream_tbENKUlT_T0_E_clISt17integral_constantIbLb1EESY_IbLb0EEEEDaSU_SV_EUlSU_E0_NS1_11comp_targetILNS1_3genE5ELNS1_11target_archE942ELNS1_3gpuE9ELNS1_3repE0EEENS1_30default_config_static_selectorELNS0_4arch9wavefront6targetE1EEEvT1_,@function
_ZN7rocprim17ROCPRIM_400000_NS6detail17trampoline_kernelINS0_14default_configENS1_20scan_config_selectorIN3c107complexIfEEEEZZNS1_9scan_implILNS1_25lookback_scan_determinismE0ELb0ELb0ES3_PKS7_PS7_S7_ZZZN2at6native31launch_logcumsumexp_cuda_kernelERKNSE_10TensorBaseESI_lENKUlvE_clEvENKUlvE2_clEvEUlS7_S7_E_S7_EEDaPvRmT3_T4_T5_mT6_P12ihipStream_tbENKUlT_T0_E_clISt17integral_constantIbLb1EESY_IbLb0EEEEDaSU_SV_EUlSU_E0_NS1_11comp_targetILNS1_3genE5ELNS1_11target_archE942ELNS1_3gpuE9ELNS1_3repE0EEENS1_30default_config_static_selectorELNS0_4arch9wavefront6targetE1EEEvT1_: ; @_ZN7rocprim17ROCPRIM_400000_NS6detail17trampoline_kernelINS0_14default_configENS1_20scan_config_selectorIN3c107complexIfEEEEZZNS1_9scan_implILNS1_25lookback_scan_determinismE0ELb0ELb0ES3_PKS7_PS7_S7_ZZZN2at6native31launch_logcumsumexp_cuda_kernelERKNSE_10TensorBaseESI_lENKUlvE_clEvENKUlvE2_clEvEUlS7_S7_E_S7_EEDaPvRmT3_T4_T5_mT6_P12ihipStream_tbENKUlT_T0_E_clISt17integral_constantIbLb1EESY_IbLb0EEEEDaSU_SV_EUlSU_E0_NS1_11comp_targetILNS1_3genE5ELNS1_11target_archE942ELNS1_3gpuE9ELNS1_3repE0EEENS1_30default_config_static_selectorELNS0_4arch9wavefront6targetE1EEEvT1_
; %bb.0:
	.section	.rodata,"a",@progbits
	.p2align	6, 0x0
	.amdhsa_kernel _ZN7rocprim17ROCPRIM_400000_NS6detail17trampoline_kernelINS0_14default_configENS1_20scan_config_selectorIN3c107complexIfEEEEZZNS1_9scan_implILNS1_25lookback_scan_determinismE0ELb0ELb0ES3_PKS7_PS7_S7_ZZZN2at6native31launch_logcumsumexp_cuda_kernelERKNSE_10TensorBaseESI_lENKUlvE_clEvENKUlvE2_clEvEUlS7_S7_E_S7_EEDaPvRmT3_T4_T5_mT6_P12ihipStream_tbENKUlT_T0_E_clISt17integral_constantIbLb1EESY_IbLb0EEEEDaSU_SV_EUlSU_E0_NS1_11comp_targetILNS1_3genE5ELNS1_11target_archE942ELNS1_3gpuE9ELNS1_3repE0EEENS1_30default_config_static_selectorELNS0_4arch9wavefront6targetE1EEEvT1_
		.amdhsa_group_segment_fixed_size 0
		.amdhsa_private_segment_fixed_size 0
		.amdhsa_kernarg_size 40
		.amdhsa_user_sgpr_count 2
		.amdhsa_user_sgpr_dispatch_ptr 0
		.amdhsa_user_sgpr_queue_ptr 0
		.amdhsa_user_sgpr_kernarg_segment_ptr 1
		.amdhsa_user_sgpr_dispatch_id 0
		.amdhsa_user_sgpr_kernarg_preload_length 0
		.amdhsa_user_sgpr_kernarg_preload_offset 0
		.amdhsa_user_sgpr_private_segment_size 0
		.amdhsa_uses_dynamic_stack 0
		.amdhsa_enable_private_segment 0
		.amdhsa_system_sgpr_workgroup_id_x 1
		.amdhsa_system_sgpr_workgroup_id_y 0
		.amdhsa_system_sgpr_workgroup_id_z 0
		.amdhsa_system_sgpr_workgroup_info 0
		.amdhsa_system_vgpr_workitem_id 0
		.amdhsa_next_free_vgpr 1
		.amdhsa_next_free_sgpr 0
		.amdhsa_accum_offset 4
		.amdhsa_reserve_vcc 0
		.amdhsa_float_round_mode_32 0
		.amdhsa_float_round_mode_16_64 0
		.amdhsa_float_denorm_mode_32 3
		.amdhsa_float_denorm_mode_16_64 3
		.amdhsa_dx10_clamp 1
		.amdhsa_ieee_mode 1
		.amdhsa_fp16_overflow 0
		.amdhsa_tg_split 0
		.amdhsa_exception_fp_ieee_invalid_op 0
		.amdhsa_exception_fp_denorm_src 0
		.amdhsa_exception_fp_ieee_div_zero 0
		.amdhsa_exception_fp_ieee_overflow 0
		.amdhsa_exception_fp_ieee_underflow 0
		.amdhsa_exception_fp_ieee_inexact 0
		.amdhsa_exception_int_div_zero 0
	.end_amdhsa_kernel
	.section	.text._ZN7rocprim17ROCPRIM_400000_NS6detail17trampoline_kernelINS0_14default_configENS1_20scan_config_selectorIN3c107complexIfEEEEZZNS1_9scan_implILNS1_25lookback_scan_determinismE0ELb0ELb0ES3_PKS7_PS7_S7_ZZZN2at6native31launch_logcumsumexp_cuda_kernelERKNSE_10TensorBaseESI_lENKUlvE_clEvENKUlvE2_clEvEUlS7_S7_E_S7_EEDaPvRmT3_T4_T5_mT6_P12ihipStream_tbENKUlT_T0_E_clISt17integral_constantIbLb1EESY_IbLb0EEEEDaSU_SV_EUlSU_E0_NS1_11comp_targetILNS1_3genE5ELNS1_11target_archE942ELNS1_3gpuE9ELNS1_3repE0EEENS1_30default_config_static_selectorELNS0_4arch9wavefront6targetE1EEEvT1_,"axG",@progbits,_ZN7rocprim17ROCPRIM_400000_NS6detail17trampoline_kernelINS0_14default_configENS1_20scan_config_selectorIN3c107complexIfEEEEZZNS1_9scan_implILNS1_25lookback_scan_determinismE0ELb0ELb0ES3_PKS7_PS7_S7_ZZZN2at6native31launch_logcumsumexp_cuda_kernelERKNSE_10TensorBaseESI_lENKUlvE_clEvENKUlvE2_clEvEUlS7_S7_E_S7_EEDaPvRmT3_T4_T5_mT6_P12ihipStream_tbENKUlT_T0_E_clISt17integral_constantIbLb1EESY_IbLb0EEEEDaSU_SV_EUlSU_E0_NS1_11comp_targetILNS1_3genE5ELNS1_11target_archE942ELNS1_3gpuE9ELNS1_3repE0EEENS1_30default_config_static_selectorELNS0_4arch9wavefront6targetE1EEEvT1_,comdat
.Lfunc_end320:
	.size	_ZN7rocprim17ROCPRIM_400000_NS6detail17trampoline_kernelINS0_14default_configENS1_20scan_config_selectorIN3c107complexIfEEEEZZNS1_9scan_implILNS1_25lookback_scan_determinismE0ELb0ELb0ES3_PKS7_PS7_S7_ZZZN2at6native31launch_logcumsumexp_cuda_kernelERKNSE_10TensorBaseESI_lENKUlvE_clEvENKUlvE2_clEvEUlS7_S7_E_S7_EEDaPvRmT3_T4_T5_mT6_P12ihipStream_tbENKUlT_T0_E_clISt17integral_constantIbLb1EESY_IbLb0EEEEDaSU_SV_EUlSU_E0_NS1_11comp_targetILNS1_3genE5ELNS1_11target_archE942ELNS1_3gpuE9ELNS1_3repE0EEENS1_30default_config_static_selectorELNS0_4arch9wavefront6targetE1EEEvT1_, .Lfunc_end320-_ZN7rocprim17ROCPRIM_400000_NS6detail17trampoline_kernelINS0_14default_configENS1_20scan_config_selectorIN3c107complexIfEEEEZZNS1_9scan_implILNS1_25lookback_scan_determinismE0ELb0ELb0ES3_PKS7_PS7_S7_ZZZN2at6native31launch_logcumsumexp_cuda_kernelERKNSE_10TensorBaseESI_lENKUlvE_clEvENKUlvE2_clEvEUlS7_S7_E_S7_EEDaPvRmT3_T4_T5_mT6_P12ihipStream_tbENKUlT_T0_E_clISt17integral_constantIbLb1EESY_IbLb0EEEEDaSU_SV_EUlSU_E0_NS1_11comp_targetILNS1_3genE5ELNS1_11target_archE942ELNS1_3gpuE9ELNS1_3repE0EEENS1_30default_config_static_selectorELNS0_4arch9wavefront6targetE1EEEvT1_
                                        ; -- End function
	.set _ZN7rocprim17ROCPRIM_400000_NS6detail17trampoline_kernelINS0_14default_configENS1_20scan_config_selectorIN3c107complexIfEEEEZZNS1_9scan_implILNS1_25lookback_scan_determinismE0ELb0ELb0ES3_PKS7_PS7_S7_ZZZN2at6native31launch_logcumsumexp_cuda_kernelERKNSE_10TensorBaseESI_lENKUlvE_clEvENKUlvE2_clEvEUlS7_S7_E_S7_EEDaPvRmT3_T4_T5_mT6_P12ihipStream_tbENKUlT_T0_E_clISt17integral_constantIbLb1EESY_IbLb0EEEEDaSU_SV_EUlSU_E0_NS1_11comp_targetILNS1_3genE5ELNS1_11target_archE942ELNS1_3gpuE9ELNS1_3repE0EEENS1_30default_config_static_selectorELNS0_4arch9wavefront6targetE1EEEvT1_.num_vgpr, 0
	.set _ZN7rocprim17ROCPRIM_400000_NS6detail17trampoline_kernelINS0_14default_configENS1_20scan_config_selectorIN3c107complexIfEEEEZZNS1_9scan_implILNS1_25lookback_scan_determinismE0ELb0ELb0ES3_PKS7_PS7_S7_ZZZN2at6native31launch_logcumsumexp_cuda_kernelERKNSE_10TensorBaseESI_lENKUlvE_clEvENKUlvE2_clEvEUlS7_S7_E_S7_EEDaPvRmT3_T4_T5_mT6_P12ihipStream_tbENKUlT_T0_E_clISt17integral_constantIbLb1EESY_IbLb0EEEEDaSU_SV_EUlSU_E0_NS1_11comp_targetILNS1_3genE5ELNS1_11target_archE942ELNS1_3gpuE9ELNS1_3repE0EEENS1_30default_config_static_selectorELNS0_4arch9wavefront6targetE1EEEvT1_.num_agpr, 0
	.set _ZN7rocprim17ROCPRIM_400000_NS6detail17trampoline_kernelINS0_14default_configENS1_20scan_config_selectorIN3c107complexIfEEEEZZNS1_9scan_implILNS1_25lookback_scan_determinismE0ELb0ELb0ES3_PKS7_PS7_S7_ZZZN2at6native31launch_logcumsumexp_cuda_kernelERKNSE_10TensorBaseESI_lENKUlvE_clEvENKUlvE2_clEvEUlS7_S7_E_S7_EEDaPvRmT3_T4_T5_mT6_P12ihipStream_tbENKUlT_T0_E_clISt17integral_constantIbLb1EESY_IbLb0EEEEDaSU_SV_EUlSU_E0_NS1_11comp_targetILNS1_3genE5ELNS1_11target_archE942ELNS1_3gpuE9ELNS1_3repE0EEENS1_30default_config_static_selectorELNS0_4arch9wavefront6targetE1EEEvT1_.numbered_sgpr, 0
	.set _ZN7rocprim17ROCPRIM_400000_NS6detail17trampoline_kernelINS0_14default_configENS1_20scan_config_selectorIN3c107complexIfEEEEZZNS1_9scan_implILNS1_25lookback_scan_determinismE0ELb0ELb0ES3_PKS7_PS7_S7_ZZZN2at6native31launch_logcumsumexp_cuda_kernelERKNSE_10TensorBaseESI_lENKUlvE_clEvENKUlvE2_clEvEUlS7_S7_E_S7_EEDaPvRmT3_T4_T5_mT6_P12ihipStream_tbENKUlT_T0_E_clISt17integral_constantIbLb1EESY_IbLb0EEEEDaSU_SV_EUlSU_E0_NS1_11comp_targetILNS1_3genE5ELNS1_11target_archE942ELNS1_3gpuE9ELNS1_3repE0EEENS1_30default_config_static_selectorELNS0_4arch9wavefront6targetE1EEEvT1_.num_named_barrier, 0
	.set _ZN7rocprim17ROCPRIM_400000_NS6detail17trampoline_kernelINS0_14default_configENS1_20scan_config_selectorIN3c107complexIfEEEEZZNS1_9scan_implILNS1_25lookback_scan_determinismE0ELb0ELb0ES3_PKS7_PS7_S7_ZZZN2at6native31launch_logcumsumexp_cuda_kernelERKNSE_10TensorBaseESI_lENKUlvE_clEvENKUlvE2_clEvEUlS7_S7_E_S7_EEDaPvRmT3_T4_T5_mT6_P12ihipStream_tbENKUlT_T0_E_clISt17integral_constantIbLb1EESY_IbLb0EEEEDaSU_SV_EUlSU_E0_NS1_11comp_targetILNS1_3genE5ELNS1_11target_archE942ELNS1_3gpuE9ELNS1_3repE0EEENS1_30default_config_static_selectorELNS0_4arch9wavefront6targetE1EEEvT1_.private_seg_size, 0
	.set _ZN7rocprim17ROCPRIM_400000_NS6detail17trampoline_kernelINS0_14default_configENS1_20scan_config_selectorIN3c107complexIfEEEEZZNS1_9scan_implILNS1_25lookback_scan_determinismE0ELb0ELb0ES3_PKS7_PS7_S7_ZZZN2at6native31launch_logcumsumexp_cuda_kernelERKNSE_10TensorBaseESI_lENKUlvE_clEvENKUlvE2_clEvEUlS7_S7_E_S7_EEDaPvRmT3_T4_T5_mT6_P12ihipStream_tbENKUlT_T0_E_clISt17integral_constantIbLb1EESY_IbLb0EEEEDaSU_SV_EUlSU_E0_NS1_11comp_targetILNS1_3genE5ELNS1_11target_archE942ELNS1_3gpuE9ELNS1_3repE0EEENS1_30default_config_static_selectorELNS0_4arch9wavefront6targetE1EEEvT1_.uses_vcc, 0
	.set _ZN7rocprim17ROCPRIM_400000_NS6detail17trampoline_kernelINS0_14default_configENS1_20scan_config_selectorIN3c107complexIfEEEEZZNS1_9scan_implILNS1_25lookback_scan_determinismE0ELb0ELb0ES3_PKS7_PS7_S7_ZZZN2at6native31launch_logcumsumexp_cuda_kernelERKNSE_10TensorBaseESI_lENKUlvE_clEvENKUlvE2_clEvEUlS7_S7_E_S7_EEDaPvRmT3_T4_T5_mT6_P12ihipStream_tbENKUlT_T0_E_clISt17integral_constantIbLb1EESY_IbLb0EEEEDaSU_SV_EUlSU_E0_NS1_11comp_targetILNS1_3genE5ELNS1_11target_archE942ELNS1_3gpuE9ELNS1_3repE0EEENS1_30default_config_static_selectorELNS0_4arch9wavefront6targetE1EEEvT1_.uses_flat_scratch, 0
	.set _ZN7rocprim17ROCPRIM_400000_NS6detail17trampoline_kernelINS0_14default_configENS1_20scan_config_selectorIN3c107complexIfEEEEZZNS1_9scan_implILNS1_25lookback_scan_determinismE0ELb0ELb0ES3_PKS7_PS7_S7_ZZZN2at6native31launch_logcumsumexp_cuda_kernelERKNSE_10TensorBaseESI_lENKUlvE_clEvENKUlvE2_clEvEUlS7_S7_E_S7_EEDaPvRmT3_T4_T5_mT6_P12ihipStream_tbENKUlT_T0_E_clISt17integral_constantIbLb1EESY_IbLb0EEEEDaSU_SV_EUlSU_E0_NS1_11comp_targetILNS1_3genE5ELNS1_11target_archE942ELNS1_3gpuE9ELNS1_3repE0EEENS1_30default_config_static_selectorELNS0_4arch9wavefront6targetE1EEEvT1_.has_dyn_sized_stack, 0
	.set _ZN7rocprim17ROCPRIM_400000_NS6detail17trampoline_kernelINS0_14default_configENS1_20scan_config_selectorIN3c107complexIfEEEEZZNS1_9scan_implILNS1_25lookback_scan_determinismE0ELb0ELb0ES3_PKS7_PS7_S7_ZZZN2at6native31launch_logcumsumexp_cuda_kernelERKNSE_10TensorBaseESI_lENKUlvE_clEvENKUlvE2_clEvEUlS7_S7_E_S7_EEDaPvRmT3_T4_T5_mT6_P12ihipStream_tbENKUlT_T0_E_clISt17integral_constantIbLb1EESY_IbLb0EEEEDaSU_SV_EUlSU_E0_NS1_11comp_targetILNS1_3genE5ELNS1_11target_archE942ELNS1_3gpuE9ELNS1_3repE0EEENS1_30default_config_static_selectorELNS0_4arch9wavefront6targetE1EEEvT1_.has_recursion, 0
	.set _ZN7rocprim17ROCPRIM_400000_NS6detail17trampoline_kernelINS0_14default_configENS1_20scan_config_selectorIN3c107complexIfEEEEZZNS1_9scan_implILNS1_25lookback_scan_determinismE0ELb0ELb0ES3_PKS7_PS7_S7_ZZZN2at6native31launch_logcumsumexp_cuda_kernelERKNSE_10TensorBaseESI_lENKUlvE_clEvENKUlvE2_clEvEUlS7_S7_E_S7_EEDaPvRmT3_T4_T5_mT6_P12ihipStream_tbENKUlT_T0_E_clISt17integral_constantIbLb1EESY_IbLb0EEEEDaSU_SV_EUlSU_E0_NS1_11comp_targetILNS1_3genE5ELNS1_11target_archE942ELNS1_3gpuE9ELNS1_3repE0EEENS1_30default_config_static_selectorELNS0_4arch9wavefront6targetE1EEEvT1_.has_indirect_call, 0
	.section	.AMDGPU.csdata,"",@progbits
; Kernel info:
; codeLenInByte = 0
; TotalNumSgprs: 6
; NumVgprs: 0
; NumAgprs: 0
; TotalNumVgprs: 0
; ScratchSize: 0
; MemoryBound: 0
; FloatMode: 240
; IeeeMode: 1
; LDSByteSize: 0 bytes/workgroup (compile time only)
; SGPRBlocks: 0
; VGPRBlocks: 0
; NumSGPRsForWavesPerEU: 6
; NumVGPRsForWavesPerEU: 1
; AccumOffset: 4
; Occupancy: 8
; WaveLimiterHint : 0
; COMPUTE_PGM_RSRC2:SCRATCH_EN: 0
; COMPUTE_PGM_RSRC2:USER_SGPR: 2
; COMPUTE_PGM_RSRC2:TRAP_HANDLER: 0
; COMPUTE_PGM_RSRC2:TGID_X_EN: 1
; COMPUTE_PGM_RSRC2:TGID_Y_EN: 0
; COMPUTE_PGM_RSRC2:TGID_Z_EN: 0
; COMPUTE_PGM_RSRC2:TIDIG_COMP_CNT: 0
; COMPUTE_PGM_RSRC3_GFX90A:ACCUM_OFFSET: 0
; COMPUTE_PGM_RSRC3_GFX90A:TG_SPLIT: 0
	.section	.text._ZN7rocprim17ROCPRIM_400000_NS6detail17trampoline_kernelINS0_14default_configENS1_20scan_config_selectorIN3c107complexIfEEEEZZNS1_9scan_implILNS1_25lookback_scan_determinismE0ELb0ELb0ES3_PKS7_PS7_S7_ZZZN2at6native31launch_logcumsumexp_cuda_kernelERKNSE_10TensorBaseESI_lENKUlvE_clEvENKUlvE2_clEvEUlS7_S7_E_S7_EEDaPvRmT3_T4_T5_mT6_P12ihipStream_tbENKUlT_T0_E_clISt17integral_constantIbLb1EESY_IbLb0EEEEDaSU_SV_EUlSU_E0_NS1_11comp_targetILNS1_3genE4ELNS1_11target_archE910ELNS1_3gpuE8ELNS1_3repE0EEENS1_30default_config_static_selectorELNS0_4arch9wavefront6targetE1EEEvT1_,"axG",@progbits,_ZN7rocprim17ROCPRIM_400000_NS6detail17trampoline_kernelINS0_14default_configENS1_20scan_config_selectorIN3c107complexIfEEEEZZNS1_9scan_implILNS1_25lookback_scan_determinismE0ELb0ELb0ES3_PKS7_PS7_S7_ZZZN2at6native31launch_logcumsumexp_cuda_kernelERKNSE_10TensorBaseESI_lENKUlvE_clEvENKUlvE2_clEvEUlS7_S7_E_S7_EEDaPvRmT3_T4_T5_mT6_P12ihipStream_tbENKUlT_T0_E_clISt17integral_constantIbLb1EESY_IbLb0EEEEDaSU_SV_EUlSU_E0_NS1_11comp_targetILNS1_3genE4ELNS1_11target_archE910ELNS1_3gpuE8ELNS1_3repE0EEENS1_30default_config_static_selectorELNS0_4arch9wavefront6targetE1EEEvT1_,comdat
	.globl	_ZN7rocprim17ROCPRIM_400000_NS6detail17trampoline_kernelINS0_14default_configENS1_20scan_config_selectorIN3c107complexIfEEEEZZNS1_9scan_implILNS1_25lookback_scan_determinismE0ELb0ELb0ES3_PKS7_PS7_S7_ZZZN2at6native31launch_logcumsumexp_cuda_kernelERKNSE_10TensorBaseESI_lENKUlvE_clEvENKUlvE2_clEvEUlS7_S7_E_S7_EEDaPvRmT3_T4_T5_mT6_P12ihipStream_tbENKUlT_T0_E_clISt17integral_constantIbLb1EESY_IbLb0EEEEDaSU_SV_EUlSU_E0_NS1_11comp_targetILNS1_3genE4ELNS1_11target_archE910ELNS1_3gpuE8ELNS1_3repE0EEENS1_30default_config_static_selectorELNS0_4arch9wavefront6targetE1EEEvT1_ ; -- Begin function _ZN7rocprim17ROCPRIM_400000_NS6detail17trampoline_kernelINS0_14default_configENS1_20scan_config_selectorIN3c107complexIfEEEEZZNS1_9scan_implILNS1_25lookback_scan_determinismE0ELb0ELb0ES3_PKS7_PS7_S7_ZZZN2at6native31launch_logcumsumexp_cuda_kernelERKNSE_10TensorBaseESI_lENKUlvE_clEvENKUlvE2_clEvEUlS7_S7_E_S7_EEDaPvRmT3_T4_T5_mT6_P12ihipStream_tbENKUlT_T0_E_clISt17integral_constantIbLb1EESY_IbLb0EEEEDaSU_SV_EUlSU_E0_NS1_11comp_targetILNS1_3genE4ELNS1_11target_archE910ELNS1_3gpuE8ELNS1_3repE0EEENS1_30default_config_static_selectorELNS0_4arch9wavefront6targetE1EEEvT1_
	.p2align	8
	.type	_ZN7rocprim17ROCPRIM_400000_NS6detail17trampoline_kernelINS0_14default_configENS1_20scan_config_selectorIN3c107complexIfEEEEZZNS1_9scan_implILNS1_25lookback_scan_determinismE0ELb0ELb0ES3_PKS7_PS7_S7_ZZZN2at6native31launch_logcumsumexp_cuda_kernelERKNSE_10TensorBaseESI_lENKUlvE_clEvENKUlvE2_clEvEUlS7_S7_E_S7_EEDaPvRmT3_T4_T5_mT6_P12ihipStream_tbENKUlT_T0_E_clISt17integral_constantIbLb1EESY_IbLb0EEEEDaSU_SV_EUlSU_E0_NS1_11comp_targetILNS1_3genE4ELNS1_11target_archE910ELNS1_3gpuE8ELNS1_3repE0EEENS1_30default_config_static_selectorELNS0_4arch9wavefront6targetE1EEEvT1_,@function
_ZN7rocprim17ROCPRIM_400000_NS6detail17trampoline_kernelINS0_14default_configENS1_20scan_config_selectorIN3c107complexIfEEEEZZNS1_9scan_implILNS1_25lookback_scan_determinismE0ELb0ELb0ES3_PKS7_PS7_S7_ZZZN2at6native31launch_logcumsumexp_cuda_kernelERKNSE_10TensorBaseESI_lENKUlvE_clEvENKUlvE2_clEvEUlS7_S7_E_S7_EEDaPvRmT3_T4_T5_mT6_P12ihipStream_tbENKUlT_T0_E_clISt17integral_constantIbLb1EESY_IbLb0EEEEDaSU_SV_EUlSU_E0_NS1_11comp_targetILNS1_3genE4ELNS1_11target_archE910ELNS1_3gpuE8ELNS1_3repE0EEENS1_30default_config_static_selectorELNS0_4arch9wavefront6targetE1EEEvT1_: ; @_ZN7rocprim17ROCPRIM_400000_NS6detail17trampoline_kernelINS0_14default_configENS1_20scan_config_selectorIN3c107complexIfEEEEZZNS1_9scan_implILNS1_25lookback_scan_determinismE0ELb0ELb0ES3_PKS7_PS7_S7_ZZZN2at6native31launch_logcumsumexp_cuda_kernelERKNSE_10TensorBaseESI_lENKUlvE_clEvENKUlvE2_clEvEUlS7_S7_E_S7_EEDaPvRmT3_T4_T5_mT6_P12ihipStream_tbENKUlT_T0_E_clISt17integral_constantIbLb1EESY_IbLb0EEEEDaSU_SV_EUlSU_E0_NS1_11comp_targetILNS1_3genE4ELNS1_11target_archE910ELNS1_3gpuE8ELNS1_3repE0EEENS1_30default_config_static_selectorELNS0_4arch9wavefront6targetE1EEEvT1_
; %bb.0:
	.section	.rodata,"a",@progbits
	.p2align	6, 0x0
	.amdhsa_kernel _ZN7rocprim17ROCPRIM_400000_NS6detail17trampoline_kernelINS0_14default_configENS1_20scan_config_selectorIN3c107complexIfEEEEZZNS1_9scan_implILNS1_25lookback_scan_determinismE0ELb0ELb0ES3_PKS7_PS7_S7_ZZZN2at6native31launch_logcumsumexp_cuda_kernelERKNSE_10TensorBaseESI_lENKUlvE_clEvENKUlvE2_clEvEUlS7_S7_E_S7_EEDaPvRmT3_T4_T5_mT6_P12ihipStream_tbENKUlT_T0_E_clISt17integral_constantIbLb1EESY_IbLb0EEEEDaSU_SV_EUlSU_E0_NS1_11comp_targetILNS1_3genE4ELNS1_11target_archE910ELNS1_3gpuE8ELNS1_3repE0EEENS1_30default_config_static_selectorELNS0_4arch9wavefront6targetE1EEEvT1_
		.amdhsa_group_segment_fixed_size 0
		.amdhsa_private_segment_fixed_size 0
		.amdhsa_kernarg_size 40
		.amdhsa_user_sgpr_count 2
		.amdhsa_user_sgpr_dispatch_ptr 0
		.amdhsa_user_sgpr_queue_ptr 0
		.amdhsa_user_sgpr_kernarg_segment_ptr 1
		.amdhsa_user_sgpr_dispatch_id 0
		.amdhsa_user_sgpr_kernarg_preload_length 0
		.amdhsa_user_sgpr_kernarg_preload_offset 0
		.amdhsa_user_sgpr_private_segment_size 0
		.amdhsa_uses_dynamic_stack 0
		.amdhsa_enable_private_segment 0
		.amdhsa_system_sgpr_workgroup_id_x 1
		.amdhsa_system_sgpr_workgroup_id_y 0
		.amdhsa_system_sgpr_workgroup_id_z 0
		.amdhsa_system_sgpr_workgroup_info 0
		.amdhsa_system_vgpr_workitem_id 0
		.amdhsa_next_free_vgpr 1
		.amdhsa_next_free_sgpr 0
		.amdhsa_accum_offset 4
		.amdhsa_reserve_vcc 0
		.amdhsa_float_round_mode_32 0
		.amdhsa_float_round_mode_16_64 0
		.amdhsa_float_denorm_mode_32 3
		.amdhsa_float_denorm_mode_16_64 3
		.amdhsa_dx10_clamp 1
		.amdhsa_ieee_mode 1
		.amdhsa_fp16_overflow 0
		.amdhsa_tg_split 0
		.amdhsa_exception_fp_ieee_invalid_op 0
		.amdhsa_exception_fp_denorm_src 0
		.amdhsa_exception_fp_ieee_div_zero 0
		.amdhsa_exception_fp_ieee_overflow 0
		.amdhsa_exception_fp_ieee_underflow 0
		.amdhsa_exception_fp_ieee_inexact 0
		.amdhsa_exception_int_div_zero 0
	.end_amdhsa_kernel
	.section	.text._ZN7rocprim17ROCPRIM_400000_NS6detail17trampoline_kernelINS0_14default_configENS1_20scan_config_selectorIN3c107complexIfEEEEZZNS1_9scan_implILNS1_25lookback_scan_determinismE0ELb0ELb0ES3_PKS7_PS7_S7_ZZZN2at6native31launch_logcumsumexp_cuda_kernelERKNSE_10TensorBaseESI_lENKUlvE_clEvENKUlvE2_clEvEUlS7_S7_E_S7_EEDaPvRmT3_T4_T5_mT6_P12ihipStream_tbENKUlT_T0_E_clISt17integral_constantIbLb1EESY_IbLb0EEEEDaSU_SV_EUlSU_E0_NS1_11comp_targetILNS1_3genE4ELNS1_11target_archE910ELNS1_3gpuE8ELNS1_3repE0EEENS1_30default_config_static_selectorELNS0_4arch9wavefront6targetE1EEEvT1_,"axG",@progbits,_ZN7rocprim17ROCPRIM_400000_NS6detail17trampoline_kernelINS0_14default_configENS1_20scan_config_selectorIN3c107complexIfEEEEZZNS1_9scan_implILNS1_25lookback_scan_determinismE0ELb0ELb0ES3_PKS7_PS7_S7_ZZZN2at6native31launch_logcumsumexp_cuda_kernelERKNSE_10TensorBaseESI_lENKUlvE_clEvENKUlvE2_clEvEUlS7_S7_E_S7_EEDaPvRmT3_T4_T5_mT6_P12ihipStream_tbENKUlT_T0_E_clISt17integral_constantIbLb1EESY_IbLb0EEEEDaSU_SV_EUlSU_E0_NS1_11comp_targetILNS1_3genE4ELNS1_11target_archE910ELNS1_3gpuE8ELNS1_3repE0EEENS1_30default_config_static_selectorELNS0_4arch9wavefront6targetE1EEEvT1_,comdat
.Lfunc_end321:
	.size	_ZN7rocprim17ROCPRIM_400000_NS6detail17trampoline_kernelINS0_14default_configENS1_20scan_config_selectorIN3c107complexIfEEEEZZNS1_9scan_implILNS1_25lookback_scan_determinismE0ELb0ELb0ES3_PKS7_PS7_S7_ZZZN2at6native31launch_logcumsumexp_cuda_kernelERKNSE_10TensorBaseESI_lENKUlvE_clEvENKUlvE2_clEvEUlS7_S7_E_S7_EEDaPvRmT3_T4_T5_mT6_P12ihipStream_tbENKUlT_T0_E_clISt17integral_constantIbLb1EESY_IbLb0EEEEDaSU_SV_EUlSU_E0_NS1_11comp_targetILNS1_3genE4ELNS1_11target_archE910ELNS1_3gpuE8ELNS1_3repE0EEENS1_30default_config_static_selectorELNS0_4arch9wavefront6targetE1EEEvT1_, .Lfunc_end321-_ZN7rocprim17ROCPRIM_400000_NS6detail17trampoline_kernelINS0_14default_configENS1_20scan_config_selectorIN3c107complexIfEEEEZZNS1_9scan_implILNS1_25lookback_scan_determinismE0ELb0ELb0ES3_PKS7_PS7_S7_ZZZN2at6native31launch_logcumsumexp_cuda_kernelERKNSE_10TensorBaseESI_lENKUlvE_clEvENKUlvE2_clEvEUlS7_S7_E_S7_EEDaPvRmT3_T4_T5_mT6_P12ihipStream_tbENKUlT_T0_E_clISt17integral_constantIbLb1EESY_IbLb0EEEEDaSU_SV_EUlSU_E0_NS1_11comp_targetILNS1_3genE4ELNS1_11target_archE910ELNS1_3gpuE8ELNS1_3repE0EEENS1_30default_config_static_selectorELNS0_4arch9wavefront6targetE1EEEvT1_
                                        ; -- End function
	.set _ZN7rocprim17ROCPRIM_400000_NS6detail17trampoline_kernelINS0_14default_configENS1_20scan_config_selectorIN3c107complexIfEEEEZZNS1_9scan_implILNS1_25lookback_scan_determinismE0ELb0ELb0ES3_PKS7_PS7_S7_ZZZN2at6native31launch_logcumsumexp_cuda_kernelERKNSE_10TensorBaseESI_lENKUlvE_clEvENKUlvE2_clEvEUlS7_S7_E_S7_EEDaPvRmT3_T4_T5_mT6_P12ihipStream_tbENKUlT_T0_E_clISt17integral_constantIbLb1EESY_IbLb0EEEEDaSU_SV_EUlSU_E0_NS1_11comp_targetILNS1_3genE4ELNS1_11target_archE910ELNS1_3gpuE8ELNS1_3repE0EEENS1_30default_config_static_selectorELNS0_4arch9wavefront6targetE1EEEvT1_.num_vgpr, 0
	.set _ZN7rocprim17ROCPRIM_400000_NS6detail17trampoline_kernelINS0_14default_configENS1_20scan_config_selectorIN3c107complexIfEEEEZZNS1_9scan_implILNS1_25lookback_scan_determinismE0ELb0ELb0ES3_PKS7_PS7_S7_ZZZN2at6native31launch_logcumsumexp_cuda_kernelERKNSE_10TensorBaseESI_lENKUlvE_clEvENKUlvE2_clEvEUlS7_S7_E_S7_EEDaPvRmT3_T4_T5_mT6_P12ihipStream_tbENKUlT_T0_E_clISt17integral_constantIbLb1EESY_IbLb0EEEEDaSU_SV_EUlSU_E0_NS1_11comp_targetILNS1_3genE4ELNS1_11target_archE910ELNS1_3gpuE8ELNS1_3repE0EEENS1_30default_config_static_selectorELNS0_4arch9wavefront6targetE1EEEvT1_.num_agpr, 0
	.set _ZN7rocprim17ROCPRIM_400000_NS6detail17trampoline_kernelINS0_14default_configENS1_20scan_config_selectorIN3c107complexIfEEEEZZNS1_9scan_implILNS1_25lookback_scan_determinismE0ELb0ELb0ES3_PKS7_PS7_S7_ZZZN2at6native31launch_logcumsumexp_cuda_kernelERKNSE_10TensorBaseESI_lENKUlvE_clEvENKUlvE2_clEvEUlS7_S7_E_S7_EEDaPvRmT3_T4_T5_mT6_P12ihipStream_tbENKUlT_T0_E_clISt17integral_constantIbLb1EESY_IbLb0EEEEDaSU_SV_EUlSU_E0_NS1_11comp_targetILNS1_3genE4ELNS1_11target_archE910ELNS1_3gpuE8ELNS1_3repE0EEENS1_30default_config_static_selectorELNS0_4arch9wavefront6targetE1EEEvT1_.numbered_sgpr, 0
	.set _ZN7rocprim17ROCPRIM_400000_NS6detail17trampoline_kernelINS0_14default_configENS1_20scan_config_selectorIN3c107complexIfEEEEZZNS1_9scan_implILNS1_25lookback_scan_determinismE0ELb0ELb0ES3_PKS7_PS7_S7_ZZZN2at6native31launch_logcumsumexp_cuda_kernelERKNSE_10TensorBaseESI_lENKUlvE_clEvENKUlvE2_clEvEUlS7_S7_E_S7_EEDaPvRmT3_T4_T5_mT6_P12ihipStream_tbENKUlT_T0_E_clISt17integral_constantIbLb1EESY_IbLb0EEEEDaSU_SV_EUlSU_E0_NS1_11comp_targetILNS1_3genE4ELNS1_11target_archE910ELNS1_3gpuE8ELNS1_3repE0EEENS1_30default_config_static_selectorELNS0_4arch9wavefront6targetE1EEEvT1_.num_named_barrier, 0
	.set _ZN7rocprim17ROCPRIM_400000_NS6detail17trampoline_kernelINS0_14default_configENS1_20scan_config_selectorIN3c107complexIfEEEEZZNS1_9scan_implILNS1_25lookback_scan_determinismE0ELb0ELb0ES3_PKS7_PS7_S7_ZZZN2at6native31launch_logcumsumexp_cuda_kernelERKNSE_10TensorBaseESI_lENKUlvE_clEvENKUlvE2_clEvEUlS7_S7_E_S7_EEDaPvRmT3_T4_T5_mT6_P12ihipStream_tbENKUlT_T0_E_clISt17integral_constantIbLb1EESY_IbLb0EEEEDaSU_SV_EUlSU_E0_NS1_11comp_targetILNS1_3genE4ELNS1_11target_archE910ELNS1_3gpuE8ELNS1_3repE0EEENS1_30default_config_static_selectorELNS0_4arch9wavefront6targetE1EEEvT1_.private_seg_size, 0
	.set _ZN7rocprim17ROCPRIM_400000_NS6detail17trampoline_kernelINS0_14default_configENS1_20scan_config_selectorIN3c107complexIfEEEEZZNS1_9scan_implILNS1_25lookback_scan_determinismE0ELb0ELb0ES3_PKS7_PS7_S7_ZZZN2at6native31launch_logcumsumexp_cuda_kernelERKNSE_10TensorBaseESI_lENKUlvE_clEvENKUlvE2_clEvEUlS7_S7_E_S7_EEDaPvRmT3_T4_T5_mT6_P12ihipStream_tbENKUlT_T0_E_clISt17integral_constantIbLb1EESY_IbLb0EEEEDaSU_SV_EUlSU_E0_NS1_11comp_targetILNS1_3genE4ELNS1_11target_archE910ELNS1_3gpuE8ELNS1_3repE0EEENS1_30default_config_static_selectorELNS0_4arch9wavefront6targetE1EEEvT1_.uses_vcc, 0
	.set _ZN7rocprim17ROCPRIM_400000_NS6detail17trampoline_kernelINS0_14default_configENS1_20scan_config_selectorIN3c107complexIfEEEEZZNS1_9scan_implILNS1_25lookback_scan_determinismE0ELb0ELb0ES3_PKS7_PS7_S7_ZZZN2at6native31launch_logcumsumexp_cuda_kernelERKNSE_10TensorBaseESI_lENKUlvE_clEvENKUlvE2_clEvEUlS7_S7_E_S7_EEDaPvRmT3_T4_T5_mT6_P12ihipStream_tbENKUlT_T0_E_clISt17integral_constantIbLb1EESY_IbLb0EEEEDaSU_SV_EUlSU_E0_NS1_11comp_targetILNS1_3genE4ELNS1_11target_archE910ELNS1_3gpuE8ELNS1_3repE0EEENS1_30default_config_static_selectorELNS0_4arch9wavefront6targetE1EEEvT1_.uses_flat_scratch, 0
	.set _ZN7rocprim17ROCPRIM_400000_NS6detail17trampoline_kernelINS0_14default_configENS1_20scan_config_selectorIN3c107complexIfEEEEZZNS1_9scan_implILNS1_25lookback_scan_determinismE0ELb0ELb0ES3_PKS7_PS7_S7_ZZZN2at6native31launch_logcumsumexp_cuda_kernelERKNSE_10TensorBaseESI_lENKUlvE_clEvENKUlvE2_clEvEUlS7_S7_E_S7_EEDaPvRmT3_T4_T5_mT6_P12ihipStream_tbENKUlT_T0_E_clISt17integral_constantIbLb1EESY_IbLb0EEEEDaSU_SV_EUlSU_E0_NS1_11comp_targetILNS1_3genE4ELNS1_11target_archE910ELNS1_3gpuE8ELNS1_3repE0EEENS1_30default_config_static_selectorELNS0_4arch9wavefront6targetE1EEEvT1_.has_dyn_sized_stack, 0
	.set _ZN7rocprim17ROCPRIM_400000_NS6detail17trampoline_kernelINS0_14default_configENS1_20scan_config_selectorIN3c107complexIfEEEEZZNS1_9scan_implILNS1_25lookback_scan_determinismE0ELb0ELb0ES3_PKS7_PS7_S7_ZZZN2at6native31launch_logcumsumexp_cuda_kernelERKNSE_10TensorBaseESI_lENKUlvE_clEvENKUlvE2_clEvEUlS7_S7_E_S7_EEDaPvRmT3_T4_T5_mT6_P12ihipStream_tbENKUlT_T0_E_clISt17integral_constantIbLb1EESY_IbLb0EEEEDaSU_SV_EUlSU_E0_NS1_11comp_targetILNS1_3genE4ELNS1_11target_archE910ELNS1_3gpuE8ELNS1_3repE0EEENS1_30default_config_static_selectorELNS0_4arch9wavefront6targetE1EEEvT1_.has_recursion, 0
	.set _ZN7rocprim17ROCPRIM_400000_NS6detail17trampoline_kernelINS0_14default_configENS1_20scan_config_selectorIN3c107complexIfEEEEZZNS1_9scan_implILNS1_25lookback_scan_determinismE0ELb0ELb0ES3_PKS7_PS7_S7_ZZZN2at6native31launch_logcumsumexp_cuda_kernelERKNSE_10TensorBaseESI_lENKUlvE_clEvENKUlvE2_clEvEUlS7_S7_E_S7_EEDaPvRmT3_T4_T5_mT6_P12ihipStream_tbENKUlT_T0_E_clISt17integral_constantIbLb1EESY_IbLb0EEEEDaSU_SV_EUlSU_E0_NS1_11comp_targetILNS1_3genE4ELNS1_11target_archE910ELNS1_3gpuE8ELNS1_3repE0EEENS1_30default_config_static_selectorELNS0_4arch9wavefront6targetE1EEEvT1_.has_indirect_call, 0
	.section	.AMDGPU.csdata,"",@progbits
; Kernel info:
; codeLenInByte = 0
; TotalNumSgprs: 6
; NumVgprs: 0
; NumAgprs: 0
; TotalNumVgprs: 0
; ScratchSize: 0
; MemoryBound: 0
; FloatMode: 240
; IeeeMode: 1
; LDSByteSize: 0 bytes/workgroup (compile time only)
; SGPRBlocks: 0
; VGPRBlocks: 0
; NumSGPRsForWavesPerEU: 6
; NumVGPRsForWavesPerEU: 1
; AccumOffset: 4
; Occupancy: 8
; WaveLimiterHint : 0
; COMPUTE_PGM_RSRC2:SCRATCH_EN: 0
; COMPUTE_PGM_RSRC2:USER_SGPR: 2
; COMPUTE_PGM_RSRC2:TRAP_HANDLER: 0
; COMPUTE_PGM_RSRC2:TGID_X_EN: 1
; COMPUTE_PGM_RSRC2:TGID_Y_EN: 0
; COMPUTE_PGM_RSRC2:TGID_Z_EN: 0
; COMPUTE_PGM_RSRC2:TIDIG_COMP_CNT: 0
; COMPUTE_PGM_RSRC3_GFX90A:ACCUM_OFFSET: 0
; COMPUTE_PGM_RSRC3_GFX90A:TG_SPLIT: 0
	.section	.text._ZN7rocprim17ROCPRIM_400000_NS6detail17trampoline_kernelINS0_14default_configENS1_20scan_config_selectorIN3c107complexIfEEEEZZNS1_9scan_implILNS1_25lookback_scan_determinismE0ELb0ELb0ES3_PKS7_PS7_S7_ZZZN2at6native31launch_logcumsumexp_cuda_kernelERKNSE_10TensorBaseESI_lENKUlvE_clEvENKUlvE2_clEvEUlS7_S7_E_S7_EEDaPvRmT3_T4_T5_mT6_P12ihipStream_tbENKUlT_T0_E_clISt17integral_constantIbLb1EESY_IbLb0EEEEDaSU_SV_EUlSU_E0_NS1_11comp_targetILNS1_3genE3ELNS1_11target_archE908ELNS1_3gpuE7ELNS1_3repE0EEENS1_30default_config_static_selectorELNS0_4arch9wavefront6targetE1EEEvT1_,"axG",@progbits,_ZN7rocprim17ROCPRIM_400000_NS6detail17trampoline_kernelINS0_14default_configENS1_20scan_config_selectorIN3c107complexIfEEEEZZNS1_9scan_implILNS1_25lookback_scan_determinismE0ELb0ELb0ES3_PKS7_PS7_S7_ZZZN2at6native31launch_logcumsumexp_cuda_kernelERKNSE_10TensorBaseESI_lENKUlvE_clEvENKUlvE2_clEvEUlS7_S7_E_S7_EEDaPvRmT3_T4_T5_mT6_P12ihipStream_tbENKUlT_T0_E_clISt17integral_constantIbLb1EESY_IbLb0EEEEDaSU_SV_EUlSU_E0_NS1_11comp_targetILNS1_3genE3ELNS1_11target_archE908ELNS1_3gpuE7ELNS1_3repE0EEENS1_30default_config_static_selectorELNS0_4arch9wavefront6targetE1EEEvT1_,comdat
	.globl	_ZN7rocprim17ROCPRIM_400000_NS6detail17trampoline_kernelINS0_14default_configENS1_20scan_config_selectorIN3c107complexIfEEEEZZNS1_9scan_implILNS1_25lookback_scan_determinismE0ELb0ELb0ES3_PKS7_PS7_S7_ZZZN2at6native31launch_logcumsumexp_cuda_kernelERKNSE_10TensorBaseESI_lENKUlvE_clEvENKUlvE2_clEvEUlS7_S7_E_S7_EEDaPvRmT3_T4_T5_mT6_P12ihipStream_tbENKUlT_T0_E_clISt17integral_constantIbLb1EESY_IbLb0EEEEDaSU_SV_EUlSU_E0_NS1_11comp_targetILNS1_3genE3ELNS1_11target_archE908ELNS1_3gpuE7ELNS1_3repE0EEENS1_30default_config_static_selectorELNS0_4arch9wavefront6targetE1EEEvT1_ ; -- Begin function _ZN7rocprim17ROCPRIM_400000_NS6detail17trampoline_kernelINS0_14default_configENS1_20scan_config_selectorIN3c107complexIfEEEEZZNS1_9scan_implILNS1_25lookback_scan_determinismE0ELb0ELb0ES3_PKS7_PS7_S7_ZZZN2at6native31launch_logcumsumexp_cuda_kernelERKNSE_10TensorBaseESI_lENKUlvE_clEvENKUlvE2_clEvEUlS7_S7_E_S7_EEDaPvRmT3_T4_T5_mT6_P12ihipStream_tbENKUlT_T0_E_clISt17integral_constantIbLb1EESY_IbLb0EEEEDaSU_SV_EUlSU_E0_NS1_11comp_targetILNS1_3genE3ELNS1_11target_archE908ELNS1_3gpuE7ELNS1_3repE0EEENS1_30default_config_static_selectorELNS0_4arch9wavefront6targetE1EEEvT1_
	.p2align	8
	.type	_ZN7rocprim17ROCPRIM_400000_NS6detail17trampoline_kernelINS0_14default_configENS1_20scan_config_selectorIN3c107complexIfEEEEZZNS1_9scan_implILNS1_25lookback_scan_determinismE0ELb0ELb0ES3_PKS7_PS7_S7_ZZZN2at6native31launch_logcumsumexp_cuda_kernelERKNSE_10TensorBaseESI_lENKUlvE_clEvENKUlvE2_clEvEUlS7_S7_E_S7_EEDaPvRmT3_T4_T5_mT6_P12ihipStream_tbENKUlT_T0_E_clISt17integral_constantIbLb1EESY_IbLb0EEEEDaSU_SV_EUlSU_E0_NS1_11comp_targetILNS1_3genE3ELNS1_11target_archE908ELNS1_3gpuE7ELNS1_3repE0EEENS1_30default_config_static_selectorELNS0_4arch9wavefront6targetE1EEEvT1_,@function
_ZN7rocprim17ROCPRIM_400000_NS6detail17trampoline_kernelINS0_14default_configENS1_20scan_config_selectorIN3c107complexIfEEEEZZNS1_9scan_implILNS1_25lookback_scan_determinismE0ELb0ELb0ES3_PKS7_PS7_S7_ZZZN2at6native31launch_logcumsumexp_cuda_kernelERKNSE_10TensorBaseESI_lENKUlvE_clEvENKUlvE2_clEvEUlS7_S7_E_S7_EEDaPvRmT3_T4_T5_mT6_P12ihipStream_tbENKUlT_T0_E_clISt17integral_constantIbLb1EESY_IbLb0EEEEDaSU_SV_EUlSU_E0_NS1_11comp_targetILNS1_3genE3ELNS1_11target_archE908ELNS1_3gpuE7ELNS1_3repE0EEENS1_30default_config_static_selectorELNS0_4arch9wavefront6targetE1EEEvT1_: ; @_ZN7rocprim17ROCPRIM_400000_NS6detail17trampoline_kernelINS0_14default_configENS1_20scan_config_selectorIN3c107complexIfEEEEZZNS1_9scan_implILNS1_25lookback_scan_determinismE0ELb0ELb0ES3_PKS7_PS7_S7_ZZZN2at6native31launch_logcumsumexp_cuda_kernelERKNSE_10TensorBaseESI_lENKUlvE_clEvENKUlvE2_clEvEUlS7_S7_E_S7_EEDaPvRmT3_T4_T5_mT6_P12ihipStream_tbENKUlT_T0_E_clISt17integral_constantIbLb1EESY_IbLb0EEEEDaSU_SV_EUlSU_E0_NS1_11comp_targetILNS1_3genE3ELNS1_11target_archE908ELNS1_3gpuE7ELNS1_3repE0EEENS1_30default_config_static_selectorELNS0_4arch9wavefront6targetE1EEEvT1_
; %bb.0:
	.section	.rodata,"a",@progbits
	.p2align	6, 0x0
	.amdhsa_kernel _ZN7rocprim17ROCPRIM_400000_NS6detail17trampoline_kernelINS0_14default_configENS1_20scan_config_selectorIN3c107complexIfEEEEZZNS1_9scan_implILNS1_25lookback_scan_determinismE0ELb0ELb0ES3_PKS7_PS7_S7_ZZZN2at6native31launch_logcumsumexp_cuda_kernelERKNSE_10TensorBaseESI_lENKUlvE_clEvENKUlvE2_clEvEUlS7_S7_E_S7_EEDaPvRmT3_T4_T5_mT6_P12ihipStream_tbENKUlT_T0_E_clISt17integral_constantIbLb1EESY_IbLb0EEEEDaSU_SV_EUlSU_E0_NS1_11comp_targetILNS1_3genE3ELNS1_11target_archE908ELNS1_3gpuE7ELNS1_3repE0EEENS1_30default_config_static_selectorELNS0_4arch9wavefront6targetE1EEEvT1_
		.amdhsa_group_segment_fixed_size 0
		.amdhsa_private_segment_fixed_size 0
		.amdhsa_kernarg_size 40
		.amdhsa_user_sgpr_count 2
		.amdhsa_user_sgpr_dispatch_ptr 0
		.amdhsa_user_sgpr_queue_ptr 0
		.amdhsa_user_sgpr_kernarg_segment_ptr 1
		.amdhsa_user_sgpr_dispatch_id 0
		.amdhsa_user_sgpr_kernarg_preload_length 0
		.amdhsa_user_sgpr_kernarg_preload_offset 0
		.amdhsa_user_sgpr_private_segment_size 0
		.amdhsa_uses_dynamic_stack 0
		.amdhsa_enable_private_segment 0
		.amdhsa_system_sgpr_workgroup_id_x 1
		.amdhsa_system_sgpr_workgroup_id_y 0
		.amdhsa_system_sgpr_workgroup_id_z 0
		.amdhsa_system_sgpr_workgroup_info 0
		.amdhsa_system_vgpr_workitem_id 0
		.amdhsa_next_free_vgpr 1
		.amdhsa_next_free_sgpr 0
		.amdhsa_accum_offset 4
		.amdhsa_reserve_vcc 0
		.amdhsa_float_round_mode_32 0
		.amdhsa_float_round_mode_16_64 0
		.amdhsa_float_denorm_mode_32 3
		.amdhsa_float_denorm_mode_16_64 3
		.amdhsa_dx10_clamp 1
		.amdhsa_ieee_mode 1
		.amdhsa_fp16_overflow 0
		.amdhsa_tg_split 0
		.amdhsa_exception_fp_ieee_invalid_op 0
		.amdhsa_exception_fp_denorm_src 0
		.amdhsa_exception_fp_ieee_div_zero 0
		.amdhsa_exception_fp_ieee_overflow 0
		.amdhsa_exception_fp_ieee_underflow 0
		.amdhsa_exception_fp_ieee_inexact 0
		.amdhsa_exception_int_div_zero 0
	.end_amdhsa_kernel
	.section	.text._ZN7rocprim17ROCPRIM_400000_NS6detail17trampoline_kernelINS0_14default_configENS1_20scan_config_selectorIN3c107complexIfEEEEZZNS1_9scan_implILNS1_25lookback_scan_determinismE0ELb0ELb0ES3_PKS7_PS7_S7_ZZZN2at6native31launch_logcumsumexp_cuda_kernelERKNSE_10TensorBaseESI_lENKUlvE_clEvENKUlvE2_clEvEUlS7_S7_E_S7_EEDaPvRmT3_T4_T5_mT6_P12ihipStream_tbENKUlT_T0_E_clISt17integral_constantIbLb1EESY_IbLb0EEEEDaSU_SV_EUlSU_E0_NS1_11comp_targetILNS1_3genE3ELNS1_11target_archE908ELNS1_3gpuE7ELNS1_3repE0EEENS1_30default_config_static_selectorELNS0_4arch9wavefront6targetE1EEEvT1_,"axG",@progbits,_ZN7rocprim17ROCPRIM_400000_NS6detail17trampoline_kernelINS0_14default_configENS1_20scan_config_selectorIN3c107complexIfEEEEZZNS1_9scan_implILNS1_25lookback_scan_determinismE0ELb0ELb0ES3_PKS7_PS7_S7_ZZZN2at6native31launch_logcumsumexp_cuda_kernelERKNSE_10TensorBaseESI_lENKUlvE_clEvENKUlvE2_clEvEUlS7_S7_E_S7_EEDaPvRmT3_T4_T5_mT6_P12ihipStream_tbENKUlT_T0_E_clISt17integral_constantIbLb1EESY_IbLb0EEEEDaSU_SV_EUlSU_E0_NS1_11comp_targetILNS1_3genE3ELNS1_11target_archE908ELNS1_3gpuE7ELNS1_3repE0EEENS1_30default_config_static_selectorELNS0_4arch9wavefront6targetE1EEEvT1_,comdat
.Lfunc_end322:
	.size	_ZN7rocprim17ROCPRIM_400000_NS6detail17trampoline_kernelINS0_14default_configENS1_20scan_config_selectorIN3c107complexIfEEEEZZNS1_9scan_implILNS1_25lookback_scan_determinismE0ELb0ELb0ES3_PKS7_PS7_S7_ZZZN2at6native31launch_logcumsumexp_cuda_kernelERKNSE_10TensorBaseESI_lENKUlvE_clEvENKUlvE2_clEvEUlS7_S7_E_S7_EEDaPvRmT3_T4_T5_mT6_P12ihipStream_tbENKUlT_T0_E_clISt17integral_constantIbLb1EESY_IbLb0EEEEDaSU_SV_EUlSU_E0_NS1_11comp_targetILNS1_3genE3ELNS1_11target_archE908ELNS1_3gpuE7ELNS1_3repE0EEENS1_30default_config_static_selectorELNS0_4arch9wavefront6targetE1EEEvT1_, .Lfunc_end322-_ZN7rocprim17ROCPRIM_400000_NS6detail17trampoline_kernelINS0_14default_configENS1_20scan_config_selectorIN3c107complexIfEEEEZZNS1_9scan_implILNS1_25lookback_scan_determinismE0ELb0ELb0ES3_PKS7_PS7_S7_ZZZN2at6native31launch_logcumsumexp_cuda_kernelERKNSE_10TensorBaseESI_lENKUlvE_clEvENKUlvE2_clEvEUlS7_S7_E_S7_EEDaPvRmT3_T4_T5_mT6_P12ihipStream_tbENKUlT_T0_E_clISt17integral_constantIbLb1EESY_IbLb0EEEEDaSU_SV_EUlSU_E0_NS1_11comp_targetILNS1_3genE3ELNS1_11target_archE908ELNS1_3gpuE7ELNS1_3repE0EEENS1_30default_config_static_selectorELNS0_4arch9wavefront6targetE1EEEvT1_
                                        ; -- End function
	.set _ZN7rocprim17ROCPRIM_400000_NS6detail17trampoline_kernelINS0_14default_configENS1_20scan_config_selectorIN3c107complexIfEEEEZZNS1_9scan_implILNS1_25lookback_scan_determinismE0ELb0ELb0ES3_PKS7_PS7_S7_ZZZN2at6native31launch_logcumsumexp_cuda_kernelERKNSE_10TensorBaseESI_lENKUlvE_clEvENKUlvE2_clEvEUlS7_S7_E_S7_EEDaPvRmT3_T4_T5_mT6_P12ihipStream_tbENKUlT_T0_E_clISt17integral_constantIbLb1EESY_IbLb0EEEEDaSU_SV_EUlSU_E0_NS1_11comp_targetILNS1_3genE3ELNS1_11target_archE908ELNS1_3gpuE7ELNS1_3repE0EEENS1_30default_config_static_selectorELNS0_4arch9wavefront6targetE1EEEvT1_.num_vgpr, 0
	.set _ZN7rocprim17ROCPRIM_400000_NS6detail17trampoline_kernelINS0_14default_configENS1_20scan_config_selectorIN3c107complexIfEEEEZZNS1_9scan_implILNS1_25lookback_scan_determinismE0ELb0ELb0ES3_PKS7_PS7_S7_ZZZN2at6native31launch_logcumsumexp_cuda_kernelERKNSE_10TensorBaseESI_lENKUlvE_clEvENKUlvE2_clEvEUlS7_S7_E_S7_EEDaPvRmT3_T4_T5_mT6_P12ihipStream_tbENKUlT_T0_E_clISt17integral_constantIbLb1EESY_IbLb0EEEEDaSU_SV_EUlSU_E0_NS1_11comp_targetILNS1_3genE3ELNS1_11target_archE908ELNS1_3gpuE7ELNS1_3repE0EEENS1_30default_config_static_selectorELNS0_4arch9wavefront6targetE1EEEvT1_.num_agpr, 0
	.set _ZN7rocprim17ROCPRIM_400000_NS6detail17trampoline_kernelINS0_14default_configENS1_20scan_config_selectorIN3c107complexIfEEEEZZNS1_9scan_implILNS1_25lookback_scan_determinismE0ELb0ELb0ES3_PKS7_PS7_S7_ZZZN2at6native31launch_logcumsumexp_cuda_kernelERKNSE_10TensorBaseESI_lENKUlvE_clEvENKUlvE2_clEvEUlS7_S7_E_S7_EEDaPvRmT3_T4_T5_mT6_P12ihipStream_tbENKUlT_T0_E_clISt17integral_constantIbLb1EESY_IbLb0EEEEDaSU_SV_EUlSU_E0_NS1_11comp_targetILNS1_3genE3ELNS1_11target_archE908ELNS1_3gpuE7ELNS1_3repE0EEENS1_30default_config_static_selectorELNS0_4arch9wavefront6targetE1EEEvT1_.numbered_sgpr, 0
	.set _ZN7rocprim17ROCPRIM_400000_NS6detail17trampoline_kernelINS0_14default_configENS1_20scan_config_selectorIN3c107complexIfEEEEZZNS1_9scan_implILNS1_25lookback_scan_determinismE0ELb0ELb0ES3_PKS7_PS7_S7_ZZZN2at6native31launch_logcumsumexp_cuda_kernelERKNSE_10TensorBaseESI_lENKUlvE_clEvENKUlvE2_clEvEUlS7_S7_E_S7_EEDaPvRmT3_T4_T5_mT6_P12ihipStream_tbENKUlT_T0_E_clISt17integral_constantIbLb1EESY_IbLb0EEEEDaSU_SV_EUlSU_E0_NS1_11comp_targetILNS1_3genE3ELNS1_11target_archE908ELNS1_3gpuE7ELNS1_3repE0EEENS1_30default_config_static_selectorELNS0_4arch9wavefront6targetE1EEEvT1_.num_named_barrier, 0
	.set _ZN7rocprim17ROCPRIM_400000_NS6detail17trampoline_kernelINS0_14default_configENS1_20scan_config_selectorIN3c107complexIfEEEEZZNS1_9scan_implILNS1_25lookback_scan_determinismE0ELb0ELb0ES3_PKS7_PS7_S7_ZZZN2at6native31launch_logcumsumexp_cuda_kernelERKNSE_10TensorBaseESI_lENKUlvE_clEvENKUlvE2_clEvEUlS7_S7_E_S7_EEDaPvRmT3_T4_T5_mT6_P12ihipStream_tbENKUlT_T0_E_clISt17integral_constantIbLb1EESY_IbLb0EEEEDaSU_SV_EUlSU_E0_NS1_11comp_targetILNS1_3genE3ELNS1_11target_archE908ELNS1_3gpuE7ELNS1_3repE0EEENS1_30default_config_static_selectorELNS0_4arch9wavefront6targetE1EEEvT1_.private_seg_size, 0
	.set _ZN7rocprim17ROCPRIM_400000_NS6detail17trampoline_kernelINS0_14default_configENS1_20scan_config_selectorIN3c107complexIfEEEEZZNS1_9scan_implILNS1_25lookback_scan_determinismE0ELb0ELb0ES3_PKS7_PS7_S7_ZZZN2at6native31launch_logcumsumexp_cuda_kernelERKNSE_10TensorBaseESI_lENKUlvE_clEvENKUlvE2_clEvEUlS7_S7_E_S7_EEDaPvRmT3_T4_T5_mT6_P12ihipStream_tbENKUlT_T0_E_clISt17integral_constantIbLb1EESY_IbLb0EEEEDaSU_SV_EUlSU_E0_NS1_11comp_targetILNS1_3genE3ELNS1_11target_archE908ELNS1_3gpuE7ELNS1_3repE0EEENS1_30default_config_static_selectorELNS0_4arch9wavefront6targetE1EEEvT1_.uses_vcc, 0
	.set _ZN7rocprim17ROCPRIM_400000_NS6detail17trampoline_kernelINS0_14default_configENS1_20scan_config_selectorIN3c107complexIfEEEEZZNS1_9scan_implILNS1_25lookback_scan_determinismE0ELb0ELb0ES3_PKS7_PS7_S7_ZZZN2at6native31launch_logcumsumexp_cuda_kernelERKNSE_10TensorBaseESI_lENKUlvE_clEvENKUlvE2_clEvEUlS7_S7_E_S7_EEDaPvRmT3_T4_T5_mT6_P12ihipStream_tbENKUlT_T0_E_clISt17integral_constantIbLb1EESY_IbLb0EEEEDaSU_SV_EUlSU_E0_NS1_11comp_targetILNS1_3genE3ELNS1_11target_archE908ELNS1_3gpuE7ELNS1_3repE0EEENS1_30default_config_static_selectorELNS0_4arch9wavefront6targetE1EEEvT1_.uses_flat_scratch, 0
	.set _ZN7rocprim17ROCPRIM_400000_NS6detail17trampoline_kernelINS0_14default_configENS1_20scan_config_selectorIN3c107complexIfEEEEZZNS1_9scan_implILNS1_25lookback_scan_determinismE0ELb0ELb0ES3_PKS7_PS7_S7_ZZZN2at6native31launch_logcumsumexp_cuda_kernelERKNSE_10TensorBaseESI_lENKUlvE_clEvENKUlvE2_clEvEUlS7_S7_E_S7_EEDaPvRmT3_T4_T5_mT6_P12ihipStream_tbENKUlT_T0_E_clISt17integral_constantIbLb1EESY_IbLb0EEEEDaSU_SV_EUlSU_E0_NS1_11comp_targetILNS1_3genE3ELNS1_11target_archE908ELNS1_3gpuE7ELNS1_3repE0EEENS1_30default_config_static_selectorELNS0_4arch9wavefront6targetE1EEEvT1_.has_dyn_sized_stack, 0
	.set _ZN7rocprim17ROCPRIM_400000_NS6detail17trampoline_kernelINS0_14default_configENS1_20scan_config_selectorIN3c107complexIfEEEEZZNS1_9scan_implILNS1_25lookback_scan_determinismE0ELb0ELb0ES3_PKS7_PS7_S7_ZZZN2at6native31launch_logcumsumexp_cuda_kernelERKNSE_10TensorBaseESI_lENKUlvE_clEvENKUlvE2_clEvEUlS7_S7_E_S7_EEDaPvRmT3_T4_T5_mT6_P12ihipStream_tbENKUlT_T0_E_clISt17integral_constantIbLb1EESY_IbLb0EEEEDaSU_SV_EUlSU_E0_NS1_11comp_targetILNS1_3genE3ELNS1_11target_archE908ELNS1_3gpuE7ELNS1_3repE0EEENS1_30default_config_static_selectorELNS0_4arch9wavefront6targetE1EEEvT1_.has_recursion, 0
	.set _ZN7rocprim17ROCPRIM_400000_NS6detail17trampoline_kernelINS0_14default_configENS1_20scan_config_selectorIN3c107complexIfEEEEZZNS1_9scan_implILNS1_25lookback_scan_determinismE0ELb0ELb0ES3_PKS7_PS7_S7_ZZZN2at6native31launch_logcumsumexp_cuda_kernelERKNSE_10TensorBaseESI_lENKUlvE_clEvENKUlvE2_clEvEUlS7_S7_E_S7_EEDaPvRmT3_T4_T5_mT6_P12ihipStream_tbENKUlT_T0_E_clISt17integral_constantIbLb1EESY_IbLb0EEEEDaSU_SV_EUlSU_E0_NS1_11comp_targetILNS1_3genE3ELNS1_11target_archE908ELNS1_3gpuE7ELNS1_3repE0EEENS1_30default_config_static_selectorELNS0_4arch9wavefront6targetE1EEEvT1_.has_indirect_call, 0
	.section	.AMDGPU.csdata,"",@progbits
; Kernel info:
; codeLenInByte = 0
; TotalNumSgprs: 6
; NumVgprs: 0
; NumAgprs: 0
; TotalNumVgprs: 0
; ScratchSize: 0
; MemoryBound: 0
; FloatMode: 240
; IeeeMode: 1
; LDSByteSize: 0 bytes/workgroup (compile time only)
; SGPRBlocks: 0
; VGPRBlocks: 0
; NumSGPRsForWavesPerEU: 6
; NumVGPRsForWavesPerEU: 1
; AccumOffset: 4
; Occupancy: 8
; WaveLimiterHint : 0
; COMPUTE_PGM_RSRC2:SCRATCH_EN: 0
; COMPUTE_PGM_RSRC2:USER_SGPR: 2
; COMPUTE_PGM_RSRC2:TRAP_HANDLER: 0
; COMPUTE_PGM_RSRC2:TGID_X_EN: 1
; COMPUTE_PGM_RSRC2:TGID_Y_EN: 0
; COMPUTE_PGM_RSRC2:TGID_Z_EN: 0
; COMPUTE_PGM_RSRC2:TIDIG_COMP_CNT: 0
; COMPUTE_PGM_RSRC3_GFX90A:ACCUM_OFFSET: 0
; COMPUTE_PGM_RSRC3_GFX90A:TG_SPLIT: 0
	.section	.text._ZN7rocprim17ROCPRIM_400000_NS6detail17trampoline_kernelINS0_14default_configENS1_20scan_config_selectorIN3c107complexIfEEEEZZNS1_9scan_implILNS1_25lookback_scan_determinismE0ELb0ELb0ES3_PKS7_PS7_S7_ZZZN2at6native31launch_logcumsumexp_cuda_kernelERKNSE_10TensorBaseESI_lENKUlvE_clEvENKUlvE2_clEvEUlS7_S7_E_S7_EEDaPvRmT3_T4_T5_mT6_P12ihipStream_tbENKUlT_T0_E_clISt17integral_constantIbLb1EESY_IbLb0EEEEDaSU_SV_EUlSU_E0_NS1_11comp_targetILNS1_3genE2ELNS1_11target_archE906ELNS1_3gpuE6ELNS1_3repE0EEENS1_30default_config_static_selectorELNS0_4arch9wavefront6targetE1EEEvT1_,"axG",@progbits,_ZN7rocprim17ROCPRIM_400000_NS6detail17trampoline_kernelINS0_14default_configENS1_20scan_config_selectorIN3c107complexIfEEEEZZNS1_9scan_implILNS1_25lookback_scan_determinismE0ELb0ELb0ES3_PKS7_PS7_S7_ZZZN2at6native31launch_logcumsumexp_cuda_kernelERKNSE_10TensorBaseESI_lENKUlvE_clEvENKUlvE2_clEvEUlS7_S7_E_S7_EEDaPvRmT3_T4_T5_mT6_P12ihipStream_tbENKUlT_T0_E_clISt17integral_constantIbLb1EESY_IbLb0EEEEDaSU_SV_EUlSU_E0_NS1_11comp_targetILNS1_3genE2ELNS1_11target_archE906ELNS1_3gpuE6ELNS1_3repE0EEENS1_30default_config_static_selectorELNS0_4arch9wavefront6targetE1EEEvT1_,comdat
	.globl	_ZN7rocprim17ROCPRIM_400000_NS6detail17trampoline_kernelINS0_14default_configENS1_20scan_config_selectorIN3c107complexIfEEEEZZNS1_9scan_implILNS1_25lookback_scan_determinismE0ELb0ELb0ES3_PKS7_PS7_S7_ZZZN2at6native31launch_logcumsumexp_cuda_kernelERKNSE_10TensorBaseESI_lENKUlvE_clEvENKUlvE2_clEvEUlS7_S7_E_S7_EEDaPvRmT3_T4_T5_mT6_P12ihipStream_tbENKUlT_T0_E_clISt17integral_constantIbLb1EESY_IbLb0EEEEDaSU_SV_EUlSU_E0_NS1_11comp_targetILNS1_3genE2ELNS1_11target_archE906ELNS1_3gpuE6ELNS1_3repE0EEENS1_30default_config_static_selectorELNS0_4arch9wavefront6targetE1EEEvT1_ ; -- Begin function _ZN7rocprim17ROCPRIM_400000_NS6detail17trampoline_kernelINS0_14default_configENS1_20scan_config_selectorIN3c107complexIfEEEEZZNS1_9scan_implILNS1_25lookback_scan_determinismE0ELb0ELb0ES3_PKS7_PS7_S7_ZZZN2at6native31launch_logcumsumexp_cuda_kernelERKNSE_10TensorBaseESI_lENKUlvE_clEvENKUlvE2_clEvEUlS7_S7_E_S7_EEDaPvRmT3_T4_T5_mT6_P12ihipStream_tbENKUlT_T0_E_clISt17integral_constantIbLb1EESY_IbLb0EEEEDaSU_SV_EUlSU_E0_NS1_11comp_targetILNS1_3genE2ELNS1_11target_archE906ELNS1_3gpuE6ELNS1_3repE0EEENS1_30default_config_static_selectorELNS0_4arch9wavefront6targetE1EEEvT1_
	.p2align	8
	.type	_ZN7rocprim17ROCPRIM_400000_NS6detail17trampoline_kernelINS0_14default_configENS1_20scan_config_selectorIN3c107complexIfEEEEZZNS1_9scan_implILNS1_25lookback_scan_determinismE0ELb0ELb0ES3_PKS7_PS7_S7_ZZZN2at6native31launch_logcumsumexp_cuda_kernelERKNSE_10TensorBaseESI_lENKUlvE_clEvENKUlvE2_clEvEUlS7_S7_E_S7_EEDaPvRmT3_T4_T5_mT6_P12ihipStream_tbENKUlT_T0_E_clISt17integral_constantIbLb1EESY_IbLb0EEEEDaSU_SV_EUlSU_E0_NS1_11comp_targetILNS1_3genE2ELNS1_11target_archE906ELNS1_3gpuE6ELNS1_3repE0EEENS1_30default_config_static_selectorELNS0_4arch9wavefront6targetE1EEEvT1_,@function
_ZN7rocprim17ROCPRIM_400000_NS6detail17trampoline_kernelINS0_14default_configENS1_20scan_config_selectorIN3c107complexIfEEEEZZNS1_9scan_implILNS1_25lookback_scan_determinismE0ELb0ELb0ES3_PKS7_PS7_S7_ZZZN2at6native31launch_logcumsumexp_cuda_kernelERKNSE_10TensorBaseESI_lENKUlvE_clEvENKUlvE2_clEvEUlS7_S7_E_S7_EEDaPvRmT3_T4_T5_mT6_P12ihipStream_tbENKUlT_T0_E_clISt17integral_constantIbLb1EESY_IbLb0EEEEDaSU_SV_EUlSU_E0_NS1_11comp_targetILNS1_3genE2ELNS1_11target_archE906ELNS1_3gpuE6ELNS1_3repE0EEENS1_30default_config_static_selectorELNS0_4arch9wavefront6targetE1EEEvT1_: ; @_ZN7rocprim17ROCPRIM_400000_NS6detail17trampoline_kernelINS0_14default_configENS1_20scan_config_selectorIN3c107complexIfEEEEZZNS1_9scan_implILNS1_25lookback_scan_determinismE0ELb0ELb0ES3_PKS7_PS7_S7_ZZZN2at6native31launch_logcumsumexp_cuda_kernelERKNSE_10TensorBaseESI_lENKUlvE_clEvENKUlvE2_clEvEUlS7_S7_E_S7_EEDaPvRmT3_T4_T5_mT6_P12ihipStream_tbENKUlT_T0_E_clISt17integral_constantIbLb1EESY_IbLb0EEEEDaSU_SV_EUlSU_E0_NS1_11comp_targetILNS1_3genE2ELNS1_11target_archE906ELNS1_3gpuE6ELNS1_3repE0EEENS1_30default_config_static_selectorELNS0_4arch9wavefront6targetE1EEEvT1_
; %bb.0:
	.section	.rodata,"a",@progbits
	.p2align	6, 0x0
	.amdhsa_kernel _ZN7rocprim17ROCPRIM_400000_NS6detail17trampoline_kernelINS0_14default_configENS1_20scan_config_selectorIN3c107complexIfEEEEZZNS1_9scan_implILNS1_25lookback_scan_determinismE0ELb0ELb0ES3_PKS7_PS7_S7_ZZZN2at6native31launch_logcumsumexp_cuda_kernelERKNSE_10TensorBaseESI_lENKUlvE_clEvENKUlvE2_clEvEUlS7_S7_E_S7_EEDaPvRmT3_T4_T5_mT6_P12ihipStream_tbENKUlT_T0_E_clISt17integral_constantIbLb1EESY_IbLb0EEEEDaSU_SV_EUlSU_E0_NS1_11comp_targetILNS1_3genE2ELNS1_11target_archE906ELNS1_3gpuE6ELNS1_3repE0EEENS1_30default_config_static_selectorELNS0_4arch9wavefront6targetE1EEEvT1_
		.amdhsa_group_segment_fixed_size 0
		.amdhsa_private_segment_fixed_size 0
		.amdhsa_kernarg_size 40
		.amdhsa_user_sgpr_count 2
		.amdhsa_user_sgpr_dispatch_ptr 0
		.amdhsa_user_sgpr_queue_ptr 0
		.amdhsa_user_sgpr_kernarg_segment_ptr 1
		.amdhsa_user_sgpr_dispatch_id 0
		.amdhsa_user_sgpr_kernarg_preload_length 0
		.amdhsa_user_sgpr_kernarg_preload_offset 0
		.amdhsa_user_sgpr_private_segment_size 0
		.amdhsa_uses_dynamic_stack 0
		.amdhsa_enable_private_segment 0
		.amdhsa_system_sgpr_workgroup_id_x 1
		.amdhsa_system_sgpr_workgroup_id_y 0
		.amdhsa_system_sgpr_workgroup_id_z 0
		.amdhsa_system_sgpr_workgroup_info 0
		.amdhsa_system_vgpr_workitem_id 0
		.amdhsa_next_free_vgpr 1
		.amdhsa_next_free_sgpr 0
		.amdhsa_accum_offset 4
		.amdhsa_reserve_vcc 0
		.amdhsa_float_round_mode_32 0
		.amdhsa_float_round_mode_16_64 0
		.amdhsa_float_denorm_mode_32 3
		.amdhsa_float_denorm_mode_16_64 3
		.amdhsa_dx10_clamp 1
		.amdhsa_ieee_mode 1
		.amdhsa_fp16_overflow 0
		.amdhsa_tg_split 0
		.amdhsa_exception_fp_ieee_invalid_op 0
		.amdhsa_exception_fp_denorm_src 0
		.amdhsa_exception_fp_ieee_div_zero 0
		.amdhsa_exception_fp_ieee_overflow 0
		.amdhsa_exception_fp_ieee_underflow 0
		.amdhsa_exception_fp_ieee_inexact 0
		.amdhsa_exception_int_div_zero 0
	.end_amdhsa_kernel
	.section	.text._ZN7rocprim17ROCPRIM_400000_NS6detail17trampoline_kernelINS0_14default_configENS1_20scan_config_selectorIN3c107complexIfEEEEZZNS1_9scan_implILNS1_25lookback_scan_determinismE0ELb0ELb0ES3_PKS7_PS7_S7_ZZZN2at6native31launch_logcumsumexp_cuda_kernelERKNSE_10TensorBaseESI_lENKUlvE_clEvENKUlvE2_clEvEUlS7_S7_E_S7_EEDaPvRmT3_T4_T5_mT6_P12ihipStream_tbENKUlT_T0_E_clISt17integral_constantIbLb1EESY_IbLb0EEEEDaSU_SV_EUlSU_E0_NS1_11comp_targetILNS1_3genE2ELNS1_11target_archE906ELNS1_3gpuE6ELNS1_3repE0EEENS1_30default_config_static_selectorELNS0_4arch9wavefront6targetE1EEEvT1_,"axG",@progbits,_ZN7rocprim17ROCPRIM_400000_NS6detail17trampoline_kernelINS0_14default_configENS1_20scan_config_selectorIN3c107complexIfEEEEZZNS1_9scan_implILNS1_25lookback_scan_determinismE0ELb0ELb0ES3_PKS7_PS7_S7_ZZZN2at6native31launch_logcumsumexp_cuda_kernelERKNSE_10TensorBaseESI_lENKUlvE_clEvENKUlvE2_clEvEUlS7_S7_E_S7_EEDaPvRmT3_T4_T5_mT6_P12ihipStream_tbENKUlT_T0_E_clISt17integral_constantIbLb1EESY_IbLb0EEEEDaSU_SV_EUlSU_E0_NS1_11comp_targetILNS1_3genE2ELNS1_11target_archE906ELNS1_3gpuE6ELNS1_3repE0EEENS1_30default_config_static_selectorELNS0_4arch9wavefront6targetE1EEEvT1_,comdat
.Lfunc_end323:
	.size	_ZN7rocprim17ROCPRIM_400000_NS6detail17trampoline_kernelINS0_14default_configENS1_20scan_config_selectorIN3c107complexIfEEEEZZNS1_9scan_implILNS1_25lookback_scan_determinismE0ELb0ELb0ES3_PKS7_PS7_S7_ZZZN2at6native31launch_logcumsumexp_cuda_kernelERKNSE_10TensorBaseESI_lENKUlvE_clEvENKUlvE2_clEvEUlS7_S7_E_S7_EEDaPvRmT3_T4_T5_mT6_P12ihipStream_tbENKUlT_T0_E_clISt17integral_constantIbLb1EESY_IbLb0EEEEDaSU_SV_EUlSU_E0_NS1_11comp_targetILNS1_3genE2ELNS1_11target_archE906ELNS1_3gpuE6ELNS1_3repE0EEENS1_30default_config_static_selectorELNS0_4arch9wavefront6targetE1EEEvT1_, .Lfunc_end323-_ZN7rocprim17ROCPRIM_400000_NS6detail17trampoline_kernelINS0_14default_configENS1_20scan_config_selectorIN3c107complexIfEEEEZZNS1_9scan_implILNS1_25lookback_scan_determinismE0ELb0ELb0ES3_PKS7_PS7_S7_ZZZN2at6native31launch_logcumsumexp_cuda_kernelERKNSE_10TensorBaseESI_lENKUlvE_clEvENKUlvE2_clEvEUlS7_S7_E_S7_EEDaPvRmT3_T4_T5_mT6_P12ihipStream_tbENKUlT_T0_E_clISt17integral_constantIbLb1EESY_IbLb0EEEEDaSU_SV_EUlSU_E0_NS1_11comp_targetILNS1_3genE2ELNS1_11target_archE906ELNS1_3gpuE6ELNS1_3repE0EEENS1_30default_config_static_selectorELNS0_4arch9wavefront6targetE1EEEvT1_
                                        ; -- End function
	.set _ZN7rocprim17ROCPRIM_400000_NS6detail17trampoline_kernelINS0_14default_configENS1_20scan_config_selectorIN3c107complexIfEEEEZZNS1_9scan_implILNS1_25lookback_scan_determinismE0ELb0ELb0ES3_PKS7_PS7_S7_ZZZN2at6native31launch_logcumsumexp_cuda_kernelERKNSE_10TensorBaseESI_lENKUlvE_clEvENKUlvE2_clEvEUlS7_S7_E_S7_EEDaPvRmT3_T4_T5_mT6_P12ihipStream_tbENKUlT_T0_E_clISt17integral_constantIbLb1EESY_IbLb0EEEEDaSU_SV_EUlSU_E0_NS1_11comp_targetILNS1_3genE2ELNS1_11target_archE906ELNS1_3gpuE6ELNS1_3repE0EEENS1_30default_config_static_selectorELNS0_4arch9wavefront6targetE1EEEvT1_.num_vgpr, 0
	.set _ZN7rocprim17ROCPRIM_400000_NS6detail17trampoline_kernelINS0_14default_configENS1_20scan_config_selectorIN3c107complexIfEEEEZZNS1_9scan_implILNS1_25lookback_scan_determinismE0ELb0ELb0ES3_PKS7_PS7_S7_ZZZN2at6native31launch_logcumsumexp_cuda_kernelERKNSE_10TensorBaseESI_lENKUlvE_clEvENKUlvE2_clEvEUlS7_S7_E_S7_EEDaPvRmT3_T4_T5_mT6_P12ihipStream_tbENKUlT_T0_E_clISt17integral_constantIbLb1EESY_IbLb0EEEEDaSU_SV_EUlSU_E0_NS1_11comp_targetILNS1_3genE2ELNS1_11target_archE906ELNS1_3gpuE6ELNS1_3repE0EEENS1_30default_config_static_selectorELNS0_4arch9wavefront6targetE1EEEvT1_.num_agpr, 0
	.set _ZN7rocprim17ROCPRIM_400000_NS6detail17trampoline_kernelINS0_14default_configENS1_20scan_config_selectorIN3c107complexIfEEEEZZNS1_9scan_implILNS1_25lookback_scan_determinismE0ELb0ELb0ES3_PKS7_PS7_S7_ZZZN2at6native31launch_logcumsumexp_cuda_kernelERKNSE_10TensorBaseESI_lENKUlvE_clEvENKUlvE2_clEvEUlS7_S7_E_S7_EEDaPvRmT3_T4_T5_mT6_P12ihipStream_tbENKUlT_T0_E_clISt17integral_constantIbLb1EESY_IbLb0EEEEDaSU_SV_EUlSU_E0_NS1_11comp_targetILNS1_3genE2ELNS1_11target_archE906ELNS1_3gpuE6ELNS1_3repE0EEENS1_30default_config_static_selectorELNS0_4arch9wavefront6targetE1EEEvT1_.numbered_sgpr, 0
	.set _ZN7rocprim17ROCPRIM_400000_NS6detail17trampoline_kernelINS0_14default_configENS1_20scan_config_selectorIN3c107complexIfEEEEZZNS1_9scan_implILNS1_25lookback_scan_determinismE0ELb0ELb0ES3_PKS7_PS7_S7_ZZZN2at6native31launch_logcumsumexp_cuda_kernelERKNSE_10TensorBaseESI_lENKUlvE_clEvENKUlvE2_clEvEUlS7_S7_E_S7_EEDaPvRmT3_T4_T5_mT6_P12ihipStream_tbENKUlT_T0_E_clISt17integral_constantIbLb1EESY_IbLb0EEEEDaSU_SV_EUlSU_E0_NS1_11comp_targetILNS1_3genE2ELNS1_11target_archE906ELNS1_3gpuE6ELNS1_3repE0EEENS1_30default_config_static_selectorELNS0_4arch9wavefront6targetE1EEEvT1_.num_named_barrier, 0
	.set _ZN7rocprim17ROCPRIM_400000_NS6detail17trampoline_kernelINS0_14default_configENS1_20scan_config_selectorIN3c107complexIfEEEEZZNS1_9scan_implILNS1_25lookback_scan_determinismE0ELb0ELb0ES3_PKS7_PS7_S7_ZZZN2at6native31launch_logcumsumexp_cuda_kernelERKNSE_10TensorBaseESI_lENKUlvE_clEvENKUlvE2_clEvEUlS7_S7_E_S7_EEDaPvRmT3_T4_T5_mT6_P12ihipStream_tbENKUlT_T0_E_clISt17integral_constantIbLb1EESY_IbLb0EEEEDaSU_SV_EUlSU_E0_NS1_11comp_targetILNS1_3genE2ELNS1_11target_archE906ELNS1_3gpuE6ELNS1_3repE0EEENS1_30default_config_static_selectorELNS0_4arch9wavefront6targetE1EEEvT1_.private_seg_size, 0
	.set _ZN7rocprim17ROCPRIM_400000_NS6detail17trampoline_kernelINS0_14default_configENS1_20scan_config_selectorIN3c107complexIfEEEEZZNS1_9scan_implILNS1_25lookback_scan_determinismE0ELb0ELb0ES3_PKS7_PS7_S7_ZZZN2at6native31launch_logcumsumexp_cuda_kernelERKNSE_10TensorBaseESI_lENKUlvE_clEvENKUlvE2_clEvEUlS7_S7_E_S7_EEDaPvRmT3_T4_T5_mT6_P12ihipStream_tbENKUlT_T0_E_clISt17integral_constantIbLb1EESY_IbLb0EEEEDaSU_SV_EUlSU_E0_NS1_11comp_targetILNS1_3genE2ELNS1_11target_archE906ELNS1_3gpuE6ELNS1_3repE0EEENS1_30default_config_static_selectorELNS0_4arch9wavefront6targetE1EEEvT1_.uses_vcc, 0
	.set _ZN7rocprim17ROCPRIM_400000_NS6detail17trampoline_kernelINS0_14default_configENS1_20scan_config_selectorIN3c107complexIfEEEEZZNS1_9scan_implILNS1_25lookback_scan_determinismE0ELb0ELb0ES3_PKS7_PS7_S7_ZZZN2at6native31launch_logcumsumexp_cuda_kernelERKNSE_10TensorBaseESI_lENKUlvE_clEvENKUlvE2_clEvEUlS7_S7_E_S7_EEDaPvRmT3_T4_T5_mT6_P12ihipStream_tbENKUlT_T0_E_clISt17integral_constantIbLb1EESY_IbLb0EEEEDaSU_SV_EUlSU_E0_NS1_11comp_targetILNS1_3genE2ELNS1_11target_archE906ELNS1_3gpuE6ELNS1_3repE0EEENS1_30default_config_static_selectorELNS0_4arch9wavefront6targetE1EEEvT1_.uses_flat_scratch, 0
	.set _ZN7rocprim17ROCPRIM_400000_NS6detail17trampoline_kernelINS0_14default_configENS1_20scan_config_selectorIN3c107complexIfEEEEZZNS1_9scan_implILNS1_25lookback_scan_determinismE0ELb0ELb0ES3_PKS7_PS7_S7_ZZZN2at6native31launch_logcumsumexp_cuda_kernelERKNSE_10TensorBaseESI_lENKUlvE_clEvENKUlvE2_clEvEUlS7_S7_E_S7_EEDaPvRmT3_T4_T5_mT6_P12ihipStream_tbENKUlT_T0_E_clISt17integral_constantIbLb1EESY_IbLb0EEEEDaSU_SV_EUlSU_E0_NS1_11comp_targetILNS1_3genE2ELNS1_11target_archE906ELNS1_3gpuE6ELNS1_3repE0EEENS1_30default_config_static_selectorELNS0_4arch9wavefront6targetE1EEEvT1_.has_dyn_sized_stack, 0
	.set _ZN7rocprim17ROCPRIM_400000_NS6detail17trampoline_kernelINS0_14default_configENS1_20scan_config_selectorIN3c107complexIfEEEEZZNS1_9scan_implILNS1_25lookback_scan_determinismE0ELb0ELb0ES3_PKS7_PS7_S7_ZZZN2at6native31launch_logcumsumexp_cuda_kernelERKNSE_10TensorBaseESI_lENKUlvE_clEvENKUlvE2_clEvEUlS7_S7_E_S7_EEDaPvRmT3_T4_T5_mT6_P12ihipStream_tbENKUlT_T0_E_clISt17integral_constantIbLb1EESY_IbLb0EEEEDaSU_SV_EUlSU_E0_NS1_11comp_targetILNS1_3genE2ELNS1_11target_archE906ELNS1_3gpuE6ELNS1_3repE0EEENS1_30default_config_static_selectorELNS0_4arch9wavefront6targetE1EEEvT1_.has_recursion, 0
	.set _ZN7rocprim17ROCPRIM_400000_NS6detail17trampoline_kernelINS0_14default_configENS1_20scan_config_selectorIN3c107complexIfEEEEZZNS1_9scan_implILNS1_25lookback_scan_determinismE0ELb0ELb0ES3_PKS7_PS7_S7_ZZZN2at6native31launch_logcumsumexp_cuda_kernelERKNSE_10TensorBaseESI_lENKUlvE_clEvENKUlvE2_clEvEUlS7_S7_E_S7_EEDaPvRmT3_T4_T5_mT6_P12ihipStream_tbENKUlT_T0_E_clISt17integral_constantIbLb1EESY_IbLb0EEEEDaSU_SV_EUlSU_E0_NS1_11comp_targetILNS1_3genE2ELNS1_11target_archE906ELNS1_3gpuE6ELNS1_3repE0EEENS1_30default_config_static_selectorELNS0_4arch9wavefront6targetE1EEEvT1_.has_indirect_call, 0
	.section	.AMDGPU.csdata,"",@progbits
; Kernel info:
; codeLenInByte = 0
; TotalNumSgprs: 6
; NumVgprs: 0
; NumAgprs: 0
; TotalNumVgprs: 0
; ScratchSize: 0
; MemoryBound: 0
; FloatMode: 240
; IeeeMode: 1
; LDSByteSize: 0 bytes/workgroup (compile time only)
; SGPRBlocks: 0
; VGPRBlocks: 0
; NumSGPRsForWavesPerEU: 6
; NumVGPRsForWavesPerEU: 1
; AccumOffset: 4
; Occupancy: 8
; WaveLimiterHint : 0
; COMPUTE_PGM_RSRC2:SCRATCH_EN: 0
; COMPUTE_PGM_RSRC2:USER_SGPR: 2
; COMPUTE_PGM_RSRC2:TRAP_HANDLER: 0
; COMPUTE_PGM_RSRC2:TGID_X_EN: 1
; COMPUTE_PGM_RSRC2:TGID_Y_EN: 0
; COMPUTE_PGM_RSRC2:TGID_Z_EN: 0
; COMPUTE_PGM_RSRC2:TIDIG_COMP_CNT: 0
; COMPUTE_PGM_RSRC3_GFX90A:ACCUM_OFFSET: 0
; COMPUTE_PGM_RSRC3_GFX90A:TG_SPLIT: 0
	.section	.text._ZN7rocprim17ROCPRIM_400000_NS6detail17trampoline_kernelINS0_14default_configENS1_20scan_config_selectorIN3c107complexIfEEEEZZNS1_9scan_implILNS1_25lookback_scan_determinismE0ELb0ELb0ES3_PKS7_PS7_S7_ZZZN2at6native31launch_logcumsumexp_cuda_kernelERKNSE_10TensorBaseESI_lENKUlvE_clEvENKUlvE2_clEvEUlS7_S7_E_S7_EEDaPvRmT3_T4_T5_mT6_P12ihipStream_tbENKUlT_T0_E_clISt17integral_constantIbLb1EESY_IbLb0EEEEDaSU_SV_EUlSU_E0_NS1_11comp_targetILNS1_3genE10ELNS1_11target_archE1201ELNS1_3gpuE5ELNS1_3repE0EEENS1_30default_config_static_selectorELNS0_4arch9wavefront6targetE1EEEvT1_,"axG",@progbits,_ZN7rocprim17ROCPRIM_400000_NS6detail17trampoline_kernelINS0_14default_configENS1_20scan_config_selectorIN3c107complexIfEEEEZZNS1_9scan_implILNS1_25lookback_scan_determinismE0ELb0ELb0ES3_PKS7_PS7_S7_ZZZN2at6native31launch_logcumsumexp_cuda_kernelERKNSE_10TensorBaseESI_lENKUlvE_clEvENKUlvE2_clEvEUlS7_S7_E_S7_EEDaPvRmT3_T4_T5_mT6_P12ihipStream_tbENKUlT_T0_E_clISt17integral_constantIbLb1EESY_IbLb0EEEEDaSU_SV_EUlSU_E0_NS1_11comp_targetILNS1_3genE10ELNS1_11target_archE1201ELNS1_3gpuE5ELNS1_3repE0EEENS1_30default_config_static_selectorELNS0_4arch9wavefront6targetE1EEEvT1_,comdat
	.globl	_ZN7rocprim17ROCPRIM_400000_NS6detail17trampoline_kernelINS0_14default_configENS1_20scan_config_selectorIN3c107complexIfEEEEZZNS1_9scan_implILNS1_25lookback_scan_determinismE0ELb0ELb0ES3_PKS7_PS7_S7_ZZZN2at6native31launch_logcumsumexp_cuda_kernelERKNSE_10TensorBaseESI_lENKUlvE_clEvENKUlvE2_clEvEUlS7_S7_E_S7_EEDaPvRmT3_T4_T5_mT6_P12ihipStream_tbENKUlT_T0_E_clISt17integral_constantIbLb1EESY_IbLb0EEEEDaSU_SV_EUlSU_E0_NS1_11comp_targetILNS1_3genE10ELNS1_11target_archE1201ELNS1_3gpuE5ELNS1_3repE0EEENS1_30default_config_static_selectorELNS0_4arch9wavefront6targetE1EEEvT1_ ; -- Begin function _ZN7rocprim17ROCPRIM_400000_NS6detail17trampoline_kernelINS0_14default_configENS1_20scan_config_selectorIN3c107complexIfEEEEZZNS1_9scan_implILNS1_25lookback_scan_determinismE0ELb0ELb0ES3_PKS7_PS7_S7_ZZZN2at6native31launch_logcumsumexp_cuda_kernelERKNSE_10TensorBaseESI_lENKUlvE_clEvENKUlvE2_clEvEUlS7_S7_E_S7_EEDaPvRmT3_T4_T5_mT6_P12ihipStream_tbENKUlT_T0_E_clISt17integral_constantIbLb1EESY_IbLb0EEEEDaSU_SV_EUlSU_E0_NS1_11comp_targetILNS1_3genE10ELNS1_11target_archE1201ELNS1_3gpuE5ELNS1_3repE0EEENS1_30default_config_static_selectorELNS0_4arch9wavefront6targetE1EEEvT1_
	.p2align	8
	.type	_ZN7rocprim17ROCPRIM_400000_NS6detail17trampoline_kernelINS0_14default_configENS1_20scan_config_selectorIN3c107complexIfEEEEZZNS1_9scan_implILNS1_25lookback_scan_determinismE0ELb0ELb0ES3_PKS7_PS7_S7_ZZZN2at6native31launch_logcumsumexp_cuda_kernelERKNSE_10TensorBaseESI_lENKUlvE_clEvENKUlvE2_clEvEUlS7_S7_E_S7_EEDaPvRmT3_T4_T5_mT6_P12ihipStream_tbENKUlT_T0_E_clISt17integral_constantIbLb1EESY_IbLb0EEEEDaSU_SV_EUlSU_E0_NS1_11comp_targetILNS1_3genE10ELNS1_11target_archE1201ELNS1_3gpuE5ELNS1_3repE0EEENS1_30default_config_static_selectorELNS0_4arch9wavefront6targetE1EEEvT1_,@function
_ZN7rocprim17ROCPRIM_400000_NS6detail17trampoline_kernelINS0_14default_configENS1_20scan_config_selectorIN3c107complexIfEEEEZZNS1_9scan_implILNS1_25lookback_scan_determinismE0ELb0ELb0ES3_PKS7_PS7_S7_ZZZN2at6native31launch_logcumsumexp_cuda_kernelERKNSE_10TensorBaseESI_lENKUlvE_clEvENKUlvE2_clEvEUlS7_S7_E_S7_EEDaPvRmT3_T4_T5_mT6_P12ihipStream_tbENKUlT_T0_E_clISt17integral_constantIbLb1EESY_IbLb0EEEEDaSU_SV_EUlSU_E0_NS1_11comp_targetILNS1_3genE10ELNS1_11target_archE1201ELNS1_3gpuE5ELNS1_3repE0EEENS1_30default_config_static_selectorELNS0_4arch9wavefront6targetE1EEEvT1_: ; @_ZN7rocprim17ROCPRIM_400000_NS6detail17trampoline_kernelINS0_14default_configENS1_20scan_config_selectorIN3c107complexIfEEEEZZNS1_9scan_implILNS1_25lookback_scan_determinismE0ELb0ELb0ES3_PKS7_PS7_S7_ZZZN2at6native31launch_logcumsumexp_cuda_kernelERKNSE_10TensorBaseESI_lENKUlvE_clEvENKUlvE2_clEvEUlS7_S7_E_S7_EEDaPvRmT3_T4_T5_mT6_P12ihipStream_tbENKUlT_T0_E_clISt17integral_constantIbLb1EESY_IbLb0EEEEDaSU_SV_EUlSU_E0_NS1_11comp_targetILNS1_3genE10ELNS1_11target_archE1201ELNS1_3gpuE5ELNS1_3repE0EEENS1_30default_config_static_selectorELNS0_4arch9wavefront6targetE1EEEvT1_
; %bb.0:
	.section	.rodata,"a",@progbits
	.p2align	6, 0x0
	.amdhsa_kernel _ZN7rocprim17ROCPRIM_400000_NS6detail17trampoline_kernelINS0_14default_configENS1_20scan_config_selectorIN3c107complexIfEEEEZZNS1_9scan_implILNS1_25lookback_scan_determinismE0ELb0ELb0ES3_PKS7_PS7_S7_ZZZN2at6native31launch_logcumsumexp_cuda_kernelERKNSE_10TensorBaseESI_lENKUlvE_clEvENKUlvE2_clEvEUlS7_S7_E_S7_EEDaPvRmT3_T4_T5_mT6_P12ihipStream_tbENKUlT_T0_E_clISt17integral_constantIbLb1EESY_IbLb0EEEEDaSU_SV_EUlSU_E0_NS1_11comp_targetILNS1_3genE10ELNS1_11target_archE1201ELNS1_3gpuE5ELNS1_3repE0EEENS1_30default_config_static_selectorELNS0_4arch9wavefront6targetE1EEEvT1_
		.amdhsa_group_segment_fixed_size 0
		.amdhsa_private_segment_fixed_size 0
		.amdhsa_kernarg_size 40
		.amdhsa_user_sgpr_count 2
		.amdhsa_user_sgpr_dispatch_ptr 0
		.amdhsa_user_sgpr_queue_ptr 0
		.amdhsa_user_sgpr_kernarg_segment_ptr 1
		.amdhsa_user_sgpr_dispatch_id 0
		.amdhsa_user_sgpr_kernarg_preload_length 0
		.amdhsa_user_sgpr_kernarg_preload_offset 0
		.amdhsa_user_sgpr_private_segment_size 0
		.amdhsa_uses_dynamic_stack 0
		.amdhsa_enable_private_segment 0
		.amdhsa_system_sgpr_workgroup_id_x 1
		.amdhsa_system_sgpr_workgroup_id_y 0
		.amdhsa_system_sgpr_workgroup_id_z 0
		.amdhsa_system_sgpr_workgroup_info 0
		.amdhsa_system_vgpr_workitem_id 0
		.amdhsa_next_free_vgpr 1
		.amdhsa_next_free_sgpr 0
		.amdhsa_accum_offset 4
		.amdhsa_reserve_vcc 0
		.amdhsa_float_round_mode_32 0
		.amdhsa_float_round_mode_16_64 0
		.amdhsa_float_denorm_mode_32 3
		.amdhsa_float_denorm_mode_16_64 3
		.amdhsa_dx10_clamp 1
		.amdhsa_ieee_mode 1
		.amdhsa_fp16_overflow 0
		.amdhsa_tg_split 0
		.amdhsa_exception_fp_ieee_invalid_op 0
		.amdhsa_exception_fp_denorm_src 0
		.amdhsa_exception_fp_ieee_div_zero 0
		.amdhsa_exception_fp_ieee_overflow 0
		.amdhsa_exception_fp_ieee_underflow 0
		.amdhsa_exception_fp_ieee_inexact 0
		.amdhsa_exception_int_div_zero 0
	.end_amdhsa_kernel
	.section	.text._ZN7rocprim17ROCPRIM_400000_NS6detail17trampoline_kernelINS0_14default_configENS1_20scan_config_selectorIN3c107complexIfEEEEZZNS1_9scan_implILNS1_25lookback_scan_determinismE0ELb0ELb0ES3_PKS7_PS7_S7_ZZZN2at6native31launch_logcumsumexp_cuda_kernelERKNSE_10TensorBaseESI_lENKUlvE_clEvENKUlvE2_clEvEUlS7_S7_E_S7_EEDaPvRmT3_T4_T5_mT6_P12ihipStream_tbENKUlT_T0_E_clISt17integral_constantIbLb1EESY_IbLb0EEEEDaSU_SV_EUlSU_E0_NS1_11comp_targetILNS1_3genE10ELNS1_11target_archE1201ELNS1_3gpuE5ELNS1_3repE0EEENS1_30default_config_static_selectorELNS0_4arch9wavefront6targetE1EEEvT1_,"axG",@progbits,_ZN7rocprim17ROCPRIM_400000_NS6detail17trampoline_kernelINS0_14default_configENS1_20scan_config_selectorIN3c107complexIfEEEEZZNS1_9scan_implILNS1_25lookback_scan_determinismE0ELb0ELb0ES3_PKS7_PS7_S7_ZZZN2at6native31launch_logcumsumexp_cuda_kernelERKNSE_10TensorBaseESI_lENKUlvE_clEvENKUlvE2_clEvEUlS7_S7_E_S7_EEDaPvRmT3_T4_T5_mT6_P12ihipStream_tbENKUlT_T0_E_clISt17integral_constantIbLb1EESY_IbLb0EEEEDaSU_SV_EUlSU_E0_NS1_11comp_targetILNS1_3genE10ELNS1_11target_archE1201ELNS1_3gpuE5ELNS1_3repE0EEENS1_30default_config_static_selectorELNS0_4arch9wavefront6targetE1EEEvT1_,comdat
.Lfunc_end324:
	.size	_ZN7rocprim17ROCPRIM_400000_NS6detail17trampoline_kernelINS0_14default_configENS1_20scan_config_selectorIN3c107complexIfEEEEZZNS1_9scan_implILNS1_25lookback_scan_determinismE0ELb0ELb0ES3_PKS7_PS7_S7_ZZZN2at6native31launch_logcumsumexp_cuda_kernelERKNSE_10TensorBaseESI_lENKUlvE_clEvENKUlvE2_clEvEUlS7_S7_E_S7_EEDaPvRmT3_T4_T5_mT6_P12ihipStream_tbENKUlT_T0_E_clISt17integral_constantIbLb1EESY_IbLb0EEEEDaSU_SV_EUlSU_E0_NS1_11comp_targetILNS1_3genE10ELNS1_11target_archE1201ELNS1_3gpuE5ELNS1_3repE0EEENS1_30default_config_static_selectorELNS0_4arch9wavefront6targetE1EEEvT1_, .Lfunc_end324-_ZN7rocprim17ROCPRIM_400000_NS6detail17trampoline_kernelINS0_14default_configENS1_20scan_config_selectorIN3c107complexIfEEEEZZNS1_9scan_implILNS1_25lookback_scan_determinismE0ELb0ELb0ES3_PKS7_PS7_S7_ZZZN2at6native31launch_logcumsumexp_cuda_kernelERKNSE_10TensorBaseESI_lENKUlvE_clEvENKUlvE2_clEvEUlS7_S7_E_S7_EEDaPvRmT3_T4_T5_mT6_P12ihipStream_tbENKUlT_T0_E_clISt17integral_constantIbLb1EESY_IbLb0EEEEDaSU_SV_EUlSU_E0_NS1_11comp_targetILNS1_3genE10ELNS1_11target_archE1201ELNS1_3gpuE5ELNS1_3repE0EEENS1_30default_config_static_selectorELNS0_4arch9wavefront6targetE1EEEvT1_
                                        ; -- End function
	.set _ZN7rocprim17ROCPRIM_400000_NS6detail17trampoline_kernelINS0_14default_configENS1_20scan_config_selectorIN3c107complexIfEEEEZZNS1_9scan_implILNS1_25lookback_scan_determinismE0ELb0ELb0ES3_PKS7_PS7_S7_ZZZN2at6native31launch_logcumsumexp_cuda_kernelERKNSE_10TensorBaseESI_lENKUlvE_clEvENKUlvE2_clEvEUlS7_S7_E_S7_EEDaPvRmT3_T4_T5_mT6_P12ihipStream_tbENKUlT_T0_E_clISt17integral_constantIbLb1EESY_IbLb0EEEEDaSU_SV_EUlSU_E0_NS1_11comp_targetILNS1_3genE10ELNS1_11target_archE1201ELNS1_3gpuE5ELNS1_3repE0EEENS1_30default_config_static_selectorELNS0_4arch9wavefront6targetE1EEEvT1_.num_vgpr, 0
	.set _ZN7rocprim17ROCPRIM_400000_NS6detail17trampoline_kernelINS0_14default_configENS1_20scan_config_selectorIN3c107complexIfEEEEZZNS1_9scan_implILNS1_25lookback_scan_determinismE0ELb0ELb0ES3_PKS7_PS7_S7_ZZZN2at6native31launch_logcumsumexp_cuda_kernelERKNSE_10TensorBaseESI_lENKUlvE_clEvENKUlvE2_clEvEUlS7_S7_E_S7_EEDaPvRmT3_T4_T5_mT6_P12ihipStream_tbENKUlT_T0_E_clISt17integral_constantIbLb1EESY_IbLb0EEEEDaSU_SV_EUlSU_E0_NS1_11comp_targetILNS1_3genE10ELNS1_11target_archE1201ELNS1_3gpuE5ELNS1_3repE0EEENS1_30default_config_static_selectorELNS0_4arch9wavefront6targetE1EEEvT1_.num_agpr, 0
	.set _ZN7rocprim17ROCPRIM_400000_NS6detail17trampoline_kernelINS0_14default_configENS1_20scan_config_selectorIN3c107complexIfEEEEZZNS1_9scan_implILNS1_25lookback_scan_determinismE0ELb0ELb0ES3_PKS7_PS7_S7_ZZZN2at6native31launch_logcumsumexp_cuda_kernelERKNSE_10TensorBaseESI_lENKUlvE_clEvENKUlvE2_clEvEUlS7_S7_E_S7_EEDaPvRmT3_T4_T5_mT6_P12ihipStream_tbENKUlT_T0_E_clISt17integral_constantIbLb1EESY_IbLb0EEEEDaSU_SV_EUlSU_E0_NS1_11comp_targetILNS1_3genE10ELNS1_11target_archE1201ELNS1_3gpuE5ELNS1_3repE0EEENS1_30default_config_static_selectorELNS0_4arch9wavefront6targetE1EEEvT1_.numbered_sgpr, 0
	.set _ZN7rocprim17ROCPRIM_400000_NS6detail17trampoline_kernelINS0_14default_configENS1_20scan_config_selectorIN3c107complexIfEEEEZZNS1_9scan_implILNS1_25lookback_scan_determinismE0ELb0ELb0ES3_PKS7_PS7_S7_ZZZN2at6native31launch_logcumsumexp_cuda_kernelERKNSE_10TensorBaseESI_lENKUlvE_clEvENKUlvE2_clEvEUlS7_S7_E_S7_EEDaPvRmT3_T4_T5_mT6_P12ihipStream_tbENKUlT_T0_E_clISt17integral_constantIbLb1EESY_IbLb0EEEEDaSU_SV_EUlSU_E0_NS1_11comp_targetILNS1_3genE10ELNS1_11target_archE1201ELNS1_3gpuE5ELNS1_3repE0EEENS1_30default_config_static_selectorELNS0_4arch9wavefront6targetE1EEEvT1_.num_named_barrier, 0
	.set _ZN7rocprim17ROCPRIM_400000_NS6detail17trampoline_kernelINS0_14default_configENS1_20scan_config_selectorIN3c107complexIfEEEEZZNS1_9scan_implILNS1_25lookback_scan_determinismE0ELb0ELb0ES3_PKS7_PS7_S7_ZZZN2at6native31launch_logcumsumexp_cuda_kernelERKNSE_10TensorBaseESI_lENKUlvE_clEvENKUlvE2_clEvEUlS7_S7_E_S7_EEDaPvRmT3_T4_T5_mT6_P12ihipStream_tbENKUlT_T0_E_clISt17integral_constantIbLb1EESY_IbLb0EEEEDaSU_SV_EUlSU_E0_NS1_11comp_targetILNS1_3genE10ELNS1_11target_archE1201ELNS1_3gpuE5ELNS1_3repE0EEENS1_30default_config_static_selectorELNS0_4arch9wavefront6targetE1EEEvT1_.private_seg_size, 0
	.set _ZN7rocprim17ROCPRIM_400000_NS6detail17trampoline_kernelINS0_14default_configENS1_20scan_config_selectorIN3c107complexIfEEEEZZNS1_9scan_implILNS1_25lookback_scan_determinismE0ELb0ELb0ES3_PKS7_PS7_S7_ZZZN2at6native31launch_logcumsumexp_cuda_kernelERKNSE_10TensorBaseESI_lENKUlvE_clEvENKUlvE2_clEvEUlS7_S7_E_S7_EEDaPvRmT3_T4_T5_mT6_P12ihipStream_tbENKUlT_T0_E_clISt17integral_constantIbLb1EESY_IbLb0EEEEDaSU_SV_EUlSU_E0_NS1_11comp_targetILNS1_3genE10ELNS1_11target_archE1201ELNS1_3gpuE5ELNS1_3repE0EEENS1_30default_config_static_selectorELNS0_4arch9wavefront6targetE1EEEvT1_.uses_vcc, 0
	.set _ZN7rocprim17ROCPRIM_400000_NS6detail17trampoline_kernelINS0_14default_configENS1_20scan_config_selectorIN3c107complexIfEEEEZZNS1_9scan_implILNS1_25lookback_scan_determinismE0ELb0ELb0ES3_PKS7_PS7_S7_ZZZN2at6native31launch_logcumsumexp_cuda_kernelERKNSE_10TensorBaseESI_lENKUlvE_clEvENKUlvE2_clEvEUlS7_S7_E_S7_EEDaPvRmT3_T4_T5_mT6_P12ihipStream_tbENKUlT_T0_E_clISt17integral_constantIbLb1EESY_IbLb0EEEEDaSU_SV_EUlSU_E0_NS1_11comp_targetILNS1_3genE10ELNS1_11target_archE1201ELNS1_3gpuE5ELNS1_3repE0EEENS1_30default_config_static_selectorELNS0_4arch9wavefront6targetE1EEEvT1_.uses_flat_scratch, 0
	.set _ZN7rocprim17ROCPRIM_400000_NS6detail17trampoline_kernelINS0_14default_configENS1_20scan_config_selectorIN3c107complexIfEEEEZZNS1_9scan_implILNS1_25lookback_scan_determinismE0ELb0ELb0ES3_PKS7_PS7_S7_ZZZN2at6native31launch_logcumsumexp_cuda_kernelERKNSE_10TensorBaseESI_lENKUlvE_clEvENKUlvE2_clEvEUlS7_S7_E_S7_EEDaPvRmT3_T4_T5_mT6_P12ihipStream_tbENKUlT_T0_E_clISt17integral_constantIbLb1EESY_IbLb0EEEEDaSU_SV_EUlSU_E0_NS1_11comp_targetILNS1_3genE10ELNS1_11target_archE1201ELNS1_3gpuE5ELNS1_3repE0EEENS1_30default_config_static_selectorELNS0_4arch9wavefront6targetE1EEEvT1_.has_dyn_sized_stack, 0
	.set _ZN7rocprim17ROCPRIM_400000_NS6detail17trampoline_kernelINS0_14default_configENS1_20scan_config_selectorIN3c107complexIfEEEEZZNS1_9scan_implILNS1_25lookback_scan_determinismE0ELb0ELb0ES3_PKS7_PS7_S7_ZZZN2at6native31launch_logcumsumexp_cuda_kernelERKNSE_10TensorBaseESI_lENKUlvE_clEvENKUlvE2_clEvEUlS7_S7_E_S7_EEDaPvRmT3_T4_T5_mT6_P12ihipStream_tbENKUlT_T0_E_clISt17integral_constantIbLb1EESY_IbLb0EEEEDaSU_SV_EUlSU_E0_NS1_11comp_targetILNS1_3genE10ELNS1_11target_archE1201ELNS1_3gpuE5ELNS1_3repE0EEENS1_30default_config_static_selectorELNS0_4arch9wavefront6targetE1EEEvT1_.has_recursion, 0
	.set _ZN7rocprim17ROCPRIM_400000_NS6detail17trampoline_kernelINS0_14default_configENS1_20scan_config_selectorIN3c107complexIfEEEEZZNS1_9scan_implILNS1_25lookback_scan_determinismE0ELb0ELb0ES3_PKS7_PS7_S7_ZZZN2at6native31launch_logcumsumexp_cuda_kernelERKNSE_10TensorBaseESI_lENKUlvE_clEvENKUlvE2_clEvEUlS7_S7_E_S7_EEDaPvRmT3_T4_T5_mT6_P12ihipStream_tbENKUlT_T0_E_clISt17integral_constantIbLb1EESY_IbLb0EEEEDaSU_SV_EUlSU_E0_NS1_11comp_targetILNS1_3genE10ELNS1_11target_archE1201ELNS1_3gpuE5ELNS1_3repE0EEENS1_30default_config_static_selectorELNS0_4arch9wavefront6targetE1EEEvT1_.has_indirect_call, 0
	.section	.AMDGPU.csdata,"",@progbits
; Kernel info:
; codeLenInByte = 0
; TotalNumSgprs: 6
; NumVgprs: 0
; NumAgprs: 0
; TotalNumVgprs: 0
; ScratchSize: 0
; MemoryBound: 0
; FloatMode: 240
; IeeeMode: 1
; LDSByteSize: 0 bytes/workgroup (compile time only)
; SGPRBlocks: 0
; VGPRBlocks: 0
; NumSGPRsForWavesPerEU: 6
; NumVGPRsForWavesPerEU: 1
; AccumOffset: 4
; Occupancy: 8
; WaveLimiterHint : 0
; COMPUTE_PGM_RSRC2:SCRATCH_EN: 0
; COMPUTE_PGM_RSRC2:USER_SGPR: 2
; COMPUTE_PGM_RSRC2:TRAP_HANDLER: 0
; COMPUTE_PGM_RSRC2:TGID_X_EN: 1
; COMPUTE_PGM_RSRC2:TGID_Y_EN: 0
; COMPUTE_PGM_RSRC2:TGID_Z_EN: 0
; COMPUTE_PGM_RSRC2:TIDIG_COMP_CNT: 0
; COMPUTE_PGM_RSRC3_GFX90A:ACCUM_OFFSET: 0
; COMPUTE_PGM_RSRC3_GFX90A:TG_SPLIT: 0
	.section	.text._ZN7rocprim17ROCPRIM_400000_NS6detail17trampoline_kernelINS0_14default_configENS1_20scan_config_selectorIN3c107complexIfEEEEZZNS1_9scan_implILNS1_25lookback_scan_determinismE0ELb0ELb0ES3_PKS7_PS7_S7_ZZZN2at6native31launch_logcumsumexp_cuda_kernelERKNSE_10TensorBaseESI_lENKUlvE_clEvENKUlvE2_clEvEUlS7_S7_E_S7_EEDaPvRmT3_T4_T5_mT6_P12ihipStream_tbENKUlT_T0_E_clISt17integral_constantIbLb1EESY_IbLb0EEEEDaSU_SV_EUlSU_E0_NS1_11comp_targetILNS1_3genE10ELNS1_11target_archE1200ELNS1_3gpuE4ELNS1_3repE0EEENS1_30default_config_static_selectorELNS0_4arch9wavefront6targetE1EEEvT1_,"axG",@progbits,_ZN7rocprim17ROCPRIM_400000_NS6detail17trampoline_kernelINS0_14default_configENS1_20scan_config_selectorIN3c107complexIfEEEEZZNS1_9scan_implILNS1_25lookback_scan_determinismE0ELb0ELb0ES3_PKS7_PS7_S7_ZZZN2at6native31launch_logcumsumexp_cuda_kernelERKNSE_10TensorBaseESI_lENKUlvE_clEvENKUlvE2_clEvEUlS7_S7_E_S7_EEDaPvRmT3_T4_T5_mT6_P12ihipStream_tbENKUlT_T0_E_clISt17integral_constantIbLb1EESY_IbLb0EEEEDaSU_SV_EUlSU_E0_NS1_11comp_targetILNS1_3genE10ELNS1_11target_archE1200ELNS1_3gpuE4ELNS1_3repE0EEENS1_30default_config_static_selectorELNS0_4arch9wavefront6targetE1EEEvT1_,comdat
	.globl	_ZN7rocprim17ROCPRIM_400000_NS6detail17trampoline_kernelINS0_14default_configENS1_20scan_config_selectorIN3c107complexIfEEEEZZNS1_9scan_implILNS1_25lookback_scan_determinismE0ELb0ELb0ES3_PKS7_PS7_S7_ZZZN2at6native31launch_logcumsumexp_cuda_kernelERKNSE_10TensorBaseESI_lENKUlvE_clEvENKUlvE2_clEvEUlS7_S7_E_S7_EEDaPvRmT3_T4_T5_mT6_P12ihipStream_tbENKUlT_T0_E_clISt17integral_constantIbLb1EESY_IbLb0EEEEDaSU_SV_EUlSU_E0_NS1_11comp_targetILNS1_3genE10ELNS1_11target_archE1200ELNS1_3gpuE4ELNS1_3repE0EEENS1_30default_config_static_selectorELNS0_4arch9wavefront6targetE1EEEvT1_ ; -- Begin function _ZN7rocprim17ROCPRIM_400000_NS6detail17trampoline_kernelINS0_14default_configENS1_20scan_config_selectorIN3c107complexIfEEEEZZNS1_9scan_implILNS1_25lookback_scan_determinismE0ELb0ELb0ES3_PKS7_PS7_S7_ZZZN2at6native31launch_logcumsumexp_cuda_kernelERKNSE_10TensorBaseESI_lENKUlvE_clEvENKUlvE2_clEvEUlS7_S7_E_S7_EEDaPvRmT3_T4_T5_mT6_P12ihipStream_tbENKUlT_T0_E_clISt17integral_constantIbLb1EESY_IbLb0EEEEDaSU_SV_EUlSU_E0_NS1_11comp_targetILNS1_3genE10ELNS1_11target_archE1200ELNS1_3gpuE4ELNS1_3repE0EEENS1_30default_config_static_selectorELNS0_4arch9wavefront6targetE1EEEvT1_
	.p2align	8
	.type	_ZN7rocprim17ROCPRIM_400000_NS6detail17trampoline_kernelINS0_14default_configENS1_20scan_config_selectorIN3c107complexIfEEEEZZNS1_9scan_implILNS1_25lookback_scan_determinismE0ELb0ELb0ES3_PKS7_PS7_S7_ZZZN2at6native31launch_logcumsumexp_cuda_kernelERKNSE_10TensorBaseESI_lENKUlvE_clEvENKUlvE2_clEvEUlS7_S7_E_S7_EEDaPvRmT3_T4_T5_mT6_P12ihipStream_tbENKUlT_T0_E_clISt17integral_constantIbLb1EESY_IbLb0EEEEDaSU_SV_EUlSU_E0_NS1_11comp_targetILNS1_3genE10ELNS1_11target_archE1200ELNS1_3gpuE4ELNS1_3repE0EEENS1_30default_config_static_selectorELNS0_4arch9wavefront6targetE1EEEvT1_,@function
_ZN7rocprim17ROCPRIM_400000_NS6detail17trampoline_kernelINS0_14default_configENS1_20scan_config_selectorIN3c107complexIfEEEEZZNS1_9scan_implILNS1_25lookback_scan_determinismE0ELb0ELb0ES3_PKS7_PS7_S7_ZZZN2at6native31launch_logcumsumexp_cuda_kernelERKNSE_10TensorBaseESI_lENKUlvE_clEvENKUlvE2_clEvEUlS7_S7_E_S7_EEDaPvRmT3_T4_T5_mT6_P12ihipStream_tbENKUlT_T0_E_clISt17integral_constantIbLb1EESY_IbLb0EEEEDaSU_SV_EUlSU_E0_NS1_11comp_targetILNS1_3genE10ELNS1_11target_archE1200ELNS1_3gpuE4ELNS1_3repE0EEENS1_30default_config_static_selectorELNS0_4arch9wavefront6targetE1EEEvT1_: ; @_ZN7rocprim17ROCPRIM_400000_NS6detail17trampoline_kernelINS0_14default_configENS1_20scan_config_selectorIN3c107complexIfEEEEZZNS1_9scan_implILNS1_25lookback_scan_determinismE0ELb0ELb0ES3_PKS7_PS7_S7_ZZZN2at6native31launch_logcumsumexp_cuda_kernelERKNSE_10TensorBaseESI_lENKUlvE_clEvENKUlvE2_clEvEUlS7_S7_E_S7_EEDaPvRmT3_T4_T5_mT6_P12ihipStream_tbENKUlT_T0_E_clISt17integral_constantIbLb1EESY_IbLb0EEEEDaSU_SV_EUlSU_E0_NS1_11comp_targetILNS1_3genE10ELNS1_11target_archE1200ELNS1_3gpuE4ELNS1_3repE0EEENS1_30default_config_static_selectorELNS0_4arch9wavefront6targetE1EEEvT1_
; %bb.0:
	.section	.rodata,"a",@progbits
	.p2align	6, 0x0
	.amdhsa_kernel _ZN7rocprim17ROCPRIM_400000_NS6detail17trampoline_kernelINS0_14default_configENS1_20scan_config_selectorIN3c107complexIfEEEEZZNS1_9scan_implILNS1_25lookback_scan_determinismE0ELb0ELb0ES3_PKS7_PS7_S7_ZZZN2at6native31launch_logcumsumexp_cuda_kernelERKNSE_10TensorBaseESI_lENKUlvE_clEvENKUlvE2_clEvEUlS7_S7_E_S7_EEDaPvRmT3_T4_T5_mT6_P12ihipStream_tbENKUlT_T0_E_clISt17integral_constantIbLb1EESY_IbLb0EEEEDaSU_SV_EUlSU_E0_NS1_11comp_targetILNS1_3genE10ELNS1_11target_archE1200ELNS1_3gpuE4ELNS1_3repE0EEENS1_30default_config_static_selectorELNS0_4arch9wavefront6targetE1EEEvT1_
		.amdhsa_group_segment_fixed_size 0
		.amdhsa_private_segment_fixed_size 0
		.amdhsa_kernarg_size 40
		.amdhsa_user_sgpr_count 2
		.amdhsa_user_sgpr_dispatch_ptr 0
		.amdhsa_user_sgpr_queue_ptr 0
		.amdhsa_user_sgpr_kernarg_segment_ptr 1
		.amdhsa_user_sgpr_dispatch_id 0
		.amdhsa_user_sgpr_kernarg_preload_length 0
		.amdhsa_user_sgpr_kernarg_preload_offset 0
		.amdhsa_user_sgpr_private_segment_size 0
		.amdhsa_uses_dynamic_stack 0
		.amdhsa_enable_private_segment 0
		.amdhsa_system_sgpr_workgroup_id_x 1
		.amdhsa_system_sgpr_workgroup_id_y 0
		.amdhsa_system_sgpr_workgroup_id_z 0
		.amdhsa_system_sgpr_workgroup_info 0
		.amdhsa_system_vgpr_workitem_id 0
		.amdhsa_next_free_vgpr 1
		.amdhsa_next_free_sgpr 0
		.amdhsa_accum_offset 4
		.amdhsa_reserve_vcc 0
		.amdhsa_float_round_mode_32 0
		.amdhsa_float_round_mode_16_64 0
		.amdhsa_float_denorm_mode_32 3
		.amdhsa_float_denorm_mode_16_64 3
		.amdhsa_dx10_clamp 1
		.amdhsa_ieee_mode 1
		.amdhsa_fp16_overflow 0
		.amdhsa_tg_split 0
		.amdhsa_exception_fp_ieee_invalid_op 0
		.amdhsa_exception_fp_denorm_src 0
		.amdhsa_exception_fp_ieee_div_zero 0
		.amdhsa_exception_fp_ieee_overflow 0
		.amdhsa_exception_fp_ieee_underflow 0
		.amdhsa_exception_fp_ieee_inexact 0
		.amdhsa_exception_int_div_zero 0
	.end_amdhsa_kernel
	.section	.text._ZN7rocprim17ROCPRIM_400000_NS6detail17trampoline_kernelINS0_14default_configENS1_20scan_config_selectorIN3c107complexIfEEEEZZNS1_9scan_implILNS1_25lookback_scan_determinismE0ELb0ELb0ES3_PKS7_PS7_S7_ZZZN2at6native31launch_logcumsumexp_cuda_kernelERKNSE_10TensorBaseESI_lENKUlvE_clEvENKUlvE2_clEvEUlS7_S7_E_S7_EEDaPvRmT3_T4_T5_mT6_P12ihipStream_tbENKUlT_T0_E_clISt17integral_constantIbLb1EESY_IbLb0EEEEDaSU_SV_EUlSU_E0_NS1_11comp_targetILNS1_3genE10ELNS1_11target_archE1200ELNS1_3gpuE4ELNS1_3repE0EEENS1_30default_config_static_selectorELNS0_4arch9wavefront6targetE1EEEvT1_,"axG",@progbits,_ZN7rocprim17ROCPRIM_400000_NS6detail17trampoline_kernelINS0_14default_configENS1_20scan_config_selectorIN3c107complexIfEEEEZZNS1_9scan_implILNS1_25lookback_scan_determinismE0ELb0ELb0ES3_PKS7_PS7_S7_ZZZN2at6native31launch_logcumsumexp_cuda_kernelERKNSE_10TensorBaseESI_lENKUlvE_clEvENKUlvE2_clEvEUlS7_S7_E_S7_EEDaPvRmT3_T4_T5_mT6_P12ihipStream_tbENKUlT_T0_E_clISt17integral_constantIbLb1EESY_IbLb0EEEEDaSU_SV_EUlSU_E0_NS1_11comp_targetILNS1_3genE10ELNS1_11target_archE1200ELNS1_3gpuE4ELNS1_3repE0EEENS1_30default_config_static_selectorELNS0_4arch9wavefront6targetE1EEEvT1_,comdat
.Lfunc_end325:
	.size	_ZN7rocprim17ROCPRIM_400000_NS6detail17trampoline_kernelINS0_14default_configENS1_20scan_config_selectorIN3c107complexIfEEEEZZNS1_9scan_implILNS1_25lookback_scan_determinismE0ELb0ELb0ES3_PKS7_PS7_S7_ZZZN2at6native31launch_logcumsumexp_cuda_kernelERKNSE_10TensorBaseESI_lENKUlvE_clEvENKUlvE2_clEvEUlS7_S7_E_S7_EEDaPvRmT3_T4_T5_mT6_P12ihipStream_tbENKUlT_T0_E_clISt17integral_constantIbLb1EESY_IbLb0EEEEDaSU_SV_EUlSU_E0_NS1_11comp_targetILNS1_3genE10ELNS1_11target_archE1200ELNS1_3gpuE4ELNS1_3repE0EEENS1_30default_config_static_selectorELNS0_4arch9wavefront6targetE1EEEvT1_, .Lfunc_end325-_ZN7rocprim17ROCPRIM_400000_NS6detail17trampoline_kernelINS0_14default_configENS1_20scan_config_selectorIN3c107complexIfEEEEZZNS1_9scan_implILNS1_25lookback_scan_determinismE0ELb0ELb0ES3_PKS7_PS7_S7_ZZZN2at6native31launch_logcumsumexp_cuda_kernelERKNSE_10TensorBaseESI_lENKUlvE_clEvENKUlvE2_clEvEUlS7_S7_E_S7_EEDaPvRmT3_T4_T5_mT6_P12ihipStream_tbENKUlT_T0_E_clISt17integral_constantIbLb1EESY_IbLb0EEEEDaSU_SV_EUlSU_E0_NS1_11comp_targetILNS1_3genE10ELNS1_11target_archE1200ELNS1_3gpuE4ELNS1_3repE0EEENS1_30default_config_static_selectorELNS0_4arch9wavefront6targetE1EEEvT1_
                                        ; -- End function
	.set _ZN7rocprim17ROCPRIM_400000_NS6detail17trampoline_kernelINS0_14default_configENS1_20scan_config_selectorIN3c107complexIfEEEEZZNS1_9scan_implILNS1_25lookback_scan_determinismE0ELb0ELb0ES3_PKS7_PS7_S7_ZZZN2at6native31launch_logcumsumexp_cuda_kernelERKNSE_10TensorBaseESI_lENKUlvE_clEvENKUlvE2_clEvEUlS7_S7_E_S7_EEDaPvRmT3_T4_T5_mT6_P12ihipStream_tbENKUlT_T0_E_clISt17integral_constantIbLb1EESY_IbLb0EEEEDaSU_SV_EUlSU_E0_NS1_11comp_targetILNS1_3genE10ELNS1_11target_archE1200ELNS1_3gpuE4ELNS1_3repE0EEENS1_30default_config_static_selectorELNS0_4arch9wavefront6targetE1EEEvT1_.num_vgpr, 0
	.set _ZN7rocprim17ROCPRIM_400000_NS6detail17trampoline_kernelINS0_14default_configENS1_20scan_config_selectorIN3c107complexIfEEEEZZNS1_9scan_implILNS1_25lookback_scan_determinismE0ELb0ELb0ES3_PKS7_PS7_S7_ZZZN2at6native31launch_logcumsumexp_cuda_kernelERKNSE_10TensorBaseESI_lENKUlvE_clEvENKUlvE2_clEvEUlS7_S7_E_S7_EEDaPvRmT3_T4_T5_mT6_P12ihipStream_tbENKUlT_T0_E_clISt17integral_constantIbLb1EESY_IbLb0EEEEDaSU_SV_EUlSU_E0_NS1_11comp_targetILNS1_3genE10ELNS1_11target_archE1200ELNS1_3gpuE4ELNS1_3repE0EEENS1_30default_config_static_selectorELNS0_4arch9wavefront6targetE1EEEvT1_.num_agpr, 0
	.set _ZN7rocprim17ROCPRIM_400000_NS6detail17trampoline_kernelINS0_14default_configENS1_20scan_config_selectorIN3c107complexIfEEEEZZNS1_9scan_implILNS1_25lookback_scan_determinismE0ELb0ELb0ES3_PKS7_PS7_S7_ZZZN2at6native31launch_logcumsumexp_cuda_kernelERKNSE_10TensorBaseESI_lENKUlvE_clEvENKUlvE2_clEvEUlS7_S7_E_S7_EEDaPvRmT3_T4_T5_mT6_P12ihipStream_tbENKUlT_T0_E_clISt17integral_constantIbLb1EESY_IbLb0EEEEDaSU_SV_EUlSU_E0_NS1_11comp_targetILNS1_3genE10ELNS1_11target_archE1200ELNS1_3gpuE4ELNS1_3repE0EEENS1_30default_config_static_selectorELNS0_4arch9wavefront6targetE1EEEvT1_.numbered_sgpr, 0
	.set _ZN7rocprim17ROCPRIM_400000_NS6detail17trampoline_kernelINS0_14default_configENS1_20scan_config_selectorIN3c107complexIfEEEEZZNS1_9scan_implILNS1_25lookback_scan_determinismE0ELb0ELb0ES3_PKS7_PS7_S7_ZZZN2at6native31launch_logcumsumexp_cuda_kernelERKNSE_10TensorBaseESI_lENKUlvE_clEvENKUlvE2_clEvEUlS7_S7_E_S7_EEDaPvRmT3_T4_T5_mT6_P12ihipStream_tbENKUlT_T0_E_clISt17integral_constantIbLb1EESY_IbLb0EEEEDaSU_SV_EUlSU_E0_NS1_11comp_targetILNS1_3genE10ELNS1_11target_archE1200ELNS1_3gpuE4ELNS1_3repE0EEENS1_30default_config_static_selectorELNS0_4arch9wavefront6targetE1EEEvT1_.num_named_barrier, 0
	.set _ZN7rocprim17ROCPRIM_400000_NS6detail17trampoline_kernelINS0_14default_configENS1_20scan_config_selectorIN3c107complexIfEEEEZZNS1_9scan_implILNS1_25lookback_scan_determinismE0ELb0ELb0ES3_PKS7_PS7_S7_ZZZN2at6native31launch_logcumsumexp_cuda_kernelERKNSE_10TensorBaseESI_lENKUlvE_clEvENKUlvE2_clEvEUlS7_S7_E_S7_EEDaPvRmT3_T4_T5_mT6_P12ihipStream_tbENKUlT_T0_E_clISt17integral_constantIbLb1EESY_IbLb0EEEEDaSU_SV_EUlSU_E0_NS1_11comp_targetILNS1_3genE10ELNS1_11target_archE1200ELNS1_3gpuE4ELNS1_3repE0EEENS1_30default_config_static_selectorELNS0_4arch9wavefront6targetE1EEEvT1_.private_seg_size, 0
	.set _ZN7rocprim17ROCPRIM_400000_NS6detail17trampoline_kernelINS0_14default_configENS1_20scan_config_selectorIN3c107complexIfEEEEZZNS1_9scan_implILNS1_25lookback_scan_determinismE0ELb0ELb0ES3_PKS7_PS7_S7_ZZZN2at6native31launch_logcumsumexp_cuda_kernelERKNSE_10TensorBaseESI_lENKUlvE_clEvENKUlvE2_clEvEUlS7_S7_E_S7_EEDaPvRmT3_T4_T5_mT6_P12ihipStream_tbENKUlT_T0_E_clISt17integral_constantIbLb1EESY_IbLb0EEEEDaSU_SV_EUlSU_E0_NS1_11comp_targetILNS1_3genE10ELNS1_11target_archE1200ELNS1_3gpuE4ELNS1_3repE0EEENS1_30default_config_static_selectorELNS0_4arch9wavefront6targetE1EEEvT1_.uses_vcc, 0
	.set _ZN7rocprim17ROCPRIM_400000_NS6detail17trampoline_kernelINS0_14default_configENS1_20scan_config_selectorIN3c107complexIfEEEEZZNS1_9scan_implILNS1_25lookback_scan_determinismE0ELb0ELb0ES3_PKS7_PS7_S7_ZZZN2at6native31launch_logcumsumexp_cuda_kernelERKNSE_10TensorBaseESI_lENKUlvE_clEvENKUlvE2_clEvEUlS7_S7_E_S7_EEDaPvRmT3_T4_T5_mT6_P12ihipStream_tbENKUlT_T0_E_clISt17integral_constantIbLb1EESY_IbLb0EEEEDaSU_SV_EUlSU_E0_NS1_11comp_targetILNS1_3genE10ELNS1_11target_archE1200ELNS1_3gpuE4ELNS1_3repE0EEENS1_30default_config_static_selectorELNS0_4arch9wavefront6targetE1EEEvT1_.uses_flat_scratch, 0
	.set _ZN7rocprim17ROCPRIM_400000_NS6detail17trampoline_kernelINS0_14default_configENS1_20scan_config_selectorIN3c107complexIfEEEEZZNS1_9scan_implILNS1_25lookback_scan_determinismE0ELb0ELb0ES3_PKS7_PS7_S7_ZZZN2at6native31launch_logcumsumexp_cuda_kernelERKNSE_10TensorBaseESI_lENKUlvE_clEvENKUlvE2_clEvEUlS7_S7_E_S7_EEDaPvRmT3_T4_T5_mT6_P12ihipStream_tbENKUlT_T0_E_clISt17integral_constantIbLb1EESY_IbLb0EEEEDaSU_SV_EUlSU_E0_NS1_11comp_targetILNS1_3genE10ELNS1_11target_archE1200ELNS1_3gpuE4ELNS1_3repE0EEENS1_30default_config_static_selectorELNS0_4arch9wavefront6targetE1EEEvT1_.has_dyn_sized_stack, 0
	.set _ZN7rocprim17ROCPRIM_400000_NS6detail17trampoline_kernelINS0_14default_configENS1_20scan_config_selectorIN3c107complexIfEEEEZZNS1_9scan_implILNS1_25lookback_scan_determinismE0ELb0ELb0ES3_PKS7_PS7_S7_ZZZN2at6native31launch_logcumsumexp_cuda_kernelERKNSE_10TensorBaseESI_lENKUlvE_clEvENKUlvE2_clEvEUlS7_S7_E_S7_EEDaPvRmT3_T4_T5_mT6_P12ihipStream_tbENKUlT_T0_E_clISt17integral_constantIbLb1EESY_IbLb0EEEEDaSU_SV_EUlSU_E0_NS1_11comp_targetILNS1_3genE10ELNS1_11target_archE1200ELNS1_3gpuE4ELNS1_3repE0EEENS1_30default_config_static_selectorELNS0_4arch9wavefront6targetE1EEEvT1_.has_recursion, 0
	.set _ZN7rocprim17ROCPRIM_400000_NS6detail17trampoline_kernelINS0_14default_configENS1_20scan_config_selectorIN3c107complexIfEEEEZZNS1_9scan_implILNS1_25lookback_scan_determinismE0ELb0ELb0ES3_PKS7_PS7_S7_ZZZN2at6native31launch_logcumsumexp_cuda_kernelERKNSE_10TensorBaseESI_lENKUlvE_clEvENKUlvE2_clEvEUlS7_S7_E_S7_EEDaPvRmT3_T4_T5_mT6_P12ihipStream_tbENKUlT_T0_E_clISt17integral_constantIbLb1EESY_IbLb0EEEEDaSU_SV_EUlSU_E0_NS1_11comp_targetILNS1_3genE10ELNS1_11target_archE1200ELNS1_3gpuE4ELNS1_3repE0EEENS1_30default_config_static_selectorELNS0_4arch9wavefront6targetE1EEEvT1_.has_indirect_call, 0
	.section	.AMDGPU.csdata,"",@progbits
; Kernel info:
; codeLenInByte = 0
; TotalNumSgprs: 6
; NumVgprs: 0
; NumAgprs: 0
; TotalNumVgprs: 0
; ScratchSize: 0
; MemoryBound: 0
; FloatMode: 240
; IeeeMode: 1
; LDSByteSize: 0 bytes/workgroup (compile time only)
; SGPRBlocks: 0
; VGPRBlocks: 0
; NumSGPRsForWavesPerEU: 6
; NumVGPRsForWavesPerEU: 1
; AccumOffset: 4
; Occupancy: 8
; WaveLimiterHint : 0
; COMPUTE_PGM_RSRC2:SCRATCH_EN: 0
; COMPUTE_PGM_RSRC2:USER_SGPR: 2
; COMPUTE_PGM_RSRC2:TRAP_HANDLER: 0
; COMPUTE_PGM_RSRC2:TGID_X_EN: 1
; COMPUTE_PGM_RSRC2:TGID_Y_EN: 0
; COMPUTE_PGM_RSRC2:TGID_Z_EN: 0
; COMPUTE_PGM_RSRC2:TIDIG_COMP_CNT: 0
; COMPUTE_PGM_RSRC3_GFX90A:ACCUM_OFFSET: 0
; COMPUTE_PGM_RSRC3_GFX90A:TG_SPLIT: 0
	.section	.text._ZN7rocprim17ROCPRIM_400000_NS6detail17trampoline_kernelINS0_14default_configENS1_20scan_config_selectorIN3c107complexIfEEEEZZNS1_9scan_implILNS1_25lookback_scan_determinismE0ELb0ELb0ES3_PKS7_PS7_S7_ZZZN2at6native31launch_logcumsumexp_cuda_kernelERKNSE_10TensorBaseESI_lENKUlvE_clEvENKUlvE2_clEvEUlS7_S7_E_S7_EEDaPvRmT3_T4_T5_mT6_P12ihipStream_tbENKUlT_T0_E_clISt17integral_constantIbLb1EESY_IbLb0EEEEDaSU_SV_EUlSU_E0_NS1_11comp_targetILNS1_3genE9ELNS1_11target_archE1100ELNS1_3gpuE3ELNS1_3repE0EEENS1_30default_config_static_selectorELNS0_4arch9wavefront6targetE1EEEvT1_,"axG",@progbits,_ZN7rocprim17ROCPRIM_400000_NS6detail17trampoline_kernelINS0_14default_configENS1_20scan_config_selectorIN3c107complexIfEEEEZZNS1_9scan_implILNS1_25lookback_scan_determinismE0ELb0ELb0ES3_PKS7_PS7_S7_ZZZN2at6native31launch_logcumsumexp_cuda_kernelERKNSE_10TensorBaseESI_lENKUlvE_clEvENKUlvE2_clEvEUlS7_S7_E_S7_EEDaPvRmT3_T4_T5_mT6_P12ihipStream_tbENKUlT_T0_E_clISt17integral_constantIbLb1EESY_IbLb0EEEEDaSU_SV_EUlSU_E0_NS1_11comp_targetILNS1_3genE9ELNS1_11target_archE1100ELNS1_3gpuE3ELNS1_3repE0EEENS1_30default_config_static_selectorELNS0_4arch9wavefront6targetE1EEEvT1_,comdat
	.globl	_ZN7rocprim17ROCPRIM_400000_NS6detail17trampoline_kernelINS0_14default_configENS1_20scan_config_selectorIN3c107complexIfEEEEZZNS1_9scan_implILNS1_25lookback_scan_determinismE0ELb0ELb0ES3_PKS7_PS7_S7_ZZZN2at6native31launch_logcumsumexp_cuda_kernelERKNSE_10TensorBaseESI_lENKUlvE_clEvENKUlvE2_clEvEUlS7_S7_E_S7_EEDaPvRmT3_T4_T5_mT6_P12ihipStream_tbENKUlT_T0_E_clISt17integral_constantIbLb1EESY_IbLb0EEEEDaSU_SV_EUlSU_E0_NS1_11comp_targetILNS1_3genE9ELNS1_11target_archE1100ELNS1_3gpuE3ELNS1_3repE0EEENS1_30default_config_static_selectorELNS0_4arch9wavefront6targetE1EEEvT1_ ; -- Begin function _ZN7rocprim17ROCPRIM_400000_NS6detail17trampoline_kernelINS0_14default_configENS1_20scan_config_selectorIN3c107complexIfEEEEZZNS1_9scan_implILNS1_25lookback_scan_determinismE0ELb0ELb0ES3_PKS7_PS7_S7_ZZZN2at6native31launch_logcumsumexp_cuda_kernelERKNSE_10TensorBaseESI_lENKUlvE_clEvENKUlvE2_clEvEUlS7_S7_E_S7_EEDaPvRmT3_T4_T5_mT6_P12ihipStream_tbENKUlT_T0_E_clISt17integral_constantIbLb1EESY_IbLb0EEEEDaSU_SV_EUlSU_E0_NS1_11comp_targetILNS1_3genE9ELNS1_11target_archE1100ELNS1_3gpuE3ELNS1_3repE0EEENS1_30default_config_static_selectorELNS0_4arch9wavefront6targetE1EEEvT1_
	.p2align	8
	.type	_ZN7rocprim17ROCPRIM_400000_NS6detail17trampoline_kernelINS0_14default_configENS1_20scan_config_selectorIN3c107complexIfEEEEZZNS1_9scan_implILNS1_25lookback_scan_determinismE0ELb0ELb0ES3_PKS7_PS7_S7_ZZZN2at6native31launch_logcumsumexp_cuda_kernelERKNSE_10TensorBaseESI_lENKUlvE_clEvENKUlvE2_clEvEUlS7_S7_E_S7_EEDaPvRmT3_T4_T5_mT6_P12ihipStream_tbENKUlT_T0_E_clISt17integral_constantIbLb1EESY_IbLb0EEEEDaSU_SV_EUlSU_E0_NS1_11comp_targetILNS1_3genE9ELNS1_11target_archE1100ELNS1_3gpuE3ELNS1_3repE0EEENS1_30default_config_static_selectorELNS0_4arch9wavefront6targetE1EEEvT1_,@function
_ZN7rocprim17ROCPRIM_400000_NS6detail17trampoline_kernelINS0_14default_configENS1_20scan_config_selectorIN3c107complexIfEEEEZZNS1_9scan_implILNS1_25lookback_scan_determinismE0ELb0ELb0ES3_PKS7_PS7_S7_ZZZN2at6native31launch_logcumsumexp_cuda_kernelERKNSE_10TensorBaseESI_lENKUlvE_clEvENKUlvE2_clEvEUlS7_S7_E_S7_EEDaPvRmT3_T4_T5_mT6_P12ihipStream_tbENKUlT_T0_E_clISt17integral_constantIbLb1EESY_IbLb0EEEEDaSU_SV_EUlSU_E0_NS1_11comp_targetILNS1_3genE9ELNS1_11target_archE1100ELNS1_3gpuE3ELNS1_3repE0EEENS1_30default_config_static_selectorELNS0_4arch9wavefront6targetE1EEEvT1_: ; @_ZN7rocprim17ROCPRIM_400000_NS6detail17trampoline_kernelINS0_14default_configENS1_20scan_config_selectorIN3c107complexIfEEEEZZNS1_9scan_implILNS1_25lookback_scan_determinismE0ELb0ELb0ES3_PKS7_PS7_S7_ZZZN2at6native31launch_logcumsumexp_cuda_kernelERKNSE_10TensorBaseESI_lENKUlvE_clEvENKUlvE2_clEvEUlS7_S7_E_S7_EEDaPvRmT3_T4_T5_mT6_P12ihipStream_tbENKUlT_T0_E_clISt17integral_constantIbLb1EESY_IbLb0EEEEDaSU_SV_EUlSU_E0_NS1_11comp_targetILNS1_3genE9ELNS1_11target_archE1100ELNS1_3gpuE3ELNS1_3repE0EEENS1_30default_config_static_selectorELNS0_4arch9wavefront6targetE1EEEvT1_
; %bb.0:
	.section	.rodata,"a",@progbits
	.p2align	6, 0x0
	.amdhsa_kernel _ZN7rocprim17ROCPRIM_400000_NS6detail17trampoline_kernelINS0_14default_configENS1_20scan_config_selectorIN3c107complexIfEEEEZZNS1_9scan_implILNS1_25lookback_scan_determinismE0ELb0ELb0ES3_PKS7_PS7_S7_ZZZN2at6native31launch_logcumsumexp_cuda_kernelERKNSE_10TensorBaseESI_lENKUlvE_clEvENKUlvE2_clEvEUlS7_S7_E_S7_EEDaPvRmT3_T4_T5_mT6_P12ihipStream_tbENKUlT_T0_E_clISt17integral_constantIbLb1EESY_IbLb0EEEEDaSU_SV_EUlSU_E0_NS1_11comp_targetILNS1_3genE9ELNS1_11target_archE1100ELNS1_3gpuE3ELNS1_3repE0EEENS1_30default_config_static_selectorELNS0_4arch9wavefront6targetE1EEEvT1_
		.amdhsa_group_segment_fixed_size 0
		.amdhsa_private_segment_fixed_size 0
		.amdhsa_kernarg_size 40
		.amdhsa_user_sgpr_count 2
		.amdhsa_user_sgpr_dispatch_ptr 0
		.amdhsa_user_sgpr_queue_ptr 0
		.amdhsa_user_sgpr_kernarg_segment_ptr 1
		.amdhsa_user_sgpr_dispatch_id 0
		.amdhsa_user_sgpr_kernarg_preload_length 0
		.amdhsa_user_sgpr_kernarg_preload_offset 0
		.amdhsa_user_sgpr_private_segment_size 0
		.amdhsa_uses_dynamic_stack 0
		.amdhsa_enable_private_segment 0
		.amdhsa_system_sgpr_workgroup_id_x 1
		.amdhsa_system_sgpr_workgroup_id_y 0
		.amdhsa_system_sgpr_workgroup_id_z 0
		.amdhsa_system_sgpr_workgroup_info 0
		.amdhsa_system_vgpr_workitem_id 0
		.amdhsa_next_free_vgpr 1
		.amdhsa_next_free_sgpr 0
		.amdhsa_accum_offset 4
		.amdhsa_reserve_vcc 0
		.amdhsa_float_round_mode_32 0
		.amdhsa_float_round_mode_16_64 0
		.amdhsa_float_denorm_mode_32 3
		.amdhsa_float_denorm_mode_16_64 3
		.amdhsa_dx10_clamp 1
		.amdhsa_ieee_mode 1
		.amdhsa_fp16_overflow 0
		.amdhsa_tg_split 0
		.amdhsa_exception_fp_ieee_invalid_op 0
		.amdhsa_exception_fp_denorm_src 0
		.amdhsa_exception_fp_ieee_div_zero 0
		.amdhsa_exception_fp_ieee_overflow 0
		.amdhsa_exception_fp_ieee_underflow 0
		.amdhsa_exception_fp_ieee_inexact 0
		.amdhsa_exception_int_div_zero 0
	.end_amdhsa_kernel
	.section	.text._ZN7rocprim17ROCPRIM_400000_NS6detail17trampoline_kernelINS0_14default_configENS1_20scan_config_selectorIN3c107complexIfEEEEZZNS1_9scan_implILNS1_25lookback_scan_determinismE0ELb0ELb0ES3_PKS7_PS7_S7_ZZZN2at6native31launch_logcumsumexp_cuda_kernelERKNSE_10TensorBaseESI_lENKUlvE_clEvENKUlvE2_clEvEUlS7_S7_E_S7_EEDaPvRmT3_T4_T5_mT6_P12ihipStream_tbENKUlT_T0_E_clISt17integral_constantIbLb1EESY_IbLb0EEEEDaSU_SV_EUlSU_E0_NS1_11comp_targetILNS1_3genE9ELNS1_11target_archE1100ELNS1_3gpuE3ELNS1_3repE0EEENS1_30default_config_static_selectorELNS0_4arch9wavefront6targetE1EEEvT1_,"axG",@progbits,_ZN7rocprim17ROCPRIM_400000_NS6detail17trampoline_kernelINS0_14default_configENS1_20scan_config_selectorIN3c107complexIfEEEEZZNS1_9scan_implILNS1_25lookback_scan_determinismE0ELb0ELb0ES3_PKS7_PS7_S7_ZZZN2at6native31launch_logcumsumexp_cuda_kernelERKNSE_10TensorBaseESI_lENKUlvE_clEvENKUlvE2_clEvEUlS7_S7_E_S7_EEDaPvRmT3_T4_T5_mT6_P12ihipStream_tbENKUlT_T0_E_clISt17integral_constantIbLb1EESY_IbLb0EEEEDaSU_SV_EUlSU_E0_NS1_11comp_targetILNS1_3genE9ELNS1_11target_archE1100ELNS1_3gpuE3ELNS1_3repE0EEENS1_30default_config_static_selectorELNS0_4arch9wavefront6targetE1EEEvT1_,comdat
.Lfunc_end326:
	.size	_ZN7rocprim17ROCPRIM_400000_NS6detail17trampoline_kernelINS0_14default_configENS1_20scan_config_selectorIN3c107complexIfEEEEZZNS1_9scan_implILNS1_25lookback_scan_determinismE0ELb0ELb0ES3_PKS7_PS7_S7_ZZZN2at6native31launch_logcumsumexp_cuda_kernelERKNSE_10TensorBaseESI_lENKUlvE_clEvENKUlvE2_clEvEUlS7_S7_E_S7_EEDaPvRmT3_T4_T5_mT6_P12ihipStream_tbENKUlT_T0_E_clISt17integral_constantIbLb1EESY_IbLb0EEEEDaSU_SV_EUlSU_E0_NS1_11comp_targetILNS1_3genE9ELNS1_11target_archE1100ELNS1_3gpuE3ELNS1_3repE0EEENS1_30default_config_static_selectorELNS0_4arch9wavefront6targetE1EEEvT1_, .Lfunc_end326-_ZN7rocprim17ROCPRIM_400000_NS6detail17trampoline_kernelINS0_14default_configENS1_20scan_config_selectorIN3c107complexIfEEEEZZNS1_9scan_implILNS1_25lookback_scan_determinismE0ELb0ELb0ES3_PKS7_PS7_S7_ZZZN2at6native31launch_logcumsumexp_cuda_kernelERKNSE_10TensorBaseESI_lENKUlvE_clEvENKUlvE2_clEvEUlS7_S7_E_S7_EEDaPvRmT3_T4_T5_mT6_P12ihipStream_tbENKUlT_T0_E_clISt17integral_constantIbLb1EESY_IbLb0EEEEDaSU_SV_EUlSU_E0_NS1_11comp_targetILNS1_3genE9ELNS1_11target_archE1100ELNS1_3gpuE3ELNS1_3repE0EEENS1_30default_config_static_selectorELNS0_4arch9wavefront6targetE1EEEvT1_
                                        ; -- End function
	.set _ZN7rocprim17ROCPRIM_400000_NS6detail17trampoline_kernelINS0_14default_configENS1_20scan_config_selectorIN3c107complexIfEEEEZZNS1_9scan_implILNS1_25lookback_scan_determinismE0ELb0ELb0ES3_PKS7_PS7_S7_ZZZN2at6native31launch_logcumsumexp_cuda_kernelERKNSE_10TensorBaseESI_lENKUlvE_clEvENKUlvE2_clEvEUlS7_S7_E_S7_EEDaPvRmT3_T4_T5_mT6_P12ihipStream_tbENKUlT_T0_E_clISt17integral_constantIbLb1EESY_IbLb0EEEEDaSU_SV_EUlSU_E0_NS1_11comp_targetILNS1_3genE9ELNS1_11target_archE1100ELNS1_3gpuE3ELNS1_3repE0EEENS1_30default_config_static_selectorELNS0_4arch9wavefront6targetE1EEEvT1_.num_vgpr, 0
	.set _ZN7rocprim17ROCPRIM_400000_NS6detail17trampoline_kernelINS0_14default_configENS1_20scan_config_selectorIN3c107complexIfEEEEZZNS1_9scan_implILNS1_25lookback_scan_determinismE0ELb0ELb0ES3_PKS7_PS7_S7_ZZZN2at6native31launch_logcumsumexp_cuda_kernelERKNSE_10TensorBaseESI_lENKUlvE_clEvENKUlvE2_clEvEUlS7_S7_E_S7_EEDaPvRmT3_T4_T5_mT6_P12ihipStream_tbENKUlT_T0_E_clISt17integral_constantIbLb1EESY_IbLb0EEEEDaSU_SV_EUlSU_E0_NS1_11comp_targetILNS1_3genE9ELNS1_11target_archE1100ELNS1_3gpuE3ELNS1_3repE0EEENS1_30default_config_static_selectorELNS0_4arch9wavefront6targetE1EEEvT1_.num_agpr, 0
	.set _ZN7rocprim17ROCPRIM_400000_NS6detail17trampoline_kernelINS0_14default_configENS1_20scan_config_selectorIN3c107complexIfEEEEZZNS1_9scan_implILNS1_25lookback_scan_determinismE0ELb0ELb0ES3_PKS7_PS7_S7_ZZZN2at6native31launch_logcumsumexp_cuda_kernelERKNSE_10TensorBaseESI_lENKUlvE_clEvENKUlvE2_clEvEUlS7_S7_E_S7_EEDaPvRmT3_T4_T5_mT6_P12ihipStream_tbENKUlT_T0_E_clISt17integral_constantIbLb1EESY_IbLb0EEEEDaSU_SV_EUlSU_E0_NS1_11comp_targetILNS1_3genE9ELNS1_11target_archE1100ELNS1_3gpuE3ELNS1_3repE0EEENS1_30default_config_static_selectorELNS0_4arch9wavefront6targetE1EEEvT1_.numbered_sgpr, 0
	.set _ZN7rocprim17ROCPRIM_400000_NS6detail17trampoline_kernelINS0_14default_configENS1_20scan_config_selectorIN3c107complexIfEEEEZZNS1_9scan_implILNS1_25lookback_scan_determinismE0ELb0ELb0ES3_PKS7_PS7_S7_ZZZN2at6native31launch_logcumsumexp_cuda_kernelERKNSE_10TensorBaseESI_lENKUlvE_clEvENKUlvE2_clEvEUlS7_S7_E_S7_EEDaPvRmT3_T4_T5_mT6_P12ihipStream_tbENKUlT_T0_E_clISt17integral_constantIbLb1EESY_IbLb0EEEEDaSU_SV_EUlSU_E0_NS1_11comp_targetILNS1_3genE9ELNS1_11target_archE1100ELNS1_3gpuE3ELNS1_3repE0EEENS1_30default_config_static_selectorELNS0_4arch9wavefront6targetE1EEEvT1_.num_named_barrier, 0
	.set _ZN7rocprim17ROCPRIM_400000_NS6detail17trampoline_kernelINS0_14default_configENS1_20scan_config_selectorIN3c107complexIfEEEEZZNS1_9scan_implILNS1_25lookback_scan_determinismE0ELb0ELb0ES3_PKS7_PS7_S7_ZZZN2at6native31launch_logcumsumexp_cuda_kernelERKNSE_10TensorBaseESI_lENKUlvE_clEvENKUlvE2_clEvEUlS7_S7_E_S7_EEDaPvRmT3_T4_T5_mT6_P12ihipStream_tbENKUlT_T0_E_clISt17integral_constantIbLb1EESY_IbLb0EEEEDaSU_SV_EUlSU_E0_NS1_11comp_targetILNS1_3genE9ELNS1_11target_archE1100ELNS1_3gpuE3ELNS1_3repE0EEENS1_30default_config_static_selectorELNS0_4arch9wavefront6targetE1EEEvT1_.private_seg_size, 0
	.set _ZN7rocprim17ROCPRIM_400000_NS6detail17trampoline_kernelINS0_14default_configENS1_20scan_config_selectorIN3c107complexIfEEEEZZNS1_9scan_implILNS1_25lookback_scan_determinismE0ELb0ELb0ES3_PKS7_PS7_S7_ZZZN2at6native31launch_logcumsumexp_cuda_kernelERKNSE_10TensorBaseESI_lENKUlvE_clEvENKUlvE2_clEvEUlS7_S7_E_S7_EEDaPvRmT3_T4_T5_mT6_P12ihipStream_tbENKUlT_T0_E_clISt17integral_constantIbLb1EESY_IbLb0EEEEDaSU_SV_EUlSU_E0_NS1_11comp_targetILNS1_3genE9ELNS1_11target_archE1100ELNS1_3gpuE3ELNS1_3repE0EEENS1_30default_config_static_selectorELNS0_4arch9wavefront6targetE1EEEvT1_.uses_vcc, 0
	.set _ZN7rocprim17ROCPRIM_400000_NS6detail17trampoline_kernelINS0_14default_configENS1_20scan_config_selectorIN3c107complexIfEEEEZZNS1_9scan_implILNS1_25lookback_scan_determinismE0ELb0ELb0ES3_PKS7_PS7_S7_ZZZN2at6native31launch_logcumsumexp_cuda_kernelERKNSE_10TensorBaseESI_lENKUlvE_clEvENKUlvE2_clEvEUlS7_S7_E_S7_EEDaPvRmT3_T4_T5_mT6_P12ihipStream_tbENKUlT_T0_E_clISt17integral_constantIbLb1EESY_IbLb0EEEEDaSU_SV_EUlSU_E0_NS1_11comp_targetILNS1_3genE9ELNS1_11target_archE1100ELNS1_3gpuE3ELNS1_3repE0EEENS1_30default_config_static_selectorELNS0_4arch9wavefront6targetE1EEEvT1_.uses_flat_scratch, 0
	.set _ZN7rocprim17ROCPRIM_400000_NS6detail17trampoline_kernelINS0_14default_configENS1_20scan_config_selectorIN3c107complexIfEEEEZZNS1_9scan_implILNS1_25lookback_scan_determinismE0ELb0ELb0ES3_PKS7_PS7_S7_ZZZN2at6native31launch_logcumsumexp_cuda_kernelERKNSE_10TensorBaseESI_lENKUlvE_clEvENKUlvE2_clEvEUlS7_S7_E_S7_EEDaPvRmT3_T4_T5_mT6_P12ihipStream_tbENKUlT_T0_E_clISt17integral_constantIbLb1EESY_IbLb0EEEEDaSU_SV_EUlSU_E0_NS1_11comp_targetILNS1_3genE9ELNS1_11target_archE1100ELNS1_3gpuE3ELNS1_3repE0EEENS1_30default_config_static_selectorELNS0_4arch9wavefront6targetE1EEEvT1_.has_dyn_sized_stack, 0
	.set _ZN7rocprim17ROCPRIM_400000_NS6detail17trampoline_kernelINS0_14default_configENS1_20scan_config_selectorIN3c107complexIfEEEEZZNS1_9scan_implILNS1_25lookback_scan_determinismE0ELb0ELb0ES3_PKS7_PS7_S7_ZZZN2at6native31launch_logcumsumexp_cuda_kernelERKNSE_10TensorBaseESI_lENKUlvE_clEvENKUlvE2_clEvEUlS7_S7_E_S7_EEDaPvRmT3_T4_T5_mT6_P12ihipStream_tbENKUlT_T0_E_clISt17integral_constantIbLb1EESY_IbLb0EEEEDaSU_SV_EUlSU_E0_NS1_11comp_targetILNS1_3genE9ELNS1_11target_archE1100ELNS1_3gpuE3ELNS1_3repE0EEENS1_30default_config_static_selectorELNS0_4arch9wavefront6targetE1EEEvT1_.has_recursion, 0
	.set _ZN7rocprim17ROCPRIM_400000_NS6detail17trampoline_kernelINS0_14default_configENS1_20scan_config_selectorIN3c107complexIfEEEEZZNS1_9scan_implILNS1_25lookback_scan_determinismE0ELb0ELb0ES3_PKS7_PS7_S7_ZZZN2at6native31launch_logcumsumexp_cuda_kernelERKNSE_10TensorBaseESI_lENKUlvE_clEvENKUlvE2_clEvEUlS7_S7_E_S7_EEDaPvRmT3_T4_T5_mT6_P12ihipStream_tbENKUlT_T0_E_clISt17integral_constantIbLb1EESY_IbLb0EEEEDaSU_SV_EUlSU_E0_NS1_11comp_targetILNS1_3genE9ELNS1_11target_archE1100ELNS1_3gpuE3ELNS1_3repE0EEENS1_30default_config_static_selectorELNS0_4arch9wavefront6targetE1EEEvT1_.has_indirect_call, 0
	.section	.AMDGPU.csdata,"",@progbits
; Kernel info:
; codeLenInByte = 0
; TotalNumSgprs: 6
; NumVgprs: 0
; NumAgprs: 0
; TotalNumVgprs: 0
; ScratchSize: 0
; MemoryBound: 0
; FloatMode: 240
; IeeeMode: 1
; LDSByteSize: 0 bytes/workgroup (compile time only)
; SGPRBlocks: 0
; VGPRBlocks: 0
; NumSGPRsForWavesPerEU: 6
; NumVGPRsForWavesPerEU: 1
; AccumOffset: 4
; Occupancy: 8
; WaveLimiterHint : 0
; COMPUTE_PGM_RSRC2:SCRATCH_EN: 0
; COMPUTE_PGM_RSRC2:USER_SGPR: 2
; COMPUTE_PGM_RSRC2:TRAP_HANDLER: 0
; COMPUTE_PGM_RSRC2:TGID_X_EN: 1
; COMPUTE_PGM_RSRC2:TGID_Y_EN: 0
; COMPUTE_PGM_RSRC2:TGID_Z_EN: 0
; COMPUTE_PGM_RSRC2:TIDIG_COMP_CNT: 0
; COMPUTE_PGM_RSRC3_GFX90A:ACCUM_OFFSET: 0
; COMPUTE_PGM_RSRC3_GFX90A:TG_SPLIT: 0
	.section	.text._ZN7rocprim17ROCPRIM_400000_NS6detail17trampoline_kernelINS0_14default_configENS1_20scan_config_selectorIN3c107complexIfEEEEZZNS1_9scan_implILNS1_25lookback_scan_determinismE0ELb0ELb0ES3_PKS7_PS7_S7_ZZZN2at6native31launch_logcumsumexp_cuda_kernelERKNSE_10TensorBaseESI_lENKUlvE_clEvENKUlvE2_clEvEUlS7_S7_E_S7_EEDaPvRmT3_T4_T5_mT6_P12ihipStream_tbENKUlT_T0_E_clISt17integral_constantIbLb1EESY_IbLb0EEEEDaSU_SV_EUlSU_E0_NS1_11comp_targetILNS1_3genE8ELNS1_11target_archE1030ELNS1_3gpuE2ELNS1_3repE0EEENS1_30default_config_static_selectorELNS0_4arch9wavefront6targetE1EEEvT1_,"axG",@progbits,_ZN7rocprim17ROCPRIM_400000_NS6detail17trampoline_kernelINS0_14default_configENS1_20scan_config_selectorIN3c107complexIfEEEEZZNS1_9scan_implILNS1_25lookback_scan_determinismE0ELb0ELb0ES3_PKS7_PS7_S7_ZZZN2at6native31launch_logcumsumexp_cuda_kernelERKNSE_10TensorBaseESI_lENKUlvE_clEvENKUlvE2_clEvEUlS7_S7_E_S7_EEDaPvRmT3_T4_T5_mT6_P12ihipStream_tbENKUlT_T0_E_clISt17integral_constantIbLb1EESY_IbLb0EEEEDaSU_SV_EUlSU_E0_NS1_11comp_targetILNS1_3genE8ELNS1_11target_archE1030ELNS1_3gpuE2ELNS1_3repE0EEENS1_30default_config_static_selectorELNS0_4arch9wavefront6targetE1EEEvT1_,comdat
	.globl	_ZN7rocprim17ROCPRIM_400000_NS6detail17trampoline_kernelINS0_14default_configENS1_20scan_config_selectorIN3c107complexIfEEEEZZNS1_9scan_implILNS1_25lookback_scan_determinismE0ELb0ELb0ES3_PKS7_PS7_S7_ZZZN2at6native31launch_logcumsumexp_cuda_kernelERKNSE_10TensorBaseESI_lENKUlvE_clEvENKUlvE2_clEvEUlS7_S7_E_S7_EEDaPvRmT3_T4_T5_mT6_P12ihipStream_tbENKUlT_T0_E_clISt17integral_constantIbLb1EESY_IbLb0EEEEDaSU_SV_EUlSU_E0_NS1_11comp_targetILNS1_3genE8ELNS1_11target_archE1030ELNS1_3gpuE2ELNS1_3repE0EEENS1_30default_config_static_selectorELNS0_4arch9wavefront6targetE1EEEvT1_ ; -- Begin function _ZN7rocprim17ROCPRIM_400000_NS6detail17trampoline_kernelINS0_14default_configENS1_20scan_config_selectorIN3c107complexIfEEEEZZNS1_9scan_implILNS1_25lookback_scan_determinismE0ELb0ELb0ES3_PKS7_PS7_S7_ZZZN2at6native31launch_logcumsumexp_cuda_kernelERKNSE_10TensorBaseESI_lENKUlvE_clEvENKUlvE2_clEvEUlS7_S7_E_S7_EEDaPvRmT3_T4_T5_mT6_P12ihipStream_tbENKUlT_T0_E_clISt17integral_constantIbLb1EESY_IbLb0EEEEDaSU_SV_EUlSU_E0_NS1_11comp_targetILNS1_3genE8ELNS1_11target_archE1030ELNS1_3gpuE2ELNS1_3repE0EEENS1_30default_config_static_selectorELNS0_4arch9wavefront6targetE1EEEvT1_
	.p2align	8
	.type	_ZN7rocprim17ROCPRIM_400000_NS6detail17trampoline_kernelINS0_14default_configENS1_20scan_config_selectorIN3c107complexIfEEEEZZNS1_9scan_implILNS1_25lookback_scan_determinismE0ELb0ELb0ES3_PKS7_PS7_S7_ZZZN2at6native31launch_logcumsumexp_cuda_kernelERKNSE_10TensorBaseESI_lENKUlvE_clEvENKUlvE2_clEvEUlS7_S7_E_S7_EEDaPvRmT3_T4_T5_mT6_P12ihipStream_tbENKUlT_T0_E_clISt17integral_constantIbLb1EESY_IbLb0EEEEDaSU_SV_EUlSU_E0_NS1_11comp_targetILNS1_3genE8ELNS1_11target_archE1030ELNS1_3gpuE2ELNS1_3repE0EEENS1_30default_config_static_selectorELNS0_4arch9wavefront6targetE1EEEvT1_,@function
_ZN7rocprim17ROCPRIM_400000_NS6detail17trampoline_kernelINS0_14default_configENS1_20scan_config_selectorIN3c107complexIfEEEEZZNS1_9scan_implILNS1_25lookback_scan_determinismE0ELb0ELb0ES3_PKS7_PS7_S7_ZZZN2at6native31launch_logcumsumexp_cuda_kernelERKNSE_10TensorBaseESI_lENKUlvE_clEvENKUlvE2_clEvEUlS7_S7_E_S7_EEDaPvRmT3_T4_T5_mT6_P12ihipStream_tbENKUlT_T0_E_clISt17integral_constantIbLb1EESY_IbLb0EEEEDaSU_SV_EUlSU_E0_NS1_11comp_targetILNS1_3genE8ELNS1_11target_archE1030ELNS1_3gpuE2ELNS1_3repE0EEENS1_30default_config_static_selectorELNS0_4arch9wavefront6targetE1EEEvT1_: ; @_ZN7rocprim17ROCPRIM_400000_NS6detail17trampoline_kernelINS0_14default_configENS1_20scan_config_selectorIN3c107complexIfEEEEZZNS1_9scan_implILNS1_25lookback_scan_determinismE0ELb0ELb0ES3_PKS7_PS7_S7_ZZZN2at6native31launch_logcumsumexp_cuda_kernelERKNSE_10TensorBaseESI_lENKUlvE_clEvENKUlvE2_clEvEUlS7_S7_E_S7_EEDaPvRmT3_T4_T5_mT6_P12ihipStream_tbENKUlT_T0_E_clISt17integral_constantIbLb1EESY_IbLb0EEEEDaSU_SV_EUlSU_E0_NS1_11comp_targetILNS1_3genE8ELNS1_11target_archE1030ELNS1_3gpuE2ELNS1_3repE0EEENS1_30default_config_static_selectorELNS0_4arch9wavefront6targetE1EEEvT1_
; %bb.0:
	.section	.rodata,"a",@progbits
	.p2align	6, 0x0
	.amdhsa_kernel _ZN7rocprim17ROCPRIM_400000_NS6detail17trampoline_kernelINS0_14default_configENS1_20scan_config_selectorIN3c107complexIfEEEEZZNS1_9scan_implILNS1_25lookback_scan_determinismE0ELb0ELb0ES3_PKS7_PS7_S7_ZZZN2at6native31launch_logcumsumexp_cuda_kernelERKNSE_10TensorBaseESI_lENKUlvE_clEvENKUlvE2_clEvEUlS7_S7_E_S7_EEDaPvRmT3_T4_T5_mT6_P12ihipStream_tbENKUlT_T0_E_clISt17integral_constantIbLb1EESY_IbLb0EEEEDaSU_SV_EUlSU_E0_NS1_11comp_targetILNS1_3genE8ELNS1_11target_archE1030ELNS1_3gpuE2ELNS1_3repE0EEENS1_30default_config_static_selectorELNS0_4arch9wavefront6targetE1EEEvT1_
		.amdhsa_group_segment_fixed_size 0
		.amdhsa_private_segment_fixed_size 0
		.amdhsa_kernarg_size 40
		.amdhsa_user_sgpr_count 2
		.amdhsa_user_sgpr_dispatch_ptr 0
		.amdhsa_user_sgpr_queue_ptr 0
		.amdhsa_user_sgpr_kernarg_segment_ptr 1
		.amdhsa_user_sgpr_dispatch_id 0
		.amdhsa_user_sgpr_kernarg_preload_length 0
		.amdhsa_user_sgpr_kernarg_preload_offset 0
		.amdhsa_user_sgpr_private_segment_size 0
		.amdhsa_uses_dynamic_stack 0
		.amdhsa_enable_private_segment 0
		.amdhsa_system_sgpr_workgroup_id_x 1
		.amdhsa_system_sgpr_workgroup_id_y 0
		.amdhsa_system_sgpr_workgroup_id_z 0
		.amdhsa_system_sgpr_workgroup_info 0
		.amdhsa_system_vgpr_workitem_id 0
		.amdhsa_next_free_vgpr 1
		.amdhsa_next_free_sgpr 0
		.amdhsa_accum_offset 4
		.amdhsa_reserve_vcc 0
		.amdhsa_float_round_mode_32 0
		.amdhsa_float_round_mode_16_64 0
		.amdhsa_float_denorm_mode_32 3
		.amdhsa_float_denorm_mode_16_64 3
		.amdhsa_dx10_clamp 1
		.amdhsa_ieee_mode 1
		.amdhsa_fp16_overflow 0
		.amdhsa_tg_split 0
		.amdhsa_exception_fp_ieee_invalid_op 0
		.amdhsa_exception_fp_denorm_src 0
		.amdhsa_exception_fp_ieee_div_zero 0
		.amdhsa_exception_fp_ieee_overflow 0
		.amdhsa_exception_fp_ieee_underflow 0
		.amdhsa_exception_fp_ieee_inexact 0
		.amdhsa_exception_int_div_zero 0
	.end_amdhsa_kernel
	.section	.text._ZN7rocprim17ROCPRIM_400000_NS6detail17trampoline_kernelINS0_14default_configENS1_20scan_config_selectorIN3c107complexIfEEEEZZNS1_9scan_implILNS1_25lookback_scan_determinismE0ELb0ELb0ES3_PKS7_PS7_S7_ZZZN2at6native31launch_logcumsumexp_cuda_kernelERKNSE_10TensorBaseESI_lENKUlvE_clEvENKUlvE2_clEvEUlS7_S7_E_S7_EEDaPvRmT3_T4_T5_mT6_P12ihipStream_tbENKUlT_T0_E_clISt17integral_constantIbLb1EESY_IbLb0EEEEDaSU_SV_EUlSU_E0_NS1_11comp_targetILNS1_3genE8ELNS1_11target_archE1030ELNS1_3gpuE2ELNS1_3repE0EEENS1_30default_config_static_selectorELNS0_4arch9wavefront6targetE1EEEvT1_,"axG",@progbits,_ZN7rocprim17ROCPRIM_400000_NS6detail17trampoline_kernelINS0_14default_configENS1_20scan_config_selectorIN3c107complexIfEEEEZZNS1_9scan_implILNS1_25lookback_scan_determinismE0ELb0ELb0ES3_PKS7_PS7_S7_ZZZN2at6native31launch_logcumsumexp_cuda_kernelERKNSE_10TensorBaseESI_lENKUlvE_clEvENKUlvE2_clEvEUlS7_S7_E_S7_EEDaPvRmT3_T4_T5_mT6_P12ihipStream_tbENKUlT_T0_E_clISt17integral_constantIbLb1EESY_IbLb0EEEEDaSU_SV_EUlSU_E0_NS1_11comp_targetILNS1_3genE8ELNS1_11target_archE1030ELNS1_3gpuE2ELNS1_3repE0EEENS1_30default_config_static_selectorELNS0_4arch9wavefront6targetE1EEEvT1_,comdat
.Lfunc_end327:
	.size	_ZN7rocprim17ROCPRIM_400000_NS6detail17trampoline_kernelINS0_14default_configENS1_20scan_config_selectorIN3c107complexIfEEEEZZNS1_9scan_implILNS1_25lookback_scan_determinismE0ELb0ELb0ES3_PKS7_PS7_S7_ZZZN2at6native31launch_logcumsumexp_cuda_kernelERKNSE_10TensorBaseESI_lENKUlvE_clEvENKUlvE2_clEvEUlS7_S7_E_S7_EEDaPvRmT3_T4_T5_mT6_P12ihipStream_tbENKUlT_T0_E_clISt17integral_constantIbLb1EESY_IbLb0EEEEDaSU_SV_EUlSU_E0_NS1_11comp_targetILNS1_3genE8ELNS1_11target_archE1030ELNS1_3gpuE2ELNS1_3repE0EEENS1_30default_config_static_selectorELNS0_4arch9wavefront6targetE1EEEvT1_, .Lfunc_end327-_ZN7rocprim17ROCPRIM_400000_NS6detail17trampoline_kernelINS0_14default_configENS1_20scan_config_selectorIN3c107complexIfEEEEZZNS1_9scan_implILNS1_25lookback_scan_determinismE0ELb0ELb0ES3_PKS7_PS7_S7_ZZZN2at6native31launch_logcumsumexp_cuda_kernelERKNSE_10TensorBaseESI_lENKUlvE_clEvENKUlvE2_clEvEUlS7_S7_E_S7_EEDaPvRmT3_T4_T5_mT6_P12ihipStream_tbENKUlT_T0_E_clISt17integral_constantIbLb1EESY_IbLb0EEEEDaSU_SV_EUlSU_E0_NS1_11comp_targetILNS1_3genE8ELNS1_11target_archE1030ELNS1_3gpuE2ELNS1_3repE0EEENS1_30default_config_static_selectorELNS0_4arch9wavefront6targetE1EEEvT1_
                                        ; -- End function
	.set _ZN7rocprim17ROCPRIM_400000_NS6detail17trampoline_kernelINS0_14default_configENS1_20scan_config_selectorIN3c107complexIfEEEEZZNS1_9scan_implILNS1_25lookback_scan_determinismE0ELb0ELb0ES3_PKS7_PS7_S7_ZZZN2at6native31launch_logcumsumexp_cuda_kernelERKNSE_10TensorBaseESI_lENKUlvE_clEvENKUlvE2_clEvEUlS7_S7_E_S7_EEDaPvRmT3_T4_T5_mT6_P12ihipStream_tbENKUlT_T0_E_clISt17integral_constantIbLb1EESY_IbLb0EEEEDaSU_SV_EUlSU_E0_NS1_11comp_targetILNS1_3genE8ELNS1_11target_archE1030ELNS1_3gpuE2ELNS1_3repE0EEENS1_30default_config_static_selectorELNS0_4arch9wavefront6targetE1EEEvT1_.num_vgpr, 0
	.set _ZN7rocprim17ROCPRIM_400000_NS6detail17trampoline_kernelINS0_14default_configENS1_20scan_config_selectorIN3c107complexIfEEEEZZNS1_9scan_implILNS1_25lookback_scan_determinismE0ELb0ELb0ES3_PKS7_PS7_S7_ZZZN2at6native31launch_logcumsumexp_cuda_kernelERKNSE_10TensorBaseESI_lENKUlvE_clEvENKUlvE2_clEvEUlS7_S7_E_S7_EEDaPvRmT3_T4_T5_mT6_P12ihipStream_tbENKUlT_T0_E_clISt17integral_constantIbLb1EESY_IbLb0EEEEDaSU_SV_EUlSU_E0_NS1_11comp_targetILNS1_3genE8ELNS1_11target_archE1030ELNS1_3gpuE2ELNS1_3repE0EEENS1_30default_config_static_selectorELNS0_4arch9wavefront6targetE1EEEvT1_.num_agpr, 0
	.set _ZN7rocprim17ROCPRIM_400000_NS6detail17trampoline_kernelINS0_14default_configENS1_20scan_config_selectorIN3c107complexIfEEEEZZNS1_9scan_implILNS1_25lookback_scan_determinismE0ELb0ELb0ES3_PKS7_PS7_S7_ZZZN2at6native31launch_logcumsumexp_cuda_kernelERKNSE_10TensorBaseESI_lENKUlvE_clEvENKUlvE2_clEvEUlS7_S7_E_S7_EEDaPvRmT3_T4_T5_mT6_P12ihipStream_tbENKUlT_T0_E_clISt17integral_constantIbLb1EESY_IbLb0EEEEDaSU_SV_EUlSU_E0_NS1_11comp_targetILNS1_3genE8ELNS1_11target_archE1030ELNS1_3gpuE2ELNS1_3repE0EEENS1_30default_config_static_selectorELNS0_4arch9wavefront6targetE1EEEvT1_.numbered_sgpr, 0
	.set _ZN7rocprim17ROCPRIM_400000_NS6detail17trampoline_kernelINS0_14default_configENS1_20scan_config_selectorIN3c107complexIfEEEEZZNS1_9scan_implILNS1_25lookback_scan_determinismE0ELb0ELb0ES3_PKS7_PS7_S7_ZZZN2at6native31launch_logcumsumexp_cuda_kernelERKNSE_10TensorBaseESI_lENKUlvE_clEvENKUlvE2_clEvEUlS7_S7_E_S7_EEDaPvRmT3_T4_T5_mT6_P12ihipStream_tbENKUlT_T0_E_clISt17integral_constantIbLb1EESY_IbLb0EEEEDaSU_SV_EUlSU_E0_NS1_11comp_targetILNS1_3genE8ELNS1_11target_archE1030ELNS1_3gpuE2ELNS1_3repE0EEENS1_30default_config_static_selectorELNS0_4arch9wavefront6targetE1EEEvT1_.num_named_barrier, 0
	.set _ZN7rocprim17ROCPRIM_400000_NS6detail17trampoline_kernelINS0_14default_configENS1_20scan_config_selectorIN3c107complexIfEEEEZZNS1_9scan_implILNS1_25lookback_scan_determinismE0ELb0ELb0ES3_PKS7_PS7_S7_ZZZN2at6native31launch_logcumsumexp_cuda_kernelERKNSE_10TensorBaseESI_lENKUlvE_clEvENKUlvE2_clEvEUlS7_S7_E_S7_EEDaPvRmT3_T4_T5_mT6_P12ihipStream_tbENKUlT_T0_E_clISt17integral_constantIbLb1EESY_IbLb0EEEEDaSU_SV_EUlSU_E0_NS1_11comp_targetILNS1_3genE8ELNS1_11target_archE1030ELNS1_3gpuE2ELNS1_3repE0EEENS1_30default_config_static_selectorELNS0_4arch9wavefront6targetE1EEEvT1_.private_seg_size, 0
	.set _ZN7rocprim17ROCPRIM_400000_NS6detail17trampoline_kernelINS0_14default_configENS1_20scan_config_selectorIN3c107complexIfEEEEZZNS1_9scan_implILNS1_25lookback_scan_determinismE0ELb0ELb0ES3_PKS7_PS7_S7_ZZZN2at6native31launch_logcumsumexp_cuda_kernelERKNSE_10TensorBaseESI_lENKUlvE_clEvENKUlvE2_clEvEUlS7_S7_E_S7_EEDaPvRmT3_T4_T5_mT6_P12ihipStream_tbENKUlT_T0_E_clISt17integral_constantIbLb1EESY_IbLb0EEEEDaSU_SV_EUlSU_E0_NS1_11comp_targetILNS1_3genE8ELNS1_11target_archE1030ELNS1_3gpuE2ELNS1_3repE0EEENS1_30default_config_static_selectorELNS0_4arch9wavefront6targetE1EEEvT1_.uses_vcc, 0
	.set _ZN7rocprim17ROCPRIM_400000_NS6detail17trampoline_kernelINS0_14default_configENS1_20scan_config_selectorIN3c107complexIfEEEEZZNS1_9scan_implILNS1_25lookback_scan_determinismE0ELb0ELb0ES3_PKS7_PS7_S7_ZZZN2at6native31launch_logcumsumexp_cuda_kernelERKNSE_10TensorBaseESI_lENKUlvE_clEvENKUlvE2_clEvEUlS7_S7_E_S7_EEDaPvRmT3_T4_T5_mT6_P12ihipStream_tbENKUlT_T0_E_clISt17integral_constantIbLb1EESY_IbLb0EEEEDaSU_SV_EUlSU_E0_NS1_11comp_targetILNS1_3genE8ELNS1_11target_archE1030ELNS1_3gpuE2ELNS1_3repE0EEENS1_30default_config_static_selectorELNS0_4arch9wavefront6targetE1EEEvT1_.uses_flat_scratch, 0
	.set _ZN7rocprim17ROCPRIM_400000_NS6detail17trampoline_kernelINS0_14default_configENS1_20scan_config_selectorIN3c107complexIfEEEEZZNS1_9scan_implILNS1_25lookback_scan_determinismE0ELb0ELb0ES3_PKS7_PS7_S7_ZZZN2at6native31launch_logcumsumexp_cuda_kernelERKNSE_10TensorBaseESI_lENKUlvE_clEvENKUlvE2_clEvEUlS7_S7_E_S7_EEDaPvRmT3_T4_T5_mT6_P12ihipStream_tbENKUlT_T0_E_clISt17integral_constantIbLb1EESY_IbLb0EEEEDaSU_SV_EUlSU_E0_NS1_11comp_targetILNS1_3genE8ELNS1_11target_archE1030ELNS1_3gpuE2ELNS1_3repE0EEENS1_30default_config_static_selectorELNS0_4arch9wavefront6targetE1EEEvT1_.has_dyn_sized_stack, 0
	.set _ZN7rocprim17ROCPRIM_400000_NS6detail17trampoline_kernelINS0_14default_configENS1_20scan_config_selectorIN3c107complexIfEEEEZZNS1_9scan_implILNS1_25lookback_scan_determinismE0ELb0ELb0ES3_PKS7_PS7_S7_ZZZN2at6native31launch_logcumsumexp_cuda_kernelERKNSE_10TensorBaseESI_lENKUlvE_clEvENKUlvE2_clEvEUlS7_S7_E_S7_EEDaPvRmT3_T4_T5_mT6_P12ihipStream_tbENKUlT_T0_E_clISt17integral_constantIbLb1EESY_IbLb0EEEEDaSU_SV_EUlSU_E0_NS1_11comp_targetILNS1_3genE8ELNS1_11target_archE1030ELNS1_3gpuE2ELNS1_3repE0EEENS1_30default_config_static_selectorELNS0_4arch9wavefront6targetE1EEEvT1_.has_recursion, 0
	.set _ZN7rocprim17ROCPRIM_400000_NS6detail17trampoline_kernelINS0_14default_configENS1_20scan_config_selectorIN3c107complexIfEEEEZZNS1_9scan_implILNS1_25lookback_scan_determinismE0ELb0ELb0ES3_PKS7_PS7_S7_ZZZN2at6native31launch_logcumsumexp_cuda_kernelERKNSE_10TensorBaseESI_lENKUlvE_clEvENKUlvE2_clEvEUlS7_S7_E_S7_EEDaPvRmT3_T4_T5_mT6_P12ihipStream_tbENKUlT_T0_E_clISt17integral_constantIbLb1EESY_IbLb0EEEEDaSU_SV_EUlSU_E0_NS1_11comp_targetILNS1_3genE8ELNS1_11target_archE1030ELNS1_3gpuE2ELNS1_3repE0EEENS1_30default_config_static_selectorELNS0_4arch9wavefront6targetE1EEEvT1_.has_indirect_call, 0
	.section	.AMDGPU.csdata,"",@progbits
; Kernel info:
; codeLenInByte = 0
; TotalNumSgprs: 6
; NumVgprs: 0
; NumAgprs: 0
; TotalNumVgprs: 0
; ScratchSize: 0
; MemoryBound: 0
; FloatMode: 240
; IeeeMode: 1
; LDSByteSize: 0 bytes/workgroup (compile time only)
; SGPRBlocks: 0
; VGPRBlocks: 0
; NumSGPRsForWavesPerEU: 6
; NumVGPRsForWavesPerEU: 1
; AccumOffset: 4
; Occupancy: 8
; WaveLimiterHint : 0
; COMPUTE_PGM_RSRC2:SCRATCH_EN: 0
; COMPUTE_PGM_RSRC2:USER_SGPR: 2
; COMPUTE_PGM_RSRC2:TRAP_HANDLER: 0
; COMPUTE_PGM_RSRC2:TGID_X_EN: 1
; COMPUTE_PGM_RSRC2:TGID_Y_EN: 0
; COMPUTE_PGM_RSRC2:TGID_Z_EN: 0
; COMPUTE_PGM_RSRC2:TIDIG_COMP_CNT: 0
; COMPUTE_PGM_RSRC3_GFX90A:ACCUM_OFFSET: 0
; COMPUTE_PGM_RSRC3_GFX90A:TG_SPLIT: 0
	.section	.text._ZN7rocprim17ROCPRIM_400000_NS6detail31init_lookback_scan_state_kernelINS1_19lookback_scan_stateIN3c107complexIfEELb0ELb1EEENS1_16block_id_wrapperIjLb1EEEEEvT_jT0_jPNSA_10value_typeE,"axG",@progbits,_ZN7rocprim17ROCPRIM_400000_NS6detail31init_lookback_scan_state_kernelINS1_19lookback_scan_stateIN3c107complexIfEELb0ELb1EEENS1_16block_id_wrapperIjLb1EEEEEvT_jT0_jPNSA_10value_typeE,comdat
	.protected	_ZN7rocprim17ROCPRIM_400000_NS6detail31init_lookback_scan_state_kernelINS1_19lookback_scan_stateIN3c107complexIfEELb0ELb1EEENS1_16block_id_wrapperIjLb1EEEEEvT_jT0_jPNSA_10value_typeE ; -- Begin function _ZN7rocprim17ROCPRIM_400000_NS6detail31init_lookback_scan_state_kernelINS1_19lookback_scan_stateIN3c107complexIfEELb0ELb1EEENS1_16block_id_wrapperIjLb1EEEEEvT_jT0_jPNSA_10value_typeE
	.globl	_ZN7rocprim17ROCPRIM_400000_NS6detail31init_lookback_scan_state_kernelINS1_19lookback_scan_stateIN3c107complexIfEELb0ELb1EEENS1_16block_id_wrapperIjLb1EEEEEvT_jT0_jPNSA_10value_typeE
	.p2align	8
	.type	_ZN7rocprim17ROCPRIM_400000_NS6detail31init_lookback_scan_state_kernelINS1_19lookback_scan_stateIN3c107complexIfEELb0ELb1EEENS1_16block_id_wrapperIjLb1EEEEEvT_jT0_jPNSA_10value_typeE,@function
_ZN7rocprim17ROCPRIM_400000_NS6detail31init_lookback_scan_state_kernelINS1_19lookback_scan_stateIN3c107complexIfEELb0ELb1EEENS1_16block_id_wrapperIjLb1EEEEEvT_jT0_jPNSA_10value_typeE: ; @_ZN7rocprim17ROCPRIM_400000_NS6detail31init_lookback_scan_state_kernelINS1_19lookback_scan_stateIN3c107complexIfEELb0ELb1EEENS1_16block_id_wrapperIjLb1EEEEEvT_jT0_jPNSA_10value_typeE
; %bb.0:
	s_load_dword s3, s[0:1], 0x34
	s_load_dwordx2 s[6:7], s[0:1], 0x20
	s_load_dwordx2 s[4:5], s[0:1], 0x0
	s_load_dword s14, s[0:1], 0x8
	s_waitcnt lgkmcnt(0)
	s_and_b32 s3, s3, 0xffff
	s_mul_i32 s2, s2, s3
	s_cmp_eq_u64 s[6:7], 0
	v_add_u32_e32 v0, s2, v0
	s_cbranch_scc1 .LBB328_8
; %bb.1:
	s_load_dword s8, s[0:1], 0x18
	s_mov_b32 s9, 0
	s_waitcnt lgkmcnt(0)
	s_cmp_lt_u32 s8, s14
	s_cselect_b32 s2, s8, 0
	v_cmp_eq_u32_e32 vcc, s2, v0
	s_and_saveexec_b64 s[2:3], vcc
	s_cbranch_execz .LBB328_7
; %bb.2:
	s_add_i32 s8, s8, 64
	s_lshl_b64 s[8:9], s[8:9], 4
	s_add_u32 s12, s4, s8
	s_addc_u32 s13, s5, s9
	v_mov_b64_e32 v[2:3], s[12:13]
	;;#ASMSTART
	global_load_dwordx4 v[2:5], v[2:3] off sc1	
s_waitcnt vmcnt(0)
	;;#ASMEND
	v_mov_b32_e32 v7, 0
	v_and_b32_e32 v6, 0xff, v4
	s_mov_b64 s[10:11], 0
	v_cmp_eq_u64_e32 vcc, 0, v[6:7]
	s_and_saveexec_b64 s[8:9], vcc
	s_cbranch_execz .LBB328_6
; %bb.3:
	v_mov_b64_e32 v[8:9], s[12:13]
.LBB328_4:                              ; =>This Inner Loop Header: Depth=1
	;;#ASMSTART
	global_load_dwordx4 v[2:5], v[8:9] off sc1	
s_waitcnt vmcnt(0)
	;;#ASMEND
	s_nop 0
	v_and_b32_e32 v6, 0xff, v4
	v_cmp_ne_u64_e32 vcc, 0, v[6:7]
	s_or_b64 s[10:11], vcc, s[10:11]
	s_andn2_b64 exec, exec, s[10:11]
	s_cbranch_execnz .LBB328_4
; %bb.5:
	s_or_b64 exec, exec, s[10:11]
.LBB328_6:
	s_or_b64 exec, exec, s[8:9]
	v_mov_b32_e32 v1, 0
	global_store_dwordx2 v1, v[2:3], s[6:7]
.LBB328_7:
	s_or_b64 exec, exec, s[2:3]
.LBB328_8:
	v_cmp_eq_u32_e32 vcc, 0, v0
	s_and_saveexec_b64 s[2:3], vcc
	s_cbranch_execnz .LBB328_12
; %bb.9:
	s_or_b64 exec, exec, s[2:3]
	v_cmp_gt_u32_e32 vcc, s14, v0
	s_and_saveexec_b64 s[0:1], vcc
	s_cbranch_execnz .LBB328_13
.LBB328_10:
	s_or_b64 exec, exec, s[0:1]
	v_cmp_gt_u32_e32 vcc, 64, v0
	s_and_saveexec_b64 s[0:1], vcc
	s_cbranch_execnz .LBB328_14
.LBB328_11:
	s_endpgm
.LBB328_12:
	s_load_dwordx2 s[0:1], s[0:1], 0x10
	v_mov_b32_e32 v1, 0
	s_waitcnt lgkmcnt(0)
	global_store_dword v1, v1, s[0:1]
	s_or_b64 exec, exec, s[2:3]
	v_cmp_gt_u32_e32 vcc, s14, v0
	s_and_saveexec_b64 s[0:1], vcc
	s_cbranch_execz .LBB328_10
.LBB328_13:
	v_add_u32_e32 v2, 64, v0
	v_mov_b32_e32 v3, 0
	v_lshl_add_u64 v[6:7], v[2:3], 4, s[4:5]
	v_mov_b32_e32 v2, v3
	v_mov_b32_e32 v4, v3
	;; [unrolled: 1-line block ×3, first 2 shown]
	global_store_dwordx4 v[6:7], v[2:5], off
	s_or_b64 exec, exec, s[0:1]
	v_cmp_gt_u32_e32 vcc, 64, v0
	s_and_saveexec_b64 s[0:1], vcc
	s_cbranch_execz .LBB328_11
.LBB328_14:
	v_mov_b32_e32 v1, 0
	v_lshl_add_u64 v[4:5], v[0:1], 4, s[4:5]
	v_mov_b32_e32 v2, 0xff
	v_mov_b32_e32 v0, v1
	;; [unrolled: 1-line block ×3, first 2 shown]
	global_store_dwordx4 v[4:5], v[0:3], off
	s_endpgm
	.section	.rodata,"a",@progbits
	.p2align	6, 0x0
	.amdhsa_kernel _ZN7rocprim17ROCPRIM_400000_NS6detail31init_lookback_scan_state_kernelINS1_19lookback_scan_stateIN3c107complexIfEELb0ELb1EEENS1_16block_id_wrapperIjLb1EEEEEvT_jT0_jPNSA_10value_typeE
		.amdhsa_group_segment_fixed_size 0
		.amdhsa_private_segment_fixed_size 0
		.amdhsa_kernarg_size 296
		.amdhsa_user_sgpr_count 2
		.amdhsa_user_sgpr_dispatch_ptr 0
		.amdhsa_user_sgpr_queue_ptr 0
		.amdhsa_user_sgpr_kernarg_segment_ptr 1
		.amdhsa_user_sgpr_dispatch_id 0
		.amdhsa_user_sgpr_kernarg_preload_length 0
		.amdhsa_user_sgpr_kernarg_preload_offset 0
		.amdhsa_user_sgpr_private_segment_size 0
		.amdhsa_uses_dynamic_stack 0
		.amdhsa_enable_private_segment 0
		.amdhsa_system_sgpr_workgroup_id_x 1
		.amdhsa_system_sgpr_workgroup_id_y 0
		.amdhsa_system_sgpr_workgroup_id_z 0
		.amdhsa_system_sgpr_workgroup_info 0
		.amdhsa_system_vgpr_workitem_id 0
		.amdhsa_next_free_vgpr 10
		.amdhsa_next_free_sgpr 15
		.amdhsa_accum_offset 12
		.amdhsa_reserve_vcc 1
		.amdhsa_float_round_mode_32 0
		.amdhsa_float_round_mode_16_64 0
		.amdhsa_float_denorm_mode_32 3
		.amdhsa_float_denorm_mode_16_64 3
		.amdhsa_dx10_clamp 1
		.amdhsa_ieee_mode 1
		.amdhsa_fp16_overflow 0
		.amdhsa_tg_split 0
		.amdhsa_exception_fp_ieee_invalid_op 0
		.amdhsa_exception_fp_denorm_src 0
		.amdhsa_exception_fp_ieee_div_zero 0
		.amdhsa_exception_fp_ieee_overflow 0
		.amdhsa_exception_fp_ieee_underflow 0
		.amdhsa_exception_fp_ieee_inexact 0
		.amdhsa_exception_int_div_zero 0
	.end_amdhsa_kernel
	.section	.text._ZN7rocprim17ROCPRIM_400000_NS6detail31init_lookback_scan_state_kernelINS1_19lookback_scan_stateIN3c107complexIfEELb0ELb1EEENS1_16block_id_wrapperIjLb1EEEEEvT_jT0_jPNSA_10value_typeE,"axG",@progbits,_ZN7rocprim17ROCPRIM_400000_NS6detail31init_lookback_scan_state_kernelINS1_19lookback_scan_stateIN3c107complexIfEELb0ELb1EEENS1_16block_id_wrapperIjLb1EEEEEvT_jT0_jPNSA_10value_typeE,comdat
.Lfunc_end328:
	.size	_ZN7rocprim17ROCPRIM_400000_NS6detail31init_lookback_scan_state_kernelINS1_19lookback_scan_stateIN3c107complexIfEELb0ELb1EEENS1_16block_id_wrapperIjLb1EEEEEvT_jT0_jPNSA_10value_typeE, .Lfunc_end328-_ZN7rocprim17ROCPRIM_400000_NS6detail31init_lookback_scan_state_kernelINS1_19lookback_scan_stateIN3c107complexIfEELb0ELb1EEENS1_16block_id_wrapperIjLb1EEEEEvT_jT0_jPNSA_10value_typeE
                                        ; -- End function
	.set _ZN7rocprim17ROCPRIM_400000_NS6detail31init_lookback_scan_state_kernelINS1_19lookback_scan_stateIN3c107complexIfEELb0ELb1EEENS1_16block_id_wrapperIjLb1EEEEEvT_jT0_jPNSA_10value_typeE.num_vgpr, 10
	.set _ZN7rocprim17ROCPRIM_400000_NS6detail31init_lookback_scan_state_kernelINS1_19lookback_scan_stateIN3c107complexIfEELb0ELb1EEENS1_16block_id_wrapperIjLb1EEEEEvT_jT0_jPNSA_10value_typeE.num_agpr, 0
	.set _ZN7rocprim17ROCPRIM_400000_NS6detail31init_lookback_scan_state_kernelINS1_19lookback_scan_stateIN3c107complexIfEELb0ELb1EEENS1_16block_id_wrapperIjLb1EEEEEvT_jT0_jPNSA_10value_typeE.numbered_sgpr, 15
	.set _ZN7rocprim17ROCPRIM_400000_NS6detail31init_lookback_scan_state_kernelINS1_19lookback_scan_stateIN3c107complexIfEELb0ELb1EEENS1_16block_id_wrapperIjLb1EEEEEvT_jT0_jPNSA_10value_typeE.num_named_barrier, 0
	.set _ZN7rocprim17ROCPRIM_400000_NS6detail31init_lookback_scan_state_kernelINS1_19lookback_scan_stateIN3c107complexIfEELb0ELb1EEENS1_16block_id_wrapperIjLb1EEEEEvT_jT0_jPNSA_10value_typeE.private_seg_size, 0
	.set _ZN7rocprim17ROCPRIM_400000_NS6detail31init_lookback_scan_state_kernelINS1_19lookback_scan_stateIN3c107complexIfEELb0ELb1EEENS1_16block_id_wrapperIjLb1EEEEEvT_jT0_jPNSA_10value_typeE.uses_vcc, 1
	.set _ZN7rocprim17ROCPRIM_400000_NS6detail31init_lookback_scan_state_kernelINS1_19lookback_scan_stateIN3c107complexIfEELb0ELb1EEENS1_16block_id_wrapperIjLb1EEEEEvT_jT0_jPNSA_10value_typeE.uses_flat_scratch, 0
	.set _ZN7rocprim17ROCPRIM_400000_NS6detail31init_lookback_scan_state_kernelINS1_19lookback_scan_stateIN3c107complexIfEELb0ELb1EEENS1_16block_id_wrapperIjLb1EEEEEvT_jT0_jPNSA_10value_typeE.has_dyn_sized_stack, 0
	.set _ZN7rocprim17ROCPRIM_400000_NS6detail31init_lookback_scan_state_kernelINS1_19lookback_scan_stateIN3c107complexIfEELb0ELb1EEENS1_16block_id_wrapperIjLb1EEEEEvT_jT0_jPNSA_10value_typeE.has_recursion, 0
	.set _ZN7rocprim17ROCPRIM_400000_NS6detail31init_lookback_scan_state_kernelINS1_19lookback_scan_stateIN3c107complexIfEELb0ELb1EEENS1_16block_id_wrapperIjLb1EEEEEvT_jT0_jPNSA_10value_typeE.has_indirect_call, 0
	.section	.AMDGPU.csdata,"",@progbits
; Kernel info:
; codeLenInByte = 444
; TotalNumSgprs: 21
; NumVgprs: 10
; NumAgprs: 0
; TotalNumVgprs: 10
; ScratchSize: 0
; MemoryBound: 0
; FloatMode: 240
; IeeeMode: 1
; LDSByteSize: 0 bytes/workgroup (compile time only)
; SGPRBlocks: 2
; VGPRBlocks: 1
; NumSGPRsForWavesPerEU: 21
; NumVGPRsForWavesPerEU: 10
; AccumOffset: 12
; Occupancy: 8
; WaveLimiterHint : 0
; COMPUTE_PGM_RSRC2:SCRATCH_EN: 0
; COMPUTE_PGM_RSRC2:USER_SGPR: 2
; COMPUTE_PGM_RSRC2:TRAP_HANDLER: 0
; COMPUTE_PGM_RSRC2:TGID_X_EN: 1
; COMPUTE_PGM_RSRC2:TGID_Y_EN: 0
; COMPUTE_PGM_RSRC2:TGID_Z_EN: 0
; COMPUTE_PGM_RSRC2:TIDIG_COMP_CNT: 0
; COMPUTE_PGM_RSRC3_GFX90A:ACCUM_OFFSET: 2
; COMPUTE_PGM_RSRC3_GFX90A:TG_SPLIT: 0
	.section	.text._ZN7rocprim17ROCPRIM_400000_NS6detail17trampoline_kernelINS0_14default_configENS1_20scan_config_selectorIN3c107complexIfEEEEZZNS1_9scan_implILNS1_25lookback_scan_determinismE0ELb0ELb0ES3_PKS7_PS7_S7_ZZZN2at6native31launch_logcumsumexp_cuda_kernelERKNSE_10TensorBaseESI_lENKUlvE_clEvENKUlvE2_clEvEUlS7_S7_E_S7_EEDaPvRmT3_T4_T5_mT6_P12ihipStream_tbENKUlT_T0_E_clISt17integral_constantIbLb0EESY_IbLb1EEEEDaSU_SV_EUlSU_E_NS1_11comp_targetILNS1_3genE0ELNS1_11target_archE4294967295ELNS1_3gpuE0ELNS1_3repE0EEENS1_30default_config_static_selectorELNS0_4arch9wavefront6targetE1EEEvT1_,"axG",@progbits,_ZN7rocprim17ROCPRIM_400000_NS6detail17trampoline_kernelINS0_14default_configENS1_20scan_config_selectorIN3c107complexIfEEEEZZNS1_9scan_implILNS1_25lookback_scan_determinismE0ELb0ELb0ES3_PKS7_PS7_S7_ZZZN2at6native31launch_logcumsumexp_cuda_kernelERKNSE_10TensorBaseESI_lENKUlvE_clEvENKUlvE2_clEvEUlS7_S7_E_S7_EEDaPvRmT3_T4_T5_mT6_P12ihipStream_tbENKUlT_T0_E_clISt17integral_constantIbLb0EESY_IbLb1EEEEDaSU_SV_EUlSU_E_NS1_11comp_targetILNS1_3genE0ELNS1_11target_archE4294967295ELNS1_3gpuE0ELNS1_3repE0EEENS1_30default_config_static_selectorELNS0_4arch9wavefront6targetE1EEEvT1_,comdat
	.globl	_ZN7rocprim17ROCPRIM_400000_NS6detail17trampoline_kernelINS0_14default_configENS1_20scan_config_selectorIN3c107complexIfEEEEZZNS1_9scan_implILNS1_25lookback_scan_determinismE0ELb0ELb0ES3_PKS7_PS7_S7_ZZZN2at6native31launch_logcumsumexp_cuda_kernelERKNSE_10TensorBaseESI_lENKUlvE_clEvENKUlvE2_clEvEUlS7_S7_E_S7_EEDaPvRmT3_T4_T5_mT6_P12ihipStream_tbENKUlT_T0_E_clISt17integral_constantIbLb0EESY_IbLb1EEEEDaSU_SV_EUlSU_E_NS1_11comp_targetILNS1_3genE0ELNS1_11target_archE4294967295ELNS1_3gpuE0ELNS1_3repE0EEENS1_30default_config_static_selectorELNS0_4arch9wavefront6targetE1EEEvT1_ ; -- Begin function _ZN7rocprim17ROCPRIM_400000_NS6detail17trampoline_kernelINS0_14default_configENS1_20scan_config_selectorIN3c107complexIfEEEEZZNS1_9scan_implILNS1_25lookback_scan_determinismE0ELb0ELb0ES3_PKS7_PS7_S7_ZZZN2at6native31launch_logcumsumexp_cuda_kernelERKNSE_10TensorBaseESI_lENKUlvE_clEvENKUlvE2_clEvEUlS7_S7_E_S7_EEDaPvRmT3_T4_T5_mT6_P12ihipStream_tbENKUlT_T0_E_clISt17integral_constantIbLb0EESY_IbLb1EEEEDaSU_SV_EUlSU_E_NS1_11comp_targetILNS1_3genE0ELNS1_11target_archE4294967295ELNS1_3gpuE0ELNS1_3repE0EEENS1_30default_config_static_selectorELNS0_4arch9wavefront6targetE1EEEvT1_
	.p2align	8
	.type	_ZN7rocprim17ROCPRIM_400000_NS6detail17trampoline_kernelINS0_14default_configENS1_20scan_config_selectorIN3c107complexIfEEEEZZNS1_9scan_implILNS1_25lookback_scan_determinismE0ELb0ELb0ES3_PKS7_PS7_S7_ZZZN2at6native31launch_logcumsumexp_cuda_kernelERKNSE_10TensorBaseESI_lENKUlvE_clEvENKUlvE2_clEvEUlS7_S7_E_S7_EEDaPvRmT3_T4_T5_mT6_P12ihipStream_tbENKUlT_T0_E_clISt17integral_constantIbLb0EESY_IbLb1EEEEDaSU_SV_EUlSU_E_NS1_11comp_targetILNS1_3genE0ELNS1_11target_archE4294967295ELNS1_3gpuE0ELNS1_3repE0EEENS1_30default_config_static_selectorELNS0_4arch9wavefront6targetE1EEEvT1_,@function
_ZN7rocprim17ROCPRIM_400000_NS6detail17trampoline_kernelINS0_14default_configENS1_20scan_config_selectorIN3c107complexIfEEEEZZNS1_9scan_implILNS1_25lookback_scan_determinismE0ELb0ELb0ES3_PKS7_PS7_S7_ZZZN2at6native31launch_logcumsumexp_cuda_kernelERKNSE_10TensorBaseESI_lENKUlvE_clEvENKUlvE2_clEvEUlS7_S7_E_S7_EEDaPvRmT3_T4_T5_mT6_P12ihipStream_tbENKUlT_T0_E_clISt17integral_constantIbLb0EESY_IbLb1EEEEDaSU_SV_EUlSU_E_NS1_11comp_targetILNS1_3genE0ELNS1_11target_archE4294967295ELNS1_3gpuE0ELNS1_3repE0EEENS1_30default_config_static_selectorELNS0_4arch9wavefront6targetE1EEEvT1_: ; @_ZN7rocprim17ROCPRIM_400000_NS6detail17trampoline_kernelINS0_14default_configENS1_20scan_config_selectorIN3c107complexIfEEEEZZNS1_9scan_implILNS1_25lookback_scan_determinismE0ELb0ELb0ES3_PKS7_PS7_S7_ZZZN2at6native31launch_logcumsumexp_cuda_kernelERKNSE_10TensorBaseESI_lENKUlvE_clEvENKUlvE2_clEvEUlS7_S7_E_S7_EEDaPvRmT3_T4_T5_mT6_P12ihipStream_tbENKUlT_T0_E_clISt17integral_constantIbLb0EESY_IbLb1EEEEDaSU_SV_EUlSU_E_NS1_11comp_targetILNS1_3genE0ELNS1_11target_archE4294967295ELNS1_3gpuE0ELNS1_3repE0EEENS1_30default_config_static_selectorELNS0_4arch9wavefront6targetE1EEEvT1_
; %bb.0:
	s_load_dwordx2 s[34:35], s[0:1], 0x30
	v_mov_b32_e32 v34, v0
	v_cmp_ne_u32_e64 s[18:19], 0, v34
	v_cmp_eq_u32_e64 s[20:21], 0, v34
	s_mov_b32 s32, 0
	s_and_saveexec_b64 s[2:3], s[20:21]
	s_cbranch_execz .LBB329_4
; %bb.1:
	s_mov_b64 s[6:7], exec
	v_mbcnt_lo_u32_b32 v0, s6, 0
	v_mbcnt_hi_u32_b32 v0, s7, v0
	v_cmp_eq_u32_e32 vcc, 0, v0
                                        ; implicit-def: $vgpr1
	s_and_saveexec_b64 s[4:5], vcc
	s_cbranch_execz .LBB329_3
; %bb.2:
	s_load_dwordx2 s[8:9], s[0:1], 0x60
	s_bcnt1_i32_b64 s6, s[6:7]
	v_mov_b32_e32 v1, 0
	v_mov_b32_e32 v2, s6
	s_waitcnt lgkmcnt(0)
	global_atomic_add v1, v1, v2, s[8:9] sc0
.LBB329_3:
	s_or_b64 exec, exec, s[4:5]
	s_waitcnt vmcnt(0)
	v_readfirstlane_b32 s4, v1
	v_mov_b32_e32 v1, 0
	s_nop 0
	v_add_u32_e32 v0, s4, v0
	ds_write_b32 v1, v0
.LBB329_4:
	s_or_b64 exec, exec, s[2:3]
	s_load_dwordx8 s[24:31], s[0:1], 0x0
	s_load_dword s2, s[0:1], 0x38
	s_load_dwordx8 s[36:43], s[0:1], 0x40
	v_mov_b32_e32 v59, 0
	s_waitcnt lgkmcnt(0)
	s_barrier
	ds_read_b32 v0, v59
	s_lshl_b64 s[26:27], s[26:27], 3
	s_add_u32 s3, s24, s26
	s_addc_u32 s4, s25, s27
	s_add_i32 s2, s2, -1
	s_waitcnt lgkmcnt(0)
	v_readfirstlane_b32 s51, v0
	s_mul_i32 s5, s2, 0x600
	s_mov_b32 s1, 0
	s_mul_i32 s0, s51, 0x600
	s_sub_u32 s33, s30, s5
	s_subb_u32 s50, s31, 0
	s_lshl_b64 s[44:45], s[0:1], 3
	v_cmp_ne_u32_e64 s[16:17], s2, v0
	s_add_u32 s2, s3, s44
	s_addc_u32 s3, s4, s45
	s_mov_b64 s[0:1], -1
	s_and_b64 vcc, exec, s[16:17]
	v_lshlrev_b32_e32 v58, 3, v34
	s_barrier
	s_cbranch_vccz .LBB329_6
; %bb.5:
	v_lshl_add_u64 v[0:1], s[2:3], 0, v[58:59]
	v_add_co_u32_e32 v6, vcc, 0x1000, v0
	global_load_dwordx2 v[2:3], v58, s[2:3]
	global_load_dwordx2 v[4:5], v58, s[2:3] offset:2048
	v_addc_co_u32_e32 v7, vcc, 0, v1, vcc
	v_add_co_u32_e32 v0, vcc, 0x2000, v0
	s_mov_b64 s[0:1], 0
	s_nop 0
	v_addc_co_u32_e32 v1, vcc, 0, v1, vcc
	global_load_dwordx2 v[8:9], v[6:7], off
	global_load_dwordx2 v[10:11], v[6:7], off offset:2048
	global_load_dwordx2 v[12:13], v[0:1], off
	global_load_dwordx2 v[14:15], v[0:1], off offset:2048
	s_waitcnt vmcnt(4)
	ds_write2st64_b64 v58, v[2:3], v[4:5] offset1:4
	s_waitcnt vmcnt(2)
	ds_write2st64_b64 v58, v[8:9], v[10:11] offset0:8 offset1:12
	s_waitcnt vmcnt(0)
	ds_write2st64_b64 v58, v[12:13], v[14:15] offset0:16 offset1:20
	s_waitcnt lgkmcnt(0)
	s_barrier
.LBB329_6:
	s_andn2_b64 vcc, exec, s[0:1]
	v_cmp_gt_u32_e64 s[0:1], s33, v34
	s_cbranch_vccnz .LBB329_20
; %bb.7:
	v_mov_b32_e32 v0, 0
	global_load_dwordx2 v[0:1], v0, s[2:3]
	s_waitcnt vmcnt(0)
	v_mov_b64_e32 v[2:3], v[0:1]
	s_and_saveexec_b64 s[4:5], s[0:1]
	s_cbranch_execz .LBB329_9
; %bb.8:
	global_load_dwordx2 v[2:3], v58, s[2:3]
.LBB329_9:
	s_or_b64 exec, exec, s[4:5]
	v_or_b32_e32 v4, 0x100, v34
	v_cmp_gt_u32_e32 vcc, s33, v4
	v_mov_b64_e32 v[4:5], v[0:1]
	s_and_saveexec_b64 s[0:1], vcc
	s_cbranch_execz .LBB329_11
; %bb.10:
	global_load_dwordx2 v[4:5], v58, s[2:3] offset:2048
.LBB329_11:
	s_or_b64 exec, exec, s[0:1]
	v_or_b32_e32 v8, 0x200, v34
	v_cmp_gt_u32_e32 vcc, s33, v8
	v_mov_b64_e32 v[6:7], v[0:1]
	s_and_saveexec_b64 s[0:1], vcc
	s_cbranch_execz .LBB329_13
; %bb.12:
	v_lshlrev_b32_e32 v6, 3, v8
	global_load_dwordx2 v[6:7], v6, s[2:3]
.LBB329_13:
	s_or_b64 exec, exec, s[0:1]
	v_or_b32_e32 v10, 0x300, v34
	v_cmp_gt_u32_e32 vcc, s33, v10
	v_mov_b64_e32 v[8:9], v[0:1]
	s_and_saveexec_b64 s[0:1], vcc
	s_cbranch_execz .LBB329_15
; %bb.14:
	v_lshlrev_b32_e32 v8, 3, v10
	global_load_dwordx2 v[8:9], v8, s[2:3]
.LBB329_15:
	;; [unrolled: 10-line block ×3, first 2 shown]
	s_or_b64 exec, exec, s[0:1]
	v_or_b32_e32 v12, 0x500, v34
	v_cmp_gt_u32_e32 vcc, s33, v12
	s_and_saveexec_b64 s[0:1], vcc
	s_cbranch_execz .LBB329_19
; %bb.18:
	v_lshlrev_b32_e32 v0, 3, v12
	global_load_dwordx2 v[0:1], v0, s[2:3]
.LBB329_19:
	s_or_b64 exec, exec, s[0:1]
	s_waitcnt vmcnt(0)
	ds_write2st64_b64 v58, v[2:3], v[4:5] offset1:4
	ds_write2st64_b64 v58, v[6:7], v[8:9] offset0:8 offset1:12
	ds_write2st64_b64 v58, v[10:11], v[0:1] offset0:16 offset1:20
	s_waitcnt lgkmcnt(0)
	s_barrier
.LBB329_20:
	v_mul_u32_u24_e32 v60, 48, v34
	ds_read_b128 v[46:49], v60
	ds_read_b128 v[42:45], v60 offset:16
	ds_read_b128 v[38:41], v60 offset:32
	s_cmp_lg_u32 s51, 0
	s_waitcnt lgkmcnt(0)
	s_barrier
	s_cbranch_scc0 .LBB329_83
; %bb.21:
	s_getpc_b64 s[22:23]
	s_add_u32 s22, s22, _ZZZZN2at6native31launch_logcumsumexp_cuda_kernelERKNS_10TensorBaseES3_lENKUlvE_clEvENKUlvE2_clEvENKUlN3c107complexIfEES8_E_clES8_S8_@rel32@lo+4
	s_addc_u32 s23, s23, _ZZZZN2at6native31launch_logcumsumexp_cuda_kernelERKNS_10TensorBaseES3_lENKUlvE_clEvENKUlvE2_clEvENKUlN3c107complexIfEES8_E_clES8_S8_@rel32@hi+12
	v_mov_b32_e32 v0, v46
	v_mov_b32_e32 v1, v47
	;; [unrolled: 1-line block ×4, first 2 shown]
	s_swappc_b64 s[30:31], s[22:23]
	v_mov_b32_e32 v2, v42
	v_mov_b32_e32 v3, v43
	s_swappc_b64 s[30:31], s[22:23]
	v_mov_b32_e32 v2, v44
	v_mov_b32_e32 v3, v45
	;; [unrolled: 3-line block ×4, first 2 shown]
	s_swappc_b64 s[30:31], s[22:23]
	v_mov_b32_e32 v28, v0
	v_mbcnt_lo_u32_b32 v0, -1, 0
	v_mbcnt_hi_u32_b32 v32, -1, v0
	v_mov_b32_e32 v29, v1
	v_and_b32_e32 v27, 15, v32
	v_mov_b32_dpp v0, v28 row_shr:1 row_mask:0xf bank_mask:0xf
	v_mov_b32_dpp v1, v29 row_shr:1 row_mask:0xf bank_mask:0xf
	v_cmp_ne_u32_e32 vcc, 0, v27
	s_and_saveexec_b64 s[24:25], vcc
	s_cbranch_execz .LBB329_23
; %bb.22:
	v_mov_b32_e32 v2, v28
	v_mov_b32_e32 v3, v29
	s_swappc_b64 s[30:31], s[22:23]
	v_mov_b32_e32 v28, v0
	v_mov_b32_e32 v29, v1
.LBB329_23:
	s_or_b64 exec, exec, s[24:25]
	v_mov_b32_dpp v0, v28 row_shr:2 row_mask:0xf bank_mask:0xf
	v_mov_b32_dpp v1, v29 row_shr:2 row_mask:0xf bank_mask:0xf
	v_cmp_lt_u32_e32 vcc, 1, v27
	s_and_saveexec_b64 s[22:23], vcc
	s_cbranch_execz .LBB329_25
; %bb.24:
	s_getpc_b64 s[0:1]
	s_add_u32 s0, s0, _ZZZZN2at6native31launch_logcumsumexp_cuda_kernelERKNS_10TensorBaseES3_lENKUlvE_clEvENKUlvE2_clEvENKUlN3c107complexIfEES8_E_clES8_S8_@rel32@lo+4
	s_addc_u32 s1, s1, _ZZZZN2at6native31launch_logcumsumexp_cuda_kernelERKNS_10TensorBaseES3_lENKUlvE_clEvENKUlvE2_clEvENKUlN3c107complexIfEES8_E_clES8_S8_@rel32@hi+12
	v_mov_b32_e32 v2, v28
	v_mov_b32_e32 v3, v29
	s_swappc_b64 s[30:31], s[0:1]
	v_mov_b32_e32 v28, v0
	v_mov_b32_e32 v29, v1
.LBB329_25:
	s_or_b64 exec, exec, s[22:23]
	v_mov_b32_dpp v0, v28 row_shr:4 row_mask:0xf bank_mask:0xf
	v_mov_b32_dpp v1, v29 row_shr:4 row_mask:0xf bank_mask:0xf
	v_cmp_lt_u32_e32 vcc, 3, v27
	s_and_saveexec_b64 s[22:23], vcc
	s_cbranch_execz .LBB329_27
; %bb.26:
	s_getpc_b64 s[0:1]
	s_add_u32 s0, s0, _ZZZZN2at6native31launch_logcumsumexp_cuda_kernelERKNS_10TensorBaseES3_lENKUlvE_clEvENKUlvE2_clEvENKUlN3c107complexIfEES8_E_clES8_S8_@rel32@lo+4
	s_addc_u32 s1, s1, _ZZZZN2at6native31launch_logcumsumexp_cuda_kernelERKNS_10TensorBaseES3_lENKUlvE_clEvENKUlvE2_clEvENKUlN3c107complexIfEES8_E_clES8_S8_@rel32@hi+12
	v_mov_b32_e32 v2, v28
	v_mov_b32_e32 v3, v29
	s_swappc_b64 s[30:31], s[0:1]
	v_mov_b32_e32 v28, v0
	v_mov_b32_e32 v29, v1
.LBB329_27:
	;; [unrolled: 16-line block ×3, first 2 shown]
	s_or_b64 exec, exec, s[22:23]
	v_and_b32_e32 v2, 16, v32
	v_mov_b32_dpp v0, v28 row_bcast:15 row_mask:0xf bank_mask:0xf
	v_mov_b32_dpp v1, v29 row_bcast:15 row_mask:0xf bank_mask:0xf
	v_cmp_ne_u32_e32 vcc, 0, v2
	s_and_saveexec_b64 s[22:23], vcc
	s_cbranch_execz .LBB329_31
; %bb.30:
	s_getpc_b64 s[0:1]
	s_add_u32 s0, s0, _ZZZZN2at6native31launch_logcumsumexp_cuda_kernelERKNS_10TensorBaseES3_lENKUlvE_clEvENKUlvE2_clEvENKUlN3c107complexIfEES8_E_clES8_S8_@rel32@lo+4
	s_addc_u32 s1, s1, _ZZZZN2at6native31launch_logcumsumexp_cuda_kernelERKNS_10TensorBaseES3_lENKUlvE_clEvENKUlvE2_clEvENKUlN3c107complexIfEES8_E_clES8_S8_@rel32@hi+12
	v_mov_b32_e32 v2, v28
	v_mov_b32_e32 v3, v29
	s_swappc_b64 s[30:31], s[0:1]
	v_mov_b32_e32 v28, v0
	v_mov_b32_e32 v29, v1
.LBB329_31:
	s_or_b64 exec, exec, s[22:23]
	v_mov_b32_dpp v0, v28 row_bcast:31 row_mask:0xf bank_mask:0xf
	v_mov_b32_dpp v1, v29 row_bcast:31 row_mask:0xf bank_mask:0xf
	v_cmp_lt_u32_e32 vcc, 31, v32
	s_and_saveexec_b64 s[22:23], vcc
	s_cbranch_execz .LBB329_33
; %bb.32:
	s_getpc_b64 s[0:1]
	s_add_u32 s0, s0, _ZZZZN2at6native31launch_logcumsumexp_cuda_kernelERKNS_10TensorBaseES3_lENKUlvE_clEvENKUlvE2_clEvENKUlN3c107complexIfEES8_E_clES8_S8_@rel32@lo+4
	s_addc_u32 s1, s1, _ZZZZN2at6native31launch_logcumsumexp_cuda_kernelERKNS_10TensorBaseES3_lENKUlvE_clEvENKUlvE2_clEvENKUlN3c107complexIfEES8_E_clES8_S8_@rel32@hi+12
	v_mov_b32_e32 v2, v28
	v_mov_b32_e32 v3, v29
	s_swappc_b64 s[30:31], s[0:1]
	v_mov_b32_e32 v28, v0
	v_mov_b32_e32 v29, v1
.LBB329_33:
	s_or_b64 exec, exec, s[22:23]
	v_or_b32_e32 v0, 63, v34
	v_lshrrev_b32_e32 v27, 6, v34
	v_cmp_eq_u32_e32 vcc, v34, v0
	s_and_saveexec_b64 s[0:1], vcc
; %bb.34:
	v_lshlrev_b32_e32 v0, 3, v27
	ds_write_b64 v0, v[28:29]
; %bb.35:
	s_or_b64 exec, exec, s[0:1]
	v_cmp_gt_u32_e32 vcc, 4, v34
	s_waitcnt lgkmcnt(0)
	s_barrier
	s_and_saveexec_b64 s[22:23], vcc
	s_cbranch_execz .LBB329_41
; %bb.36:
	ds_read_b64 v[2:3], v58
	v_and_b32_e32 v30, 3, v32
	v_cmp_ne_u32_e32 vcc, 0, v30
	s_waitcnt lgkmcnt(0)
	v_mov_b32_dpp v0, v2 row_shr:1 row_mask:0xf bank_mask:0xf
	v_mov_b32_dpp v1, v3 row_shr:1 row_mask:0xf bank_mask:0xf
	s_and_saveexec_b64 s[24:25], vcc
	s_cbranch_execz .LBB329_38
; %bb.37:
	s_getpc_b64 s[0:1]
	s_add_u32 s0, s0, _ZZZZN2at6native31launch_logcumsumexp_cuda_kernelERKNS_10TensorBaseES3_lENKUlvE_clEvENKUlvE2_clEvENKUlN3c107complexIfEES8_E_clES8_S8_@rel32@lo+4
	s_addc_u32 s1, s1, _ZZZZN2at6native31launch_logcumsumexp_cuda_kernelERKNS_10TensorBaseES3_lENKUlvE_clEvENKUlvE2_clEvENKUlN3c107complexIfEES8_E_clES8_S8_@rel32@hi+12
	s_swappc_b64 s[30:31], s[0:1]
	v_mov_b32_e32 v2, v0
	v_mov_b32_e32 v3, v1
.LBB329_38:
	s_or_b64 exec, exec, s[24:25]
	v_mov_b32_dpp v0, v2 row_shr:2 row_mask:0xf bank_mask:0xf
	v_mov_b32_dpp v1, v3 row_shr:2 row_mask:0xf bank_mask:0xf
	v_cmp_lt_u32_e32 vcc, 1, v30
	s_and_saveexec_b64 s[24:25], vcc
	s_cbranch_execz .LBB329_40
; %bb.39:
	s_getpc_b64 s[0:1]
	s_add_u32 s0, s0, _ZZZZN2at6native31launch_logcumsumexp_cuda_kernelERKNS_10TensorBaseES3_lENKUlvE_clEvENKUlvE2_clEvENKUlN3c107complexIfEES8_E_clES8_S8_@rel32@lo+4
	s_addc_u32 s1, s1, _ZZZZN2at6native31launch_logcumsumexp_cuda_kernelERKNS_10TensorBaseES3_lENKUlvE_clEvENKUlvE2_clEvENKUlN3c107complexIfEES8_E_clES8_S8_@rel32@hi+12
	s_swappc_b64 s[30:31], s[0:1]
	v_mov_b32_e32 v2, v0
	v_mov_b32_e32 v3, v1
.LBB329_40:
	s_or_b64 exec, exec, s[24:25]
	ds_write_b64 v58, v[2:3]
.LBB329_41:
	s_or_b64 exec, exec, s[22:23]
	v_cmp_gt_u32_e64 s[24:25], 64, v34
	v_cmp_lt_u32_e32 vcc, 63, v34
	v_mov_b32_e32 v36, 0
	v_mov_b32_e32 v37, 0
	s_waitcnt lgkmcnt(0)
	s_barrier
	s_and_saveexec_b64 s[22:23], vcc
	s_cbranch_execz .LBB329_43
; %bb.42:
	v_lshl_add_u32 v0, v27, 3, -8
	ds_read_b64 v[36:37], v0
	s_getpc_b64 s[0:1]
	s_add_u32 s0, s0, _ZZZZN2at6native31launch_logcumsumexp_cuda_kernelERKNS_10TensorBaseES3_lENKUlvE_clEvENKUlvE2_clEvENKUlN3c107complexIfEES8_E_clES8_S8_@rel32@lo+4
	s_addc_u32 s1, s1, _ZZZZN2at6native31launch_logcumsumexp_cuda_kernelERKNS_10TensorBaseES3_lENKUlvE_clEvENKUlvE2_clEvENKUlN3c107complexIfEES8_E_clES8_S8_@rel32@hi+12
	v_mov_b32_e32 v2, v28
	v_mov_b32_e32 v3, v29
	s_waitcnt lgkmcnt(0)
	v_mov_b32_e32 v0, v36
	v_mov_b32_e32 v1, v37
	s_swappc_b64 s[30:31], s[0:1]
	v_mov_b32_e32 v28, v0
	v_mov_b32_e32 v29, v1
.LBB329_43:
	s_or_b64 exec, exec, s[22:23]
	v_subrev_co_u32_e64 v0, s[22:23], 1, v32
	v_and_b32_e32 v1, 64, v32
	v_cmp_lt_i32_e32 vcc, v0, v1
	s_nop 1
	v_cndmask_b32_e32 v0, v0, v32, vcc
	v_lshlrev_b32_e32 v0, 2, v0
	ds_bpermute_b32 v59, v0, v28
	ds_bpermute_b32 v61, v0, v29
	s_and_saveexec_b64 s[46:47], s[24:25]
	s_cbranch_execz .LBB329_88
; %bb.44:
	v_mov_b32_e32 v31, 0
	ds_read_b64 v[28:29], v31 offset:24
	s_and_saveexec_b64 s[0:1], s[22:23]
	s_cbranch_execz .LBB329_46
; %bb.45:
	s_add_i32 s2, s51, 64
	s_mov_b32 s3, 0
	s_lshl_b64 s[2:3], s[2:3], 4
	s_add_u32 s2, s34, s2
	s_addc_u32 s3, s35, s3
	v_mov_b32_e32 v30, 1
	v_mov_b64_e32 v[0:1], s[2:3]
	s_waitcnt lgkmcnt(0)
	;;#ASMSTART
	global_store_dwordx4 v[0:1], v[28:31] off sc1	
s_waitcnt vmcnt(0)
	;;#ASMEND
.LBB329_46:
	s_or_b64 exec, exec, s[0:1]
	v_xad_u32 v62, v32, -1, s51
	v_add_u32_e32 v30, 64, v62
	v_lshl_add_u64 v[0:1], v[30:31], 4, s[34:35]
	;;#ASMSTART
	global_load_dwordx4 v[50:53], v[0:1] off sc1	
s_waitcnt vmcnt(0)
	;;#ASMEND
	s_nop 0
	v_and_b32_e32 v2, 0xffffff, v51
	v_and_b32_e32 v3, 0xffffff, v50
	;; [unrolled: 1-line block ×4, first 2 shown]
	v_or_b32_e32 v27, v2, v4
	v_or_b32_e32 v35, v3, v5
	v_cmp_eq_u16_sdwa s[2:3], v52, v31 src0_sel:BYTE_0 src1_sel:DWORD
	s_and_saveexec_b64 s[0:1], s[2:3]
	s_cbranch_execz .LBB329_50
; %bb.47:
	s_mov_b64 s[2:3], 0
	v_mov_b32_e32 v2, 0
.LBB329_48:                             ; =>This Inner Loop Header: Depth=1
	;;#ASMSTART
	global_load_dwordx4 v[50:53], v[0:1] off sc1	
s_waitcnt vmcnt(0)
	;;#ASMEND
	s_nop 0
	v_cmp_ne_u16_sdwa s[4:5], v52, v2 src0_sel:BYTE_0 src1_sel:DWORD
	s_or_b64 s[2:3], s[4:5], s[2:3]
	s_andn2_b64 exec, exec, s[2:3]
	s_cbranch_execnz .LBB329_48
; %bb.49:
	s_or_b64 exec, exec, s[2:3]
	v_and_b32_e32 v0, 0xff000000, v51
	v_and_b32_e32 v1, 0xff000000, v50
	;; [unrolled: 1-line block ×4, first 2 shown]
	v_or_b32_e32 v27, v2, v0
	v_or_b32_e32 v35, v3, v1
.LBB329_50:
	s_or_b64 exec, exec, s[0:1]
	v_mov_b32_e32 v0, 2
	v_cmp_eq_u16_sdwa s[0:1], v52, v0 src0_sel:BYTE_0 src1_sel:DWORD
	v_lshlrev_b64 v[54:55], v32, -1
	v_and_b32_e32 v53, 63, v32
	v_and_b32_e32 v0, s1, v55
	v_or_b32_e32 v0, 0x80000000, v0
	v_cmp_ne_u32_e32 vcc, 63, v53
	v_ffbl_b32_e32 v3, v0
	v_and_b32_e32 v2, s0, v54
	v_addc_co_u32_e32 v0, vcc, 0, v32, vcc
	v_lshlrev_b32_e32 v63, 2, v0
	ds_bpermute_b32 v0, v63, v35
	ds_bpermute_b32 v1, v63, v27
	v_add_u32_e32 v3, 32, v3
	v_ffbl_b32_e32 v2, v2
	v_min_u32_e32 v33, v2, v3
	v_cmp_lt_u32_e32 vcc, v53, v33
	s_and_saveexec_b64 s[24:25], vcc
	s_cbranch_execz .LBB329_52
; %bb.51:
	s_getpc_b64 s[0:1]
	s_add_u32 s0, s0, _ZZZZN2at6native31launch_logcumsumexp_cuda_kernelERKNS_10TensorBaseES3_lENKUlvE_clEvENKUlvE2_clEvENKUlN3c107complexIfEES8_E_clES8_S8_@rel32@lo+4
	s_addc_u32 s1, s1, _ZZZZN2at6native31launch_logcumsumexp_cuda_kernelERKNS_10TensorBaseES3_lENKUlvE_clEvENKUlvE2_clEvENKUlN3c107complexIfEES8_E_clES8_S8_@rel32@hi+12
	v_mov_b32_e32 v2, v35
	v_mov_b32_e32 v3, v27
	s_swappc_b64 s[30:31], s[0:1]
	v_mov_b32_e32 v35, v0
	v_mov_b32_e32 v27, v1
.LBB329_52:
	s_or_b64 exec, exec, s[24:25]
	v_cmp_gt_u32_e32 vcc, 62, v53
	v_add_u32_e32 v65, 2, v53
	s_waitcnt lgkmcnt(1)
	v_cndmask_b32_e64 v0, 0, 2, vcc
	v_add_lshl_u32 v64, v0, v32, 2
	ds_bpermute_b32 v0, v64, v35
	s_waitcnt lgkmcnt(1)
	ds_bpermute_b32 v1, v64, v27
	v_cmp_le_u32_e32 vcc, v65, v33
	s_and_saveexec_b64 s[24:25], vcc
	s_cbranch_execz .LBB329_54
; %bb.53:
	s_getpc_b64 s[0:1]
	s_add_u32 s0, s0, _ZZZZN2at6native31launch_logcumsumexp_cuda_kernelERKNS_10TensorBaseES3_lENKUlvE_clEvENKUlvE2_clEvENKUlN3c107complexIfEES8_E_clES8_S8_@rel32@lo+4
	s_addc_u32 s1, s1, _ZZZZN2at6native31launch_logcumsumexp_cuda_kernelERKNS_10TensorBaseES3_lENKUlvE_clEvENKUlvE2_clEvENKUlN3c107complexIfEES8_E_clES8_S8_@rel32@hi+12
	v_mov_b32_e32 v2, v35
	v_mov_b32_e32 v3, v27
	s_swappc_b64 s[30:31], s[0:1]
	v_mov_b32_e32 v35, v0
	v_mov_b32_e32 v27, v1
.LBB329_54:
	s_or_b64 exec, exec, s[24:25]
	v_cmp_gt_u32_e32 vcc, 60, v53
	v_add_u32_e32 v67, 4, v53
	s_waitcnt lgkmcnt(1)
	v_cndmask_b32_e64 v0, 0, 4, vcc
	v_add_lshl_u32 v66, v0, v32, 2
	ds_bpermute_b32 v0, v66, v35
	s_waitcnt lgkmcnt(1)
	ds_bpermute_b32 v1, v66, v27
	v_cmp_le_u32_e32 vcc, v67, v33
	;; [unrolled: 22-line block ×4, first 2 shown]
	s_and_saveexec_b64 s[24:25], vcc
	s_cbranch_execz .LBB329_60
; %bb.59:
	s_getpc_b64 s[0:1]
	s_add_u32 s0, s0, _ZZZZN2at6native31launch_logcumsumexp_cuda_kernelERKNS_10TensorBaseES3_lENKUlvE_clEvENKUlvE2_clEvENKUlN3c107complexIfEES8_E_clES8_S8_@rel32@lo+4
	s_addc_u32 s1, s1, _ZZZZN2at6native31launch_logcumsumexp_cuda_kernelERKNS_10TensorBaseES3_lENKUlvE_clEvENKUlvE2_clEvENKUlN3c107complexIfEES8_E_clES8_S8_@rel32@hi+12
	v_mov_b32_e32 v2, v35
	v_mov_b32_e32 v3, v27
	s_swappc_b64 s[30:31], s[0:1]
	v_mov_b32_e32 v35, v0
	v_mov_b32_e32 v27, v1
.LBB329_60:
	s_or_b64 exec, exec, s[24:25]
	s_waitcnt lgkmcnt(1)
	v_mov_b32_e32 v0, 0x80
	v_lshl_or_b32 v73, v32, 2, v0
	ds_bpermute_b32 v30, v73, v35
	ds_bpermute_b32 v31, v73, v27
	v_add_u32_e32 v72, 32, v53
	v_cmp_le_u32_e64 s[24:25], v72, v33
	v_mov_b32_e32 v57, 0
	v_mov_b32_e32 v74, 2
	;; [unrolled: 1-line block ×6, first 2 shown]
.LBB329_61:                             ; =>This Loop Header: Depth=1
                                        ;     Child Loop BB329_66 Depth 2
	s_waitcnt lgkmcnt(1)
	v_mov_b32_e32 v0, v52
	v_mov_b32_e32 v56, v62
	v_mov_b32_e32 v50, v35
	v_mov_b32_e32 v51, v27
	s_and_saveexec_b64 s[0:1], s[24:25]
	s_xor_b64 s[24:25], exec, s[0:1]
	s_cbranch_execz .LBB329_63
; %bb.62:                               ;   in Loop: Header=BB329_61 Depth=1
	s_getpc_b64 s[0:1]
	s_add_u32 s0, s0, _ZZZZN2at6native31launch_logcumsumexp_cuda_kernelERKNS_10TensorBaseES3_lENKUlvE_clEvENKUlvE2_clEvENKUlN3c107complexIfEES8_E_clES8_S8_@rel32@lo+4
	s_addc_u32 s1, s1, _ZZZZN2at6native31launch_logcumsumexp_cuda_kernelERKNS_10TensorBaseES3_lENKUlvE_clEvENKUlvE2_clEvENKUlN3c107complexIfEES8_E_clES8_S8_@rel32@hi+12
	s_waitcnt lgkmcnt(1)
	v_mov_b32_e32 v0, v30
	s_waitcnt lgkmcnt(0)
	v_mov_b32_e32 v1, v31
	s_swappc_b64 s[30:31], s[0:1]
	v_mov_b32_e32 v50, v0
	v_mov_b32_e32 v51, v1
	;; [unrolled: 1-line block ×4, first 2 shown]
.LBB329_63:                             ;   in Loop: Header=BB329_61 Depth=1
	s_or_b64 exec, exec, s[24:25]
	v_cmp_ne_u16_sdwa s[0:1], v0, v74 src0_sel:BYTE_0 src1_sel:DWORD
	s_mov_b64 s[24:25], -1
	s_cmp_lg_u64 s[0:1], exec
	s_mov_b64 s[0:1], -1
                                        ; implicit-def: $vgpr30
                                        ; implicit-def: $vgpr33
	s_cbranch_scc1 .LBB329_81
; %bb.64:                               ;   in Loop: Header=BB329_61 Depth=1
	s_waitcnt lgkmcnt(0)
	v_lshl_add_u64 v[0:1], v[56:57], 4, s[34:35]
	s_waitcnt lgkmcnt(0)
	;;#ASMSTART
	global_load_dwordx4 v[30:33], v[0:1] off sc1	
s_waitcnt vmcnt(0)
	;;#ASMEND
	s_nop 0
	v_cmp_eq_u16_sdwa s[2:3], v32, v57 src0_sel:BYTE_0 src1_sel:DWORD
	s_and_saveexec_b64 s[0:1], s[2:3]
	s_cbranch_execz .LBB329_68
; %bb.65:                               ;   in Loop: Header=BB329_61 Depth=1
	s_mov_b64 s[2:3], 0
.LBB329_66:                             ;   Parent Loop BB329_61 Depth=1
                                        ; =>  This Inner Loop Header: Depth=2
	;;#ASMSTART
	global_load_dwordx4 v[30:33], v[0:1] off sc1	
s_waitcnt vmcnt(0)
	;;#ASMEND
	s_nop 0
	v_cmp_ne_u16_sdwa s[4:5], v32, v57 src0_sel:BYTE_0 src1_sel:DWORD
	s_or_b64 s[2:3], s[4:5], s[2:3]
	s_andn2_b64 exec, exec, s[2:3]
	s_cbranch_execnz .LBB329_66
; %bb.67:                               ;   in Loop: Header=BB329_61 Depth=1
	s_or_b64 exec, exec, s[2:3]
.LBB329_68:                             ;   in Loop: Header=BB329_61 Depth=1
	s_or_b64 exec, exec, s[0:1]
	v_cmp_eq_u16_sdwa s[0:1], v32, v74 src0_sel:BYTE_0 src1_sel:DWORD
	ds_bpermute_b32 v1, v63, v31
	s_nop 0
	v_and_b32_e32 v0, s1, v55
	v_or_b32_e32 v0, 0x80000000, v0
	v_ffbl_b32_e32 v3, v0
	ds_bpermute_b32 v0, v63, v30
	v_and_b32_e32 v2, s0, v54
	v_add_u32_e32 v3, 32, v3
	v_ffbl_b32_e32 v2, v2
	v_min_u32_e32 v33, v2, v3
	v_cmp_lt_u32_e32 vcc, v53, v33
	s_and_saveexec_b64 s[48:49], vcc
	s_cbranch_execz .LBB329_70
; %bb.69:                               ;   in Loop: Header=BB329_61 Depth=1
	s_getpc_b64 s[0:1]
	s_add_u32 s0, s0, _ZZZZN2at6native31launch_logcumsumexp_cuda_kernelERKNS_10TensorBaseES3_lENKUlvE_clEvENKUlvE2_clEvENKUlN3c107complexIfEES8_E_clES8_S8_@rel32@lo+4
	s_addc_u32 s1, s1, _ZZZZN2at6native31launch_logcumsumexp_cuda_kernelERKNS_10TensorBaseES3_lENKUlvE_clEvENKUlvE2_clEvENKUlN3c107complexIfEES8_E_clES8_S8_@rel32@hi+12
	v_mov_b32_e32 v2, v30
	v_mov_b32_e32 v3, v31
	s_swappc_b64 s[30:31], s[0:1]
	v_mov_b32_e32 v30, v0
	v_mov_b32_e32 v31, v1
.LBB329_70:                             ;   in Loop: Header=BB329_61 Depth=1
	s_or_b64 exec, exec, s[48:49]
	s_waitcnt lgkmcnt(0)
	ds_bpermute_b32 v0, v64, v30
	ds_bpermute_b32 v1, v64, v31
	v_cmp_le_u32_e32 vcc, v65, v33
	s_and_saveexec_b64 s[48:49], vcc
	s_cbranch_execz .LBB329_72
; %bb.71:                               ;   in Loop: Header=BB329_61 Depth=1
	s_getpc_b64 s[0:1]
	s_add_u32 s0, s0, _ZZZZN2at6native31launch_logcumsumexp_cuda_kernelERKNS_10TensorBaseES3_lENKUlvE_clEvENKUlvE2_clEvENKUlN3c107complexIfEES8_E_clES8_S8_@rel32@lo+4
	s_addc_u32 s1, s1, _ZZZZN2at6native31launch_logcumsumexp_cuda_kernelERKNS_10TensorBaseES3_lENKUlvE_clEvENKUlvE2_clEvENKUlN3c107complexIfEES8_E_clES8_S8_@rel32@hi+12
	v_mov_b32_e32 v2, v30
	v_mov_b32_e32 v3, v31
	s_swappc_b64 s[30:31], s[0:1]
	v_mov_b32_e32 v30, v0
	v_mov_b32_e32 v31, v1
.LBB329_72:                             ;   in Loop: Header=BB329_61 Depth=1
	s_or_b64 exec, exec, s[48:49]
	s_waitcnt lgkmcnt(1)
	ds_bpermute_b32 v0, v66, v30
	s_waitcnt lgkmcnt(1)
	ds_bpermute_b32 v1, v66, v31
	v_cmp_le_u32_e32 vcc, v67, v33
	s_and_saveexec_b64 s[48:49], vcc
	s_cbranch_execz .LBB329_74
; %bb.73:                               ;   in Loop: Header=BB329_61 Depth=1
	s_getpc_b64 s[0:1]
	s_add_u32 s0, s0, _ZZZZN2at6native31launch_logcumsumexp_cuda_kernelERKNS_10TensorBaseES3_lENKUlvE_clEvENKUlvE2_clEvENKUlN3c107complexIfEES8_E_clES8_S8_@rel32@lo+4
	s_addc_u32 s1, s1, _ZZZZN2at6native31launch_logcumsumexp_cuda_kernelERKNS_10TensorBaseES3_lENKUlvE_clEvENKUlvE2_clEvENKUlN3c107complexIfEES8_E_clES8_S8_@rel32@hi+12
	v_mov_b32_e32 v2, v30
	v_mov_b32_e32 v3, v31
	s_swappc_b64 s[30:31], s[0:1]
	v_mov_b32_e32 v30, v0
	v_mov_b32_e32 v31, v1
.LBB329_74:                             ;   in Loop: Header=BB329_61 Depth=1
	s_or_b64 exec, exec, s[48:49]
	s_waitcnt lgkmcnt(1)
	ds_bpermute_b32 v0, v68, v30
	s_waitcnt lgkmcnt(1)
	ds_bpermute_b32 v1, v68, v31
	v_cmp_le_u32_e32 vcc, v69, v33
	s_and_saveexec_b64 s[48:49], vcc
	s_cbranch_execz .LBB329_76
; %bb.75:                               ;   in Loop: Header=BB329_61 Depth=1
	s_getpc_b64 s[0:1]
	s_add_u32 s0, s0, _ZZZZN2at6native31launch_logcumsumexp_cuda_kernelERKNS_10TensorBaseES3_lENKUlvE_clEvENKUlvE2_clEvENKUlN3c107complexIfEES8_E_clES8_S8_@rel32@lo+4
	s_addc_u32 s1, s1, _ZZZZN2at6native31launch_logcumsumexp_cuda_kernelERKNS_10TensorBaseES3_lENKUlvE_clEvENKUlvE2_clEvENKUlN3c107complexIfEES8_E_clES8_S8_@rel32@hi+12
	v_mov_b32_e32 v2, v30
	v_mov_b32_e32 v3, v31
	s_swappc_b64 s[30:31], s[0:1]
	v_mov_b32_e32 v30, v0
	v_mov_b32_e32 v31, v1
.LBB329_76:                             ;   in Loop: Header=BB329_61 Depth=1
	s_or_b64 exec, exec, s[48:49]
	s_waitcnt lgkmcnt(1)
	ds_bpermute_b32 v0, v70, v30
	s_waitcnt lgkmcnt(1)
	ds_bpermute_b32 v1, v70, v31
	v_cmp_le_u32_e32 vcc, v71, v33
	s_and_saveexec_b64 s[48:49], vcc
	s_cbranch_execz .LBB329_78
; %bb.77:                               ;   in Loop: Header=BB329_61 Depth=1
	s_getpc_b64 s[0:1]
	s_add_u32 s0, s0, _ZZZZN2at6native31launch_logcumsumexp_cuda_kernelERKNS_10TensorBaseES3_lENKUlvE_clEvENKUlvE2_clEvENKUlN3c107complexIfEES8_E_clES8_S8_@rel32@lo+4
	s_addc_u32 s1, s1, _ZZZZN2at6native31launch_logcumsumexp_cuda_kernelERKNS_10TensorBaseES3_lENKUlvE_clEvENKUlvE2_clEvENKUlN3c107complexIfEES8_E_clES8_S8_@rel32@hi+12
	v_mov_b32_e32 v2, v30
	v_mov_b32_e32 v3, v31
	s_swappc_b64 s[30:31], s[0:1]
	v_mov_b32_e32 v30, v0
	v_mov_b32_e32 v31, v1
.LBB329_78:                             ;   in Loop: Header=BB329_61 Depth=1
	s_or_b64 exec, exec, s[48:49]
	s_waitcnt lgkmcnt(1)
	ds_bpermute_b32 v0, v73, v30
	s_waitcnt lgkmcnt(1)
	ds_bpermute_b32 v1, v73, v31
	v_cmp_le_u32_e32 vcc, v72, v33
	s_and_saveexec_b64 s[48:49], vcc
	s_cbranch_execz .LBB329_80
; %bb.79:                               ;   in Loop: Header=BB329_61 Depth=1
	s_getpc_b64 s[0:1]
	s_add_u32 s0, s0, _ZZZZN2at6native31launch_logcumsumexp_cuda_kernelERKNS_10TensorBaseES3_lENKUlvE_clEvENKUlvE2_clEvENKUlN3c107complexIfEES8_E_clES8_S8_@rel32@lo+4
	s_addc_u32 s1, s1, _ZZZZN2at6native31launch_logcumsumexp_cuda_kernelERKNS_10TensorBaseES3_lENKUlvE_clEvENKUlvE2_clEvENKUlN3c107complexIfEES8_E_clES8_S8_@rel32@hi+12
	v_mov_b32_e32 v2, v30
	v_mov_b32_e32 v3, v31
	s_swappc_b64 s[30:31], s[0:1]
	v_mov_b32_e32 v30, v0
	v_mov_b32_e32 v31, v1
.LBB329_80:                             ;   in Loop: Header=BB329_61 Depth=1
	s_or_b64 exec, exec, s[48:49]
	v_subrev_u32_e32 v33, 64, v56
	s_mov_b64 s[0:1], 0
.LBB329_81:                             ;   in Loop: Header=BB329_61 Depth=1
	s_and_b64 vcc, exec, s[0:1]
	s_cbranch_vccnz .LBB329_84
; %bb.82:                               ;   in Loop: Header=BB329_61 Depth=1
	v_mov_b32_e32 v3, v51
	v_mov_b32_e32 v2, v50
	s_branch .LBB329_61
.LBB329_83:
                                        ; implicit-def: $vgpr52
                                        ; implicit-def: $vgpr54
                                        ; implicit-def: $vgpr28
	s_cbranch_execnz .LBB329_91
	s_branch .LBB329_122
.LBB329_84:
	s_and_saveexec_b64 s[24:25], s[22:23]
	s_cbranch_execz .LBB329_86
; %bb.85:
	s_getpc_b64 s[0:1]
	s_add_u32 s0, s0, _ZZZZN2at6native31launch_logcumsumexp_cuda_kernelERKNS_10TensorBaseES3_lENKUlvE_clEvENKUlvE2_clEvENKUlN3c107complexIfEES8_E_clES8_S8_@rel32@lo+4
	s_addc_u32 s1, s1, _ZZZZN2at6native31launch_logcumsumexp_cuda_kernelERKNS_10TensorBaseES3_lENKUlvE_clEvENKUlvE2_clEvENKUlN3c107complexIfEES8_E_clES8_S8_@rel32@hi+12
	s_waitcnt lgkmcnt(1)
	v_mov_b32_e32 v0, v50
	s_waitcnt lgkmcnt(0)
	v_mov_b32_e32 v1, v51
	v_mov_b32_e32 v2, v28
	;; [unrolled: 1-line block ×3, first 2 shown]
	s_swappc_b64 s[30:31], s[0:1]
	s_add_i32 s0, s51, 64
	s_mov_b32 s1, 0
	s_lshl_b64 s[0:1], s[0:1], 4
	s_add_u32 s0, s34, s0
	s_addc_u32 s1, s35, s1
	v_mov_b32_e32 v2, 2
	v_mov_b32_e32 v3, 0
	v_mov_b64_e32 v[4:5], s[0:1]
	;;#ASMSTART
	global_store_dwordx4 v[4:5], v[0:3] off sc1	
s_waitcnt vmcnt(0)
	;;#ASMEND
.LBB329_86:
	s_or_b64 exec, exec, s[24:25]
	s_and_b64 exec, exec, s[20:21]
	s_cbranch_execz .LBB329_88
; %bb.87:
	s_waitcnt lgkmcnt(1)
	v_mov_b32_e32 v0, 0
	ds_write_b64 v0, v[50:51] offset:24
.LBB329_88:
	s_or_b64 exec, exec, s[46:47]
	s_waitcnt lgkmcnt(1)
	v_mov_b32_e32 v0, 0
	s_waitcnt lgkmcnt(0)
	s_barrier
	ds_read_b64 v[28:29], v0 offset:24
	v_mov_b32_e32 v2, v46
	v_mov_b32_e32 v3, v47
	s_and_saveexec_b64 s[24:25], s[18:19]
	s_cbranch_execz .LBB329_90
; %bb.89:
	v_cndmask_b32_e64 v1, v61, v37, s[22:23]
	v_cndmask_b32_e64 v0, v59, v36, s[22:23]
	s_getpc_b64 s[0:1]
	s_add_u32 s0, s0, _ZZZZN2at6native31launch_logcumsumexp_cuda_kernelERKNS_10TensorBaseES3_lENKUlvE_clEvENKUlvE2_clEvENKUlN3c107complexIfEES8_E_clES8_S8_@rel32@lo+4
	s_addc_u32 s1, s1, _ZZZZN2at6native31launch_logcumsumexp_cuda_kernelERKNS_10TensorBaseES3_lENKUlvE_clEvENKUlvE2_clEvENKUlN3c107complexIfEES8_E_clES8_S8_@rel32@hi+12
	v_mov_b32_e32 v2, v46
	v_mov_b32_e32 v3, v47
	s_swappc_b64 s[30:31], s[0:1]
	v_mov_b32_e32 v2, v0
	v_mov_b32_e32 v3, v1
.LBB329_90:
	s_or_b64 exec, exec, s[24:25]
	s_getpc_b64 s[22:23]
	s_add_u32 s22, s22, _ZZZZN2at6native31launch_logcumsumexp_cuda_kernelERKNS_10TensorBaseES3_lENKUlvE_clEvENKUlvE2_clEvENKUlN3c107complexIfEES8_E_clES8_S8_@rel32@lo+4
	s_addc_u32 s23, s23, _ZZZZN2at6native31launch_logcumsumexp_cuda_kernelERKNS_10TensorBaseES3_lENKUlvE_clEvENKUlvE2_clEvENKUlN3c107complexIfEES8_E_clES8_S8_@rel32@hi+12
	s_waitcnt lgkmcnt(0)
	v_mov_b32_e32 v0, v28
	v_mov_b32_e32 v1, v29
	s_swappc_b64 s[30:31], s[22:23]
	v_mov_b32_e32 v2, v48
	v_mov_b32_e32 v3, v49
	v_mov_b32_e32 v50, v0
	v_mov_b32_e32 v51, v1
	s_swappc_b64 s[30:31], s[22:23]
	v_mov_b32_e32 v2, v42
	v_mov_b32_e32 v3, v43
	;; [unrolled: 5-line block ×6, first 2 shown]
	s_branch .LBB329_122
.LBB329_91:
	s_cmp_eq_u64 s[40:41], 0
	s_cselect_b64 s[0:1], -1, 0
	s_xor_b64 s[2:3], s[20:21], -1
	s_or_b64 s[0:1], s[2:3], s[0:1]
                                        ; implicit-def: $vgpr50_vgpr51
	s_and_saveexec_b64 s[2:3], s[0:1]
	s_xor_b64 s[0:1], exec, s[2:3]
; %bb.92:
	v_mov_b64_e32 v[50:51], v[46:47]
; %bb.93:
	s_andn2_saveexec_b64 s[20:21], s[0:1]
	s_cbranch_execz .LBB329_95
; %bb.94:
	v_mov_b32_e32 v0, 0
	global_load_dwordx2 v[0:1], v0, s[36:37]
	s_getpc_b64 s[0:1]
	s_add_u32 s0, s0, _ZZZZN2at6native31launch_logcumsumexp_cuda_kernelERKNS_10TensorBaseES3_lENKUlvE_clEvENKUlvE2_clEvENKUlN3c107complexIfEES8_E_clES8_S8_@rel32@lo+4
	s_addc_u32 s1, s1, _ZZZZN2at6native31launch_logcumsumexp_cuda_kernelERKNS_10TensorBaseES3_lENKUlvE_clEvENKUlvE2_clEvENKUlN3c107complexIfEES8_E_clES8_S8_@rel32@hi+12
	v_mov_b32_e32 v2, v46
	v_mov_b32_e32 v3, v47
	s_swappc_b64 s[30:31], s[0:1]
	v_mov_b32_e32 v50, v0
	v_mov_b32_e32 v51, v1
	;; [unrolled: 1-line block ×4, first 2 shown]
.LBB329_95:
	s_or_b64 exec, exec, s[20:21]
	s_getpc_b64 s[20:21]
	s_add_u32 s20, s20, _ZZZZN2at6native31launch_logcumsumexp_cuda_kernelERKNS_10TensorBaseES3_lENKUlvE_clEvENKUlvE2_clEvENKUlN3c107complexIfEES8_E_clES8_S8_@rel32@lo+4
	s_addc_u32 s21, s21, _ZZZZN2at6native31launch_logcumsumexp_cuda_kernelERKNS_10TensorBaseES3_lENKUlvE_clEvENKUlvE2_clEvENKUlN3c107complexIfEES8_E_clES8_S8_@rel32@hi+12
	v_mov_b32_e32 v0, v46
	v_mov_b32_e32 v1, v47
	v_mov_b32_e32 v2, v48
	v_mov_b32_e32 v3, v49
	s_swappc_b64 s[30:31], s[20:21]
	v_mov_b32_e32 v2, v42
	v_mov_b32_e32 v3, v43
	v_mov_b32_e32 v52, v0
	v_mov_b32_e32 v53, v1
	s_swappc_b64 s[30:31], s[20:21]
	;; [unrolled: 5-line block ×5, first 2 shown]
	v_mov_b32_e32 v30, v0
	v_mbcnt_lo_u32_b32 v0, -1, 0
	v_mbcnt_hi_u32_b32 v36, -1, v0
	v_mov_b32_e32 v31, v1
	v_and_b32_e32 v32, 15, v36
	v_mov_b32_dpp v0, v30 row_shr:1 row_mask:0xf bank_mask:0xf
	v_mov_b32_dpp v1, v31 row_shr:1 row_mask:0xf bank_mask:0xf
	v_cmp_ne_u32_e32 vcc, 0, v32
	v_mov_b64_e32 v[4:5], v[30:31]
	v_mov_b32_e32 v2, v30
	v_mov_b32_e32 v3, v31
	;; [unrolled: 1-line block ×4, first 2 shown]
	s_and_saveexec_b64 s[22:23], vcc
	s_cbranch_execz .LBB329_97
; %bb.96:
	v_mov_b32_e32 v2, v30
	v_mov_b32_e32 v3, v31
	s_swappc_b64 s[30:31], s[20:21]
	v_mov_b32_e32 v4, v0
	v_mov_b32_e32 v5, v1
	v_mov_b32_e32 v2, v0
	v_mov_b32_e32 v3, v1
	v_mov_b32_e32 v35, v0
	v_mov_b32_e32 v27, v1
.LBB329_97:
	s_or_b64 exec, exec, s[22:23]
	v_mov_b32_dpp v0, v35 row_shr:2 row_mask:0xf bank_mask:0xf
	v_mov_b32_dpp v1, v27 row_shr:2 row_mask:0xf bank_mask:0xf
	v_cmp_lt_u32_e32 vcc, 1, v32
	s_and_saveexec_b64 s[20:21], vcc
	s_cbranch_execz .LBB329_99
; %bb.98:
	s_getpc_b64 s[0:1]
	s_add_u32 s0, s0, _ZZZZN2at6native31launch_logcumsumexp_cuda_kernelERKNS_10TensorBaseES3_lENKUlvE_clEvENKUlvE2_clEvENKUlN3c107complexIfEES8_E_clES8_S8_@rel32@lo+4
	s_addc_u32 s1, s1, _ZZZZN2at6native31launch_logcumsumexp_cuda_kernelERKNS_10TensorBaseES3_lENKUlvE_clEvENKUlvE2_clEvENKUlN3c107complexIfEES8_E_clES8_S8_@rel32@hi+12
	s_swappc_b64 s[30:31], s[0:1]
	v_mov_b32_e32 v4, v0
	v_mov_b32_e32 v5, v1
	;; [unrolled: 1-line block ×4, first 2 shown]
.LBB329_99:
	s_or_b64 exec, exec, s[20:21]
	s_nop 0
	v_mov_b32_dpp v0, v35 row_shr:4 row_mask:0xf bank_mask:0xf
	v_mov_b32_dpp v1, v27 row_shr:4 row_mask:0xf bank_mask:0xf
	v_cmp_lt_u32_e32 vcc, 3, v32
	s_and_saveexec_b64 s[20:21], vcc
	s_cbranch_execz .LBB329_101
; %bb.100:
	s_getpc_b64 s[0:1]
	s_add_u32 s0, s0, _ZZZZN2at6native31launch_logcumsumexp_cuda_kernelERKNS_10TensorBaseES3_lENKUlvE_clEvENKUlvE2_clEvENKUlN3c107complexIfEES8_E_clES8_S8_@rel32@lo+4
	s_addc_u32 s1, s1, _ZZZZN2at6native31launch_logcumsumexp_cuda_kernelERKNS_10TensorBaseES3_lENKUlvE_clEvENKUlvE2_clEvENKUlN3c107complexIfEES8_E_clES8_S8_@rel32@hi+12
	v_mov_b32_e32 v2, v35
	v_mov_b32_e32 v3, v27
	s_swappc_b64 s[30:31], s[0:1]
	v_mov_b32_e32 v4, v0
	v_mov_b32_e32 v5, v1
	;; [unrolled: 1-line block ×4, first 2 shown]
.LBB329_101:
	s_or_b64 exec, exec, s[20:21]
	s_nop 0
	v_mov_b32_dpp v0, v35 row_shr:8 row_mask:0xf bank_mask:0xf
	v_mov_b32_dpp v1, v27 row_shr:8 row_mask:0xf bank_mask:0xf
	v_cmp_lt_u32_e32 vcc, 7, v32
	s_and_saveexec_b64 s[20:21], vcc
	s_cbranch_execz .LBB329_103
; %bb.102:
	s_getpc_b64 s[0:1]
	s_add_u32 s0, s0, _ZZZZN2at6native31launch_logcumsumexp_cuda_kernelERKNS_10TensorBaseES3_lENKUlvE_clEvENKUlvE2_clEvENKUlN3c107complexIfEES8_E_clES8_S8_@rel32@lo+4
	s_addc_u32 s1, s1, _ZZZZN2at6native31launch_logcumsumexp_cuda_kernelERKNS_10TensorBaseES3_lENKUlvE_clEvENKUlvE2_clEvENKUlN3c107complexIfEES8_E_clES8_S8_@rel32@hi+12
	v_mov_b32_e32 v2, v35
	v_mov_b32_e32 v3, v27
	s_swappc_b64 s[30:31], s[0:1]
	v_mov_b32_e32 v4, v0
	v_mov_b32_e32 v5, v1
	;; [unrolled: 1-line block ×4, first 2 shown]
.LBB329_103:
	s_or_b64 exec, exec, s[20:21]
	v_and_b32_e32 v2, 16, v36
	v_mov_b32_dpp v0, v35 row_bcast:15 row_mask:0xf bank_mask:0xf
	v_mov_b32_dpp v1, v27 row_bcast:15 row_mask:0xf bank_mask:0xf
	v_cmp_ne_u32_e32 vcc, 0, v2
	s_and_saveexec_b64 s[20:21], vcc
	s_cbranch_execz .LBB329_105
; %bb.104:
	s_getpc_b64 s[0:1]
	s_add_u32 s0, s0, _ZZZZN2at6native31launch_logcumsumexp_cuda_kernelERKNS_10TensorBaseES3_lENKUlvE_clEvENKUlvE2_clEvENKUlN3c107complexIfEES8_E_clES8_S8_@rel32@lo+4
	s_addc_u32 s1, s1, _ZZZZN2at6native31launch_logcumsumexp_cuda_kernelERKNS_10TensorBaseES3_lENKUlvE_clEvENKUlvE2_clEvENKUlN3c107complexIfEES8_E_clES8_S8_@rel32@hi+12
	v_mov_b32_e32 v2, v35
	v_mov_b32_e32 v3, v27
	s_swappc_b64 s[30:31], s[0:1]
	v_mov_b32_e32 v4, v0
	v_mov_b32_e32 v5, v1
	;; [unrolled: 1-line block ×4, first 2 shown]
.LBB329_105:
	s_or_b64 exec, exec, s[20:21]
	s_nop 0
	v_mov_b32_dpp v0, v35 row_bcast:31 row_mask:0xf bank_mask:0xf
	v_mov_b32_dpp v1, v27 row_bcast:31 row_mask:0xf bank_mask:0xf
	v_cmp_lt_u32_e32 vcc, 31, v36
	s_and_saveexec_b64 s[20:21], vcc
	s_cbranch_execz .LBB329_107
; %bb.106:
	s_getpc_b64 s[0:1]
	s_add_u32 s0, s0, _ZZZZN2at6native31launch_logcumsumexp_cuda_kernelERKNS_10TensorBaseES3_lENKUlvE_clEvENKUlvE2_clEvENKUlN3c107complexIfEES8_E_clES8_S8_@rel32@lo+4
	s_addc_u32 s1, s1, _ZZZZN2at6native31launch_logcumsumexp_cuda_kernelERKNS_10TensorBaseES3_lENKUlvE_clEvENKUlvE2_clEvENKUlN3c107complexIfEES8_E_clES8_S8_@rel32@hi+12
	v_mov_b32_e32 v2, v35
	v_mov_b32_e32 v3, v27
	s_swappc_b64 s[30:31], s[0:1]
	v_mov_b32_e32 v4, v0
	v_mov_b32_e32 v5, v1
	;; [unrolled: 1-line block ×4, first 2 shown]
.LBB329_107:
	s_or_b64 exec, exec, s[20:21]
	v_or_b32_e32 v0, 63, v34
	v_lshrrev_b32_e32 v37, 6, v34
	v_cmp_eq_u32_e32 vcc, v34, v0
	s_and_saveexec_b64 s[0:1], vcc
; %bb.108:
	v_lshlrev_b32_e32 v0, 3, v37
	ds_write_b64 v0, v[4:5]
; %bb.109:
	s_or_b64 exec, exec, s[0:1]
	v_cmp_gt_u32_e32 vcc, 4, v34
	s_waitcnt lgkmcnt(0)
	s_barrier
	s_and_saveexec_b64 s[20:21], vcc
	s_cbranch_execz .LBB329_115
; %bb.110:
	s_movk_i32 s0, 0xffd8
	v_mad_i32_i24 v0, v34, s0, v60
	ds_read_b64 v[2:3], v0
	v_and_b32_e32 v32, 3, v36
	v_cmp_ne_u32_e32 vcc, 0, v32
	s_waitcnt lgkmcnt(0)
	v_mov_b32_dpp v0, v2 row_shr:1 row_mask:0xf bank_mask:0xf
	v_mov_b32_dpp v1, v3 row_shr:1 row_mask:0xf bank_mask:0xf
	s_and_saveexec_b64 s[22:23], vcc
	s_cbranch_execz .LBB329_112
; %bb.111:
	s_getpc_b64 s[0:1]
	s_add_u32 s0, s0, _ZZZZN2at6native31launch_logcumsumexp_cuda_kernelERKNS_10TensorBaseES3_lENKUlvE_clEvENKUlvE2_clEvENKUlN3c107complexIfEES8_E_clES8_S8_@rel32@lo+4
	s_addc_u32 s1, s1, _ZZZZN2at6native31launch_logcumsumexp_cuda_kernelERKNS_10TensorBaseES3_lENKUlvE_clEvENKUlvE2_clEvENKUlN3c107complexIfEES8_E_clES8_S8_@rel32@hi+12
	s_swappc_b64 s[30:31], s[0:1]
	v_mov_b32_e32 v2, v0
	v_mov_b32_e32 v3, v1
.LBB329_112:
	s_or_b64 exec, exec, s[22:23]
	v_mul_i32_i24_e32 v33, 0xffffffd8, v34
	v_mov_b32_dpp v0, v2 row_shr:2 row_mask:0xf bank_mask:0xf
	v_mov_b32_dpp v1, v3 row_shr:2 row_mask:0xf bank_mask:0xf
	v_cmp_lt_u32_e32 vcc, 1, v32
	s_and_saveexec_b64 s[22:23], vcc
	s_cbranch_execz .LBB329_114
; %bb.113:
	s_getpc_b64 s[0:1]
	s_add_u32 s0, s0, _ZZZZN2at6native31launch_logcumsumexp_cuda_kernelERKNS_10TensorBaseES3_lENKUlvE_clEvENKUlvE2_clEvENKUlN3c107complexIfEES8_E_clES8_S8_@rel32@lo+4
	s_addc_u32 s1, s1, _ZZZZN2at6native31launch_logcumsumexp_cuda_kernelERKNS_10TensorBaseES3_lENKUlvE_clEvENKUlvE2_clEvENKUlN3c107complexIfEES8_E_clES8_S8_@rel32@hi+12
	s_swappc_b64 s[30:31], s[0:1]
	v_mov_b32_e32 v2, v0
	v_mov_b32_e32 v3, v1
.LBB329_114:
	s_or_b64 exec, exec, s[22:23]
	v_add_u32_e32 v0, v60, v33
	ds_write_b64 v0, v[2:3]
.LBB329_115:
	s_or_b64 exec, exec, s[20:21]
	v_cmp_lt_u32_e32 vcc, 63, v34
	v_mov_b32_e32 v32, 0
	v_mov_b32_e32 v33, 0
	s_waitcnt lgkmcnt(0)
	s_barrier
	s_and_saveexec_b64 s[20:21], vcc
	s_cbranch_execz .LBB329_117
; %bb.116:
	v_lshl_add_u32 v0, v37, 3, -8
	ds_read_b64 v[32:33], v0
	s_getpc_b64 s[0:1]
	s_add_u32 s0, s0, _ZZZZN2at6native31launch_logcumsumexp_cuda_kernelERKNS_10TensorBaseES3_lENKUlvE_clEvENKUlvE2_clEvENKUlN3c107complexIfEES8_E_clES8_S8_@rel32@lo+4
	s_addc_u32 s1, s1, _ZZZZN2at6native31launch_logcumsumexp_cuda_kernelERKNS_10TensorBaseES3_lENKUlvE_clEvENKUlvE2_clEvENKUlN3c107complexIfEES8_E_clES8_S8_@rel32@hi+12
	v_mov_b32_e32 v2, v35
	v_mov_b32_e32 v3, v27
	s_waitcnt lgkmcnt(0)
	v_mov_b32_e32 v0, v32
	v_mov_b32_e32 v1, v33
	s_swappc_b64 s[30:31], s[0:1]
	v_mov_b32_e32 v35, v0
	v_mov_b32_e32 v27, v1
.LBB329_117:
	s_or_b64 exec, exec, s[20:21]
	v_add_u32_e32 v0, -1, v36
	v_and_b32_e32 v1, 64, v36
	v_cmp_lt_i32_e32 vcc, v0, v1
	s_nop 1
	v_cndmask_b32_e32 v0, v0, v36, vcc
	v_lshlrev_b32_e32 v1, 2, v0
	ds_bpermute_b32 v0, v1, v35
	ds_bpermute_b32 v1, v1, v27
	s_and_saveexec_b64 s[20:21], s[18:19]
	s_cbranch_execz .LBB329_119
; %bb.118:
	v_cmp_eq_u32_e32 vcc, 0, v36
	s_getpc_b64 s[18:19]
	s_add_u32 s18, s18, _ZZZZN2at6native31launch_logcumsumexp_cuda_kernelERKNS_10TensorBaseES3_lENKUlvE_clEvENKUlvE2_clEvENKUlN3c107complexIfEES8_E_clES8_S8_@rel32@lo+4
	s_addc_u32 s19, s19, _ZZZZN2at6native31launch_logcumsumexp_cuda_kernelERKNS_10TensorBaseES3_lENKUlvE_clEvENKUlvE2_clEvENKUlN3c107complexIfEES8_E_clES8_S8_@rel32@hi+12
	s_waitcnt lgkmcnt(1)
	v_cndmask_b32_e32 v0, v0, v32, vcc
	s_waitcnt lgkmcnt(0)
	v_cndmask_b32_e32 v1, v1, v33, vcc
	v_mov_b32_e32 v2, v46
	v_mov_b32_e32 v3, v47
	s_swappc_b64 s[30:31], s[18:19]
	v_mov_b32_e32 v2, v48
	v_mov_b32_e32 v3, v49
	;; [unrolled: 1-line block ×4, first 2 shown]
	;;#ASMSTART
	;;#ASMEND
	s_swappc_b64 s[30:31], s[18:19]
	v_mov_b32_e32 v2, v42
	v_mov_b32_e32 v3, v43
	v_mov_b32_e32 v52, v0
	v_mov_b32_e32 v53, v1
	s_swappc_b64 s[30:31], s[18:19]
	v_mov_b32_e32 v2, v44
	v_mov_b32_e32 v3, v45
	v_mov_b32_e32 v54, v0
	v_mov_b32_e32 v55, v1
	;; [unrolled: 5-line block ×4, first 2 shown]
	s_swappc_b64 s[30:31], s[18:19]
	v_mov_b32_e32 v30, v0
	v_mov_b32_e32 v31, v1
.LBB329_119:
	s_or_b64 exec, exec, s[20:21]
	s_movk_i32 s0, 0xff
	v_cmp_eq_u32_e32 vcc, s0, v34
	s_and_saveexec_b64 s[0:1], vcc
	s_cbranch_execz .LBB329_121
; %bb.120:
	s_add_u32 s2, s34, 0x400
	s_addc_u32 s3, s35, 0
	v_mov_b32_e32 v2, 2
	v_mov_b32_e32 v3, 0
	s_waitcnt lgkmcnt(1)
	v_mov_b32_e32 v0, v30
	s_waitcnt lgkmcnt(0)
	v_mov_b32_e32 v1, v31
	v_mov_b64_e32 v[4:5], s[2:3]
	;;#ASMSTART
	global_store_dwordx4 v[4:5], v[0:3] off sc1	
s_waitcnt vmcnt(0)
	;;#ASMEND
.LBB329_121:
	s_or_b64 exec, exec, s[0:1]
.LBB329_122:
	s_add_u32 s0, s28, s26
	s_addc_u32 s1, s29, s27
	s_add_u32 s0, s0, s44
	s_addc_u32 s1, s1, s45
	s_mov_b64 s[2:3], -1
	s_and_b64 vcc, exec, s[16:17]
	s_waitcnt lgkmcnt(0)
	s_barrier
	s_cbranch_vccz .LBB329_124
; %bb.123:
	s_movk_i32 s2, 0xffd8
	v_mad_i32_i24 v8, v34, s2, v60
	ds_write_b128 v60, v[50:53]
	ds_write_b128 v60, v[54:57] offset:16
	ds_write_b128 v60, v[28:31] offset:32
	s_waitcnt lgkmcnt(0)
	s_barrier
	ds_read2st64_b64 v[0:3], v8 offset1:4
	ds_read2st64_b64 v[4:7], v8 offset0:8 offset1:12
	ds_read2st64_b64 v[8:11], v8 offset0:16 offset1:20
	v_mov_b32_e32 v59, 0
	v_lshl_add_u64 v[12:13], s[0:1], 0, v[58:59]
	s_waitcnt lgkmcnt(2)
	global_store_dwordx2 v58, v[0:1], s[0:1]
	global_store_dwordx2 v58, v[2:3], s[0:1] offset:2048
	v_add_co_u32_e32 v0, vcc, 0x1000, v12
	s_mov_b64 s[2:3], 0
	s_nop 0
	v_addc_co_u32_e32 v1, vcc, 0, v13, vcc
	s_waitcnt lgkmcnt(1)
	global_store_dwordx2 v[0:1], v[4:5], off
	global_store_dwordx2 v[0:1], v[6:7], off offset:2048
	v_add_co_u32_e32 v0, vcc, 0x2000, v12
	s_nop 1
	v_addc_co_u32_e32 v1, vcc, 0, v13, vcc
	s_waitcnt lgkmcnt(0)
	global_store_dwordx2 v[0:1], v[8:9], off
	global_store_dwordx2 v[0:1], v[10:11], off offset:2048
.LBB329_124:
	s_andn2_b64 vcc, exec, s[2:3]
	s_cbranch_vccnz .LBB329_157
; %bb.125:
	s_movk_i32 s2, 0xffd8
	v_mad_i32_i24 v0, v34, s2, v60
	ds_write_b128 v60, v[50:53]
	ds_write_b128 v60, v[54:57] offset:16
	ds_write_b128 v60, v[28:31] offset:32
	s_waitcnt lgkmcnt(0)
	s_barrier
	ds_read2st64_b64 v[2:5], v0 offset1:4
	ds_read2st64_b64 v[6:9], v0 offset0:8 offset1:12
	ds_read2st64_b64 v[10:13], v0 offset0:16 offset1:20
	v_mov_b32_e32 v59, 0
	v_lshl_add_u64 v[0:1], s[0:1], 0, v[58:59]
	v_cmp_gt_u32_e32 vcc, s33, v34
	s_and_saveexec_b64 s[0:1], vcc
	s_cbranch_execz .LBB329_127
; %bb.126:
	s_waitcnt lgkmcnt(2)
	global_store_dwordx2 v[0:1], v[2:3], off
.LBB329_127:
	s_or_b64 exec, exec, s[0:1]
	v_or_b32_e32 v14, 0x100, v34
	v_cmp_gt_u32_e32 vcc, s33, v14
	s_and_saveexec_b64 s[0:1], vcc
	s_cbranch_execz .LBB329_129
; %bb.128:
	s_waitcnt lgkmcnt(2)
	global_store_dwordx2 v[0:1], v[4:5], off offset:2048
.LBB329_129:
	s_or_b64 exec, exec, s[0:1]
	v_or_b32_e32 v14, 0x200, v34
	v_cmp_gt_u32_e32 vcc, s33, v14
	s_and_saveexec_b64 s[0:1], vcc
	s_cbranch_execz .LBB329_131
; %bb.130:
	v_add_co_u32_e32 v14, vcc, 0x1000, v0
	s_nop 1
	v_addc_co_u32_e32 v15, vcc, 0, v1, vcc
	s_waitcnt lgkmcnt(1)
	global_store_dwordx2 v[14:15], v[6:7], off
.LBB329_131:
	s_or_b64 exec, exec, s[0:1]
	v_or_b32_e32 v14, 0x300, v34
	v_cmp_gt_u32_e32 vcc, s33, v14
	s_and_saveexec_b64 s[0:1], vcc
	s_cbranch_execz .LBB329_133
; %bb.132:
	v_add_co_u32_e32 v14, vcc, 0x1000, v0
	s_nop 1
	v_addc_co_u32_e32 v15, vcc, 0, v1, vcc
	s_waitcnt lgkmcnt(1)
	global_store_dwordx2 v[14:15], v[8:9], off offset:2048
.LBB329_133:
	s_or_b64 exec, exec, s[0:1]
	v_or_b32_e32 v14, 0x400, v34
	v_cmp_gt_u32_e32 vcc, s33, v14
	s_and_saveexec_b64 s[0:1], vcc
	s_cbranch_execz .LBB329_135
; %bb.134:
	v_add_co_u32_e32 v14, vcc, 0x2000, v0
	s_nop 1
	v_addc_co_u32_e32 v15, vcc, 0, v1, vcc
	s_waitcnt lgkmcnt(0)
	global_store_dwordx2 v[14:15], v[10:11], off
.LBB329_135:
	s_or_b64 exec, exec, s[0:1]
	v_or_b32_e32 v14, 0x500, v34
	v_cmp_gt_u32_e32 vcc, s33, v14
	s_and_saveexec_b64 s[0:1], vcc
	s_cbranch_execz .LBB329_137
; %bb.136:
	v_add_co_u32_e32 v0, vcc, 0x2000, v0
	s_nop 1
	v_addc_co_u32_e32 v1, vcc, 0, v1, vcc
	s_waitcnt lgkmcnt(0)
	global_store_dwordx2 v[0:1], v[12:13], off offset:2048
.LBB329_137:
	s_or_b64 exec, exec, s[0:1]
	v_cmp_lt_u64_e64 s[0:1], s[42:43], 2
	s_and_b64 vcc, exec, s[0:1]
	s_cbranch_vccnz .LBB329_157
; %bb.138:
	s_add_u32 s0, s33, -1
	s_addc_u32 s1, s50, -1
	s_mul_i32 s5, s1, 0xaaaaaaab
	s_mul_hi_u32 s6, s0, 0xaaaaaaab
	s_mul_hi_u32 s4, s1, 0xaaaaaaab
	s_add_u32 s5, s5, s6
	s_mul_i32 s3, s0, 0xaaaaaaaa
	s_addc_u32 s4, s4, 0
	s_mul_hi_u32 s2, s0, 0xaaaaaaaa
	s_add_u32 s3, s3, s5
	s_addc_u32 s2, s2, 0
	s_add_u32 s2, s4, s2
	s_addc_u32 s3, 0, 0
	s_mul_i32 s5, s1, 0xaaaaaaaa
	s_mul_hi_u32 s4, s1, 0xaaaaaaaa
	s_add_u32 s2, s5, s2
	s_addc_u32 s3, s4, s3
	v_mov_b32_e32 v35, v59
	s_lshr_b64 s[2:3], s[2:3], 2
	v_cmp_eq_u64_e32 vcc, s[2:3], v[34:35]
	s_and_saveexec_b64 s[2:3], vcc
	s_cbranch_execz .LBB329_157
; %bb.139:
	v_mul_u32_u24_e32 v0, 6, v34
	v_mul_hi_u32_u24_e32 v1, 6, v34
	v_mov_b32_e32 v14, s1
	v_sub_co_u32_e32 v0, vcc, s0, v0
	s_nop 1
	v_subb_co_u32_e32 v1, vcc, v14, v1, vcc
	v_cmp_lt_i64_e32 vcc, 2, v[0:1]
	s_and_saveexec_b64 s[0:1], vcc
	s_xor_b64 s[0:1], exec, s[0:1]
	s_cbranch_execz .LBB329_149
; %bb.140:
	v_cmp_lt_i64_e32 vcc, 3, v[0:1]
	s_and_saveexec_b64 s[2:3], vcc
	s_xor_b64 s[2:3], exec, s[2:3]
	s_cbranch_execz .LBB329_146
; %bb.141:
	;; [unrolled: 5-line block ×3, first 2 shown]
	v_mov_b32_e32 v0, 0
	s_waitcnt lgkmcnt(0)
	global_store_dwordx2 v0, v[12:13], s[38:39]
                                        ; implicit-def: $vgpr10_vgpr11_vgpr12_vgpr13
.LBB329_143:
	s_andn2_saveexec_b64 s[4:5], s[4:5]
	s_cbranch_execz .LBB329_145
; %bb.144:
	v_mov_b32_e32 v0, 0
	s_waitcnt lgkmcnt(0)
	global_store_dwordx2 v0, v[10:11], s[38:39]
.LBB329_145:
	s_or_b64 exec, exec, s[4:5]
                                        ; implicit-def: $vgpr6_vgpr7_vgpr8_vgpr9
.LBB329_146:
	s_andn2_saveexec_b64 s[2:3], s[2:3]
	s_cbranch_execz .LBB329_148
; %bb.147:
	v_mov_b32_e32 v0, 0
	s_waitcnt lgkmcnt(1)
	global_store_dwordx2 v0, v[8:9], s[38:39]
.LBB329_148:
	s_or_b64 exec, exec, s[2:3]
                                        ; implicit-def: $vgpr0_vgpr1
                                        ; implicit-def: $vgpr6_vgpr7_vgpr8_vgpr9
                                        ; implicit-def: $vgpr2_vgpr3_vgpr4_vgpr5
.LBB329_149:
	s_andn2_saveexec_b64 s[0:1], s[0:1]
	s_cbranch_execz .LBB329_157
; %bb.150:
	v_cmp_lt_i64_e32 vcc, 1, v[0:1]
	s_and_saveexec_b64 s[0:1], vcc
	s_xor_b64 s[0:1], exec, s[0:1]
	s_cbranch_execz .LBB329_152
; %bb.151:
	v_mov_b32_e32 v0, 0
	s_waitcnt lgkmcnt(1)
	global_store_dwordx2 v0, v[6:7], s[38:39]
                                        ; implicit-def: $vgpr2_vgpr3_vgpr4_vgpr5
                                        ; implicit-def: $vgpr0_vgpr1
.LBB329_152:
	s_andn2_saveexec_b64 s[0:1], s[0:1]
	s_cbranch_execz .LBB329_157
; %bb.153:
	v_cmp_ne_u64_e32 vcc, 1, v[0:1]
	s_and_saveexec_b64 s[0:1], vcc
	s_xor_b64 s[0:1], exec, s[0:1]
	s_cbranch_execz .LBB329_155
; %bb.154:
	v_mov_b32_e32 v0, 0
	s_waitcnt lgkmcnt(2)
	global_store_dwordx2 v0, v[2:3], s[38:39]
                                        ; implicit-def: $vgpr2_vgpr3_vgpr4_vgpr5
.LBB329_155:
	s_andn2_saveexec_b64 s[0:1], s[0:1]
	s_cbranch_execz .LBB329_157
; %bb.156:
	v_mov_b32_e32 v0, 0
	s_waitcnt lgkmcnt(2)
	global_store_dwordx2 v0, v[4:5], s[38:39]
.LBB329_157:
	s_endpgm
	.section	.rodata,"a",@progbits
	.p2align	6, 0x0
	.amdhsa_kernel _ZN7rocprim17ROCPRIM_400000_NS6detail17trampoline_kernelINS0_14default_configENS1_20scan_config_selectorIN3c107complexIfEEEEZZNS1_9scan_implILNS1_25lookback_scan_determinismE0ELb0ELb0ES3_PKS7_PS7_S7_ZZZN2at6native31launch_logcumsumexp_cuda_kernelERKNSE_10TensorBaseESI_lENKUlvE_clEvENKUlvE2_clEvEUlS7_S7_E_S7_EEDaPvRmT3_T4_T5_mT6_P12ihipStream_tbENKUlT_T0_E_clISt17integral_constantIbLb0EESY_IbLb1EEEEDaSU_SV_EUlSU_E_NS1_11comp_targetILNS1_3genE0ELNS1_11target_archE4294967295ELNS1_3gpuE0ELNS1_3repE0EEENS1_30default_config_static_selectorELNS0_4arch9wavefront6targetE1EEEvT1_
		.amdhsa_group_segment_fixed_size 12288
		.amdhsa_private_segment_fixed_size 0
		.amdhsa_kernarg_size 104
		.amdhsa_user_sgpr_count 2
		.amdhsa_user_sgpr_dispatch_ptr 0
		.amdhsa_user_sgpr_queue_ptr 0
		.amdhsa_user_sgpr_kernarg_segment_ptr 1
		.amdhsa_user_sgpr_dispatch_id 0
		.amdhsa_user_sgpr_kernarg_preload_length 0
		.amdhsa_user_sgpr_kernarg_preload_offset 0
		.amdhsa_user_sgpr_private_segment_size 0
		.amdhsa_uses_dynamic_stack 0
		.amdhsa_enable_private_segment 0
		.amdhsa_system_sgpr_workgroup_id_x 1
		.amdhsa_system_sgpr_workgroup_id_y 0
		.amdhsa_system_sgpr_workgroup_id_z 0
		.amdhsa_system_sgpr_workgroup_info 0
		.amdhsa_system_vgpr_workitem_id 0
		.amdhsa_next_free_vgpr 75
		.amdhsa_next_free_sgpr 52
		.amdhsa_accum_offset 76
		.amdhsa_reserve_vcc 1
		.amdhsa_float_round_mode_32 0
		.amdhsa_float_round_mode_16_64 0
		.amdhsa_float_denorm_mode_32 3
		.amdhsa_float_denorm_mode_16_64 3
		.amdhsa_dx10_clamp 1
		.amdhsa_ieee_mode 1
		.amdhsa_fp16_overflow 0
		.amdhsa_tg_split 0
		.amdhsa_exception_fp_ieee_invalid_op 0
		.amdhsa_exception_fp_denorm_src 0
		.amdhsa_exception_fp_ieee_div_zero 0
		.amdhsa_exception_fp_ieee_overflow 0
		.amdhsa_exception_fp_ieee_underflow 0
		.amdhsa_exception_fp_ieee_inexact 0
		.amdhsa_exception_int_div_zero 0
	.end_amdhsa_kernel
	.section	.text._ZN7rocprim17ROCPRIM_400000_NS6detail17trampoline_kernelINS0_14default_configENS1_20scan_config_selectorIN3c107complexIfEEEEZZNS1_9scan_implILNS1_25lookback_scan_determinismE0ELb0ELb0ES3_PKS7_PS7_S7_ZZZN2at6native31launch_logcumsumexp_cuda_kernelERKNSE_10TensorBaseESI_lENKUlvE_clEvENKUlvE2_clEvEUlS7_S7_E_S7_EEDaPvRmT3_T4_T5_mT6_P12ihipStream_tbENKUlT_T0_E_clISt17integral_constantIbLb0EESY_IbLb1EEEEDaSU_SV_EUlSU_E_NS1_11comp_targetILNS1_3genE0ELNS1_11target_archE4294967295ELNS1_3gpuE0ELNS1_3repE0EEENS1_30default_config_static_selectorELNS0_4arch9wavefront6targetE1EEEvT1_,"axG",@progbits,_ZN7rocprim17ROCPRIM_400000_NS6detail17trampoline_kernelINS0_14default_configENS1_20scan_config_selectorIN3c107complexIfEEEEZZNS1_9scan_implILNS1_25lookback_scan_determinismE0ELb0ELb0ES3_PKS7_PS7_S7_ZZZN2at6native31launch_logcumsumexp_cuda_kernelERKNSE_10TensorBaseESI_lENKUlvE_clEvENKUlvE2_clEvEUlS7_S7_E_S7_EEDaPvRmT3_T4_T5_mT6_P12ihipStream_tbENKUlT_T0_E_clISt17integral_constantIbLb0EESY_IbLb1EEEEDaSU_SV_EUlSU_E_NS1_11comp_targetILNS1_3genE0ELNS1_11target_archE4294967295ELNS1_3gpuE0ELNS1_3repE0EEENS1_30default_config_static_selectorELNS0_4arch9wavefront6targetE1EEEvT1_,comdat
.Lfunc_end329:
	.size	_ZN7rocprim17ROCPRIM_400000_NS6detail17trampoline_kernelINS0_14default_configENS1_20scan_config_selectorIN3c107complexIfEEEEZZNS1_9scan_implILNS1_25lookback_scan_determinismE0ELb0ELb0ES3_PKS7_PS7_S7_ZZZN2at6native31launch_logcumsumexp_cuda_kernelERKNSE_10TensorBaseESI_lENKUlvE_clEvENKUlvE2_clEvEUlS7_S7_E_S7_EEDaPvRmT3_T4_T5_mT6_P12ihipStream_tbENKUlT_T0_E_clISt17integral_constantIbLb0EESY_IbLb1EEEEDaSU_SV_EUlSU_E_NS1_11comp_targetILNS1_3genE0ELNS1_11target_archE4294967295ELNS1_3gpuE0ELNS1_3repE0EEENS1_30default_config_static_selectorELNS0_4arch9wavefront6targetE1EEEvT1_, .Lfunc_end329-_ZN7rocprim17ROCPRIM_400000_NS6detail17trampoline_kernelINS0_14default_configENS1_20scan_config_selectorIN3c107complexIfEEEEZZNS1_9scan_implILNS1_25lookback_scan_determinismE0ELb0ELb0ES3_PKS7_PS7_S7_ZZZN2at6native31launch_logcumsumexp_cuda_kernelERKNSE_10TensorBaseESI_lENKUlvE_clEvENKUlvE2_clEvEUlS7_S7_E_S7_EEDaPvRmT3_T4_T5_mT6_P12ihipStream_tbENKUlT_T0_E_clISt17integral_constantIbLb0EESY_IbLb1EEEEDaSU_SV_EUlSU_E_NS1_11comp_targetILNS1_3genE0ELNS1_11target_archE4294967295ELNS1_3gpuE0ELNS1_3repE0EEENS1_30default_config_static_selectorELNS0_4arch9wavefront6targetE1EEEvT1_
                                        ; -- End function
	.set _ZN7rocprim17ROCPRIM_400000_NS6detail17trampoline_kernelINS0_14default_configENS1_20scan_config_selectorIN3c107complexIfEEEEZZNS1_9scan_implILNS1_25lookback_scan_determinismE0ELb0ELb0ES3_PKS7_PS7_S7_ZZZN2at6native31launch_logcumsumexp_cuda_kernelERKNSE_10TensorBaseESI_lENKUlvE_clEvENKUlvE2_clEvEUlS7_S7_E_S7_EEDaPvRmT3_T4_T5_mT6_P12ihipStream_tbENKUlT_T0_E_clISt17integral_constantIbLb0EESY_IbLb1EEEEDaSU_SV_EUlSU_E_NS1_11comp_targetILNS1_3genE0ELNS1_11target_archE4294967295ELNS1_3gpuE0ELNS1_3repE0EEENS1_30default_config_static_selectorELNS0_4arch9wavefront6targetE1EEEvT1_.num_vgpr, max(75, .L_ZZZZN2at6native31launch_logcumsumexp_cuda_kernelERKNS_10TensorBaseES3_lENKUlvE_clEvENKUlvE2_clEvENKUlN3c107complexIfEES8_E_clES8_S8_.num_vgpr)
	.set _ZN7rocprim17ROCPRIM_400000_NS6detail17trampoline_kernelINS0_14default_configENS1_20scan_config_selectorIN3c107complexIfEEEEZZNS1_9scan_implILNS1_25lookback_scan_determinismE0ELb0ELb0ES3_PKS7_PS7_S7_ZZZN2at6native31launch_logcumsumexp_cuda_kernelERKNSE_10TensorBaseESI_lENKUlvE_clEvENKUlvE2_clEvEUlS7_S7_E_S7_EEDaPvRmT3_T4_T5_mT6_P12ihipStream_tbENKUlT_T0_E_clISt17integral_constantIbLb0EESY_IbLb1EEEEDaSU_SV_EUlSU_E_NS1_11comp_targetILNS1_3genE0ELNS1_11target_archE4294967295ELNS1_3gpuE0ELNS1_3repE0EEENS1_30default_config_static_selectorELNS0_4arch9wavefront6targetE1EEEvT1_.num_agpr, max(0, .L_ZZZZN2at6native31launch_logcumsumexp_cuda_kernelERKNS_10TensorBaseES3_lENKUlvE_clEvENKUlvE2_clEvENKUlN3c107complexIfEES8_E_clES8_S8_.num_agpr)
	.set _ZN7rocprim17ROCPRIM_400000_NS6detail17trampoline_kernelINS0_14default_configENS1_20scan_config_selectorIN3c107complexIfEEEEZZNS1_9scan_implILNS1_25lookback_scan_determinismE0ELb0ELb0ES3_PKS7_PS7_S7_ZZZN2at6native31launch_logcumsumexp_cuda_kernelERKNSE_10TensorBaseESI_lENKUlvE_clEvENKUlvE2_clEvEUlS7_S7_E_S7_EEDaPvRmT3_T4_T5_mT6_P12ihipStream_tbENKUlT_T0_E_clISt17integral_constantIbLb0EESY_IbLb1EEEEDaSU_SV_EUlSU_E_NS1_11comp_targetILNS1_3genE0ELNS1_11target_archE4294967295ELNS1_3gpuE0ELNS1_3repE0EEENS1_30default_config_static_selectorELNS0_4arch9wavefront6targetE1EEEvT1_.numbered_sgpr, max(52, .L_ZZZZN2at6native31launch_logcumsumexp_cuda_kernelERKNS_10TensorBaseES3_lENKUlvE_clEvENKUlvE2_clEvENKUlN3c107complexIfEES8_E_clES8_S8_.numbered_sgpr)
	.set _ZN7rocprim17ROCPRIM_400000_NS6detail17trampoline_kernelINS0_14default_configENS1_20scan_config_selectorIN3c107complexIfEEEEZZNS1_9scan_implILNS1_25lookback_scan_determinismE0ELb0ELb0ES3_PKS7_PS7_S7_ZZZN2at6native31launch_logcumsumexp_cuda_kernelERKNSE_10TensorBaseESI_lENKUlvE_clEvENKUlvE2_clEvEUlS7_S7_E_S7_EEDaPvRmT3_T4_T5_mT6_P12ihipStream_tbENKUlT_T0_E_clISt17integral_constantIbLb0EESY_IbLb1EEEEDaSU_SV_EUlSU_E_NS1_11comp_targetILNS1_3genE0ELNS1_11target_archE4294967295ELNS1_3gpuE0ELNS1_3repE0EEENS1_30default_config_static_selectorELNS0_4arch9wavefront6targetE1EEEvT1_.num_named_barrier, max(0, .L_ZZZZN2at6native31launch_logcumsumexp_cuda_kernelERKNS_10TensorBaseES3_lENKUlvE_clEvENKUlvE2_clEvENKUlN3c107complexIfEES8_E_clES8_S8_.num_named_barrier)
	.set _ZN7rocprim17ROCPRIM_400000_NS6detail17trampoline_kernelINS0_14default_configENS1_20scan_config_selectorIN3c107complexIfEEEEZZNS1_9scan_implILNS1_25lookback_scan_determinismE0ELb0ELb0ES3_PKS7_PS7_S7_ZZZN2at6native31launch_logcumsumexp_cuda_kernelERKNSE_10TensorBaseESI_lENKUlvE_clEvENKUlvE2_clEvEUlS7_S7_E_S7_EEDaPvRmT3_T4_T5_mT6_P12ihipStream_tbENKUlT_T0_E_clISt17integral_constantIbLb0EESY_IbLb1EEEEDaSU_SV_EUlSU_E_NS1_11comp_targetILNS1_3genE0ELNS1_11target_archE4294967295ELNS1_3gpuE0ELNS1_3repE0EEENS1_30default_config_static_selectorELNS0_4arch9wavefront6targetE1EEEvT1_.private_seg_size, 0+max(.L_ZZZZN2at6native31launch_logcumsumexp_cuda_kernelERKNS_10TensorBaseES3_lENKUlvE_clEvENKUlvE2_clEvENKUlN3c107complexIfEES8_E_clES8_S8_.private_seg_size)
	.set _ZN7rocprim17ROCPRIM_400000_NS6detail17trampoline_kernelINS0_14default_configENS1_20scan_config_selectorIN3c107complexIfEEEEZZNS1_9scan_implILNS1_25lookback_scan_determinismE0ELb0ELb0ES3_PKS7_PS7_S7_ZZZN2at6native31launch_logcumsumexp_cuda_kernelERKNSE_10TensorBaseESI_lENKUlvE_clEvENKUlvE2_clEvEUlS7_S7_E_S7_EEDaPvRmT3_T4_T5_mT6_P12ihipStream_tbENKUlT_T0_E_clISt17integral_constantIbLb0EESY_IbLb1EEEEDaSU_SV_EUlSU_E_NS1_11comp_targetILNS1_3genE0ELNS1_11target_archE4294967295ELNS1_3gpuE0ELNS1_3repE0EEENS1_30default_config_static_selectorELNS0_4arch9wavefront6targetE1EEEvT1_.uses_vcc, or(1, .L_ZZZZN2at6native31launch_logcumsumexp_cuda_kernelERKNS_10TensorBaseES3_lENKUlvE_clEvENKUlvE2_clEvENKUlN3c107complexIfEES8_E_clES8_S8_.uses_vcc)
	.set _ZN7rocprim17ROCPRIM_400000_NS6detail17trampoline_kernelINS0_14default_configENS1_20scan_config_selectorIN3c107complexIfEEEEZZNS1_9scan_implILNS1_25lookback_scan_determinismE0ELb0ELb0ES3_PKS7_PS7_S7_ZZZN2at6native31launch_logcumsumexp_cuda_kernelERKNSE_10TensorBaseESI_lENKUlvE_clEvENKUlvE2_clEvEUlS7_S7_E_S7_EEDaPvRmT3_T4_T5_mT6_P12ihipStream_tbENKUlT_T0_E_clISt17integral_constantIbLb0EESY_IbLb1EEEEDaSU_SV_EUlSU_E_NS1_11comp_targetILNS1_3genE0ELNS1_11target_archE4294967295ELNS1_3gpuE0ELNS1_3repE0EEENS1_30default_config_static_selectorELNS0_4arch9wavefront6targetE1EEEvT1_.uses_flat_scratch, or(0, .L_ZZZZN2at6native31launch_logcumsumexp_cuda_kernelERKNS_10TensorBaseES3_lENKUlvE_clEvENKUlvE2_clEvENKUlN3c107complexIfEES8_E_clES8_S8_.uses_flat_scratch)
	.set _ZN7rocprim17ROCPRIM_400000_NS6detail17trampoline_kernelINS0_14default_configENS1_20scan_config_selectorIN3c107complexIfEEEEZZNS1_9scan_implILNS1_25lookback_scan_determinismE0ELb0ELb0ES3_PKS7_PS7_S7_ZZZN2at6native31launch_logcumsumexp_cuda_kernelERKNSE_10TensorBaseESI_lENKUlvE_clEvENKUlvE2_clEvEUlS7_S7_E_S7_EEDaPvRmT3_T4_T5_mT6_P12ihipStream_tbENKUlT_T0_E_clISt17integral_constantIbLb0EESY_IbLb1EEEEDaSU_SV_EUlSU_E_NS1_11comp_targetILNS1_3genE0ELNS1_11target_archE4294967295ELNS1_3gpuE0ELNS1_3repE0EEENS1_30default_config_static_selectorELNS0_4arch9wavefront6targetE1EEEvT1_.has_dyn_sized_stack, or(0, .L_ZZZZN2at6native31launch_logcumsumexp_cuda_kernelERKNS_10TensorBaseES3_lENKUlvE_clEvENKUlvE2_clEvENKUlN3c107complexIfEES8_E_clES8_S8_.has_dyn_sized_stack)
	.set _ZN7rocprim17ROCPRIM_400000_NS6detail17trampoline_kernelINS0_14default_configENS1_20scan_config_selectorIN3c107complexIfEEEEZZNS1_9scan_implILNS1_25lookback_scan_determinismE0ELb0ELb0ES3_PKS7_PS7_S7_ZZZN2at6native31launch_logcumsumexp_cuda_kernelERKNSE_10TensorBaseESI_lENKUlvE_clEvENKUlvE2_clEvEUlS7_S7_E_S7_EEDaPvRmT3_T4_T5_mT6_P12ihipStream_tbENKUlT_T0_E_clISt17integral_constantIbLb0EESY_IbLb1EEEEDaSU_SV_EUlSU_E_NS1_11comp_targetILNS1_3genE0ELNS1_11target_archE4294967295ELNS1_3gpuE0ELNS1_3repE0EEENS1_30default_config_static_selectorELNS0_4arch9wavefront6targetE1EEEvT1_.has_recursion, or(0, .L_ZZZZN2at6native31launch_logcumsumexp_cuda_kernelERKNS_10TensorBaseES3_lENKUlvE_clEvENKUlvE2_clEvENKUlN3c107complexIfEES8_E_clES8_S8_.has_recursion)
	.set _ZN7rocprim17ROCPRIM_400000_NS6detail17trampoline_kernelINS0_14default_configENS1_20scan_config_selectorIN3c107complexIfEEEEZZNS1_9scan_implILNS1_25lookback_scan_determinismE0ELb0ELb0ES3_PKS7_PS7_S7_ZZZN2at6native31launch_logcumsumexp_cuda_kernelERKNSE_10TensorBaseESI_lENKUlvE_clEvENKUlvE2_clEvEUlS7_S7_E_S7_EEDaPvRmT3_T4_T5_mT6_P12ihipStream_tbENKUlT_T0_E_clISt17integral_constantIbLb0EESY_IbLb1EEEEDaSU_SV_EUlSU_E_NS1_11comp_targetILNS1_3genE0ELNS1_11target_archE4294967295ELNS1_3gpuE0ELNS1_3repE0EEENS1_30default_config_static_selectorELNS0_4arch9wavefront6targetE1EEEvT1_.has_indirect_call, or(0, .L_ZZZZN2at6native31launch_logcumsumexp_cuda_kernelERKNS_10TensorBaseES3_lENKUlvE_clEvENKUlvE2_clEvENKUlN3c107complexIfEES8_E_clES8_S8_.has_indirect_call)
	.section	.AMDGPU.csdata,"",@progbits
; Kernel info:
; codeLenInByte = 6112
; TotalNumSgprs: 58
; NumVgprs: 75
; NumAgprs: 0
; TotalNumVgprs: 75
; ScratchSize: 0
; MemoryBound: 0
; FloatMode: 240
; IeeeMode: 1
; LDSByteSize: 12288 bytes/workgroup (compile time only)
; SGPRBlocks: 7
; VGPRBlocks: 9
; NumSGPRsForWavesPerEU: 58
; NumVGPRsForWavesPerEU: 75
; AccumOffset: 76
; Occupancy: 6
; WaveLimiterHint : 0
; COMPUTE_PGM_RSRC2:SCRATCH_EN: 0
; COMPUTE_PGM_RSRC2:USER_SGPR: 2
; COMPUTE_PGM_RSRC2:TRAP_HANDLER: 0
; COMPUTE_PGM_RSRC2:TGID_X_EN: 1
; COMPUTE_PGM_RSRC2:TGID_Y_EN: 0
; COMPUTE_PGM_RSRC2:TGID_Z_EN: 0
; COMPUTE_PGM_RSRC2:TIDIG_COMP_CNT: 0
; COMPUTE_PGM_RSRC3_GFX90A:ACCUM_OFFSET: 18
; COMPUTE_PGM_RSRC3_GFX90A:TG_SPLIT: 0
	.section	.text._ZN7rocprim17ROCPRIM_400000_NS6detail17trampoline_kernelINS0_14default_configENS1_20scan_config_selectorIN3c107complexIfEEEEZZNS1_9scan_implILNS1_25lookback_scan_determinismE0ELb0ELb0ES3_PKS7_PS7_S7_ZZZN2at6native31launch_logcumsumexp_cuda_kernelERKNSE_10TensorBaseESI_lENKUlvE_clEvENKUlvE2_clEvEUlS7_S7_E_S7_EEDaPvRmT3_T4_T5_mT6_P12ihipStream_tbENKUlT_T0_E_clISt17integral_constantIbLb0EESY_IbLb1EEEEDaSU_SV_EUlSU_E_NS1_11comp_targetILNS1_3genE5ELNS1_11target_archE942ELNS1_3gpuE9ELNS1_3repE0EEENS1_30default_config_static_selectorELNS0_4arch9wavefront6targetE1EEEvT1_,"axG",@progbits,_ZN7rocprim17ROCPRIM_400000_NS6detail17trampoline_kernelINS0_14default_configENS1_20scan_config_selectorIN3c107complexIfEEEEZZNS1_9scan_implILNS1_25lookback_scan_determinismE0ELb0ELb0ES3_PKS7_PS7_S7_ZZZN2at6native31launch_logcumsumexp_cuda_kernelERKNSE_10TensorBaseESI_lENKUlvE_clEvENKUlvE2_clEvEUlS7_S7_E_S7_EEDaPvRmT3_T4_T5_mT6_P12ihipStream_tbENKUlT_T0_E_clISt17integral_constantIbLb0EESY_IbLb1EEEEDaSU_SV_EUlSU_E_NS1_11comp_targetILNS1_3genE5ELNS1_11target_archE942ELNS1_3gpuE9ELNS1_3repE0EEENS1_30default_config_static_selectorELNS0_4arch9wavefront6targetE1EEEvT1_,comdat
	.globl	_ZN7rocprim17ROCPRIM_400000_NS6detail17trampoline_kernelINS0_14default_configENS1_20scan_config_selectorIN3c107complexIfEEEEZZNS1_9scan_implILNS1_25lookback_scan_determinismE0ELb0ELb0ES3_PKS7_PS7_S7_ZZZN2at6native31launch_logcumsumexp_cuda_kernelERKNSE_10TensorBaseESI_lENKUlvE_clEvENKUlvE2_clEvEUlS7_S7_E_S7_EEDaPvRmT3_T4_T5_mT6_P12ihipStream_tbENKUlT_T0_E_clISt17integral_constantIbLb0EESY_IbLb1EEEEDaSU_SV_EUlSU_E_NS1_11comp_targetILNS1_3genE5ELNS1_11target_archE942ELNS1_3gpuE9ELNS1_3repE0EEENS1_30default_config_static_selectorELNS0_4arch9wavefront6targetE1EEEvT1_ ; -- Begin function _ZN7rocprim17ROCPRIM_400000_NS6detail17trampoline_kernelINS0_14default_configENS1_20scan_config_selectorIN3c107complexIfEEEEZZNS1_9scan_implILNS1_25lookback_scan_determinismE0ELb0ELb0ES3_PKS7_PS7_S7_ZZZN2at6native31launch_logcumsumexp_cuda_kernelERKNSE_10TensorBaseESI_lENKUlvE_clEvENKUlvE2_clEvEUlS7_S7_E_S7_EEDaPvRmT3_T4_T5_mT6_P12ihipStream_tbENKUlT_T0_E_clISt17integral_constantIbLb0EESY_IbLb1EEEEDaSU_SV_EUlSU_E_NS1_11comp_targetILNS1_3genE5ELNS1_11target_archE942ELNS1_3gpuE9ELNS1_3repE0EEENS1_30default_config_static_selectorELNS0_4arch9wavefront6targetE1EEEvT1_
	.p2align	8
	.type	_ZN7rocprim17ROCPRIM_400000_NS6detail17trampoline_kernelINS0_14default_configENS1_20scan_config_selectorIN3c107complexIfEEEEZZNS1_9scan_implILNS1_25lookback_scan_determinismE0ELb0ELb0ES3_PKS7_PS7_S7_ZZZN2at6native31launch_logcumsumexp_cuda_kernelERKNSE_10TensorBaseESI_lENKUlvE_clEvENKUlvE2_clEvEUlS7_S7_E_S7_EEDaPvRmT3_T4_T5_mT6_P12ihipStream_tbENKUlT_T0_E_clISt17integral_constantIbLb0EESY_IbLb1EEEEDaSU_SV_EUlSU_E_NS1_11comp_targetILNS1_3genE5ELNS1_11target_archE942ELNS1_3gpuE9ELNS1_3repE0EEENS1_30default_config_static_selectorELNS0_4arch9wavefront6targetE1EEEvT1_,@function
_ZN7rocprim17ROCPRIM_400000_NS6detail17trampoline_kernelINS0_14default_configENS1_20scan_config_selectorIN3c107complexIfEEEEZZNS1_9scan_implILNS1_25lookback_scan_determinismE0ELb0ELb0ES3_PKS7_PS7_S7_ZZZN2at6native31launch_logcumsumexp_cuda_kernelERKNSE_10TensorBaseESI_lENKUlvE_clEvENKUlvE2_clEvEUlS7_S7_E_S7_EEDaPvRmT3_T4_T5_mT6_P12ihipStream_tbENKUlT_T0_E_clISt17integral_constantIbLb0EESY_IbLb1EEEEDaSU_SV_EUlSU_E_NS1_11comp_targetILNS1_3genE5ELNS1_11target_archE942ELNS1_3gpuE9ELNS1_3repE0EEENS1_30default_config_static_selectorELNS0_4arch9wavefront6targetE1EEEvT1_: ; @_ZN7rocprim17ROCPRIM_400000_NS6detail17trampoline_kernelINS0_14default_configENS1_20scan_config_selectorIN3c107complexIfEEEEZZNS1_9scan_implILNS1_25lookback_scan_determinismE0ELb0ELb0ES3_PKS7_PS7_S7_ZZZN2at6native31launch_logcumsumexp_cuda_kernelERKNSE_10TensorBaseESI_lENKUlvE_clEvENKUlvE2_clEvEUlS7_S7_E_S7_EEDaPvRmT3_T4_T5_mT6_P12ihipStream_tbENKUlT_T0_E_clISt17integral_constantIbLb0EESY_IbLb1EEEEDaSU_SV_EUlSU_E_NS1_11comp_targetILNS1_3genE5ELNS1_11target_archE942ELNS1_3gpuE9ELNS1_3repE0EEENS1_30default_config_static_selectorELNS0_4arch9wavefront6targetE1EEEvT1_
; %bb.0:
	.section	.rodata,"a",@progbits
	.p2align	6, 0x0
	.amdhsa_kernel _ZN7rocprim17ROCPRIM_400000_NS6detail17trampoline_kernelINS0_14default_configENS1_20scan_config_selectorIN3c107complexIfEEEEZZNS1_9scan_implILNS1_25lookback_scan_determinismE0ELb0ELb0ES3_PKS7_PS7_S7_ZZZN2at6native31launch_logcumsumexp_cuda_kernelERKNSE_10TensorBaseESI_lENKUlvE_clEvENKUlvE2_clEvEUlS7_S7_E_S7_EEDaPvRmT3_T4_T5_mT6_P12ihipStream_tbENKUlT_T0_E_clISt17integral_constantIbLb0EESY_IbLb1EEEEDaSU_SV_EUlSU_E_NS1_11comp_targetILNS1_3genE5ELNS1_11target_archE942ELNS1_3gpuE9ELNS1_3repE0EEENS1_30default_config_static_selectorELNS0_4arch9wavefront6targetE1EEEvT1_
		.amdhsa_group_segment_fixed_size 0
		.amdhsa_private_segment_fixed_size 0
		.amdhsa_kernarg_size 104
		.amdhsa_user_sgpr_count 2
		.amdhsa_user_sgpr_dispatch_ptr 0
		.amdhsa_user_sgpr_queue_ptr 0
		.amdhsa_user_sgpr_kernarg_segment_ptr 1
		.amdhsa_user_sgpr_dispatch_id 0
		.amdhsa_user_sgpr_kernarg_preload_length 0
		.amdhsa_user_sgpr_kernarg_preload_offset 0
		.amdhsa_user_sgpr_private_segment_size 0
		.amdhsa_uses_dynamic_stack 0
		.amdhsa_enable_private_segment 0
		.amdhsa_system_sgpr_workgroup_id_x 1
		.amdhsa_system_sgpr_workgroup_id_y 0
		.amdhsa_system_sgpr_workgroup_id_z 0
		.amdhsa_system_sgpr_workgroup_info 0
		.amdhsa_system_vgpr_workitem_id 0
		.amdhsa_next_free_vgpr 1
		.amdhsa_next_free_sgpr 0
		.amdhsa_accum_offset 4
		.amdhsa_reserve_vcc 0
		.amdhsa_float_round_mode_32 0
		.amdhsa_float_round_mode_16_64 0
		.amdhsa_float_denorm_mode_32 3
		.amdhsa_float_denorm_mode_16_64 3
		.amdhsa_dx10_clamp 1
		.amdhsa_ieee_mode 1
		.amdhsa_fp16_overflow 0
		.amdhsa_tg_split 0
		.amdhsa_exception_fp_ieee_invalid_op 0
		.amdhsa_exception_fp_denorm_src 0
		.amdhsa_exception_fp_ieee_div_zero 0
		.amdhsa_exception_fp_ieee_overflow 0
		.amdhsa_exception_fp_ieee_underflow 0
		.amdhsa_exception_fp_ieee_inexact 0
		.amdhsa_exception_int_div_zero 0
	.end_amdhsa_kernel
	.section	.text._ZN7rocprim17ROCPRIM_400000_NS6detail17trampoline_kernelINS0_14default_configENS1_20scan_config_selectorIN3c107complexIfEEEEZZNS1_9scan_implILNS1_25lookback_scan_determinismE0ELb0ELb0ES3_PKS7_PS7_S7_ZZZN2at6native31launch_logcumsumexp_cuda_kernelERKNSE_10TensorBaseESI_lENKUlvE_clEvENKUlvE2_clEvEUlS7_S7_E_S7_EEDaPvRmT3_T4_T5_mT6_P12ihipStream_tbENKUlT_T0_E_clISt17integral_constantIbLb0EESY_IbLb1EEEEDaSU_SV_EUlSU_E_NS1_11comp_targetILNS1_3genE5ELNS1_11target_archE942ELNS1_3gpuE9ELNS1_3repE0EEENS1_30default_config_static_selectorELNS0_4arch9wavefront6targetE1EEEvT1_,"axG",@progbits,_ZN7rocprim17ROCPRIM_400000_NS6detail17trampoline_kernelINS0_14default_configENS1_20scan_config_selectorIN3c107complexIfEEEEZZNS1_9scan_implILNS1_25lookback_scan_determinismE0ELb0ELb0ES3_PKS7_PS7_S7_ZZZN2at6native31launch_logcumsumexp_cuda_kernelERKNSE_10TensorBaseESI_lENKUlvE_clEvENKUlvE2_clEvEUlS7_S7_E_S7_EEDaPvRmT3_T4_T5_mT6_P12ihipStream_tbENKUlT_T0_E_clISt17integral_constantIbLb0EESY_IbLb1EEEEDaSU_SV_EUlSU_E_NS1_11comp_targetILNS1_3genE5ELNS1_11target_archE942ELNS1_3gpuE9ELNS1_3repE0EEENS1_30default_config_static_selectorELNS0_4arch9wavefront6targetE1EEEvT1_,comdat
.Lfunc_end330:
	.size	_ZN7rocprim17ROCPRIM_400000_NS6detail17trampoline_kernelINS0_14default_configENS1_20scan_config_selectorIN3c107complexIfEEEEZZNS1_9scan_implILNS1_25lookback_scan_determinismE0ELb0ELb0ES3_PKS7_PS7_S7_ZZZN2at6native31launch_logcumsumexp_cuda_kernelERKNSE_10TensorBaseESI_lENKUlvE_clEvENKUlvE2_clEvEUlS7_S7_E_S7_EEDaPvRmT3_T4_T5_mT6_P12ihipStream_tbENKUlT_T0_E_clISt17integral_constantIbLb0EESY_IbLb1EEEEDaSU_SV_EUlSU_E_NS1_11comp_targetILNS1_3genE5ELNS1_11target_archE942ELNS1_3gpuE9ELNS1_3repE0EEENS1_30default_config_static_selectorELNS0_4arch9wavefront6targetE1EEEvT1_, .Lfunc_end330-_ZN7rocprim17ROCPRIM_400000_NS6detail17trampoline_kernelINS0_14default_configENS1_20scan_config_selectorIN3c107complexIfEEEEZZNS1_9scan_implILNS1_25lookback_scan_determinismE0ELb0ELb0ES3_PKS7_PS7_S7_ZZZN2at6native31launch_logcumsumexp_cuda_kernelERKNSE_10TensorBaseESI_lENKUlvE_clEvENKUlvE2_clEvEUlS7_S7_E_S7_EEDaPvRmT3_T4_T5_mT6_P12ihipStream_tbENKUlT_T0_E_clISt17integral_constantIbLb0EESY_IbLb1EEEEDaSU_SV_EUlSU_E_NS1_11comp_targetILNS1_3genE5ELNS1_11target_archE942ELNS1_3gpuE9ELNS1_3repE0EEENS1_30default_config_static_selectorELNS0_4arch9wavefront6targetE1EEEvT1_
                                        ; -- End function
	.set _ZN7rocprim17ROCPRIM_400000_NS6detail17trampoline_kernelINS0_14default_configENS1_20scan_config_selectorIN3c107complexIfEEEEZZNS1_9scan_implILNS1_25lookback_scan_determinismE0ELb0ELb0ES3_PKS7_PS7_S7_ZZZN2at6native31launch_logcumsumexp_cuda_kernelERKNSE_10TensorBaseESI_lENKUlvE_clEvENKUlvE2_clEvEUlS7_S7_E_S7_EEDaPvRmT3_T4_T5_mT6_P12ihipStream_tbENKUlT_T0_E_clISt17integral_constantIbLb0EESY_IbLb1EEEEDaSU_SV_EUlSU_E_NS1_11comp_targetILNS1_3genE5ELNS1_11target_archE942ELNS1_3gpuE9ELNS1_3repE0EEENS1_30default_config_static_selectorELNS0_4arch9wavefront6targetE1EEEvT1_.num_vgpr, 0
	.set _ZN7rocprim17ROCPRIM_400000_NS6detail17trampoline_kernelINS0_14default_configENS1_20scan_config_selectorIN3c107complexIfEEEEZZNS1_9scan_implILNS1_25lookback_scan_determinismE0ELb0ELb0ES3_PKS7_PS7_S7_ZZZN2at6native31launch_logcumsumexp_cuda_kernelERKNSE_10TensorBaseESI_lENKUlvE_clEvENKUlvE2_clEvEUlS7_S7_E_S7_EEDaPvRmT3_T4_T5_mT6_P12ihipStream_tbENKUlT_T0_E_clISt17integral_constantIbLb0EESY_IbLb1EEEEDaSU_SV_EUlSU_E_NS1_11comp_targetILNS1_3genE5ELNS1_11target_archE942ELNS1_3gpuE9ELNS1_3repE0EEENS1_30default_config_static_selectorELNS0_4arch9wavefront6targetE1EEEvT1_.num_agpr, 0
	.set _ZN7rocprim17ROCPRIM_400000_NS6detail17trampoline_kernelINS0_14default_configENS1_20scan_config_selectorIN3c107complexIfEEEEZZNS1_9scan_implILNS1_25lookback_scan_determinismE0ELb0ELb0ES3_PKS7_PS7_S7_ZZZN2at6native31launch_logcumsumexp_cuda_kernelERKNSE_10TensorBaseESI_lENKUlvE_clEvENKUlvE2_clEvEUlS7_S7_E_S7_EEDaPvRmT3_T4_T5_mT6_P12ihipStream_tbENKUlT_T0_E_clISt17integral_constantIbLb0EESY_IbLb1EEEEDaSU_SV_EUlSU_E_NS1_11comp_targetILNS1_3genE5ELNS1_11target_archE942ELNS1_3gpuE9ELNS1_3repE0EEENS1_30default_config_static_selectorELNS0_4arch9wavefront6targetE1EEEvT1_.numbered_sgpr, 0
	.set _ZN7rocprim17ROCPRIM_400000_NS6detail17trampoline_kernelINS0_14default_configENS1_20scan_config_selectorIN3c107complexIfEEEEZZNS1_9scan_implILNS1_25lookback_scan_determinismE0ELb0ELb0ES3_PKS7_PS7_S7_ZZZN2at6native31launch_logcumsumexp_cuda_kernelERKNSE_10TensorBaseESI_lENKUlvE_clEvENKUlvE2_clEvEUlS7_S7_E_S7_EEDaPvRmT3_T4_T5_mT6_P12ihipStream_tbENKUlT_T0_E_clISt17integral_constantIbLb0EESY_IbLb1EEEEDaSU_SV_EUlSU_E_NS1_11comp_targetILNS1_3genE5ELNS1_11target_archE942ELNS1_3gpuE9ELNS1_3repE0EEENS1_30default_config_static_selectorELNS0_4arch9wavefront6targetE1EEEvT1_.num_named_barrier, 0
	.set _ZN7rocprim17ROCPRIM_400000_NS6detail17trampoline_kernelINS0_14default_configENS1_20scan_config_selectorIN3c107complexIfEEEEZZNS1_9scan_implILNS1_25lookback_scan_determinismE0ELb0ELb0ES3_PKS7_PS7_S7_ZZZN2at6native31launch_logcumsumexp_cuda_kernelERKNSE_10TensorBaseESI_lENKUlvE_clEvENKUlvE2_clEvEUlS7_S7_E_S7_EEDaPvRmT3_T4_T5_mT6_P12ihipStream_tbENKUlT_T0_E_clISt17integral_constantIbLb0EESY_IbLb1EEEEDaSU_SV_EUlSU_E_NS1_11comp_targetILNS1_3genE5ELNS1_11target_archE942ELNS1_3gpuE9ELNS1_3repE0EEENS1_30default_config_static_selectorELNS0_4arch9wavefront6targetE1EEEvT1_.private_seg_size, 0
	.set _ZN7rocprim17ROCPRIM_400000_NS6detail17trampoline_kernelINS0_14default_configENS1_20scan_config_selectorIN3c107complexIfEEEEZZNS1_9scan_implILNS1_25lookback_scan_determinismE0ELb0ELb0ES3_PKS7_PS7_S7_ZZZN2at6native31launch_logcumsumexp_cuda_kernelERKNSE_10TensorBaseESI_lENKUlvE_clEvENKUlvE2_clEvEUlS7_S7_E_S7_EEDaPvRmT3_T4_T5_mT6_P12ihipStream_tbENKUlT_T0_E_clISt17integral_constantIbLb0EESY_IbLb1EEEEDaSU_SV_EUlSU_E_NS1_11comp_targetILNS1_3genE5ELNS1_11target_archE942ELNS1_3gpuE9ELNS1_3repE0EEENS1_30default_config_static_selectorELNS0_4arch9wavefront6targetE1EEEvT1_.uses_vcc, 0
	.set _ZN7rocprim17ROCPRIM_400000_NS6detail17trampoline_kernelINS0_14default_configENS1_20scan_config_selectorIN3c107complexIfEEEEZZNS1_9scan_implILNS1_25lookback_scan_determinismE0ELb0ELb0ES3_PKS7_PS7_S7_ZZZN2at6native31launch_logcumsumexp_cuda_kernelERKNSE_10TensorBaseESI_lENKUlvE_clEvENKUlvE2_clEvEUlS7_S7_E_S7_EEDaPvRmT3_T4_T5_mT6_P12ihipStream_tbENKUlT_T0_E_clISt17integral_constantIbLb0EESY_IbLb1EEEEDaSU_SV_EUlSU_E_NS1_11comp_targetILNS1_3genE5ELNS1_11target_archE942ELNS1_3gpuE9ELNS1_3repE0EEENS1_30default_config_static_selectorELNS0_4arch9wavefront6targetE1EEEvT1_.uses_flat_scratch, 0
	.set _ZN7rocprim17ROCPRIM_400000_NS6detail17trampoline_kernelINS0_14default_configENS1_20scan_config_selectorIN3c107complexIfEEEEZZNS1_9scan_implILNS1_25lookback_scan_determinismE0ELb0ELb0ES3_PKS7_PS7_S7_ZZZN2at6native31launch_logcumsumexp_cuda_kernelERKNSE_10TensorBaseESI_lENKUlvE_clEvENKUlvE2_clEvEUlS7_S7_E_S7_EEDaPvRmT3_T4_T5_mT6_P12ihipStream_tbENKUlT_T0_E_clISt17integral_constantIbLb0EESY_IbLb1EEEEDaSU_SV_EUlSU_E_NS1_11comp_targetILNS1_3genE5ELNS1_11target_archE942ELNS1_3gpuE9ELNS1_3repE0EEENS1_30default_config_static_selectorELNS0_4arch9wavefront6targetE1EEEvT1_.has_dyn_sized_stack, 0
	.set _ZN7rocprim17ROCPRIM_400000_NS6detail17trampoline_kernelINS0_14default_configENS1_20scan_config_selectorIN3c107complexIfEEEEZZNS1_9scan_implILNS1_25lookback_scan_determinismE0ELb0ELb0ES3_PKS7_PS7_S7_ZZZN2at6native31launch_logcumsumexp_cuda_kernelERKNSE_10TensorBaseESI_lENKUlvE_clEvENKUlvE2_clEvEUlS7_S7_E_S7_EEDaPvRmT3_T4_T5_mT6_P12ihipStream_tbENKUlT_T0_E_clISt17integral_constantIbLb0EESY_IbLb1EEEEDaSU_SV_EUlSU_E_NS1_11comp_targetILNS1_3genE5ELNS1_11target_archE942ELNS1_3gpuE9ELNS1_3repE0EEENS1_30default_config_static_selectorELNS0_4arch9wavefront6targetE1EEEvT1_.has_recursion, 0
	.set _ZN7rocprim17ROCPRIM_400000_NS6detail17trampoline_kernelINS0_14default_configENS1_20scan_config_selectorIN3c107complexIfEEEEZZNS1_9scan_implILNS1_25lookback_scan_determinismE0ELb0ELb0ES3_PKS7_PS7_S7_ZZZN2at6native31launch_logcumsumexp_cuda_kernelERKNSE_10TensorBaseESI_lENKUlvE_clEvENKUlvE2_clEvEUlS7_S7_E_S7_EEDaPvRmT3_T4_T5_mT6_P12ihipStream_tbENKUlT_T0_E_clISt17integral_constantIbLb0EESY_IbLb1EEEEDaSU_SV_EUlSU_E_NS1_11comp_targetILNS1_3genE5ELNS1_11target_archE942ELNS1_3gpuE9ELNS1_3repE0EEENS1_30default_config_static_selectorELNS0_4arch9wavefront6targetE1EEEvT1_.has_indirect_call, 0
	.section	.AMDGPU.csdata,"",@progbits
; Kernel info:
; codeLenInByte = 0
; TotalNumSgprs: 6
; NumVgprs: 0
; NumAgprs: 0
; TotalNumVgprs: 0
; ScratchSize: 0
; MemoryBound: 0
; FloatMode: 240
; IeeeMode: 1
; LDSByteSize: 0 bytes/workgroup (compile time only)
; SGPRBlocks: 0
; VGPRBlocks: 0
; NumSGPRsForWavesPerEU: 6
; NumVGPRsForWavesPerEU: 1
; AccumOffset: 4
; Occupancy: 8
; WaveLimiterHint : 0
; COMPUTE_PGM_RSRC2:SCRATCH_EN: 0
; COMPUTE_PGM_RSRC2:USER_SGPR: 2
; COMPUTE_PGM_RSRC2:TRAP_HANDLER: 0
; COMPUTE_PGM_RSRC2:TGID_X_EN: 1
; COMPUTE_PGM_RSRC2:TGID_Y_EN: 0
; COMPUTE_PGM_RSRC2:TGID_Z_EN: 0
; COMPUTE_PGM_RSRC2:TIDIG_COMP_CNT: 0
; COMPUTE_PGM_RSRC3_GFX90A:ACCUM_OFFSET: 0
; COMPUTE_PGM_RSRC3_GFX90A:TG_SPLIT: 0
	.section	.text._ZN7rocprim17ROCPRIM_400000_NS6detail17trampoline_kernelINS0_14default_configENS1_20scan_config_selectorIN3c107complexIfEEEEZZNS1_9scan_implILNS1_25lookback_scan_determinismE0ELb0ELb0ES3_PKS7_PS7_S7_ZZZN2at6native31launch_logcumsumexp_cuda_kernelERKNSE_10TensorBaseESI_lENKUlvE_clEvENKUlvE2_clEvEUlS7_S7_E_S7_EEDaPvRmT3_T4_T5_mT6_P12ihipStream_tbENKUlT_T0_E_clISt17integral_constantIbLb0EESY_IbLb1EEEEDaSU_SV_EUlSU_E_NS1_11comp_targetILNS1_3genE4ELNS1_11target_archE910ELNS1_3gpuE8ELNS1_3repE0EEENS1_30default_config_static_selectorELNS0_4arch9wavefront6targetE1EEEvT1_,"axG",@progbits,_ZN7rocprim17ROCPRIM_400000_NS6detail17trampoline_kernelINS0_14default_configENS1_20scan_config_selectorIN3c107complexIfEEEEZZNS1_9scan_implILNS1_25lookback_scan_determinismE0ELb0ELb0ES3_PKS7_PS7_S7_ZZZN2at6native31launch_logcumsumexp_cuda_kernelERKNSE_10TensorBaseESI_lENKUlvE_clEvENKUlvE2_clEvEUlS7_S7_E_S7_EEDaPvRmT3_T4_T5_mT6_P12ihipStream_tbENKUlT_T0_E_clISt17integral_constantIbLb0EESY_IbLb1EEEEDaSU_SV_EUlSU_E_NS1_11comp_targetILNS1_3genE4ELNS1_11target_archE910ELNS1_3gpuE8ELNS1_3repE0EEENS1_30default_config_static_selectorELNS0_4arch9wavefront6targetE1EEEvT1_,comdat
	.globl	_ZN7rocprim17ROCPRIM_400000_NS6detail17trampoline_kernelINS0_14default_configENS1_20scan_config_selectorIN3c107complexIfEEEEZZNS1_9scan_implILNS1_25lookback_scan_determinismE0ELb0ELb0ES3_PKS7_PS7_S7_ZZZN2at6native31launch_logcumsumexp_cuda_kernelERKNSE_10TensorBaseESI_lENKUlvE_clEvENKUlvE2_clEvEUlS7_S7_E_S7_EEDaPvRmT3_T4_T5_mT6_P12ihipStream_tbENKUlT_T0_E_clISt17integral_constantIbLb0EESY_IbLb1EEEEDaSU_SV_EUlSU_E_NS1_11comp_targetILNS1_3genE4ELNS1_11target_archE910ELNS1_3gpuE8ELNS1_3repE0EEENS1_30default_config_static_selectorELNS0_4arch9wavefront6targetE1EEEvT1_ ; -- Begin function _ZN7rocprim17ROCPRIM_400000_NS6detail17trampoline_kernelINS0_14default_configENS1_20scan_config_selectorIN3c107complexIfEEEEZZNS1_9scan_implILNS1_25lookback_scan_determinismE0ELb0ELb0ES3_PKS7_PS7_S7_ZZZN2at6native31launch_logcumsumexp_cuda_kernelERKNSE_10TensorBaseESI_lENKUlvE_clEvENKUlvE2_clEvEUlS7_S7_E_S7_EEDaPvRmT3_T4_T5_mT6_P12ihipStream_tbENKUlT_T0_E_clISt17integral_constantIbLb0EESY_IbLb1EEEEDaSU_SV_EUlSU_E_NS1_11comp_targetILNS1_3genE4ELNS1_11target_archE910ELNS1_3gpuE8ELNS1_3repE0EEENS1_30default_config_static_selectorELNS0_4arch9wavefront6targetE1EEEvT1_
	.p2align	8
	.type	_ZN7rocprim17ROCPRIM_400000_NS6detail17trampoline_kernelINS0_14default_configENS1_20scan_config_selectorIN3c107complexIfEEEEZZNS1_9scan_implILNS1_25lookback_scan_determinismE0ELb0ELb0ES3_PKS7_PS7_S7_ZZZN2at6native31launch_logcumsumexp_cuda_kernelERKNSE_10TensorBaseESI_lENKUlvE_clEvENKUlvE2_clEvEUlS7_S7_E_S7_EEDaPvRmT3_T4_T5_mT6_P12ihipStream_tbENKUlT_T0_E_clISt17integral_constantIbLb0EESY_IbLb1EEEEDaSU_SV_EUlSU_E_NS1_11comp_targetILNS1_3genE4ELNS1_11target_archE910ELNS1_3gpuE8ELNS1_3repE0EEENS1_30default_config_static_selectorELNS0_4arch9wavefront6targetE1EEEvT1_,@function
_ZN7rocprim17ROCPRIM_400000_NS6detail17trampoline_kernelINS0_14default_configENS1_20scan_config_selectorIN3c107complexIfEEEEZZNS1_9scan_implILNS1_25lookback_scan_determinismE0ELb0ELb0ES3_PKS7_PS7_S7_ZZZN2at6native31launch_logcumsumexp_cuda_kernelERKNSE_10TensorBaseESI_lENKUlvE_clEvENKUlvE2_clEvEUlS7_S7_E_S7_EEDaPvRmT3_T4_T5_mT6_P12ihipStream_tbENKUlT_T0_E_clISt17integral_constantIbLb0EESY_IbLb1EEEEDaSU_SV_EUlSU_E_NS1_11comp_targetILNS1_3genE4ELNS1_11target_archE910ELNS1_3gpuE8ELNS1_3repE0EEENS1_30default_config_static_selectorELNS0_4arch9wavefront6targetE1EEEvT1_: ; @_ZN7rocprim17ROCPRIM_400000_NS6detail17trampoline_kernelINS0_14default_configENS1_20scan_config_selectorIN3c107complexIfEEEEZZNS1_9scan_implILNS1_25lookback_scan_determinismE0ELb0ELb0ES3_PKS7_PS7_S7_ZZZN2at6native31launch_logcumsumexp_cuda_kernelERKNSE_10TensorBaseESI_lENKUlvE_clEvENKUlvE2_clEvEUlS7_S7_E_S7_EEDaPvRmT3_T4_T5_mT6_P12ihipStream_tbENKUlT_T0_E_clISt17integral_constantIbLb0EESY_IbLb1EEEEDaSU_SV_EUlSU_E_NS1_11comp_targetILNS1_3genE4ELNS1_11target_archE910ELNS1_3gpuE8ELNS1_3repE0EEENS1_30default_config_static_selectorELNS0_4arch9wavefront6targetE1EEEvT1_
; %bb.0:
	.section	.rodata,"a",@progbits
	.p2align	6, 0x0
	.amdhsa_kernel _ZN7rocprim17ROCPRIM_400000_NS6detail17trampoline_kernelINS0_14default_configENS1_20scan_config_selectorIN3c107complexIfEEEEZZNS1_9scan_implILNS1_25lookback_scan_determinismE0ELb0ELb0ES3_PKS7_PS7_S7_ZZZN2at6native31launch_logcumsumexp_cuda_kernelERKNSE_10TensorBaseESI_lENKUlvE_clEvENKUlvE2_clEvEUlS7_S7_E_S7_EEDaPvRmT3_T4_T5_mT6_P12ihipStream_tbENKUlT_T0_E_clISt17integral_constantIbLb0EESY_IbLb1EEEEDaSU_SV_EUlSU_E_NS1_11comp_targetILNS1_3genE4ELNS1_11target_archE910ELNS1_3gpuE8ELNS1_3repE0EEENS1_30default_config_static_selectorELNS0_4arch9wavefront6targetE1EEEvT1_
		.amdhsa_group_segment_fixed_size 0
		.amdhsa_private_segment_fixed_size 0
		.amdhsa_kernarg_size 104
		.amdhsa_user_sgpr_count 2
		.amdhsa_user_sgpr_dispatch_ptr 0
		.amdhsa_user_sgpr_queue_ptr 0
		.amdhsa_user_sgpr_kernarg_segment_ptr 1
		.amdhsa_user_sgpr_dispatch_id 0
		.amdhsa_user_sgpr_kernarg_preload_length 0
		.amdhsa_user_sgpr_kernarg_preload_offset 0
		.amdhsa_user_sgpr_private_segment_size 0
		.amdhsa_uses_dynamic_stack 0
		.amdhsa_enable_private_segment 0
		.amdhsa_system_sgpr_workgroup_id_x 1
		.amdhsa_system_sgpr_workgroup_id_y 0
		.amdhsa_system_sgpr_workgroup_id_z 0
		.amdhsa_system_sgpr_workgroup_info 0
		.amdhsa_system_vgpr_workitem_id 0
		.amdhsa_next_free_vgpr 1
		.amdhsa_next_free_sgpr 0
		.amdhsa_accum_offset 4
		.amdhsa_reserve_vcc 0
		.amdhsa_float_round_mode_32 0
		.amdhsa_float_round_mode_16_64 0
		.amdhsa_float_denorm_mode_32 3
		.amdhsa_float_denorm_mode_16_64 3
		.amdhsa_dx10_clamp 1
		.amdhsa_ieee_mode 1
		.amdhsa_fp16_overflow 0
		.amdhsa_tg_split 0
		.amdhsa_exception_fp_ieee_invalid_op 0
		.amdhsa_exception_fp_denorm_src 0
		.amdhsa_exception_fp_ieee_div_zero 0
		.amdhsa_exception_fp_ieee_overflow 0
		.amdhsa_exception_fp_ieee_underflow 0
		.amdhsa_exception_fp_ieee_inexact 0
		.amdhsa_exception_int_div_zero 0
	.end_amdhsa_kernel
	.section	.text._ZN7rocprim17ROCPRIM_400000_NS6detail17trampoline_kernelINS0_14default_configENS1_20scan_config_selectorIN3c107complexIfEEEEZZNS1_9scan_implILNS1_25lookback_scan_determinismE0ELb0ELb0ES3_PKS7_PS7_S7_ZZZN2at6native31launch_logcumsumexp_cuda_kernelERKNSE_10TensorBaseESI_lENKUlvE_clEvENKUlvE2_clEvEUlS7_S7_E_S7_EEDaPvRmT3_T4_T5_mT6_P12ihipStream_tbENKUlT_T0_E_clISt17integral_constantIbLb0EESY_IbLb1EEEEDaSU_SV_EUlSU_E_NS1_11comp_targetILNS1_3genE4ELNS1_11target_archE910ELNS1_3gpuE8ELNS1_3repE0EEENS1_30default_config_static_selectorELNS0_4arch9wavefront6targetE1EEEvT1_,"axG",@progbits,_ZN7rocprim17ROCPRIM_400000_NS6detail17trampoline_kernelINS0_14default_configENS1_20scan_config_selectorIN3c107complexIfEEEEZZNS1_9scan_implILNS1_25lookback_scan_determinismE0ELb0ELb0ES3_PKS7_PS7_S7_ZZZN2at6native31launch_logcumsumexp_cuda_kernelERKNSE_10TensorBaseESI_lENKUlvE_clEvENKUlvE2_clEvEUlS7_S7_E_S7_EEDaPvRmT3_T4_T5_mT6_P12ihipStream_tbENKUlT_T0_E_clISt17integral_constantIbLb0EESY_IbLb1EEEEDaSU_SV_EUlSU_E_NS1_11comp_targetILNS1_3genE4ELNS1_11target_archE910ELNS1_3gpuE8ELNS1_3repE0EEENS1_30default_config_static_selectorELNS0_4arch9wavefront6targetE1EEEvT1_,comdat
.Lfunc_end331:
	.size	_ZN7rocprim17ROCPRIM_400000_NS6detail17trampoline_kernelINS0_14default_configENS1_20scan_config_selectorIN3c107complexIfEEEEZZNS1_9scan_implILNS1_25lookback_scan_determinismE0ELb0ELb0ES3_PKS7_PS7_S7_ZZZN2at6native31launch_logcumsumexp_cuda_kernelERKNSE_10TensorBaseESI_lENKUlvE_clEvENKUlvE2_clEvEUlS7_S7_E_S7_EEDaPvRmT3_T4_T5_mT6_P12ihipStream_tbENKUlT_T0_E_clISt17integral_constantIbLb0EESY_IbLb1EEEEDaSU_SV_EUlSU_E_NS1_11comp_targetILNS1_3genE4ELNS1_11target_archE910ELNS1_3gpuE8ELNS1_3repE0EEENS1_30default_config_static_selectorELNS0_4arch9wavefront6targetE1EEEvT1_, .Lfunc_end331-_ZN7rocprim17ROCPRIM_400000_NS6detail17trampoline_kernelINS0_14default_configENS1_20scan_config_selectorIN3c107complexIfEEEEZZNS1_9scan_implILNS1_25lookback_scan_determinismE0ELb0ELb0ES3_PKS7_PS7_S7_ZZZN2at6native31launch_logcumsumexp_cuda_kernelERKNSE_10TensorBaseESI_lENKUlvE_clEvENKUlvE2_clEvEUlS7_S7_E_S7_EEDaPvRmT3_T4_T5_mT6_P12ihipStream_tbENKUlT_T0_E_clISt17integral_constantIbLb0EESY_IbLb1EEEEDaSU_SV_EUlSU_E_NS1_11comp_targetILNS1_3genE4ELNS1_11target_archE910ELNS1_3gpuE8ELNS1_3repE0EEENS1_30default_config_static_selectorELNS0_4arch9wavefront6targetE1EEEvT1_
                                        ; -- End function
	.set _ZN7rocprim17ROCPRIM_400000_NS6detail17trampoline_kernelINS0_14default_configENS1_20scan_config_selectorIN3c107complexIfEEEEZZNS1_9scan_implILNS1_25lookback_scan_determinismE0ELb0ELb0ES3_PKS7_PS7_S7_ZZZN2at6native31launch_logcumsumexp_cuda_kernelERKNSE_10TensorBaseESI_lENKUlvE_clEvENKUlvE2_clEvEUlS7_S7_E_S7_EEDaPvRmT3_T4_T5_mT6_P12ihipStream_tbENKUlT_T0_E_clISt17integral_constantIbLb0EESY_IbLb1EEEEDaSU_SV_EUlSU_E_NS1_11comp_targetILNS1_3genE4ELNS1_11target_archE910ELNS1_3gpuE8ELNS1_3repE0EEENS1_30default_config_static_selectorELNS0_4arch9wavefront6targetE1EEEvT1_.num_vgpr, 0
	.set _ZN7rocprim17ROCPRIM_400000_NS6detail17trampoline_kernelINS0_14default_configENS1_20scan_config_selectorIN3c107complexIfEEEEZZNS1_9scan_implILNS1_25lookback_scan_determinismE0ELb0ELb0ES3_PKS7_PS7_S7_ZZZN2at6native31launch_logcumsumexp_cuda_kernelERKNSE_10TensorBaseESI_lENKUlvE_clEvENKUlvE2_clEvEUlS7_S7_E_S7_EEDaPvRmT3_T4_T5_mT6_P12ihipStream_tbENKUlT_T0_E_clISt17integral_constantIbLb0EESY_IbLb1EEEEDaSU_SV_EUlSU_E_NS1_11comp_targetILNS1_3genE4ELNS1_11target_archE910ELNS1_3gpuE8ELNS1_3repE0EEENS1_30default_config_static_selectorELNS0_4arch9wavefront6targetE1EEEvT1_.num_agpr, 0
	.set _ZN7rocprim17ROCPRIM_400000_NS6detail17trampoline_kernelINS0_14default_configENS1_20scan_config_selectorIN3c107complexIfEEEEZZNS1_9scan_implILNS1_25lookback_scan_determinismE0ELb0ELb0ES3_PKS7_PS7_S7_ZZZN2at6native31launch_logcumsumexp_cuda_kernelERKNSE_10TensorBaseESI_lENKUlvE_clEvENKUlvE2_clEvEUlS7_S7_E_S7_EEDaPvRmT3_T4_T5_mT6_P12ihipStream_tbENKUlT_T0_E_clISt17integral_constantIbLb0EESY_IbLb1EEEEDaSU_SV_EUlSU_E_NS1_11comp_targetILNS1_3genE4ELNS1_11target_archE910ELNS1_3gpuE8ELNS1_3repE0EEENS1_30default_config_static_selectorELNS0_4arch9wavefront6targetE1EEEvT1_.numbered_sgpr, 0
	.set _ZN7rocprim17ROCPRIM_400000_NS6detail17trampoline_kernelINS0_14default_configENS1_20scan_config_selectorIN3c107complexIfEEEEZZNS1_9scan_implILNS1_25lookback_scan_determinismE0ELb0ELb0ES3_PKS7_PS7_S7_ZZZN2at6native31launch_logcumsumexp_cuda_kernelERKNSE_10TensorBaseESI_lENKUlvE_clEvENKUlvE2_clEvEUlS7_S7_E_S7_EEDaPvRmT3_T4_T5_mT6_P12ihipStream_tbENKUlT_T0_E_clISt17integral_constantIbLb0EESY_IbLb1EEEEDaSU_SV_EUlSU_E_NS1_11comp_targetILNS1_3genE4ELNS1_11target_archE910ELNS1_3gpuE8ELNS1_3repE0EEENS1_30default_config_static_selectorELNS0_4arch9wavefront6targetE1EEEvT1_.num_named_barrier, 0
	.set _ZN7rocprim17ROCPRIM_400000_NS6detail17trampoline_kernelINS0_14default_configENS1_20scan_config_selectorIN3c107complexIfEEEEZZNS1_9scan_implILNS1_25lookback_scan_determinismE0ELb0ELb0ES3_PKS7_PS7_S7_ZZZN2at6native31launch_logcumsumexp_cuda_kernelERKNSE_10TensorBaseESI_lENKUlvE_clEvENKUlvE2_clEvEUlS7_S7_E_S7_EEDaPvRmT3_T4_T5_mT6_P12ihipStream_tbENKUlT_T0_E_clISt17integral_constantIbLb0EESY_IbLb1EEEEDaSU_SV_EUlSU_E_NS1_11comp_targetILNS1_3genE4ELNS1_11target_archE910ELNS1_3gpuE8ELNS1_3repE0EEENS1_30default_config_static_selectorELNS0_4arch9wavefront6targetE1EEEvT1_.private_seg_size, 0
	.set _ZN7rocprim17ROCPRIM_400000_NS6detail17trampoline_kernelINS0_14default_configENS1_20scan_config_selectorIN3c107complexIfEEEEZZNS1_9scan_implILNS1_25lookback_scan_determinismE0ELb0ELb0ES3_PKS7_PS7_S7_ZZZN2at6native31launch_logcumsumexp_cuda_kernelERKNSE_10TensorBaseESI_lENKUlvE_clEvENKUlvE2_clEvEUlS7_S7_E_S7_EEDaPvRmT3_T4_T5_mT6_P12ihipStream_tbENKUlT_T0_E_clISt17integral_constantIbLb0EESY_IbLb1EEEEDaSU_SV_EUlSU_E_NS1_11comp_targetILNS1_3genE4ELNS1_11target_archE910ELNS1_3gpuE8ELNS1_3repE0EEENS1_30default_config_static_selectorELNS0_4arch9wavefront6targetE1EEEvT1_.uses_vcc, 0
	.set _ZN7rocprim17ROCPRIM_400000_NS6detail17trampoline_kernelINS0_14default_configENS1_20scan_config_selectorIN3c107complexIfEEEEZZNS1_9scan_implILNS1_25lookback_scan_determinismE0ELb0ELb0ES3_PKS7_PS7_S7_ZZZN2at6native31launch_logcumsumexp_cuda_kernelERKNSE_10TensorBaseESI_lENKUlvE_clEvENKUlvE2_clEvEUlS7_S7_E_S7_EEDaPvRmT3_T4_T5_mT6_P12ihipStream_tbENKUlT_T0_E_clISt17integral_constantIbLb0EESY_IbLb1EEEEDaSU_SV_EUlSU_E_NS1_11comp_targetILNS1_3genE4ELNS1_11target_archE910ELNS1_3gpuE8ELNS1_3repE0EEENS1_30default_config_static_selectorELNS0_4arch9wavefront6targetE1EEEvT1_.uses_flat_scratch, 0
	.set _ZN7rocprim17ROCPRIM_400000_NS6detail17trampoline_kernelINS0_14default_configENS1_20scan_config_selectorIN3c107complexIfEEEEZZNS1_9scan_implILNS1_25lookback_scan_determinismE0ELb0ELb0ES3_PKS7_PS7_S7_ZZZN2at6native31launch_logcumsumexp_cuda_kernelERKNSE_10TensorBaseESI_lENKUlvE_clEvENKUlvE2_clEvEUlS7_S7_E_S7_EEDaPvRmT3_T4_T5_mT6_P12ihipStream_tbENKUlT_T0_E_clISt17integral_constantIbLb0EESY_IbLb1EEEEDaSU_SV_EUlSU_E_NS1_11comp_targetILNS1_3genE4ELNS1_11target_archE910ELNS1_3gpuE8ELNS1_3repE0EEENS1_30default_config_static_selectorELNS0_4arch9wavefront6targetE1EEEvT1_.has_dyn_sized_stack, 0
	.set _ZN7rocprim17ROCPRIM_400000_NS6detail17trampoline_kernelINS0_14default_configENS1_20scan_config_selectorIN3c107complexIfEEEEZZNS1_9scan_implILNS1_25lookback_scan_determinismE0ELb0ELb0ES3_PKS7_PS7_S7_ZZZN2at6native31launch_logcumsumexp_cuda_kernelERKNSE_10TensorBaseESI_lENKUlvE_clEvENKUlvE2_clEvEUlS7_S7_E_S7_EEDaPvRmT3_T4_T5_mT6_P12ihipStream_tbENKUlT_T0_E_clISt17integral_constantIbLb0EESY_IbLb1EEEEDaSU_SV_EUlSU_E_NS1_11comp_targetILNS1_3genE4ELNS1_11target_archE910ELNS1_3gpuE8ELNS1_3repE0EEENS1_30default_config_static_selectorELNS0_4arch9wavefront6targetE1EEEvT1_.has_recursion, 0
	.set _ZN7rocprim17ROCPRIM_400000_NS6detail17trampoline_kernelINS0_14default_configENS1_20scan_config_selectorIN3c107complexIfEEEEZZNS1_9scan_implILNS1_25lookback_scan_determinismE0ELb0ELb0ES3_PKS7_PS7_S7_ZZZN2at6native31launch_logcumsumexp_cuda_kernelERKNSE_10TensorBaseESI_lENKUlvE_clEvENKUlvE2_clEvEUlS7_S7_E_S7_EEDaPvRmT3_T4_T5_mT6_P12ihipStream_tbENKUlT_T0_E_clISt17integral_constantIbLb0EESY_IbLb1EEEEDaSU_SV_EUlSU_E_NS1_11comp_targetILNS1_3genE4ELNS1_11target_archE910ELNS1_3gpuE8ELNS1_3repE0EEENS1_30default_config_static_selectorELNS0_4arch9wavefront6targetE1EEEvT1_.has_indirect_call, 0
	.section	.AMDGPU.csdata,"",@progbits
; Kernel info:
; codeLenInByte = 0
; TotalNumSgprs: 6
; NumVgprs: 0
; NumAgprs: 0
; TotalNumVgprs: 0
; ScratchSize: 0
; MemoryBound: 0
; FloatMode: 240
; IeeeMode: 1
; LDSByteSize: 0 bytes/workgroup (compile time only)
; SGPRBlocks: 0
; VGPRBlocks: 0
; NumSGPRsForWavesPerEU: 6
; NumVGPRsForWavesPerEU: 1
; AccumOffset: 4
; Occupancy: 8
; WaveLimiterHint : 0
; COMPUTE_PGM_RSRC2:SCRATCH_EN: 0
; COMPUTE_PGM_RSRC2:USER_SGPR: 2
; COMPUTE_PGM_RSRC2:TRAP_HANDLER: 0
; COMPUTE_PGM_RSRC2:TGID_X_EN: 1
; COMPUTE_PGM_RSRC2:TGID_Y_EN: 0
; COMPUTE_PGM_RSRC2:TGID_Z_EN: 0
; COMPUTE_PGM_RSRC2:TIDIG_COMP_CNT: 0
; COMPUTE_PGM_RSRC3_GFX90A:ACCUM_OFFSET: 0
; COMPUTE_PGM_RSRC3_GFX90A:TG_SPLIT: 0
	.section	.text._ZN7rocprim17ROCPRIM_400000_NS6detail17trampoline_kernelINS0_14default_configENS1_20scan_config_selectorIN3c107complexIfEEEEZZNS1_9scan_implILNS1_25lookback_scan_determinismE0ELb0ELb0ES3_PKS7_PS7_S7_ZZZN2at6native31launch_logcumsumexp_cuda_kernelERKNSE_10TensorBaseESI_lENKUlvE_clEvENKUlvE2_clEvEUlS7_S7_E_S7_EEDaPvRmT3_T4_T5_mT6_P12ihipStream_tbENKUlT_T0_E_clISt17integral_constantIbLb0EESY_IbLb1EEEEDaSU_SV_EUlSU_E_NS1_11comp_targetILNS1_3genE3ELNS1_11target_archE908ELNS1_3gpuE7ELNS1_3repE0EEENS1_30default_config_static_selectorELNS0_4arch9wavefront6targetE1EEEvT1_,"axG",@progbits,_ZN7rocprim17ROCPRIM_400000_NS6detail17trampoline_kernelINS0_14default_configENS1_20scan_config_selectorIN3c107complexIfEEEEZZNS1_9scan_implILNS1_25lookback_scan_determinismE0ELb0ELb0ES3_PKS7_PS7_S7_ZZZN2at6native31launch_logcumsumexp_cuda_kernelERKNSE_10TensorBaseESI_lENKUlvE_clEvENKUlvE2_clEvEUlS7_S7_E_S7_EEDaPvRmT3_T4_T5_mT6_P12ihipStream_tbENKUlT_T0_E_clISt17integral_constantIbLb0EESY_IbLb1EEEEDaSU_SV_EUlSU_E_NS1_11comp_targetILNS1_3genE3ELNS1_11target_archE908ELNS1_3gpuE7ELNS1_3repE0EEENS1_30default_config_static_selectorELNS0_4arch9wavefront6targetE1EEEvT1_,comdat
	.globl	_ZN7rocprim17ROCPRIM_400000_NS6detail17trampoline_kernelINS0_14default_configENS1_20scan_config_selectorIN3c107complexIfEEEEZZNS1_9scan_implILNS1_25lookback_scan_determinismE0ELb0ELb0ES3_PKS7_PS7_S7_ZZZN2at6native31launch_logcumsumexp_cuda_kernelERKNSE_10TensorBaseESI_lENKUlvE_clEvENKUlvE2_clEvEUlS7_S7_E_S7_EEDaPvRmT3_T4_T5_mT6_P12ihipStream_tbENKUlT_T0_E_clISt17integral_constantIbLb0EESY_IbLb1EEEEDaSU_SV_EUlSU_E_NS1_11comp_targetILNS1_3genE3ELNS1_11target_archE908ELNS1_3gpuE7ELNS1_3repE0EEENS1_30default_config_static_selectorELNS0_4arch9wavefront6targetE1EEEvT1_ ; -- Begin function _ZN7rocprim17ROCPRIM_400000_NS6detail17trampoline_kernelINS0_14default_configENS1_20scan_config_selectorIN3c107complexIfEEEEZZNS1_9scan_implILNS1_25lookback_scan_determinismE0ELb0ELb0ES3_PKS7_PS7_S7_ZZZN2at6native31launch_logcumsumexp_cuda_kernelERKNSE_10TensorBaseESI_lENKUlvE_clEvENKUlvE2_clEvEUlS7_S7_E_S7_EEDaPvRmT3_T4_T5_mT6_P12ihipStream_tbENKUlT_T0_E_clISt17integral_constantIbLb0EESY_IbLb1EEEEDaSU_SV_EUlSU_E_NS1_11comp_targetILNS1_3genE3ELNS1_11target_archE908ELNS1_3gpuE7ELNS1_3repE0EEENS1_30default_config_static_selectorELNS0_4arch9wavefront6targetE1EEEvT1_
	.p2align	8
	.type	_ZN7rocprim17ROCPRIM_400000_NS6detail17trampoline_kernelINS0_14default_configENS1_20scan_config_selectorIN3c107complexIfEEEEZZNS1_9scan_implILNS1_25lookback_scan_determinismE0ELb0ELb0ES3_PKS7_PS7_S7_ZZZN2at6native31launch_logcumsumexp_cuda_kernelERKNSE_10TensorBaseESI_lENKUlvE_clEvENKUlvE2_clEvEUlS7_S7_E_S7_EEDaPvRmT3_T4_T5_mT6_P12ihipStream_tbENKUlT_T0_E_clISt17integral_constantIbLb0EESY_IbLb1EEEEDaSU_SV_EUlSU_E_NS1_11comp_targetILNS1_3genE3ELNS1_11target_archE908ELNS1_3gpuE7ELNS1_3repE0EEENS1_30default_config_static_selectorELNS0_4arch9wavefront6targetE1EEEvT1_,@function
_ZN7rocprim17ROCPRIM_400000_NS6detail17trampoline_kernelINS0_14default_configENS1_20scan_config_selectorIN3c107complexIfEEEEZZNS1_9scan_implILNS1_25lookback_scan_determinismE0ELb0ELb0ES3_PKS7_PS7_S7_ZZZN2at6native31launch_logcumsumexp_cuda_kernelERKNSE_10TensorBaseESI_lENKUlvE_clEvENKUlvE2_clEvEUlS7_S7_E_S7_EEDaPvRmT3_T4_T5_mT6_P12ihipStream_tbENKUlT_T0_E_clISt17integral_constantIbLb0EESY_IbLb1EEEEDaSU_SV_EUlSU_E_NS1_11comp_targetILNS1_3genE3ELNS1_11target_archE908ELNS1_3gpuE7ELNS1_3repE0EEENS1_30default_config_static_selectorELNS0_4arch9wavefront6targetE1EEEvT1_: ; @_ZN7rocprim17ROCPRIM_400000_NS6detail17trampoline_kernelINS0_14default_configENS1_20scan_config_selectorIN3c107complexIfEEEEZZNS1_9scan_implILNS1_25lookback_scan_determinismE0ELb0ELb0ES3_PKS7_PS7_S7_ZZZN2at6native31launch_logcumsumexp_cuda_kernelERKNSE_10TensorBaseESI_lENKUlvE_clEvENKUlvE2_clEvEUlS7_S7_E_S7_EEDaPvRmT3_T4_T5_mT6_P12ihipStream_tbENKUlT_T0_E_clISt17integral_constantIbLb0EESY_IbLb1EEEEDaSU_SV_EUlSU_E_NS1_11comp_targetILNS1_3genE3ELNS1_11target_archE908ELNS1_3gpuE7ELNS1_3repE0EEENS1_30default_config_static_selectorELNS0_4arch9wavefront6targetE1EEEvT1_
; %bb.0:
	.section	.rodata,"a",@progbits
	.p2align	6, 0x0
	.amdhsa_kernel _ZN7rocprim17ROCPRIM_400000_NS6detail17trampoline_kernelINS0_14default_configENS1_20scan_config_selectorIN3c107complexIfEEEEZZNS1_9scan_implILNS1_25lookback_scan_determinismE0ELb0ELb0ES3_PKS7_PS7_S7_ZZZN2at6native31launch_logcumsumexp_cuda_kernelERKNSE_10TensorBaseESI_lENKUlvE_clEvENKUlvE2_clEvEUlS7_S7_E_S7_EEDaPvRmT3_T4_T5_mT6_P12ihipStream_tbENKUlT_T0_E_clISt17integral_constantIbLb0EESY_IbLb1EEEEDaSU_SV_EUlSU_E_NS1_11comp_targetILNS1_3genE3ELNS1_11target_archE908ELNS1_3gpuE7ELNS1_3repE0EEENS1_30default_config_static_selectorELNS0_4arch9wavefront6targetE1EEEvT1_
		.amdhsa_group_segment_fixed_size 0
		.amdhsa_private_segment_fixed_size 0
		.amdhsa_kernarg_size 104
		.amdhsa_user_sgpr_count 2
		.amdhsa_user_sgpr_dispatch_ptr 0
		.amdhsa_user_sgpr_queue_ptr 0
		.amdhsa_user_sgpr_kernarg_segment_ptr 1
		.amdhsa_user_sgpr_dispatch_id 0
		.amdhsa_user_sgpr_kernarg_preload_length 0
		.amdhsa_user_sgpr_kernarg_preload_offset 0
		.amdhsa_user_sgpr_private_segment_size 0
		.amdhsa_uses_dynamic_stack 0
		.amdhsa_enable_private_segment 0
		.amdhsa_system_sgpr_workgroup_id_x 1
		.amdhsa_system_sgpr_workgroup_id_y 0
		.amdhsa_system_sgpr_workgroup_id_z 0
		.amdhsa_system_sgpr_workgroup_info 0
		.amdhsa_system_vgpr_workitem_id 0
		.amdhsa_next_free_vgpr 1
		.amdhsa_next_free_sgpr 0
		.amdhsa_accum_offset 4
		.amdhsa_reserve_vcc 0
		.amdhsa_float_round_mode_32 0
		.amdhsa_float_round_mode_16_64 0
		.amdhsa_float_denorm_mode_32 3
		.amdhsa_float_denorm_mode_16_64 3
		.amdhsa_dx10_clamp 1
		.amdhsa_ieee_mode 1
		.amdhsa_fp16_overflow 0
		.amdhsa_tg_split 0
		.amdhsa_exception_fp_ieee_invalid_op 0
		.amdhsa_exception_fp_denorm_src 0
		.amdhsa_exception_fp_ieee_div_zero 0
		.amdhsa_exception_fp_ieee_overflow 0
		.amdhsa_exception_fp_ieee_underflow 0
		.amdhsa_exception_fp_ieee_inexact 0
		.amdhsa_exception_int_div_zero 0
	.end_amdhsa_kernel
	.section	.text._ZN7rocprim17ROCPRIM_400000_NS6detail17trampoline_kernelINS0_14default_configENS1_20scan_config_selectorIN3c107complexIfEEEEZZNS1_9scan_implILNS1_25lookback_scan_determinismE0ELb0ELb0ES3_PKS7_PS7_S7_ZZZN2at6native31launch_logcumsumexp_cuda_kernelERKNSE_10TensorBaseESI_lENKUlvE_clEvENKUlvE2_clEvEUlS7_S7_E_S7_EEDaPvRmT3_T4_T5_mT6_P12ihipStream_tbENKUlT_T0_E_clISt17integral_constantIbLb0EESY_IbLb1EEEEDaSU_SV_EUlSU_E_NS1_11comp_targetILNS1_3genE3ELNS1_11target_archE908ELNS1_3gpuE7ELNS1_3repE0EEENS1_30default_config_static_selectorELNS0_4arch9wavefront6targetE1EEEvT1_,"axG",@progbits,_ZN7rocprim17ROCPRIM_400000_NS6detail17trampoline_kernelINS0_14default_configENS1_20scan_config_selectorIN3c107complexIfEEEEZZNS1_9scan_implILNS1_25lookback_scan_determinismE0ELb0ELb0ES3_PKS7_PS7_S7_ZZZN2at6native31launch_logcumsumexp_cuda_kernelERKNSE_10TensorBaseESI_lENKUlvE_clEvENKUlvE2_clEvEUlS7_S7_E_S7_EEDaPvRmT3_T4_T5_mT6_P12ihipStream_tbENKUlT_T0_E_clISt17integral_constantIbLb0EESY_IbLb1EEEEDaSU_SV_EUlSU_E_NS1_11comp_targetILNS1_3genE3ELNS1_11target_archE908ELNS1_3gpuE7ELNS1_3repE0EEENS1_30default_config_static_selectorELNS0_4arch9wavefront6targetE1EEEvT1_,comdat
.Lfunc_end332:
	.size	_ZN7rocprim17ROCPRIM_400000_NS6detail17trampoline_kernelINS0_14default_configENS1_20scan_config_selectorIN3c107complexIfEEEEZZNS1_9scan_implILNS1_25lookback_scan_determinismE0ELb0ELb0ES3_PKS7_PS7_S7_ZZZN2at6native31launch_logcumsumexp_cuda_kernelERKNSE_10TensorBaseESI_lENKUlvE_clEvENKUlvE2_clEvEUlS7_S7_E_S7_EEDaPvRmT3_T4_T5_mT6_P12ihipStream_tbENKUlT_T0_E_clISt17integral_constantIbLb0EESY_IbLb1EEEEDaSU_SV_EUlSU_E_NS1_11comp_targetILNS1_3genE3ELNS1_11target_archE908ELNS1_3gpuE7ELNS1_3repE0EEENS1_30default_config_static_selectorELNS0_4arch9wavefront6targetE1EEEvT1_, .Lfunc_end332-_ZN7rocprim17ROCPRIM_400000_NS6detail17trampoline_kernelINS0_14default_configENS1_20scan_config_selectorIN3c107complexIfEEEEZZNS1_9scan_implILNS1_25lookback_scan_determinismE0ELb0ELb0ES3_PKS7_PS7_S7_ZZZN2at6native31launch_logcumsumexp_cuda_kernelERKNSE_10TensorBaseESI_lENKUlvE_clEvENKUlvE2_clEvEUlS7_S7_E_S7_EEDaPvRmT3_T4_T5_mT6_P12ihipStream_tbENKUlT_T0_E_clISt17integral_constantIbLb0EESY_IbLb1EEEEDaSU_SV_EUlSU_E_NS1_11comp_targetILNS1_3genE3ELNS1_11target_archE908ELNS1_3gpuE7ELNS1_3repE0EEENS1_30default_config_static_selectorELNS0_4arch9wavefront6targetE1EEEvT1_
                                        ; -- End function
	.set _ZN7rocprim17ROCPRIM_400000_NS6detail17trampoline_kernelINS0_14default_configENS1_20scan_config_selectorIN3c107complexIfEEEEZZNS1_9scan_implILNS1_25lookback_scan_determinismE0ELb0ELb0ES3_PKS7_PS7_S7_ZZZN2at6native31launch_logcumsumexp_cuda_kernelERKNSE_10TensorBaseESI_lENKUlvE_clEvENKUlvE2_clEvEUlS7_S7_E_S7_EEDaPvRmT3_T4_T5_mT6_P12ihipStream_tbENKUlT_T0_E_clISt17integral_constantIbLb0EESY_IbLb1EEEEDaSU_SV_EUlSU_E_NS1_11comp_targetILNS1_3genE3ELNS1_11target_archE908ELNS1_3gpuE7ELNS1_3repE0EEENS1_30default_config_static_selectorELNS0_4arch9wavefront6targetE1EEEvT1_.num_vgpr, 0
	.set _ZN7rocprim17ROCPRIM_400000_NS6detail17trampoline_kernelINS0_14default_configENS1_20scan_config_selectorIN3c107complexIfEEEEZZNS1_9scan_implILNS1_25lookback_scan_determinismE0ELb0ELb0ES3_PKS7_PS7_S7_ZZZN2at6native31launch_logcumsumexp_cuda_kernelERKNSE_10TensorBaseESI_lENKUlvE_clEvENKUlvE2_clEvEUlS7_S7_E_S7_EEDaPvRmT3_T4_T5_mT6_P12ihipStream_tbENKUlT_T0_E_clISt17integral_constantIbLb0EESY_IbLb1EEEEDaSU_SV_EUlSU_E_NS1_11comp_targetILNS1_3genE3ELNS1_11target_archE908ELNS1_3gpuE7ELNS1_3repE0EEENS1_30default_config_static_selectorELNS0_4arch9wavefront6targetE1EEEvT1_.num_agpr, 0
	.set _ZN7rocprim17ROCPRIM_400000_NS6detail17trampoline_kernelINS0_14default_configENS1_20scan_config_selectorIN3c107complexIfEEEEZZNS1_9scan_implILNS1_25lookback_scan_determinismE0ELb0ELb0ES3_PKS7_PS7_S7_ZZZN2at6native31launch_logcumsumexp_cuda_kernelERKNSE_10TensorBaseESI_lENKUlvE_clEvENKUlvE2_clEvEUlS7_S7_E_S7_EEDaPvRmT3_T4_T5_mT6_P12ihipStream_tbENKUlT_T0_E_clISt17integral_constantIbLb0EESY_IbLb1EEEEDaSU_SV_EUlSU_E_NS1_11comp_targetILNS1_3genE3ELNS1_11target_archE908ELNS1_3gpuE7ELNS1_3repE0EEENS1_30default_config_static_selectorELNS0_4arch9wavefront6targetE1EEEvT1_.numbered_sgpr, 0
	.set _ZN7rocprim17ROCPRIM_400000_NS6detail17trampoline_kernelINS0_14default_configENS1_20scan_config_selectorIN3c107complexIfEEEEZZNS1_9scan_implILNS1_25lookback_scan_determinismE0ELb0ELb0ES3_PKS7_PS7_S7_ZZZN2at6native31launch_logcumsumexp_cuda_kernelERKNSE_10TensorBaseESI_lENKUlvE_clEvENKUlvE2_clEvEUlS7_S7_E_S7_EEDaPvRmT3_T4_T5_mT6_P12ihipStream_tbENKUlT_T0_E_clISt17integral_constantIbLb0EESY_IbLb1EEEEDaSU_SV_EUlSU_E_NS1_11comp_targetILNS1_3genE3ELNS1_11target_archE908ELNS1_3gpuE7ELNS1_3repE0EEENS1_30default_config_static_selectorELNS0_4arch9wavefront6targetE1EEEvT1_.num_named_barrier, 0
	.set _ZN7rocprim17ROCPRIM_400000_NS6detail17trampoline_kernelINS0_14default_configENS1_20scan_config_selectorIN3c107complexIfEEEEZZNS1_9scan_implILNS1_25lookback_scan_determinismE0ELb0ELb0ES3_PKS7_PS7_S7_ZZZN2at6native31launch_logcumsumexp_cuda_kernelERKNSE_10TensorBaseESI_lENKUlvE_clEvENKUlvE2_clEvEUlS7_S7_E_S7_EEDaPvRmT3_T4_T5_mT6_P12ihipStream_tbENKUlT_T0_E_clISt17integral_constantIbLb0EESY_IbLb1EEEEDaSU_SV_EUlSU_E_NS1_11comp_targetILNS1_3genE3ELNS1_11target_archE908ELNS1_3gpuE7ELNS1_3repE0EEENS1_30default_config_static_selectorELNS0_4arch9wavefront6targetE1EEEvT1_.private_seg_size, 0
	.set _ZN7rocprim17ROCPRIM_400000_NS6detail17trampoline_kernelINS0_14default_configENS1_20scan_config_selectorIN3c107complexIfEEEEZZNS1_9scan_implILNS1_25lookback_scan_determinismE0ELb0ELb0ES3_PKS7_PS7_S7_ZZZN2at6native31launch_logcumsumexp_cuda_kernelERKNSE_10TensorBaseESI_lENKUlvE_clEvENKUlvE2_clEvEUlS7_S7_E_S7_EEDaPvRmT3_T4_T5_mT6_P12ihipStream_tbENKUlT_T0_E_clISt17integral_constantIbLb0EESY_IbLb1EEEEDaSU_SV_EUlSU_E_NS1_11comp_targetILNS1_3genE3ELNS1_11target_archE908ELNS1_3gpuE7ELNS1_3repE0EEENS1_30default_config_static_selectorELNS0_4arch9wavefront6targetE1EEEvT1_.uses_vcc, 0
	.set _ZN7rocprim17ROCPRIM_400000_NS6detail17trampoline_kernelINS0_14default_configENS1_20scan_config_selectorIN3c107complexIfEEEEZZNS1_9scan_implILNS1_25lookback_scan_determinismE0ELb0ELb0ES3_PKS7_PS7_S7_ZZZN2at6native31launch_logcumsumexp_cuda_kernelERKNSE_10TensorBaseESI_lENKUlvE_clEvENKUlvE2_clEvEUlS7_S7_E_S7_EEDaPvRmT3_T4_T5_mT6_P12ihipStream_tbENKUlT_T0_E_clISt17integral_constantIbLb0EESY_IbLb1EEEEDaSU_SV_EUlSU_E_NS1_11comp_targetILNS1_3genE3ELNS1_11target_archE908ELNS1_3gpuE7ELNS1_3repE0EEENS1_30default_config_static_selectorELNS0_4arch9wavefront6targetE1EEEvT1_.uses_flat_scratch, 0
	.set _ZN7rocprim17ROCPRIM_400000_NS6detail17trampoline_kernelINS0_14default_configENS1_20scan_config_selectorIN3c107complexIfEEEEZZNS1_9scan_implILNS1_25lookback_scan_determinismE0ELb0ELb0ES3_PKS7_PS7_S7_ZZZN2at6native31launch_logcumsumexp_cuda_kernelERKNSE_10TensorBaseESI_lENKUlvE_clEvENKUlvE2_clEvEUlS7_S7_E_S7_EEDaPvRmT3_T4_T5_mT6_P12ihipStream_tbENKUlT_T0_E_clISt17integral_constantIbLb0EESY_IbLb1EEEEDaSU_SV_EUlSU_E_NS1_11comp_targetILNS1_3genE3ELNS1_11target_archE908ELNS1_3gpuE7ELNS1_3repE0EEENS1_30default_config_static_selectorELNS0_4arch9wavefront6targetE1EEEvT1_.has_dyn_sized_stack, 0
	.set _ZN7rocprim17ROCPRIM_400000_NS6detail17trampoline_kernelINS0_14default_configENS1_20scan_config_selectorIN3c107complexIfEEEEZZNS1_9scan_implILNS1_25lookback_scan_determinismE0ELb0ELb0ES3_PKS7_PS7_S7_ZZZN2at6native31launch_logcumsumexp_cuda_kernelERKNSE_10TensorBaseESI_lENKUlvE_clEvENKUlvE2_clEvEUlS7_S7_E_S7_EEDaPvRmT3_T4_T5_mT6_P12ihipStream_tbENKUlT_T0_E_clISt17integral_constantIbLb0EESY_IbLb1EEEEDaSU_SV_EUlSU_E_NS1_11comp_targetILNS1_3genE3ELNS1_11target_archE908ELNS1_3gpuE7ELNS1_3repE0EEENS1_30default_config_static_selectorELNS0_4arch9wavefront6targetE1EEEvT1_.has_recursion, 0
	.set _ZN7rocprim17ROCPRIM_400000_NS6detail17trampoline_kernelINS0_14default_configENS1_20scan_config_selectorIN3c107complexIfEEEEZZNS1_9scan_implILNS1_25lookback_scan_determinismE0ELb0ELb0ES3_PKS7_PS7_S7_ZZZN2at6native31launch_logcumsumexp_cuda_kernelERKNSE_10TensorBaseESI_lENKUlvE_clEvENKUlvE2_clEvEUlS7_S7_E_S7_EEDaPvRmT3_T4_T5_mT6_P12ihipStream_tbENKUlT_T0_E_clISt17integral_constantIbLb0EESY_IbLb1EEEEDaSU_SV_EUlSU_E_NS1_11comp_targetILNS1_3genE3ELNS1_11target_archE908ELNS1_3gpuE7ELNS1_3repE0EEENS1_30default_config_static_selectorELNS0_4arch9wavefront6targetE1EEEvT1_.has_indirect_call, 0
	.section	.AMDGPU.csdata,"",@progbits
; Kernel info:
; codeLenInByte = 0
; TotalNumSgprs: 6
; NumVgprs: 0
; NumAgprs: 0
; TotalNumVgprs: 0
; ScratchSize: 0
; MemoryBound: 0
; FloatMode: 240
; IeeeMode: 1
; LDSByteSize: 0 bytes/workgroup (compile time only)
; SGPRBlocks: 0
; VGPRBlocks: 0
; NumSGPRsForWavesPerEU: 6
; NumVGPRsForWavesPerEU: 1
; AccumOffset: 4
; Occupancy: 8
; WaveLimiterHint : 0
; COMPUTE_PGM_RSRC2:SCRATCH_EN: 0
; COMPUTE_PGM_RSRC2:USER_SGPR: 2
; COMPUTE_PGM_RSRC2:TRAP_HANDLER: 0
; COMPUTE_PGM_RSRC2:TGID_X_EN: 1
; COMPUTE_PGM_RSRC2:TGID_Y_EN: 0
; COMPUTE_PGM_RSRC2:TGID_Z_EN: 0
; COMPUTE_PGM_RSRC2:TIDIG_COMP_CNT: 0
; COMPUTE_PGM_RSRC3_GFX90A:ACCUM_OFFSET: 0
; COMPUTE_PGM_RSRC3_GFX90A:TG_SPLIT: 0
	.section	.text._ZN7rocprim17ROCPRIM_400000_NS6detail17trampoline_kernelINS0_14default_configENS1_20scan_config_selectorIN3c107complexIfEEEEZZNS1_9scan_implILNS1_25lookback_scan_determinismE0ELb0ELb0ES3_PKS7_PS7_S7_ZZZN2at6native31launch_logcumsumexp_cuda_kernelERKNSE_10TensorBaseESI_lENKUlvE_clEvENKUlvE2_clEvEUlS7_S7_E_S7_EEDaPvRmT3_T4_T5_mT6_P12ihipStream_tbENKUlT_T0_E_clISt17integral_constantIbLb0EESY_IbLb1EEEEDaSU_SV_EUlSU_E_NS1_11comp_targetILNS1_3genE2ELNS1_11target_archE906ELNS1_3gpuE6ELNS1_3repE0EEENS1_30default_config_static_selectorELNS0_4arch9wavefront6targetE1EEEvT1_,"axG",@progbits,_ZN7rocprim17ROCPRIM_400000_NS6detail17trampoline_kernelINS0_14default_configENS1_20scan_config_selectorIN3c107complexIfEEEEZZNS1_9scan_implILNS1_25lookback_scan_determinismE0ELb0ELb0ES3_PKS7_PS7_S7_ZZZN2at6native31launch_logcumsumexp_cuda_kernelERKNSE_10TensorBaseESI_lENKUlvE_clEvENKUlvE2_clEvEUlS7_S7_E_S7_EEDaPvRmT3_T4_T5_mT6_P12ihipStream_tbENKUlT_T0_E_clISt17integral_constantIbLb0EESY_IbLb1EEEEDaSU_SV_EUlSU_E_NS1_11comp_targetILNS1_3genE2ELNS1_11target_archE906ELNS1_3gpuE6ELNS1_3repE0EEENS1_30default_config_static_selectorELNS0_4arch9wavefront6targetE1EEEvT1_,comdat
	.globl	_ZN7rocprim17ROCPRIM_400000_NS6detail17trampoline_kernelINS0_14default_configENS1_20scan_config_selectorIN3c107complexIfEEEEZZNS1_9scan_implILNS1_25lookback_scan_determinismE0ELb0ELb0ES3_PKS7_PS7_S7_ZZZN2at6native31launch_logcumsumexp_cuda_kernelERKNSE_10TensorBaseESI_lENKUlvE_clEvENKUlvE2_clEvEUlS7_S7_E_S7_EEDaPvRmT3_T4_T5_mT6_P12ihipStream_tbENKUlT_T0_E_clISt17integral_constantIbLb0EESY_IbLb1EEEEDaSU_SV_EUlSU_E_NS1_11comp_targetILNS1_3genE2ELNS1_11target_archE906ELNS1_3gpuE6ELNS1_3repE0EEENS1_30default_config_static_selectorELNS0_4arch9wavefront6targetE1EEEvT1_ ; -- Begin function _ZN7rocprim17ROCPRIM_400000_NS6detail17trampoline_kernelINS0_14default_configENS1_20scan_config_selectorIN3c107complexIfEEEEZZNS1_9scan_implILNS1_25lookback_scan_determinismE0ELb0ELb0ES3_PKS7_PS7_S7_ZZZN2at6native31launch_logcumsumexp_cuda_kernelERKNSE_10TensorBaseESI_lENKUlvE_clEvENKUlvE2_clEvEUlS7_S7_E_S7_EEDaPvRmT3_T4_T5_mT6_P12ihipStream_tbENKUlT_T0_E_clISt17integral_constantIbLb0EESY_IbLb1EEEEDaSU_SV_EUlSU_E_NS1_11comp_targetILNS1_3genE2ELNS1_11target_archE906ELNS1_3gpuE6ELNS1_3repE0EEENS1_30default_config_static_selectorELNS0_4arch9wavefront6targetE1EEEvT1_
	.p2align	8
	.type	_ZN7rocprim17ROCPRIM_400000_NS6detail17trampoline_kernelINS0_14default_configENS1_20scan_config_selectorIN3c107complexIfEEEEZZNS1_9scan_implILNS1_25lookback_scan_determinismE0ELb0ELb0ES3_PKS7_PS7_S7_ZZZN2at6native31launch_logcumsumexp_cuda_kernelERKNSE_10TensorBaseESI_lENKUlvE_clEvENKUlvE2_clEvEUlS7_S7_E_S7_EEDaPvRmT3_T4_T5_mT6_P12ihipStream_tbENKUlT_T0_E_clISt17integral_constantIbLb0EESY_IbLb1EEEEDaSU_SV_EUlSU_E_NS1_11comp_targetILNS1_3genE2ELNS1_11target_archE906ELNS1_3gpuE6ELNS1_3repE0EEENS1_30default_config_static_selectorELNS0_4arch9wavefront6targetE1EEEvT1_,@function
_ZN7rocprim17ROCPRIM_400000_NS6detail17trampoline_kernelINS0_14default_configENS1_20scan_config_selectorIN3c107complexIfEEEEZZNS1_9scan_implILNS1_25lookback_scan_determinismE0ELb0ELb0ES3_PKS7_PS7_S7_ZZZN2at6native31launch_logcumsumexp_cuda_kernelERKNSE_10TensorBaseESI_lENKUlvE_clEvENKUlvE2_clEvEUlS7_S7_E_S7_EEDaPvRmT3_T4_T5_mT6_P12ihipStream_tbENKUlT_T0_E_clISt17integral_constantIbLb0EESY_IbLb1EEEEDaSU_SV_EUlSU_E_NS1_11comp_targetILNS1_3genE2ELNS1_11target_archE906ELNS1_3gpuE6ELNS1_3repE0EEENS1_30default_config_static_selectorELNS0_4arch9wavefront6targetE1EEEvT1_: ; @_ZN7rocprim17ROCPRIM_400000_NS6detail17trampoline_kernelINS0_14default_configENS1_20scan_config_selectorIN3c107complexIfEEEEZZNS1_9scan_implILNS1_25lookback_scan_determinismE0ELb0ELb0ES3_PKS7_PS7_S7_ZZZN2at6native31launch_logcumsumexp_cuda_kernelERKNSE_10TensorBaseESI_lENKUlvE_clEvENKUlvE2_clEvEUlS7_S7_E_S7_EEDaPvRmT3_T4_T5_mT6_P12ihipStream_tbENKUlT_T0_E_clISt17integral_constantIbLb0EESY_IbLb1EEEEDaSU_SV_EUlSU_E_NS1_11comp_targetILNS1_3genE2ELNS1_11target_archE906ELNS1_3gpuE6ELNS1_3repE0EEENS1_30default_config_static_selectorELNS0_4arch9wavefront6targetE1EEEvT1_
; %bb.0:
	.section	.rodata,"a",@progbits
	.p2align	6, 0x0
	.amdhsa_kernel _ZN7rocprim17ROCPRIM_400000_NS6detail17trampoline_kernelINS0_14default_configENS1_20scan_config_selectorIN3c107complexIfEEEEZZNS1_9scan_implILNS1_25lookback_scan_determinismE0ELb0ELb0ES3_PKS7_PS7_S7_ZZZN2at6native31launch_logcumsumexp_cuda_kernelERKNSE_10TensorBaseESI_lENKUlvE_clEvENKUlvE2_clEvEUlS7_S7_E_S7_EEDaPvRmT3_T4_T5_mT6_P12ihipStream_tbENKUlT_T0_E_clISt17integral_constantIbLb0EESY_IbLb1EEEEDaSU_SV_EUlSU_E_NS1_11comp_targetILNS1_3genE2ELNS1_11target_archE906ELNS1_3gpuE6ELNS1_3repE0EEENS1_30default_config_static_selectorELNS0_4arch9wavefront6targetE1EEEvT1_
		.amdhsa_group_segment_fixed_size 0
		.amdhsa_private_segment_fixed_size 0
		.amdhsa_kernarg_size 104
		.amdhsa_user_sgpr_count 2
		.amdhsa_user_sgpr_dispatch_ptr 0
		.amdhsa_user_sgpr_queue_ptr 0
		.amdhsa_user_sgpr_kernarg_segment_ptr 1
		.amdhsa_user_sgpr_dispatch_id 0
		.amdhsa_user_sgpr_kernarg_preload_length 0
		.amdhsa_user_sgpr_kernarg_preload_offset 0
		.amdhsa_user_sgpr_private_segment_size 0
		.amdhsa_uses_dynamic_stack 0
		.amdhsa_enable_private_segment 0
		.amdhsa_system_sgpr_workgroup_id_x 1
		.amdhsa_system_sgpr_workgroup_id_y 0
		.amdhsa_system_sgpr_workgroup_id_z 0
		.amdhsa_system_sgpr_workgroup_info 0
		.amdhsa_system_vgpr_workitem_id 0
		.amdhsa_next_free_vgpr 1
		.amdhsa_next_free_sgpr 0
		.amdhsa_accum_offset 4
		.amdhsa_reserve_vcc 0
		.amdhsa_float_round_mode_32 0
		.amdhsa_float_round_mode_16_64 0
		.amdhsa_float_denorm_mode_32 3
		.amdhsa_float_denorm_mode_16_64 3
		.amdhsa_dx10_clamp 1
		.amdhsa_ieee_mode 1
		.amdhsa_fp16_overflow 0
		.amdhsa_tg_split 0
		.amdhsa_exception_fp_ieee_invalid_op 0
		.amdhsa_exception_fp_denorm_src 0
		.amdhsa_exception_fp_ieee_div_zero 0
		.amdhsa_exception_fp_ieee_overflow 0
		.amdhsa_exception_fp_ieee_underflow 0
		.amdhsa_exception_fp_ieee_inexact 0
		.amdhsa_exception_int_div_zero 0
	.end_amdhsa_kernel
	.section	.text._ZN7rocprim17ROCPRIM_400000_NS6detail17trampoline_kernelINS0_14default_configENS1_20scan_config_selectorIN3c107complexIfEEEEZZNS1_9scan_implILNS1_25lookback_scan_determinismE0ELb0ELb0ES3_PKS7_PS7_S7_ZZZN2at6native31launch_logcumsumexp_cuda_kernelERKNSE_10TensorBaseESI_lENKUlvE_clEvENKUlvE2_clEvEUlS7_S7_E_S7_EEDaPvRmT3_T4_T5_mT6_P12ihipStream_tbENKUlT_T0_E_clISt17integral_constantIbLb0EESY_IbLb1EEEEDaSU_SV_EUlSU_E_NS1_11comp_targetILNS1_3genE2ELNS1_11target_archE906ELNS1_3gpuE6ELNS1_3repE0EEENS1_30default_config_static_selectorELNS0_4arch9wavefront6targetE1EEEvT1_,"axG",@progbits,_ZN7rocprim17ROCPRIM_400000_NS6detail17trampoline_kernelINS0_14default_configENS1_20scan_config_selectorIN3c107complexIfEEEEZZNS1_9scan_implILNS1_25lookback_scan_determinismE0ELb0ELb0ES3_PKS7_PS7_S7_ZZZN2at6native31launch_logcumsumexp_cuda_kernelERKNSE_10TensorBaseESI_lENKUlvE_clEvENKUlvE2_clEvEUlS7_S7_E_S7_EEDaPvRmT3_T4_T5_mT6_P12ihipStream_tbENKUlT_T0_E_clISt17integral_constantIbLb0EESY_IbLb1EEEEDaSU_SV_EUlSU_E_NS1_11comp_targetILNS1_3genE2ELNS1_11target_archE906ELNS1_3gpuE6ELNS1_3repE0EEENS1_30default_config_static_selectorELNS0_4arch9wavefront6targetE1EEEvT1_,comdat
.Lfunc_end333:
	.size	_ZN7rocprim17ROCPRIM_400000_NS6detail17trampoline_kernelINS0_14default_configENS1_20scan_config_selectorIN3c107complexIfEEEEZZNS1_9scan_implILNS1_25lookback_scan_determinismE0ELb0ELb0ES3_PKS7_PS7_S7_ZZZN2at6native31launch_logcumsumexp_cuda_kernelERKNSE_10TensorBaseESI_lENKUlvE_clEvENKUlvE2_clEvEUlS7_S7_E_S7_EEDaPvRmT3_T4_T5_mT6_P12ihipStream_tbENKUlT_T0_E_clISt17integral_constantIbLb0EESY_IbLb1EEEEDaSU_SV_EUlSU_E_NS1_11comp_targetILNS1_3genE2ELNS1_11target_archE906ELNS1_3gpuE6ELNS1_3repE0EEENS1_30default_config_static_selectorELNS0_4arch9wavefront6targetE1EEEvT1_, .Lfunc_end333-_ZN7rocprim17ROCPRIM_400000_NS6detail17trampoline_kernelINS0_14default_configENS1_20scan_config_selectorIN3c107complexIfEEEEZZNS1_9scan_implILNS1_25lookback_scan_determinismE0ELb0ELb0ES3_PKS7_PS7_S7_ZZZN2at6native31launch_logcumsumexp_cuda_kernelERKNSE_10TensorBaseESI_lENKUlvE_clEvENKUlvE2_clEvEUlS7_S7_E_S7_EEDaPvRmT3_T4_T5_mT6_P12ihipStream_tbENKUlT_T0_E_clISt17integral_constantIbLb0EESY_IbLb1EEEEDaSU_SV_EUlSU_E_NS1_11comp_targetILNS1_3genE2ELNS1_11target_archE906ELNS1_3gpuE6ELNS1_3repE0EEENS1_30default_config_static_selectorELNS0_4arch9wavefront6targetE1EEEvT1_
                                        ; -- End function
	.set _ZN7rocprim17ROCPRIM_400000_NS6detail17trampoline_kernelINS0_14default_configENS1_20scan_config_selectorIN3c107complexIfEEEEZZNS1_9scan_implILNS1_25lookback_scan_determinismE0ELb0ELb0ES3_PKS7_PS7_S7_ZZZN2at6native31launch_logcumsumexp_cuda_kernelERKNSE_10TensorBaseESI_lENKUlvE_clEvENKUlvE2_clEvEUlS7_S7_E_S7_EEDaPvRmT3_T4_T5_mT6_P12ihipStream_tbENKUlT_T0_E_clISt17integral_constantIbLb0EESY_IbLb1EEEEDaSU_SV_EUlSU_E_NS1_11comp_targetILNS1_3genE2ELNS1_11target_archE906ELNS1_3gpuE6ELNS1_3repE0EEENS1_30default_config_static_selectorELNS0_4arch9wavefront6targetE1EEEvT1_.num_vgpr, 0
	.set _ZN7rocprim17ROCPRIM_400000_NS6detail17trampoline_kernelINS0_14default_configENS1_20scan_config_selectorIN3c107complexIfEEEEZZNS1_9scan_implILNS1_25lookback_scan_determinismE0ELb0ELb0ES3_PKS7_PS7_S7_ZZZN2at6native31launch_logcumsumexp_cuda_kernelERKNSE_10TensorBaseESI_lENKUlvE_clEvENKUlvE2_clEvEUlS7_S7_E_S7_EEDaPvRmT3_T4_T5_mT6_P12ihipStream_tbENKUlT_T0_E_clISt17integral_constantIbLb0EESY_IbLb1EEEEDaSU_SV_EUlSU_E_NS1_11comp_targetILNS1_3genE2ELNS1_11target_archE906ELNS1_3gpuE6ELNS1_3repE0EEENS1_30default_config_static_selectorELNS0_4arch9wavefront6targetE1EEEvT1_.num_agpr, 0
	.set _ZN7rocprim17ROCPRIM_400000_NS6detail17trampoline_kernelINS0_14default_configENS1_20scan_config_selectorIN3c107complexIfEEEEZZNS1_9scan_implILNS1_25lookback_scan_determinismE0ELb0ELb0ES3_PKS7_PS7_S7_ZZZN2at6native31launch_logcumsumexp_cuda_kernelERKNSE_10TensorBaseESI_lENKUlvE_clEvENKUlvE2_clEvEUlS7_S7_E_S7_EEDaPvRmT3_T4_T5_mT6_P12ihipStream_tbENKUlT_T0_E_clISt17integral_constantIbLb0EESY_IbLb1EEEEDaSU_SV_EUlSU_E_NS1_11comp_targetILNS1_3genE2ELNS1_11target_archE906ELNS1_3gpuE6ELNS1_3repE0EEENS1_30default_config_static_selectorELNS0_4arch9wavefront6targetE1EEEvT1_.numbered_sgpr, 0
	.set _ZN7rocprim17ROCPRIM_400000_NS6detail17trampoline_kernelINS0_14default_configENS1_20scan_config_selectorIN3c107complexIfEEEEZZNS1_9scan_implILNS1_25lookback_scan_determinismE0ELb0ELb0ES3_PKS7_PS7_S7_ZZZN2at6native31launch_logcumsumexp_cuda_kernelERKNSE_10TensorBaseESI_lENKUlvE_clEvENKUlvE2_clEvEUlS7_S7_E_S7_EEDaPvRmT3_T4_T5_mT6_P12ihipStream_tbENKUlT_T0_E_clISt17integral_constantIbLb0EESY_IbLb1EEEEDaSU_SV_EUlSU_E_NS1_11comp_targetILNS1_3genE2ELNS1_11target_archE906ELNS1_3gpuE6ELNS1_3repE0EEENS1_30default_config_static_selectorELNS0_4arch9wavefront6targetE1EEEvT1_.num_named_barrier, 0
	.set _ZN7rocprim17ROCPRIM_400000_NS6detail17trampoline_kernelINS0_14default_configENS1_20scan_config_selectorIN3c107complexIfEEEEZZNS1_9scan_implILNS1_25lookback_scan_determinismE0ELb0ELb0ES3_PKS7_PS7_S7_ZZZN2at6native31launch_logcumsumexp_cuda_kernelERKNSE_10TensorBaseESI_lENKUlvE_clEvENKUlvE2_clEvEUlS7_S7_E_S7_EEDaPvRmT3_T4_T5_mT6_P12ihipStream_tbENKUlT_T0_E_clISt17integral_constantIbLb0EESY_IbLb1EEEEDaSU_SV_EUlSU_E_NS1_11comp_targetILNS1_3genE2ELNS1_11target_archE906ELNS1_3gpuE6ELNS1_3repE0EEENS1_30default_config_static_selectorELNS0_4arch9wavefront6targetE1EEEvT1_.private_seg_size, 0
	.set _ZN7rocprim17ROCPRIM_400000_NS6detail17trampoline_kernelINS0_14default_configENS1_20scan_config_selectorIN3c107complexIfEEEEZZNS1_9scan_implILNS1_25lookback_scan_determinismE0ELb0ELb0ES3_PKS7_PS7_S7_ZZZN2at6native31launch_logcumsumexp_cuda_kernelERKNSE_10TensorBaseESI_lENKUlvE_clEvENKUlvE2_clEvEUlS7_S7_E_S7_EEDaPvRmT3_T4_T5_mT6_P12ihipStream_tbENKUlT_T0_E_clISt17integral_constantIbLb0EESY_IbLb1EEEEDaSU_SV_EUlSU_E_NS1_11comp_targetILNS1_3genE2ELNS1_11target_archE906ELNS1_3gpuE6ELNS1_3repE0EEENS1_30default_config_static_selectorELNS0_4arch9wavefront6targetE1EEEvT1_.uses_vcc, 0
	.set _ZN7rocprim17ROCPRIM_400000_NS6detail17trampoline_kernelINS0_14default_configENS1_20scan_config_selectorIN3c107complexIfEEEEZZNS1_9scan_implILNS1_25lookback_scan_determinismE0ELb0ELb0ES3_PKS7_PS7_S7_ZZZN2at6native31launch_logcumsumexp_cuda_kernelERKNSE_10TensorBaseESI_lENKUlvE_clEvENKUlvE2_clEvEUlS7_S7_E_S7_EEDaPvRmT3_T4_T5_mT6_P12ihipStream_tbENKUlT_T0_E_clISt17integral_constantIbLb0EESY_IbLb1EEEEDaSU_SV_EUlSU_E_NS1_11comp_targetILNS1_3genE2ELNS1_11target_archE906ELNS1_3gpuE6ELNS1_3repE0EEENS1_30default_config_static_selectorELNS0_4arch9wavefront6targetE1EEEvT1_.uses_flat_scratch, 0
	.set _ZN7rocprim17ROCPRIM_400000_NS6detail17trampoline_kernelINS0_14default_configENS1_20scan_config_selectorIN3c107complexIfEEEEZZNS1_9scan_implILNS1_25lookback_scan_determinismE0ELb0ELb0ES3_PKS7_PS7_S7_ZZZN2at6native31launch_logcumsumexp_cuda_kernelERKNSE_10TensorBaseESI_lENKUlvE_clEvENKUlvE2_clEvEUlS7_S7_E_S7_EEDaPvRmT3_T4_T5_mT6_P12ihipStream_tbENKUlT_T0_E_clISt17integral_constantIbLb0EESY_IbLb1EEEEDaSU_SV_EUlSU_E_NS1_11comp_targetILNS1_3genE2ELNS1_11target_archE906ELNS1_3gpuE6ELNS1_3repE0EEENS1_30default_config_static_selectorELNS0_4arch9wavefront6targetE1EEEvT1_.has_dyn_sized_stack, 0
	.set _ZN7rocprim17ROCPRIM_400000_NS6detail17trampoline_kernelINS0_14default_configENS1_20scan_config_selectorIN3c107complexIfEEEEZZNS1_9scan_implILNS1_25lookback_scan_determinismE0ELb0ELb0ES3_PKS7_PS7_S7_ZZZN2at6native31launch_logcumsumexp_cuda_kernelERKNSE_10TensorBaseESI_lENKUlvE_clEvENKUlvE2_clEvEUlS7_S7_E_S7_EEDaPvRmT3_T4_T5_mT6_P12ihipStream_tbENKUlT_T0_E_clISt17integral_constantIbLb0EESY_IbLb1EEEEDaSU_SV_EUlSU_E_NS1_11comp_targetILNS1_3genE2ELNS1_11target_archE906ELNS1_3gpuE6ELNS1_3repE0EEENS1_30default_config_static_selectorELNS0_4arch9wavefront6targetE1EEEvT1_.has_recursion, 0
	.set _ZN7rocprim17ROCPRIM_400000_NS6detail17trampoline_kernelINS0_14default_configENS1_20scan_config_selectorIN3c107complexIfEEEEZZNS1_9scan_implILNS1_25lookback_scan_determinismE0ELb0ELb0ES3_PKS7_PS7_S7_ZZZN2at6native31launch_logcumsumexp_cuda_kernelERKNSE_10TensorBaseESI_lENKUlvE_clEvENKUlvE2_clEvEUlS7_S7_E_S7_EEDaPvRmT3_T4_T5_mT6_P12ihipStream_tbENKUlT_T0_E_clISt17integral_constantIbLb0EESY_IbLb1EEEEDaSU_SV_EUlSU_E_NS1_11comp_targetILNS1_3genE2ELNS1_11target_archE906ELNS1_3gpuE6ELNS1_3repE0EEENS1_30default_config_static_selectorELNS0_4arch9wavefront6targetE1EEEvT1_.has_indirect_call, 0
	.section	.AMDGPU.csdata,"",@progbits
; Kernel info:
; codeLenInByte = 0
; TotalNumSgprs: 6
; NumVgprs: 0
; NumAgprs: 0
; TotalNumVgprs: 0
; ScratchSize: 0
; MemoryBound: 0
; FloatMode: 240
; IeeeMode: 1
; LDSByteSize: 0 bytes/workgroup (compile time only)
; SGPRBlocks: 0
; VGPRBlocks: 0
; NumSGPRsForWavesPerEU: 6
; NumVGPRsForWavesPerEU: 1
; AccumOffset: 4
; Occupancy: 8
; WaveLimiterHint : 0
; COMPUTE_PGM_RSRC2:SCRATCH_EN: 0
; COMPUTE_PGM_RSRC2:USER_SGPR: 2
; COMPUTE_PGM_RSRC2:TRAP_HANDLER: 0
; COMPUTE_PGM_RSRC2:TGID_X_EN: 1
; COMPUTE_PGM_RSRC2:TGID_Y_EN: 0
; COMPUTE_PGM_RSRC2:TGID_Z_EN: 0
; COMPUTE_PGM_RSRC2:TIDIG_COMP_CNT: 0
; COMPUTE_PGM_RSRC3_GFX90A:ACCUM_OFFSET: 0
; COMPUTE_PGM_RSRC3_GFX90A:TG_SPLIT: 0
	.section	.text._ZN7rocprim17ROCPRIM_400000_NS6detail17trampoline_kernelINS0_14default_configENS1_20scan_config_selectorIN3c107complexIfEEEEZZNS1_9scan_implILNS1_25lookback_scan_determinismE0ELb0ELb0ES3_PKS7_PS7_S7_ZZZN2at6native31launch_logcumsumexp_cuda_kernelERKNSE_10TensorBaseESI_lENKUlvE_clEvENKUlvE2_clEvEUlS7_S7_E_S7_EEDaPvRmT3_T4_T5_mT6_P12ihipStream_tbENKUlT_T0_E_clISt17integral_constantIbLb0EESY_IbLb1EEEEDaSU_SV_EUlSU_E_NS1_11comp_targetILNS1_3genE10ELNS1_11target_archE1201ELNS1_3gpuE5ELNS1_3repE0EEENS1_30default_config_static_selectorELNS0_4arch9wavefront6targetE1EEEvT1_,"axG",@progbits,_ZN7rocprim17ROCPRIM_400000_NS6detail17trampoline_kernelINS0_14default_configENS1_20scan_config_selectorIN3c107complexIfEEEEZZNS1_9scan_implILNS1_25lookback_scan_determinismE0ELb0ELb0ES3_PKS7_PS7_S7_ZZZN2at6native31launch_logcumsumexp_cuda_kernelERKNSE_10TensorBaseESI_lENKUlvE_clEvENKUlvE2_clEvEUlS7_S7_E_S7_EEDaPvRmT3_T4_T5_mT6_P12ihipStream_tbENKUlT_T0_E_clISt17integral_constantIbLb0EESY_IbLb1EEEEDaSU_SV_EUlSU_E_NS1_11comp_targetILNS1_3genE10ELNS1_11target_archE1201ELNS1_3gpuE5ELNS1_3repE0EEENS1_30default_config_static_selectorELNS0_4arch9wavefront6targetE1EEEvT1_,comdat
	.globl	_ZN7rocprim17ROCPRIM_400000_NS6detail17trampoline_kernelINS0_14default_configENS1_20scan_config_selectorIN3c107complexIfEEEEZZNS1_9scan_implILNS1_25lookback_scan_determinismE0ELb0ELb0ES3_PKS7_PS7_S7_ZZZN2at6native31launch_logcumsumexp_cuda_kernelERKNSE_10TensorBaseESI_lENKUlvE_clEvENKUlvE2_clEvEUlS7_S7_E_S7_EEDaPvRmT3_T4_T5_mT6_P12ihipStream_tbENKUlT_T0_E_clISt17integral_constantIbLb0EESY_IbLb1EEEEDaSU_SV_EUlSU_E_NS1_11comp_targetILNS1_3genE10ELNS1_11target_archE1201ELNS1_3gpuE5ELNS1_3repE0EEENS1_30default_config_static_selectorELNS0_4arch9wavefront6targetE1EEEvT1_ ; -- Begin function _ZN7rocprim17ROCPRIM_400000_NS6detail17trampoline_kernelINS0_14default_configENS1_20scan_config_selectorIN3c107complexIfEEEEZZNS1_9scan_implILNS1_25lookback_scan_determinismE0ELb0ELb0ES3_PKS7_PS7_S7_ZZZN2at6native31launch_logcumsumexp_cuda_kernelERKNSE_10TensorBaseESI_lENKUlvE_clEvENKUlvE2_clEvEUlS7_S7_E_S7_EEDaPvRmT3_T4_T5_mT6_P12ihipStream_tbENKUlT_T0_E_clISt17integral_constantIbLb0EESY_IbLb1EEEEDaSU_SV_EUlSU_E_NS1_11comp_targetILNS1_3genE10ELNS1_11target_archE1201ELNS1_3gpuE5ELNS1_3repE0EEENS1_30default_config_static_selectorELNS0_4arch9wavefront6targetE1EEEvT1_
	.p2align	8
	.type	_ZN7rocprim17ROCPRIM_400000_NS6detail17trampoline_kernelINS0_14default_configENS1_20scan_config_selectorIN3c107complexIfEEEEZZNS1_9scan_implILNS1_25lookback_scan_determinismE0ELb0ELb0ES3_PKS7_PS7_S7_ZZZN2at6native31launch_logcumsumexp_cuda_kernelERKNSE_10TensorBaseESI_lENKUlvE_clEvENKUlvE2_clEvEUlS7_S7_E_S7_EEDaPvRmT3_T4_T5_mT6_P12ihipStream_tbENKUlT_T0_E_clISt17integral_constantIbLb0EESY_IbLb1EEEEDaSU_SV_EUlSU_E_NS1_11comp_targetILNS1_3genE10ELNS1_11target_archE1201ELNS1_3gpuE5ELNS1_3repE0EEENS1_30default_config_static_selectorELNS0_4arch9wavefront6targetE1EEEvT1_,@function
_ZN7rocprim17ROCPRIM_400000_NS6detail17trampoline_kernelINS0_14default_configENS1_20scan_config_selectorIN3c107complexIfEEEEZZNS1_9scan_implILNS1_25lookback_scan_determinismE0ELb0ELb0ES3_PKS7_PS7_S7_ZZZN2at6native31launch_logcumsumexp_cuda_kernelERKNSE_10TensorBaseESI_lENKUlvE_clEvENKUlvE2_clEvEUlS7_S7_E_S7_EEDaPvRmT3_T4_T5_mT6_P12ihipStream_tbENKUlT_T0_E_clISt17integral_constantIbLb0EESY_IbLb1EEEEDaSU_SV_EUlSU_E_NS1_11comp_targetILNS1_3genE10ELNS1_11target_archE1201ELNS1_3gpuE5ELNS1_3repE0EEENS1_30default_config_static_selectorELNS0_4arch9wavefront6targetE1EEEvT1_: ; @_ZN7rocprim17ROCPRIM_400000_NS6detail17trampoline_kernelINS0_14default_configENS1_20scan_config_selectorIN3c107complexIfEEEEZZNS1_9scan_implILNS1_25lookback_scan_determinismE0ELb0ELb0ES3_PKS7_PS7_S7_ZZZN2at6native31launch_logcumsumexp_cuda_kernelERKNSE_10TensorBaseESI_lENKUlvE_clEvENKUlvE2_clEvEUlS7_S7_E_S7_EEDaPvRmT3_T4_T5_mT6_P12ihipStream_tbENKUlT_T0_E_clISt17integral_constantIbLb0EESY_IbLb1EEEEDaSU_SV_EUlSU_E_NS1_11comp_targetILNS1_3genE10ELNS1_11target_archE1201ELNS1_3gpuE5ELNS1_3repE0EEENS1_30default_config_static_selectorELNS0_4arch9wavefront6targetE1EEEvT1_
; %bb.0:
	.section	.rodata,"a",@progbits
	.p2align	6, 0x0
	.amdhsa_kernel _ZN7rocprim17ROCPRIM_400000_NS6detail17trampoline_kernelINS0_14default_configENS1_20scan_config_selectorIN3c107complexIfEEEEZZNS1_9scan_implILNS1_25lookback_scan_determinismE0ELb0ELb0ES3_PKS7_PS7_S7_ZZZN2at6native31launch_logcumsumexp_cuda_kernelERKNSE_10TensorBaseESI_lENKUlvE_clEvENKUlvE2_clEvEUlS7_S7_E_S7_EEDaPvRmT3_T4_T5_mT6_P12ihipStream_tbENKUlT_T0_E_clISt17integral_constantIbLb0EESY_IbLb1EEEEDaSU_SV_EUlSU_E_NS1_11comp_targetILNS1_3genE10ELNS1_11target_archE1201ELNS1_3gpuE5ELNS1_3repE0EEENS1_30default_config_static_selectorELNS0_4arch9wavefront6targetE1EEEvT1_
		.amdhsa_group_segment_fixed_size 0
		.amdhsa_private_segment_fixed_size 0
		.amdhsa_kernarg_size 104
		.amdhsa_user_sgpr_count 2
		.amdhsa_user_sgpr_dispatch_ptr 0
		.amdhsa_user_sgpr_queue_ptr 0
		.amdhsa_user_sgpr_kernarg_segment_ptr 1
		.amdhsa_user_sgpr_dispatch_id 0
		.amdhsa_user_sgpr_kernarg_preload_length 0
		.amdhsa_user_sgpr_kernarg_preload_offset 0
		.amdhsa_user_sgpr_private_segment_size 0
		.amdhsa_uses_dynamic_stack 0
		.amdhsa_enable_private_segment 0
		.amdhsa_system_sgpr_workgroup_id_x 1
		.amdhsa_system_sgpr_workgroup_id_y 0
		.amdhsa_system_sgpr_workgroup_id_z 0
		.amdhsa_system_sgpr_workgroup_info 0
		.amdhsa_system_vgpr_workitem_id 0
		.amdhsa_next_free_vgpr 1
		.amdhsa_next_free_sgpr 0
		.amdhsa_accum_offset 4
		.amdhsa_reserve_vcc 0
		.amdhsa_float_round_mode_32 0
		.amdhsa_float_round_mode_16_64 0
		.amdhsa_float_denorm_mode_32 3
		.amdhsa_float_denorm_mode_16_64 3
		.amdhsa_dx10_clamp 1
		.amdhsa_ieee_mode 1
		.amdhsa_fp16_overflow 0
		.amdhsa_tg_split 0
		.amdhsa_exception_fp_ieee_invalid_op 0
		.amdhsa_exception_fp_denorm_src 0
		.amdhsa_exception_fp_ieee_div_zero 0
		.amdhsa_exception_fp_ieee_overflow 0
		.amdhsa_exception_fp_ieee_underflow 0
		.amdhsa_exception_fp_ieee_inexact 0
		.amdhsa_exception_int_div_zero 0
	.end_amdhsa_kernel
	.section	.text._ZN7rocprim17ROCPRIM_400000_NS6detail17trampoline_kernelINS0_14default_configENS1_20scan_config_selectorIN3c107complexIfEEEEZZNS1_9scan_implILNS1_25lookback_scan_determinismE0ELb0ELb0ES3_PKS7_PS7_S7_ZZZN2at6native31launch_logcumsumexp_cuda_kernelERKNSE_10TensorBaseESI_lENKUlvE_clEvENKUlvE2_clEvEUlS7_S7_E_S7_EEDaPvRmT3_T4_T5_mT6_P12ihipStream_tbENKUlT_T0_E_clISt17integral_constantIbLb0EESY_IbLb1EEEEDaSU_SV_EUlSU_E_NS1_11comp_targetILNS1_3genE10ELNS1_11target_archE1201ELNS1_3gpuE5ELNS1_3repE0EEENS1_30default_config_static_selectorELNS0_4arch9wavefront6targetE1EEEvT1_,"axG",@progbits,_ZN7rocprim17ROCPRIM_400000_NS6detail17trampoline_kernelINS0_14default_configENS1_20scan_config_selectorIN3c107complexIfEEEEZZNS1_9scan_implILNS1_25lookback_scan_determinismE0ELb0ELb0ES3_PKS7_PS7_S7_ZZZN2at6native31launch_logcumsumexp_cuda_kernelERKNSE_10TensorBaseESI_lENKUlvE_clEvENKUlvE2_clEvEUlS7_S7_E_S7_EEDaPvRmT3_T4_T5_mT6_P12ihipStream_tbENKUlT_T0_E_clISt17integral_constantIbLb0EESY_IbLb1EEEEDaSU_SV_EUlSU_E_NS1_11comp_targetILNS1_3genE10ELNS1_11target_archE1201ELNS1_3gpuE5ELNS1_3repE0EEENS1_30default_config_static_selectorELNS0_4arch9wavefront6targetE1EEEvT1_,comdat
.Lfunc_end334:
	.size	_ZN7rocprim17ROCPRIM_400000_NS6detail17trampoline_kernelINS0_14default_configENS1_20scan_config_selectorIN3c107complexIfEEEEZZNS1_9scan_implILNS1_25lookback_scan_determinismE0ELb0ELb0ES3_PKS7_PS7_S7_ZZZN2at6native31launch_logcumsumexp_cuda_kernelERKNSE_10TensorBaseESI_lENKUlvE_clEvENKUlvE2_clEvEUlS7_S7_E_S7_EEDaPvRmT3_T4_T5_mT6_P12ihipStream_tbENKUlT_T0_E_clISt17integral_constantIbLb0EESY_IbLb1EEEEDaSU_SV_EUlSU_E_NS1_11comp_targetILNS1_3genE10ELNS1_11target_archE1201ELNS1_3gpuE5ELNS1_3repE0EEENS1_30default_config_static_selectorELNS0_4arch9wavefront6targetE1EEEvT1_, .Lfunc_end334-_ZN7rocprim17ROCPRIM_400000_NS6detail17trampoline_kernelINS0_14default_configENS1_20scan_config_selectorIN3c107complexIfEEEEZZNS1_9scan_implILNS1_25lookback_scan_determinismE0ELb0ELb0ES3_PKS7_PS7_S7_ZZZN2at6native31launch_logcumsumexp_cuda_kernelERKNSE_10TensorBaseESI_lENKUlvE_clEvENKUlvE2_clEvEUlS7_S7_E_S7_EEDaPvRmT3_T4_T5_mT6_P12ihipStream_tbENKUlT_T0_E_clISt17integral_constantIbLb0EESY_IbLb1EEEEDaSU_SV_EUlSU_E_NS1_11comp_targetILNS1_3genE10ELNS1_11target_archE1201ELNS1_3gpuE5ELNS1_3repE0EEENS1_30default_config_static_selectorELNS0_4arch9wavefront6targetE1EEEvT1_
                                        ; -- End function
	.set _ZN7rocprim17ROCPRIM_400000_NS6detail17trampoline_kernelINS0_14default_configENS1_20scan_config_selectorIN3c107complexIfEEEEZZNS1_9scan_implILNS1_25lookback_scan_determinismE0ELb0ELb0ES3_PKS7_PS7_S7_ZZZN2at6native31launch_logcumsumexp_cuda_kernelERKNSE_10TensorBaseESI_lENKUlvE_clEvENKUlvE2_clEvEUlS7_S7_E_S7_EEDaPvRmT3_T4_T5_mT6_P12ihipStream_tbENKUlT_T0_E_clISt17integral_constantIbLb0EESY_IbLb1EEEEDaSU_SV_EUlSU_E_NS1_11comp_targetILNS1_3genE10ELNS1_11target_archE1201ELNS1_3gpuE5ELNS1_3repE0EEENS1_30default_config_static_selectorELNS0_4arch9wavefront6targetE1EEEvT1_.num_vgpr, 0
	.set _ZN7rocprim17ROCPRIM_400000_NS6detail17trampoline_kernelINS0_14default_configENS1_20scan_config_selectorIN3c107complexIfEEEEZZNS1_9scan_implILNS1_25lookback_scan_determinismE0ELb0ELb0ES3_PKS7_PS7_S7_ZZZN2at6native31launch_logcumsumexp_cuda_kernelERKNSE_10TensorBaseESI_lENKUlvE_clEvENKUlvE2_clEvEUlS7_S7_E_S7_EEDaPvRmT3_T4_T5_mT6_P12ihipStream_tbENKUlT_T0_E_clISt17integral_constantIbLb0EESY_IbLb1EEEEDaSU_SV_EUlSU_E_NS1_11comp_targetILNS1_3genE10ELNS1_11target_archE1201ELNS1_3gpuE5ELNS1_3repE0EEENS1_30default_config_static_selectorELNS0_4arch9wavefront6targetE1EEEvT1_.num_agpr, 0
	.set _ZN7rocprim17ROCPRIM_400000_NS6detail17trampoline_kernelINS0_14default_configENS1_20scan_config_selectorIN3c107complexIfEEEEZZNS1_9scan_implILNS1_25lookback_scan_determinismE0ELb0ELb0ES3_PKS7_PS7_S7_ZZZN2at6native31launch_logcumsumexp_cuda_kernelERKNSE_10TensorBaseESI_lENKUlvE_clEvENKUlvE2_clEvEUlS7_S7_E_S7_EEDaPvRmT3_T4_T5_mT6_P12ihipStream_tbENKUlT_T0_E_clISt17integral_constantIbLb0EESY_IbLb1EEEEDaSU_SV_EUlSU_E_NS1_11comp_targetILNS1_3genE10ELNS1_11target_archE1201ELNS1_3gpuE5ELNS1_3repE0EEENS1_30default_config_static_selectorELNS0_4arch9wavefront6targetE1EEEvT1_.numbered_sgpr, 0
	.set _ZN7rocprim17ROCPRIM_400000_NS6detail17trampoline_kernelINS0_14default_configENS1_20scan_config_selectorIN3c107complexIfEEEEZZNS1_9scan_implILNS1_25lookback_scan_determinismE0ELb0ELb0ES3_PKS7_PS7_S7_ZZZN2at6native31launch_logcumsumexp_cuda_kernelERKNSE_10TensorBaseESI_lENKUlvE_clEvENKUlvE2_clEvEUlS7_S7_E_S7_EEDaPvRmT3_T4_T5_mT6_P12ihipStream_tbENKUlT_T0_E_clISt17integral_constantIbLb0EESY_IbLb1EEEEDaSU_SV_EUlSU_E_NS1_11comp_targetILNS1_3genE10ELNS1_11target_archE1201ELNS1_3gpuE5ELNS1_3repE0EEENS1_30default_config_static_selectorELNS0_4arch9wavefront6targetE1EEEvT1_.num_named_barrier, 0
	.set _ZN7rocprim17ROCPRIM_400000_NS6detail17trampoline_kernelINS0_14default_configENS1_20scan_config_selectorIN3c107complexIfEEEEZZNS1_9scan_implILNS1_25lookback_scan_determinismE0ELb0ELb0ES3_PKS7_PS7_S7_ZZZN2at6native31launch_logcumsumexp_cuda_kernelERKNSE_10TensorBaseESI_lENKUlvE_clEvENKUlvE2_clEvEUlS7_S7_E_S7_EEDaPvRmT3_T4_T5_mT6_P12ihipStream_tbENKUlT_T0_E_clISt17integral_constantIbLb0EESY_IbLb1EEEEDaSU_SV_EUlSU_E_NS1_11comp_targetILNS1_3genE10ELNS1_11target_archE1201ELNS1_3gpuE5ELNS1_3repE0EEENS1_30default_config_static_selectorELNS0_4arch9wavefront6targetE1EEEvT1_.private_seg_size, 0
	.set _ZN7rocprim17ROCPRIM_400000_NS6detail17trampoline_kernelINS0_14default_configENS1_20scan_config_selectorIN3c107complexIfEEEEZZNS1_9scan_implILNS1_25lookback_scan_determinismE0ELb0ELb0ES3_PKS7_PS7_S7_ZZZN2at6native31launch_logcumsumexp_cuda_kernelERKNSE_10TensorBaseESI_lENKUlvE_clEvENKUlvE2_clEvEUlS7_S7_E_S7_EEDaPvRmT3_T4_T5_mT6_P12ihipStream_tbENKUlT_T0_E_clISt17integral_constantIbLb0EESY_IbLb1EEEEDaSU_SV_EUlSU_E_NS1_11comp_targetILNS1_3genE10ELNS1_11target_archE1201ELNS1_3gpuE5ELNS1_3repE0EEENS1_30default_config_static_selectorELNS0_4arch9wavefront6targetE1EEEvT1_.uses_vcc, 0
	.set _ZN7rocprim17ROCPRIM_400000_NS6detail17trampoline_kernelINS0_14default_configENS1_20scan_config_selectorIN3c107complexIfEEEEZZNS1_9scan_implILNS1_25lookback_scan_determinismE0ELb0ELb0ES3_PKS7_PS7_S7_ZZZN2at6native31launch_logcumsumexp_cuda_kernelERKNSE_10TensorBaseESI_lENKUlvE_clEvENKUlvE2_clEvEUlS7_S7_E_S7_EEDaPvRmT3_T4_T5_mT6_P12ihipStream_tbENKUlT_T0_E_clISt17integral_constantIbLb0EESY_IbLb1EEEEDaSU_SV_EUlSU_E_NS1_11comp_targetILNS1_3genE10ELNS1_11target_archE1201ELNS1_3gpuE5ELNS1_3repE0EEENS1_30default_config_static_selectorELNS0_4arch9wavefront6targetE1EEEvT1_.uses_flat_scratch, 0
	.set _ZN7rocprim17ROCPRIM_400000_NS6detail17trampoline_kernelINS0_14default_configENS1_20scan_config_selectorIN3c107complexIfEEEEZZNS1_9scan_implILNS1_25lookback_scan_determinismE0ELb0ELb0ES3_PKS7_PS7_S7_ZZZN2at6native31launch_logcumsumexp_cuda_kernelERKNSE_10TensorBaseESI_lENKUlvE_clEvENKUlvE2_clEvEUlS7_S7_E_S7_EEDaPvRmT3_T4_T5_mT6_P12ihipStream_tbENKUlT_T0_E_clISt17integral_constantIbLb0EESY_IbLb1EEEEDaSU_SV_EUlSU_E_NS1_11comp_targetILNS1_3genE10ELNS1_11target_archE1201ELNS1_3gpuE5ELNS1_3repE0EEENS1_30default_config_static_selectorELNS0_4arch9wavefront6targetE1EEEvT1_.has_dyn_sized_stack, 0
	.set _ZN7rocprim17ROCPRIM_400000_NS6detail17trampoline_kernelINS0_14default_configENS1_20scan_config_selectorIN3c107complexIfEEEEZZNS1_9scan_implILNS1_25lookback_scan_determinismE0ELb0ELb0ES3_PKS7_PS7_S7_ZZZN2at6native31launch_logcumsumexp_cuda_kernelERKNSE_10TensorBaseESI_lENKUlvE_clEvENKUlvE2_clEvEUlS7_S7_E_S7_EEDaPvRmT3_T4_T5_mT6_P12ihipStream_tbENKUlT_T0_E_clISt17integral_constantIbLb0EESY_IbLb1EEEEDaSU_SV_EUlSU_E_NS1_11comp_targetILNS1_3genE10ELNS1_11target_archE1201ELNS1_3gpuE5ELNS1_3repE0EEENS1_30default_config_static_selectorELNS0_4arch9wavefront6targetE1EEEvT1_.has_recursion, 0
	.set _ZN7rocprim17ROCPRIM_400000_NS6detail17trampoline_kernelINS0_14default_configENS1_20scan_config_selectorIN3c107complexIfEEEEZZNS1_9scan_implILNS1_25lookback_scan_determinismE0ELb0ELb0ES3_PKS7_PS7_S7_ZZZN2at6native31launch_logcumsumexp_cuda_kernelERKNSE_10TensorBaseESI_lENKUlvE_clEvENKUlvE2_clEvEUlS7_S7_E_S7_EEDaPvRmT3_T4_T5_mT6_P12ihipStream_tbENKUlT_T0_E_clISt17integral_constantIbLb0EESY_IbLb1EEEEDaSU_SV_EUlSU_E_NS1_11comp_targetILNS1_3genE10ELNS1_11target_archE1201ELNS1_3gpuE5ELNS1_3repE0EEENS1_30default_config_static_selectorELNS0_4arch9wavefront6targetE1EEEvT1_.has_indirect_call, 0
	.section	.AMDGPU.csdata,"",@progbits
; Kernel info:
; codeLenInByte = 0
; TotalNumSgprs: 6
; NumVgprs: 0
; NumAgprs: 0
; TotalNumVgprs: 0
; ScratchSize: 0
; MemoryBound: 0
; FloatMode: 240
; IeeeMode: 1
; LDSByteSize: 0 bytes/workgroup (compile time only)
; SGPRBlocks: 0
; VGPRBlocks: 0
; NumSGPRsForWavesPerEU: 6
; NumVGPRsForWavesPerEU: 1
; AccumOffset: 4
; Occupancy: 8
; WaveLimiterHint : 0
; COMPUTE_PGM_RSRC2:SCRATCH_EN: 0
; COMPUTE_PGM_RSRC2:USER_SGPR: 2
; COMPUTE_PGM_RSRC2:TRAP_HANDLER: 0
; COMPUTE_PGM_RSRC2:TGID_X_EN: 1
; COMPUTE_PGM_RSRC2:TGID_Y_EN: 0
; COMPUTE_PGM_RSRC2:TGID_Z_EN: 0
; COMPUTE_PGM_RSRC2:TIDIG_COMP_CNT: 0
; COMPUTE_PGM_RSRC3_GFX90A:ACCUM_OFFSET: 0
; COMPUTE_PGM_RSRC3_GFX90A:TG_SPLIT: 0
	.section	.text._ZN7rocprim17ROCPRIM_400000_NS6detail17trampoline_kernelINS0_14default_configENS1_20scan_config_selectorIN3c107complexIfEEEEZZNS1_9scan_implILNS1_25lookback_scan_determinismE0ELb0ELb0ES3_PKS7_PS7_S7_ZZZN2at6native31launch_logcumsumexp_cuda_kernelERKNSE_10TensorBaseESI_lENKUlvE_clEvENKUlvE2_clEvEUlS7_S7_E_S7_EEDaPvRmT3_T4_T5_mT6_P12ihipStream_tbENKUlT_T0_E_clISt17integral_constantIbLb0EESY_IbLb1EEEEDaSU_SV_EUlSU_E_NS1_11comp_targetILNS1_3genE10ELNS1_11target_archE1200ELNS1_3gpuE4ELNS1_3repE0EEENS1_30default_config_static_selectorELNS0_4arch9wavefront6targetE1EEEvT1_,"axG",@progbits,_ZN7rocprim17ROCPRIM_400000_NS6detail17trampoline_kernelINS0_14default_configENS1_20scan_config_selectorIN3c107complexIfEEEEZZNS1_9scan_implILNS1_25lookback_scan_determinismE0ELb0ELb0ES3_PKS7_PS7_S7_ZZZN2at6native31launch_logcumsumexp_cuda_kernelERKNSE_10TensorBaseESI_lENKUlvE_clEvENKUlvE2_clEvEUlS7_S7_E_S7_EEDaPvRmT3_T4_T5_mT6_P12ihipStream_tbENKUlT_T0_E_clISt17integral_constantIbLb0EESY_IbLb1EEEEDaSU_SV_EUlSU_E_NS1_11comp_targetILNS1_3genE10ELNS1_11target_archE1200ELNS1_3gpuE4ELNS1_3repE0EEENS1_30default_config_static_selectorELNS0_4arch9wavefront6targetE1EEEvT1_,comdat
	.globl	_ZN7rocprim17ROCPRIM_400000_NS6detail17trampoline_kernelINS0_14default_configENS1_20scan_config_selectorIN3c107complexIfEEEEZZNS1_9scan_implILNS1_25lookback_scan_determinismE0ELb0ELb0ES3_PKS7_PS7_S7_ZZZN2at6native31launch_logcumsumexp_cuda_kernelERKNSE_10TensorBaseESI_lENKUlvE_clEvENKUlvE2_clEvEUlS7_S7_E_S7_EEDaPvRmT3_T4_T5_mT6_P12ihipStream_tbENKUlT_T0_E_clISt17integral_constantIbLb0EESY_IbLb1EEEEDaSU_SV_EUlSU_E_NS1_11comp_targetILNS1_3genE10ELNS1_11target_archE1200ELNS1_3gpuE4ELNS1_3repE0EEENS1_30default_config_static_selectorELNS0_4arch9wavefront6targetE1EEEvT1_ ; -- Begin function _ZN7rocprim17ROCPRIM_400000_NS6detail17trampoline_kernelINS0_14default_configENS1_20scan_config_selectorIN3c107complexIfEEEEZZNS1_9scan_implILNS1_25lookback_scan_determinismE0ELb0ELb0ES3_PKS7_PS7_S7_ZZZN2at6native31launch_logcumsumexp_cuda_kernelERKNSE_10TensorBaseESI_lENKUlvE_clEvENKUlvE2_clEvEUlS7_S7_E_S7_EEDaPvRmT3_T4_T5_mT6_P12ihipStream_tbENKUlT_T0_E_clISt17integral_constantIbLb0EESY_IbLb1EEEEDaSU_SV_EUlSU_E_NS1_11comp_targetILNS1_3genE10ELNS1_11target_archE1200ELNS1_3gpuE4ELNS1_3repE0EEENS1_30default_config_static_selectorELNS0_4arch9wavefront6targetE1EEEvT1_
	.p2align	8
	.type	_ZN7rocprim17ROCPRIM_400000_NS6detail17trampoline_kernelINS0_14default_configENS1_20scan_config_selectorIN3c107complexIfEEEEZZNS1_9scan_implILNS1_25lookback_scan_determinismE0ELb0ELb0ES3_PKS7_PS7_S7_ZZZN2at6native31launch_logcumsumexp_cuda_kernelERKNSE_10TensorBaseESI_lENKUlvE_clEvENKUlvE2_clEvEUlS7_S7_E_S7_EEDaPvRmT3_T4_T5_mT6_P12ihipStream_tbENKUlT_T0_E_clISt17integral_constantIbLb0EESY_IbLb1EEEEDaSU_SV_EUlSU_E_NS1_11comp_targetILNS1_3genE10ELNS1_11target_archE1200ELNS1_3gpuE4ELNS1_3repE0EEENS1_30default_config_static_selectorELNS0_4arch9wavefront6targetE1EEEvT1_,@function
_ZN7rocprim17ROCPRIM_400000_NS6detail17trampoline_kernelINS0_14default_configENS1_20scan_config_selectorIN3c107complexIfEEEEZZNS1_9scan_implILNS1_25lookback_scan_determinismE0ELb0ELb0ES3_PKS7_PS7_S7_ZZZN2at6native31launch_logcumsumexp_cuda_kernelERKNSE_10TensorBaseESI_lENKUlvE_clEvENKUlvE2_clEvEUlS7_S7_E_S7_EEDaPvRmT3_T4_T5_mT6_P12ihipStream_tbENKUlT_T0_E_clISt17integral_constantIbLb0EESY_IbLb1EEEEDaSU_SV_EUlSU_E_NS1_11comp_targetILNS1_3genE10ELNS1_11target_archE1200ELNS1_3gpuE4ELNS1_3repE0EEENS1_30default_config_static_selectorELNS0_4arch9wavefront6targetE1EEEvT1_: ; @_ZN7rocprim17ROCPRIM_400000_NS6detail17trampoline_kernelINS0_14default_configENS1_20scan_config_selectorIN3c107complexIfEEEEZZNS1_9scan_implILNS1_25lookback_scan_determinismE0ELb0ELb0ES3_PKS7_PS7_S7_ZZZN2at6native31launch_logcumsumexp_cuda_kernelERKNSE_10TensorBaseESI_lENKUlvE_clEvENKUlvE2_clEvEUlS7_S7_E_S7_EEDaPvRmT3_T4_T5_mT6_P12ihipStream_tbENKUlT_T0_E_clISt17integral_constantIbLb0EESY_IbLb1EEEEDaSU_SV_EUlSU_E_NS1_11comp_targetILNS1_3genE10ELNS1_11target_archE1200ELNS1_3gpuE4ELNS1_3repE0EEENS1_30default_config_static_selectorELNS0_4arch9wavefront6targetE1EEEvT1_
; %bb.0:
	.section	.rodata,"a",@progbits
	.p2align	6, 0x0
	.amdhsa_kernel _ZN7rocprim17ROCPRIM_400000_NS6detail17trampoline_kernelINS0_14default_configENS1_20scan_config_selectorIN3c107complexIfEEEEZZNS1_9scan_implILNS1_25lookback_scan_determinismE0ELb0ELb0ES3_PKS7_PS7_S7_ZZZN2at6native31launch_logcumsumexp_cuda_kernelERKNSE_10TensorBaseESI_lENKUlvE_clEvENKUlvE2_clEvEUlS7_S7_E_S7_EEDaPvRmT3_T4_T5_mT6_P12ihipStream_tbENKUlT_T0_E_clISt17integral_constantIbLb0EESY_IbLb1EEEEDaSU_SV_EUlSU_E_NS1_11comp_targetILNS1_3genE10ELNS1_11target_archE1200ELNS1_3gpuE4ELNS1_3repE0EEENS1_30default_config_static_selectorELNS0_4arch9wavefront6targetE1EEEvT1_
		.amdhsa_group_segment_fixed_size 0
		.amdhsa_private_segment_fixed_size 0
		.amdhsa_kernarg_size 104
		.amdhsa_user_sgpr_count 2
		.amdhsa_user_sgpr_dispatch_ptr 0
		.amdhsa_user_sgpr_queue_ptr 0
		.amdhsa_user_sgpr_kernarg_segment_ptr 1
		.amdhsa_user_sgpr_dispatch_id 0
		.amdhsa_user_sgpr_kernarg_preload_length 0
		.amdhsa_user_sgpr_kernarg_preload_offset 0
		.amdhsa_user_sgpr_private_segment_size 0
		.amdhsa_uses_dynamic_stack 0
		.amdhsa_enable_private_segment 0
		.amdhsa_system_sgpr_workgroup_id_x 1
		.amdhsa_system_sgpr_workgroup_id_y 0
		.amdhsa_system_sgpr_workgroup_id_z 0
		.amdhsa_system_sgpr_workgroup_info 0
		.amdhsa_system_vgpr_workitem_id 0
		.amdhsa_next_free_vgpr 1
		.amdhsa_next_free_sgpr 0
		.amdhsa_accum_offset 4
		.amdhsa_reserve_vcc 0
		.amdhsa_float_round_mode_32 0
		.amdhsa_float_round_mode_16_64 0
		.amdhsa_float_denorm_mode_32 3
		.amdhsa_float_denorm_mode_16_64 3
		.amdhsa_dx10_clamp 1
		.amdhsa_ieee_mode 1
		.amdhsa_fp16_overflow 0
		.amdhsa_tg_split 0
		.amdhsa_exception_fp_ieee_invalid_op 0
		.amdhsa_exception_fp_denorm_src 0
		.amdhsa_exception_fp_ieee_div_zero 0
		.amdhsa_exception_fp_ieee_overflow 0
		.amdhsa_exception_fp_ieee_underflow 0
		.amdhsa_exception_fp_ieee_inexact 0
		.amdhsa_exception_int_div_zero 0
	.end_amdhsa_kernel
	.section	.text._ZN7rocprim17ROCPRIM_400000_NS6detail17trampoline_kernelINS0_14default_configENS1_20scan_config_selectorIN3c107complexIfEEEEZZNS1_9scan_implILNS1_25lookback_scan_determinismE0ELb0ELb0ES3_PKS7_PS7_S7_ZZZN2at6native31launch_logcumsumexp_cuda_kernelERKNSE_10TensorBaseESI_lENKUlvE_clEvENKUlvE2_clEvEUlS7_S7_E_S7_EEDaPvRmT3_T4_T5_mT6_P12ihipStream_tbENKUlT_T0_E_clISt17integral_constantIbLb0EESY_IbLb1EEEEDaSU_SV_EUlSU_E_NS1_11comp_targetILNS1_3genE10ELNS1_11target_archE1200ELNS1_3gpuE4ELNS1_3repE0EEENS1_30default_config_static_selectorELNS0_4arch9wavefront6targetE1EEEvT1_,"axG",@progbits,_ZN7rocprim17ROCPRIM_400000_NS6detail17trampoline_kernelINS0_14default_configENS1_20scan_config_selectorIN3c107complexIfEEEEZZNS1_9scan_implILNS1_25lookback_scan_determinismE0ELb0ELb0ES3_PKS7_PS7_S7_ZZZN2at6native31launch_logcumsumexp_cuda_kernelERKNSE_10TensorBaseESI_lENKUlvE_clEvENKUlvE2_clEvEUlS7_S7_E_S7_EEDaPvRmT3_T4_T5_mT6_P12ihipStream_tbENKUlT_T0_E_clISt17integral_constantIbLb0EESY_IbLb1EEEEDaSU_SV_EUlSU_E_NS1_11comp_targetILNS1_3genE10ELNS1_11target_archE1200ELNS1_3gpuE4ELNS1_3repE0EEENS1_30default_config_static_selectorELNS0_4arch9wavefront6targetE1EEEvT1_,comdat
.Lfunc_end335:
	.size	_ZN7rocprim17ROCPRIM_400000_NS6detail17trampoline_kernelINS0_14default_configENS1_20scan_config_selectorIN3c107complexIfEEEEZZNS1_9scan_implILNS1_25lookback_scan_determinismE0ELb0ELb0ES3_PKS7_PS7_S7_ZZZN2at6native31launch_logcumsumexp_cuda_kernelERKNSE_10TensorBaseESI_lENKUlvE_clEvENKUlvE2_clEvEUlS7_S7_E_S7_EEDaPvRmT3_T4_T5_mT6_P12ihipStream_tbENKUlT_T0_E_clISt17integral_constantIbLb0EESY_IbLb1EEEEDaSU_SV_EUlSU_E_NS1_11comp_targetILNS1_3genE10ELNS1_11target_archE1200ELNS1_3gpuE4ELNS1_3repE0EEENS1_30default_config_static_selectorELNS0_4arch9wavefront6targetE1EEEvT1_, .Lfunc_end335-_ZN7rocprim17ROCPRIM_400000_NS6detail17trampoline_kernelINS0_14default_configENS1_20scan_config_selectorIN3c107complexIfEEEEZZNS1_9scan_implILNS1_25lookback_scan_determinismE0ELb0ELb0ES3_PKS7_PS7_S7_ZZZN2at6native31launch_logcumsumexp_cuda_kernelERKNSE_10TensorBaseESI_lENKUlvE_clEvENKUlvE2_clEvEUlS7_S7_E_S7_EEDaPvRmT3_T4_T5_mT6_P12ihipStream_tbENKUlT_T0_E_clISt17integral_constantIbLb0EESY_IbLb1EEEEDaSU_SV_EUlSU_E_NS1_11comp_targetILNS1_3genE10ELNS1_11target_archE1200ELNS1_3gpuE4ELNS1_3repE0EEENS1_30default_config_static_selectorELNS0_4arch9wavefront6targetE1EEEvT1_
                                        ; -- End function
	.set _ZN7rocprim17ROCPRIM_400000_NS6detail17trampoline_kernelINS0_14default_configENS1_20scan_config_selectorIN3c107complexIfEEEEZZNS1_9scan_implILNS1_25lookback_scan_determinismE0ELb0ELb0ES3_PKS7_PS7_S7_ZZZN2at6native31launch_logcumsumexp_cuda_kernelERKNSE_10TensorBaseESI_lENKUlvE_clEvENKUlvE2_clEvEUlS7_S7_E_S7_EEDaPvRmT3_T4_T5_mT6_P12ihipStream_tbENKUlT_T0_E_clISt17integral_constantIbLb0EESY_IbLb1EEEEDaSU_SV_EUlSU_E_NS1_11comp_targetILNS1_3genE10ELNS1_11target_archE1200ELNS1_3gpuE4ELNS1_3repE0EEENS1_30default_config_static_selectorELNS0_4arch9wavefront6targetE1EEEvT1_.num_vgpr, 0
	.set _ZN7rocprim17ROCPRIM_400000_NS6detail17trampoline_kernelINS0_14default_configENS1_20scan_config_selectorIN3c107complexIfEEEEZZNS1_9scan_implILNS1_25lookback_scan_determinismE0ELb0ELb0ES3_PKS7_PS7_S7_ZZZN2at6native31launch_logcumsumexp_cuda_kernelERKNSE_10TensorBaseESI_lENKUlvE_clEvENKUlvE2_clEvEUlS7_S7_E_S7_EEDaPvRmT3_T4_T5_mT6_P12ihipStream_tbENKUlT_T0_E_clISt17integral_constantIbLb0EESY_IbLb1EEEEDaSU_SV_EUlSU_E_NS1_11comp_targetILNS1_3genE10ELNS1_11target_archE1200ELNS1_3gpuE4ELNS1_3repE0EEENS1_30default_config_static_selectorELNS0_4arch9wavefront6targetE1EEEvT1_.num_agpr, 0
	.set _ZN7rocprim17ROCPRIM_400000_NS6detail17trampoline_kernelINS0_14default_configENS1_20scan_config_selectorIN3c107complexIfEEEEZZNS1_9scan_implILNS1_25lookback_scan_determinismE0ELb0ELb0ES3_PKS7_PS7_S7_ZZZN2at6native31launch_logcumsumexp_cuda_kernelERKNSE_10TensorBaseESI_lENKUlvE_clEvENKUlvE2_clEvEUlS7_S7_E_S7_EEDaPvRmT3_T4_T5_mT6_P12ihipStream_tbENKUlT_T0_E_clISt17integral_constantIbLb0EESY_IbLb1EEEEDaSU_SV_EUlSU_E_NS1_11comp_targetILNS1_3genE10ELNS1_11target_archE1200ELNS1_3gpuE4ELNS1_3repE0EEENS1_30default_config_static_selectorELNS0_4arch9wavefront6targetE1EEEvT1_.numbered_sgpr, 0
	.set _ZN7rocprim17ROCPRIM_400000_NS6detail17trampoline_kernelINS0_14default_configENS1_20scan_config_selectorIN3c107complexIfEEEEZZNS1_9scan_implILNS1_25lookback_scan_determinismE0ELb0ELb0ES3_PKS7_PS7_S7_ZZZN2at6native31launch_logcumsumexp_cuda_kernelERKNSE_10TensorBaseESI_lENKUlvE_clEvENKUlvE2_clEvEUlS7_S7_E_S7_EEDaPvRmT3_T4_T5_mT6_P12ihipStream_tbENKUlT_T0_E_clISt17integral_constantIbLb0EESY_IbLb1EEEEDaSU_SV_EUlSU_E_NS1_11comp_targetILNS1_3genE10ELNS1_11target_archE1200ELNS1_3gpuE4ELNS1_3repE0EEENS1_30default_config_static_selectorELNS0_4arch9wavefront6targetE1EEEvT1_.num_named_barrier, 0
	.set _ZN7rocprim17ROCPRIM_400000_NS6detail17trampoline_kernelINS0_14default_configENS1_20scan_config_selectorIN3c107complexIfEEEEZZNS1_9scan_implILNS1_25lookback_scan_determinismE0ELb0ELb0ES3_PKS7_PS7_S7_ZZZN2at6native31launch_logcumsumexp_cuda_kernelERKNSE_10TensorBaseESI_lENKUlvE_clEvENKUlvE2_clEvEUlS7_S7_E_S7_EEDaPvRmT3_T4_T5_mT6_P12ihipStream_tbENKUlT_T0_E_clISt17integral_constantIbLb0EESY_IbLb1EEEEDaSU_SV_EUlSU_E_NS1_11comp_targetILNS1_3genE10ELNS1_11target_archE1200ELNS1_3gpuE4ELNS1_3repE0EEENS1_30default_config_static_selectorELNS0_4arch9wavefront6targetE1EEEvT1_.private_seg_size, 0
	.set _ZN7rocprim17ROCPRIM_400000_NS6detail17trampoline_kernelINS0_14default_configENS1_20scan_config_selectorIN3c107complexIfEEEEZZNS1_9scan_implILNS1_25lookback_scan_determinismE0ELb0ELb0ES3_PKS7_PS7_S7_ZZZN2at6native31launch_logcumsumexp_cuda_kernelERKNSE_10TensorBaseESI_lENKUlvE_clEvENKUlvE2_clEvEUlS7_S7_E_S7_EEDaPvRmT3_T4_T5_mT6_P12ihipStream_tbENKUlT_T0_E_clISt17integral_constantIbLb0EESY_IbLb1EEEEDaSU_SV_EUlSU_E_NS1_11comp_targetILNS1_3genE10ELNS1_11target_archE1200ELNS1_3gpuE4ELNS1_3repE0EEENS1_30default_config_static_selectorELNS0_4arch9wavefront6targetE1EEEvT1_.uses_vcc, 0
	.set _ZN7rocprim17ROCPRIM_400000_NS6detail17trampoline_kernelINS0_14default_configENS1_20scan_config_selectorIN3c107complexIfEEEEZZNS1_9scan_implILNS1_25lookback_scan_determinismE0ELb0ELb0ES3_PKS7_PS7_S7_ZZZN2at6native31launch_logcumsumexp_cuda_kernelERKNSE_10TensorBaseESI_lENKUlvE_clEvENKUlvE2_clEvEUlS7_S7_E_S7_EEDaPvRmT3_T4_T5_mT6_P12ihipStream_tbENKUlT_T0_E_clISt17integral_constantIbLb0EESY_IbLb1EEEEDaSU_SV_EUlSU_E_NS1_11comp_targetILNS1_3genE10ELNS1_11target_archE1200ELNS1_3gpuE4ELNS1_3repE0EEENS1_30default_config_static_selectorELNS0_4arch9wavefront6targetE1EEEvT1_.uses_flat_scratch, 0
	.set _ZN7rocprim17ROCPRIM_400000_NS6detail17trampoline_kernelINS0_14default_configENS1_20scan_config_selectorIN3c107complexIfEEEEZZNS1_9scan_implILNS1_25lookback_scan_determinismE0ELb0ELb0ES3_PKS7_PS7_S7_ZZZN2at6native31launch_logcumsumexp_cuda_kernelERKNSE_10TensorBaseESI_lENKUlvE_clEvENKUlvE2_clEvEUlS7_S7_E_S7_EEDaPvRmT3_T4_T5_mT6_P12ihipStream_tbENKUlT_T0_E_clISt17integral_constantIbLb0EESY_IbLb1EEEEDaSU_SV_EUlSU_E_NS1_11comp_targetILNS1_3genE10ELNS1_11target_archE1200ELNS1_3gpuE4ELNS1_3repE0EEENS1_30default_config_static_selectorELNS0_4arch9wavefront6targetE1EEEvT1_.has_dyn_sized_stack, 0
	.set _ZN7rocprim17ROCPRIM_400000_NS6detail17trampoline_kernelINS0_14default_configENS1_20scan_config_selectorIN3c107complexIfEEEEZZNS1_9scan_implILNS1_25lookback_scan_determinismE0ELb0ELb0ES3_PKS7_PS7_S7_ZZZN2at6native31launch_logcumsumexp_cuda_kernelERKNSE_10TensorBaseESI_lENKUlvE_clEvENKUlvE2_clEvEUlS7_S7_E_S7_EEDaPvRmT3_T4_T5_mT6_P12ihipStream_tbENKUlT_T0_E_clISt17integral_constantIbLb0EESY_IbLb1EEEEDaSU_SV_EUlSU_E_NS1_11comp_targetILNS1_3genE10ELNS1_11target_archE1200ELNS1_3gpuE4ELNS1_3repE0EEENS1_30default_config_static_selectorELNS0_4arch9wavefront6targetE1EEEvT1_.has_recursion, 0
	.set _ZN7rocprim17ROCPRIM_400000_NS6detail17trampoline_kernelINS0_14default_configENS1_20scan_config_selectorIN3c107complexIfEEEEZZNS1_9scan_implILNS1_25lookback_scan_determinismE0ELb0ELb0ES3_PKS7_PS7_S7_ZZZN2at6native31launch_logcumsumexp_cuda_kernelERKNSE_10TensorBaseESI_lENKUlvE_clEvENKUlvE2_clEvEUlS7_S7_E_S7_EEDaPvRmT3_T4_T5_mT6_P12ihipStream_tbENKUlT_T0_E_clISt17integral_constantIbLb0EESY_IbLb1EEEEDaSU_SV_EUlSU_E_NS1_11comp_targetILNS1_3genE10ELNS1_11target_archE1200ELNS1_3gpuE4ELNS1_3repE0EEENS1_30default_config_static_selectorELNS0_4arch9wavefront6targetE1EEEvT1_.has_indirect_call, 0
	.section	.AMDGPU.csdata,"",@progbits
; Kernel info:
; codeLenInByte = 0
; TotalNumSgprs: 6
; NumVgprs: 0
; NumAgprs: 0
; TotalNumVgprs: 0
; ScratchSize: 0
; MemoryBound: 0
; FloatMode: 240
; IeeeMode: 1
; LDSByteSize: 0 bytes/workgroup (compile time only)
; SGPRBlocks: 0
; VGPRBlocks: 0
; NumSGPRsForWavesPerEU: 6
; NumVGPRsForWavesPerEU: 1
; AccumOffset: 4
; Occupancy: 8
; WaveLimiterHint : 0
; COMPUTE_PGM_RSRC2:SCRATCH_EN: 0
; COMPUTE_PGM_RSRC2:USER_SGPR: 2
; COMPUTE_PGM_RSRC2:TRAP_HANDLER: 0
; COMPUTE_PGM_RSRC2:TGID_X_EN: 1
; COMPUTE_PGM_RSRC2:TGID_Y_EN: 0
; COMPUTE_PGM_RSRC2:TGID_Z_EN: 0
; COMPUTE_PGM_RSRC2:TIDIG_COMP_CNT: 0
; COMPUTE_PGM_RSRC3_GFX90A:ACCUM_OFFSET: 0
; COMPUTE_PGM_RSRC3_GFX90A:TG_SPLIT: 0
	.section	.text._ZN7rocprim17ROCPRIM_400000_NS6detail17trampoline_kernelINS0_14default_configENS1_20scan_config_selectorIN3c107complexIfEEEEZZNS1_9scan_implILNS1_25lookback_scan_determinismE0ELb0ELb0ES3_PKS7_PS7_S7_ZZZN2at6native31launch_logcumsumexp_cuda_kernelERKNSE_10TensorBaseESI_lENKUlvE_clEvENKUlvE2_clEvEUlS7_S7_E_S7_EEDaPvRmT3_T4_T5_mT6_P12ihipStream_tbENKUlT_T0_E_clISt17integral_constantIbLb0EESY_IbLb1EEEEDaSU_SV_EUlSU_E_NS1_11comp_targetILNS1_3genE9ELNS1_11target_archE1100ELNS1_3gpuE3ELNS1_3repE0EEENS1_30default_config_static_selectorELNS0_4arch9wavefront6targetE1EEEvT1_,"axG",@progbits,_ZN7rocprim17ROCPRIM_400000_NS6detail17trampoline_kernelINS0_14default_configENS1_20scan_config_selectorIN3c107complexIfEEEEZZNS1_9scan_implILNS1_25lookback_scan_determinismE0ELb0ELb0ES3_PKS7_PS7_S7_ZZZN2at6native31launch_logcumsumexp_cuda_kernelERKNSE_10TensorBaseESI_lENKUlvE_clEvENKUlvE2_clEvEUlS7_S7_E_S7_EEDaPvRmT3_T4_T5_mT6_P12ihipStream_tbENKUlT_T0_E_clISt17integral_constantIbLb0EESY_IbLb1EEEEDaSU_SV_EUlSU_E_NS1_11comp_targetILNS1_3genE9ELNS1_11target_archE1100ELNS1_3gpuE3ELNS1_3repE0EEENS1_30default_config_static_selectorELNS0_4arch9wavefront6targetE1EEEvT1_,comdat
	.globl	_ZN7rocprim17ROCPRIM_400000_NS6detail17trampoline_kernelINS0_14default_configENS1_20scan_config_selectorIN3c107complexIfEEEEZZNS1_9scan_implILNS1_25lookback_scan_determinismE0ELb0ELb0ES3_PKS7_PS7_S7_ZZZN2at6native31launch_logcumsumexp_cuda_kernelERKNSE_10TensorBaseESI_lENKUlvE_clEvENKUlvE2_clEvEUlS7_S7_E_S7_EEDaPvRmT3_T4_T5_mT6_P12ihipStream_tbENKUlT_T0_E_clISt17integral_constantIbLb0EESY_IbLb1EEEEDaSU_SV_EUlSU_E_NS1_11comp_targetILNS1_3genE9ELNS1_11target_archE1100ELNS1_3gpuE3ELNS1_3repE0EEENS1_30default_config_static_selectorELNS0_4arch9wavefront6targetE1EEEvT1_ ; -- Begin function _ZN7rocprim17ROCPRIM_400000_NS6detail17trampoline_kernelINS0_14default_configENS1_20scan_config_selectorIN3c107complexIfEEEEZZNS1_9scan_implILNS1_25lookback_scan_determinismE0ELb0ELb0ES3_PKS7_PS7_S7_ZZZN2at6native31launch_logcumsumexp_cuda_kernelERKNSE_10TensorBaseESI_lENKUlvE_clEvENKUlvE2_clEvEUlS7_S7_E_S7_EEDaPvRmT3_T4_T5_mT6_P12ihipStream_tbENKUlT_T0_E_clISt17integral_constantIbLb0EESY_IbLb1EEEEDaSU_SV_EUlSU_E_NS1_11comp_targetILNS1_3genE9ELNS1_11target_archE1100ELNS1_3gpuE3ELNS1_3repE0EEENS1_30default_config_static_selectorELNS0_4arch9wavefront6targetE1EEEvT1_
	.p2align	8
	.type	_ZN7rocprim17ROCPRIM_400000_NS6detail17trampoline_kernelINS0_14default_configENS1_20scan_config_selectorIN3c107complexIfEEEEZZNS1_9scan_implILNS1_25lookback_scan_determinismE0ELb0ELb0ES3_PKS7_PS7_S7_ZZZN2at6native31launch_logcumsumexp_cuda_kernelERKNSE_10TensorBaseESI_lENKUlvE_clEvENKUlvE2_clEvEUlS7_S7_E_S7_EEDaPvRmT3_T4_T5_mT6_P12ihipStream_tbENKUlT_T0_E_clISt17integral_constantIbLb0EESY_IbLb1EEEEDaSU_SV_EUlSU_E_NS1_11comp_targetILNS1_3genE9ELNS1_11target_archE1100ELNS1_3gpuE3ELNS1_3repE0EEENS1_30default_config_static_selectorELNS0_4arch9wavefront6targetE1EEEvT1_,@function
_ZN7rocprim17ROCPRIM_400000_NS6detail17trampoline_kernelINS0_14default_configENS1_20scan_config_selectorIN3c107complexIfEEEEZZNS1_9scan_implILNS1_25lookback_scan_determinismE0ELb0ELb0ES3_PKS7_PS7_S7_ZZZN2at6native31launch_logcumsumexp_cuda_kernelERKNSE_10TensorBaseESI_lENKUlvE_clEvENKUlvE2_clEvEUlS7_S7_E_S7_EEDaPvRmT3_T4_T5_mT6_P12ihipStream_tbENKUlT_T0_E_clISt17integral_constantIbLb0EESY_IbLb1EEEEDaSU_SV_EUlSU_E_NS1_11comp_targetILNS1_3genE9ELNS1_11target_archE1100ELNS1_3gpuE3ELNS1_3repE0EEENS1_30default_config_static_selectorELNS0_4arch9wavefront6targetE1EEEvT1_: ; @_ZN7rocprim17ROCPRIM_400000_NS6detail17trampoline_kernelINS0_14default_configENS1_20scan_config_selectorIN3c107complexIfEEEEZZNS1_9scan_implILNS1_25lookback_scan_determinismE0ELb0ELb0ES3_PKS7_PS7_S7_ZZZN2at6native31launch_logcumsumexp_cuda_kernelERKNSE_10TensorBaseESI_lENKUlvE_clEvENKUlvE2_clEvEUlS7_S7_E_S7_EEDaPvRmT3_T4_T5_mT6_P12ihipStream_tbENKUlT_T0_E_clISt17integral_constantIbLb0EESY_IbLb1EEEEDaSU_SV_EUlSU_E_NS1_11comp_targetILNS1_3genE9ELNS1_11target_archE1100ELNS1_3gpuE3ELNS1_3repE0EEENS1_30default_config_static_selectorELNS0_4arch9wavefront6targetE1EEEvT1_
; %bb.0:
	.section	.rodata,"a",@progbits
	.p2align	6, 0x0
	.amdhsa_kernel _ZN7rocprim17ROCPRIM_400000_NS6detail17trampoline_kernelINS0_14default_configENS1_20scan_config_selectorIN3c107complexIfEEEEZZNS1_9scan_implILNS1_25lookback_scan_determinismE0ELb0ELb0ES3_PKS7_PS7_S7_ZZZN2at6native31launch_logcumsumexp_cuda_kernelERKNSE_10TensorBaseESI_lENKUlvE_clEvENKUlvE2_clEvEUlS7_S7_E_S7_EEDaPvRmT3_T4_T5_mT6_P12ihipStream_tbENKUlT_T0_E_clISt17integral_constantIbLb0EESY_IbLb1EEEEDaSU_SV_EUlSU_E_NS1_11comp_targetILNS1_3genE9ELNS1_11target_archE1100ELNS1_3gpuE3ELNS1_3repE0EEENS1_30default_config_static_selectorELNS0_4arch9wavefront6targetE1EEEvT1_
		.amdhsa_group_segment_fixed_size 0
		.amdhsa_private_segment_fixed_size 0
		.amdhsa_kernarg_size 104
		.amdhsa_user_sgpr_count 2
		.amdhsa_user_sgpr_dispatch_ptr 0
		.amdhsa_user_sgpr_queue_ptr 0
		.amdhsa_user_sgpr_kernarg_segment_ptr 1
		.amdhsa_user_sgpr_dispatch_id 0
		.amdhsa_user_sgpr_kernarg_preload_length 0
		.amdhsa_user_sgpr_kernarg_preload_offset 0
		.amdhsa_user_sgpr_private_segment_size 0
		.amdhsa_uses_dynamic_stack 0
		.amdhsa_enable_private_segment 0
		.amdhsa_system_sgpr_workgroup_id_x 1
		.amdhsa_system_sgpr_workgroup_id_y 0
		.amdhsa_system_sgpr_workgroup_id_z 0
		.amdhsa_system_sgpr_workgroup_info 0
		.amdhsa_system_vgpr_workitem_id 0
		.amdhsa_next_free_vgpr 1
		.amdhsa_next_free_sgpr 0
		.amdhsa_accum_offset 4
		.amdhsa_reserve_vcc 0
		.amdhsa_float_round_mode_32 0
		.amdhsa_float_round_mode_16_64 0
		.amdhsa_float_denorm_mode_32 3
		.amdhsa_float_denorm_mode_16_64 3
		.amdhsa_dx10_clamp 1
		.amdhsa_ieee_mode 1
		.amdhsa_fp16_overflow 0
		.amdhsa_tg_split 0
		.amdhsa_exception_fp_ieee_invalid_op 0
		.amdhsa_exception_fp_denorm_src 0
		.amdhsa_exception_fp_ieee_div_zero 0
		.amdhsa_exception_fp_ieee_overflow 0
		.amdhsa_exception_fp_ieee_underflow 0
		.amdhsa_exception_fp_ieee_inexact 0
		.amdhsa_exception_int_div_zero 0
	.end_amdhsa_kernel
	.section	.text._ZN7rocprim17ROCPRIM_400000_NS6detail17trampoline_kernelINS0_14default_configENS1_20scan_config_selectorIN3c107complexIfEEEEZZNS1_9scan_implILNS1_25lookback_scan_determinismE0ELb0ELb0ES3_PKS7_PS7_S7_ZZZN2at6native31launch_logcumsumexp_cuda_kernelERKNSE_10TensorBaseESI_lENKUlvE_clEvENKUlvE2_clEvEUlS7_S7_E_S7_EEDaPvRmT3_T4_T5_mT6_P12ihipStream_tbENKUlT_T0_E_clISt17integral_constantIbLb0EESY_IbLb1EEEEDaSU_SV_EUlSU_E_NS1_11comp_targetILNS1_3genE9ELNS1_11target_archE1100ELNS1_3gpuE3ELNS1_3repE0EEENS1_30default_config_static_selectorELNS0_4arch9wavefront6targetE1EEEvT1_,"axG",@progbits,_ZN7rocprim17ROCPRIM_400000_NS6detail17trampoline_kernelINS0_14default_configENS1_20scan_config_selectorIN3c107complexIfEEEEZZNS1_9scan_implILNS1_25lookback_scan_determinismE0ELb0ELb0ES3_PKS7_PS7_S7_ZZZN2at6native31launch_logcumsumexp_cuda_kernelERKNSE_10TensorBaseESI_lENKUlvE_clEvENKUlvE2_clEvEUlS7_S7_E_S7_EEDaPvRmT3_T4_T5_mT6_P12ihipStream_tbENKUlT_T0_E_clISt17integral_constantIbLb0EESY_IbLb1EEEEDaSU_SV_EUlSU_E_NS1_11comp_targetILNS1_3genE9ELNS1_11target_archE1100ELNS1_3gpuE3ELNS1_3repE0EEENS1_30default_config_static_selectorELNS0_4arch9wavefront6targetE1EEEvT1_,comdat
.Lfunc_end336:
	.size	_ZN7rocprim17ROCPRIM_400000_NS6detail17trampoline_kernelINS0_14default_configENS1_20scan_config_selectorIN3c107complexIfEEEEZZNS1_9scan_implILNS1_25lookback_scan_determinismE0ELb0ELb0ES3_PKS7_PS7_S7_ZZZN2at6native31launch_logcumsumexp_cuda_kernelERKNSE_10TensorBaseESI_lENKUlvE_clEvENKUlvE2_clEvEUlS7_S7_E_S7_EEDaPvRmT3_T4_T5_mT6_P12ihipStream_tbENKUlT_T0_E_clISt17integral_constantIbLb0EESY_IbLb1EEEEDaSU_SV_EUlSU_E_NS1_11comp_targetILNS1_3genE9ELNS1_11target_archE1100ELNS1_3gpuE3ELNS1_3repE0EEENS1_30default_config_static_selectorELNS0_4arch9wavefront6targetE1EEEvT1_, .Lfunc_end336-_ZN7rocprim17ROCPRIM_400000_NS6detail17trampoline_kernelINS0_14default_configENS1_20scan_config_selectorIN3c107complexIfEEEEZZNS1_9scan_implILNS1_25lookback_scan_determinismE0ELb0ELb0ES3_PKS7_PS7_S7_ZZZN2at6native31launch_logcumsumexp_cuda_kernelERKNSE_10TensorBaseESI_lENKUlvE_clEvENKUlvE2_clEvEUlS7_S7_E_S7_EEDaPvRmT3_T4_T5_mT6_P12ihipStream_tbENKUlT_T0_E_clISt17integral_constantIbLb0EESY_IbLb1EEEEDaSU_SV_EUlSU_E_NS1_11comp_targetILNS1_3genE9ELNS1_11target_archE1100ELNS1_3gpuE3ELNS1_3repE0EEENS1_30default_config_static_selectorELNS0_4arch9wavefront6targetE1EEEvT1_
                                        ; -- End function
	.set _ZN7rocprim17ROCPRIM_400000_NS6detail17trampoline_kernelINS0_14default_configENS1_20scan_config_selectorIN3c107complexIfEEEEZZNS1_9scan_implILNS1_25lookback_scan_determinismE0ELb0ELb0ES3_PKS7_PS7_S7_ZZZN2at6native31launch_logcumsumexp_cuda_kernelERKNSE_10TensorBaseESI_lENKUlvE_clEvENKUlvE2_clEvEUlS7_S7_E_S7_EEDaPvRmT3_T4_T5_mT6_P12ihipStream_tbENKUlT_T0_E_clISt17integral_constantIbLb0EESY_IbLb1EEEEDaSU_SV_EUlSU_E_NS1_11comp_targetILNS1_3genE9ELNS1_11target_archE1100ELNS1_3gpuE3ELNS1_3repE0EEENS1_30default_config_static_selectorELNS0_4arch9wavefront6targetE1EEEvT1_.num_vgpr, 0
	.set _ZN7rocprim17ROCPRIM_400000_NS6detail17trampoline_kernelINS0_14default_configENS1_20scan_config_selectorIN3c107complexIfEEEEZZNS1_9scan_implILNS1_25lookback_scan_determinismE0ELb0ELb0ES3_PKS7_PS7_S7_ZZZN2at6native31launch_logcumsumexp_cuda_kernelERKNSE_10TensorBaseESI_lENKUlvE_clEvENKUlvE2_clEvEUlS7_S7_E_S7_EEDaPvRmT3_T4_T5_mT6_P12ihipStream_tbENKUlT_T0_E_clISt17integral_constantIbLb0EESY_IbLb1EEEEDaSU_SV_EUlSU_E_NS1_11comp_targetILNS1_3genE9ELNS1_11target_archE1100ELNS1_3gpuE3ELNS1_3repE0EEENS1_30default_config_static_selectorELNS0_4arch9wavefront6targetE1EEEvT1_.num_agpr, 0
	.set _ZN7rocprim17ROCPRIM_400000_NS6detail17trampoline_kernelINS0_14default_configENS1_20scan_config_selectorIN3c107complexIfEEEEZZNS1_9scan_implILNS1_25lookback_scan_determinismE0ELb0ELb0ES3_PKS7_PS7_S7_ZZZN2at6native31launch_logcumsumexp_cuda_kernelERKNSE_10TensorBaseESI_lENKUlvE_clEvENKUlvE2_clEvEUlS7_S7_E_S7_EEDaPvRmT3_T4_T5_mT6_P12ihipStream_tbENKUlT_T0_E_clISt17integral_constantIbLb0EESY_IbLb1EEEEDaSU_SV_EUlSU_E_NS1_11comp_targetILNS1_3genE9ELNS1_11target_archE1100ELNS1_3gpuE3ELNS1_3repE0EEENS1_30default_config_static_selectorELNS0_4arch9wavefront6targetE1EEEvT1_.numbered_sgpr, 0
	.set _ZN7rocprim17ROCPRIM_400000_NS6detail17trampoline_kernelINS0_14default_configENS1_20scan_config_selectorIN3c107complexIfEEEEZZNS1_9scan_implILNS1_25lookback_scan_determinismE0ELb0ELb0ES3_PKS7_PS7_S7_ZZZN2at6native31launch_logcumsumexp_cuda_kernelERKNSE_10TensorBaseESI_lENKUlvE_clEvENKUlvE2_clEvEUlS7_S7_E_S7_EEDaPvRmT3_T4_T5_mT6_P12ihipStream_tbENKUlT_T0_E_clISt17integral_constantIbLb0EESY_IbLb1EEEEDaSU_SV_EUlSU_E_NS1_11comp_targetILNS1_3genE9ELNS1_11target_archE1100ELNS1_3gpuE3ELNS1_3repE0EEENS1_30default_config_static_selectorELNS0_4arch9wavefront6targetE1EEEvT1_.num_named_barrier, 0
	.set _ZN7rocprim17ROCPRIM_400000_NS6detail17trampoline_kernelINS0_14default_configENS1_20scan_config_selectorIN3c107complexIfEEEEZZNS1_9scan_implILNS1_25lookback_scan_determinismE0ELb0ELb0ES3_PKS7_PS7_S7_ZZZN2at6native31launch_logcumsumexp_cuda_kernelERKNSE_10TensorBaseESI_lENKUlvE_clEvENKUlvE2_clEvEUlS7_S7_E_S7_EEDaPvRmT3_T4_T5_mT6_P12ihipStream_tbENKUlT_T0_E_clISt17integral_constantIbLb0EESY_IbLb1EEEEDaSU_SV_EUlSU_E_NS1_11comp_targetILNS1_3genE9ELNS1_11target_archE1100ELNS1_3gpuE3ELNS1_3repE0EEENS1_30default_config_static_selectorELNS0_4arch9wavefront6targetE1EEEvT1_.private_seg_size, 0
	.set _ZN7rocprim17ROCPRIM_400000_NS6detail17trampoline_kernelINS0_14default_configENS1_20scan_config_selectorIN3c107complexIfEEEEZZNS1_9scan_implILNS1_25lookback_scan_determinismE0ELb0ELb0ES3_PKS7_PS7_S7_ZZZN2at6native31launch_logcumsumexp_cuda_kernelERKNSE_10TensorBaseESI_lENKUlvE_clEvENKUlvE2_clEvEUlS7_S7_E_S7_EEDaPvRmT3_T4_T5_mT6_P12ihipStream_tbENKUlT_T0_E_clISt17integral_constantIbLb0EESY_IbLb1EEEEDaSU_SV_EUlSU_E_NS1_11comp_targetILNS1_3genE9ELNS1_11target_archE1100ELNS1_3gpuE3ELNS1_3repE0EEENS1_30default_config_static_selectorELNS0_4arch9wavefront6targetE1EEEvT1_.uses_vcc, 0
	.set _ZN7rocprim17ROCPRIM_400000_NS6detail17trampoline_kernelINS0_14default_configENS1_20scan_config_selectorIN3c107complexIfEEEEZZNS1_9scan_implILNS1_25lookback_scan_determinismE0ELb0ELb0ES3_PKS7_PS7_S7_ZZZN2at6native31launch_logcumsumexp_cuda_kernelERKNSE_10TensorBaseESI_lENKUlvE_clEvENKUlvE2_clEvEUlS7_S7_E_S7_EEDaPvRmT3_T4_T5_mT6_P12ihipStream_tbENKUlT_T0_E_clISt17integral_constantIbLb0EESY_IbLb1EEEEDaSU_SV_EUlSU_E_NS1_11comp_targetILNS1_3genE9ELNS1_11target_archE1100ELNS1_3gpuE3ELNS1_3repE0EEENS1_30default_config_static_selectorELNS0_4arch9wavefront6targetE1EEEvT1_.uses_flat_scratch, 0
	.set _ZN7rocprim17ROCPRIM_400000_NS6detail17trampoline_kernelINS0_14default_configENS1_20scan_config_selectorIN3c107complexIfEEEEZZNS1_9scan_implILNS1_25lookback_scan_determinismE0ELb0ELb0ES3_PKS7_PS7_S7_ZZZN2at6native31launch_logcumsumexp_cuda_kernelERKNSE_10TensorBaseESI_lENKUlvE_clEvENKUlvE2_clEvEUlS7_S7_E_S7_EEDaPvRmT3_T4_T5_mT6_P12ihipStream_tbENKUlT_T0_E_clISt17integral_constantIbLb0EESY_IbLb1EEEEDaSU_SV_EUlSU_E_NS1_11comp_targetILNS1_3genE9ELNS1_11target_archE1100ELNS1_3gpuE3ELNS1_3repE0EEENS1_30default_config_static_selectorELNS0_4arch9wavefront6targetE1EEEvT1_.has_dyn_sized_stack, 0
	.set _ZN7rocprim17ROCPRIM_400000_NS6detail17trampoline_kernelINS0_14default_configENS1_20scan_config_selectorIN3c107complexIfEEEEZZNS1_9scan_implILNS1_25lookback_scan_determinismE0ELb0ELb0ES3_PKS7_PS7_S7_ZZZN2at6native31launch_logcumsumexp_cuda_kernelERKNSE_10TensorBaseESI_lENKUlvE_clEvENKUlvE2_clEvEUlS7_S7_E_S7_EEDaPvRmT3_T4_T5_mT6_P12ihipStream_tbENKUlT_T0_E_clISt17integral_constantIbLb0EESY_IbLb1EEEEDaSU_SV_EUlSU_E_NS1_11comp_targetILNS1_3genE9ELNS1_11target_archE1100ELNS1_3gpuE3ELNS1_3repE0EEENS1_30default_config_static_selectorELNS0_4arch9wavefront6targetE1EEEvT1_.has_recursion, 0
	.set _ZN7rocprim17ROCPRIM_400000_NS6detail17trampoline_kernelINS0_14default_configENS1_20scan_config_selectorIN3c107complexIfEEEEZZNS1_9scan_implILNS1_25lookback_scan_determinismE0ELb0ELb0ES3_PKS7_PS7_S7_ZZZN2at6native31launch_logcumsumexp_cuda_kernelERKNSE_10TensorBaseESI_lENKUlvE_clEvENKUlvE2_clEvEUlS7_S7_E_S7_EEDaPvRmT3_T4_T5_mT6_P12ihipStream_tbENKUlT_T0_E_clISt17integral_constantIbLb0EESY_IbLb1EEEEDaSU_SV_EUlSU_E_NS1_11comp_targetILNS1_3genE9ELNS1_11target_archE1100ELNS1_3gpuE3ELNS1_3repE0EEENS1_30default_config_static_selectorELNS0_4arch9wavefront6targetE1EEEvT1_.has_indirect_call, 0
	.section	.AMDGPU.csdata,"",@progbits
; Kernel info:
; codeLenInByte = 0
; TotalNumSgprs: 6
; NumVgprs: 0
; NumAgprs: 0
; TotalNumVgprs: 0
; ScratchSize: 0
; MemoryBound: 0
; FloatMode: 240
; IeeeMode: 1
; LDSByteSize: 0 bytes/workgroup (compile time only)
; SGPRBlocks: 0
; VGPRBlocks: 0
; NumSGPRsForWavesPerEU: 6
; NumVGPRsForWavesPerEU: 1
; AccumOffset: 4
; Occupancy: 8
; WaveLimiterHint : 0
; COMPUTE_PGM_RSRC2:SCRATCH_EN: 0
; COMPUTE_PGM_RSRC2:USER_SGPR: 2
; COMPUTE_PGM_RSRC2:TRAP_HANDLER: 0
; COMPUTE_PGM_RSRC2:TGID_X_EN: 1
; COMPUTE_PGM_RSRC2:TGID_Y_EN: 0
; COMPUTE_PGM_RSRC2:TGID_Z_EN: 0
; COMPUTE_PGM_RSRC2:TIDIG_COMP_CNT: 0
; COMPUTE_PGM_RSRC3_GFX90A:ACCUM_OFFSET: 0
; COMPUTE_PGM_RSRC3_GFX90A:TG_SPLIT: 0
	.section	.text._ZN7rocprim17ROCPRIM_400000_NS6detail17trampoline_kernelINS0_14default_configENS1_20scan_config_selectorIN3c107complexIfEEEEZZNS1_9scan_implILNS1_25lookback_scan_determinismE0ELb0ELb0ES3_PKS7_PS7_S7_ZZZN2at6native31launch_logcumsumexp_cuda_kernelERKNSE_10TensorBaseESI_lENKUlvE_clEvENKUlvE2_clEvEUlS7_S7_E_S7_EEDaPvRmT3_T4_T5_mT6_P12ihipStream_tbENKUlT_T0_E_clISt17integral_constantIbLb0EESY_IbLb1EEEEDaSU_SV_EUlSU_E_NS1_11comp_targetILNS1_3genE8ELNS1_11target_archE1030ELNS1_3gpuE2ELNS1_3repE0EEENS1_30default_config_static_selectorELNS0_4arch9wavefront6targetE1EEEvT1_,"axG",@progbits,_ZN7rocprim17ROCPRIM_400000_NS6detail17trampoline_kernelINS0_14default_configENS1_20scan_config_selectorIN3c107complexIfEEEEZZNS1_9scan_implILNS1_25lookback_scan_determinismE0ELb0ELb0ES3_PKS7_PS7_S7_ZZZN2at6native31launch_logcumsumexp_cuda_kernelERKNSE_10TensorBaseESI_lENKUlvE_clEvENKUlvE2_clEvEUlS7_S7_E_S7_EEDaPvRmT3_T4_T5_mT6_P12ihipStream_tbENKUlT_T0_E_clISt17integral_constantIbLb0EESY_IbLb1EEEEDaSU_SV_EUlSU_E_NS1_11comp_targetILNS1_3genE8ELNS1_11target_archE1030ELNS1_3gpuE2ELNS1_3repE0EEENS1_30default_config_static_selectorELNS0_4arch9wavefront6targetE1EEEvT1_,comdat
	.globl	_ZN7rocprim17ROCPRIM_400000_NS6detail17trampoline_kernelINS0_14default_configENS1_20scan_config_selectorIN3c107complexIfEEEEZZNS1_9scan_implILNS1_25lookback_scan_determinismE0ELb0ELb0ES3_PKS7_PS7_S7_ZZZN2at6native31launch_logcumsumexp_cuda_kernelERKNSE_10TensorBaseESI_lENKUlvE_clEvENKUlvE2_clEvEUlS7_S7_E_S7_EEDaPvRmT3_T4_T5_mT6_P12ihipStream_tbENKUlT_T0_E_clISt17integral_constantIbLb0EESY_IbLb1EEEEDaSU_SV_EUlSU_E_NS1_11comp_targetILNS1_3genE8ELNS1_11target_archE1030ELNS1_3gpuE2ELNS1_3repE0EEENS1_30default_config_static_selectorELNS0_4arch9wavefront6targetE1EEEvT1_ ; -- Begin function _ZN7rocprim17ROCPRIM_400000_NS6detail17trampoline_kernelINS0_14default_configENS1_20scan_config_selectorIN3c107complexIfEEEEZZNS1_9scan_implILNS1_25lookback_scan_determinismE0ELb0ELb0ES3_PKS7_PS7_S7_ZZZN2at6native31launch_logcumsumexp_cuda_kernelERKNSE_10TensorBaseESI_lENKUlvE_clEvENKUlvE2_clEvEUlS7_S7_E_S7_EEDaPvRmT3_T4_T5_mT6_P12ihipStream_tbENKUlT_T0_E_clISt17integral_constantIbLb0EESY_IbLb1EEEEDaSU_SV_EUlSU_E_NS1_11comp_targetILNS1_3genE8ELNS1_11target_archE1030ELNS1_3gpuE2ELNS1_3repE0EEENS1_30default_config_static_selectorELNS0_4arch9wavefront6targetE1EEEvT1_
	.p2align	8
	.type	_ZN7rocprim17ROCPRIM_400000_NS6detail17trampoline_kernelINS0_14default_configENS1_20scan_config_selectorIN3c107complexIfEEEEZZNS1_9scan_implILNS1_25lookback_scan_determinismE0ELb0ELb0ES3_PKS7_PS7_S7_ZZZN2at6native31launch_logcumsumexp_cuda_kernelERKNSE_10TensorBaseESI_lENKUlvE_clEvENKUlvE2_clEvEUlS7_S7_E_S7_EEDaPvRmT3_T4_T5_mT6_P12ihipStream_tbENKUlT_T0_E_clISt17integral_constantIbLb0EESY_IbLb1EEEEDaSU_SV_EUlSU_E_NS1_11comp_targetILNS1_3genE8ELNS1_11target_archE1030ELNS1_3gpuE2ELNS1_3repE0EEENS1_30default_config_static_selectorELNS0_4arch9wavefront6targetE1EEEvT1_,@function
_ZN7rocprim17ROCPRIM_400000_NS6detail17trampoline_kernelINS0_14default_configENS1_20scan_config_selectorIN3c107complexIfEEEEZZNS1_9scan_implILNS1_25lookback_scan_determinismE0ELb0ELb0ES3_PKS7_PS7_S7_ZZZN2at6native31launch_logcumsumexp_cuda_kernelERKNSE_10TensorBaseESI_lENKUlvE_clEvENKUlvE2_clEvEUlS7_S7_E_S7_EEDaPvRmT3_T4_T5_mT6_P12ihipStream_tbENKUlT_T0_E_clISt17integral_constantIbLb0EESY_IbLb1EEEEDaSU_SV_EUlSU_E_NS1_11comp_targetILNS1_3genE8ELNS1_11target_archE1030ELNS1_3gpuE2ELNS1_3repE0EEENS1_30default_config_static_selectorELNS0_4arch9wavefront6targetE1EEEvT1_: ; @_ZN7rocprim17ROCPRIM_400000_NS6detail17trampoline_kernelINS0_14default_configENS1_20scan_config_selectorIN3c107complexIfEEEEZZNS1_9scan_implILNS1_25lookback_scan_determinismE0ELb0ELb0ES3_PKS7_PS7_S7_ZZZN2at6native31launch_logcumsumexp_cuda_kernelERKNSE_10TensorBaseESI_lENKUlvE_clEvENKUlvE2_clEvEUlS7_S7_E_S7_EEDaPvRmT3_T4_T5_mT6_P12ihipStream_tbENKUlT_T0_E_clISt17integral_constantIbLb0EESY_IbLb1EEEEDaSU_SV_EUlSU_E_NS1_11comp_targetILNS1_3genE8ELNS1_11target_archE1030ELNS1_3gpuE2ELNS1_3repE0EEENS1_30default_config_static_selectorELNS0_4arch9wavefront6targetE1EEEvT1_
; %bb.0:
	.section	.rodata,"a",@progbits
	.p2align	6, 0x0
	.amdhsa_kernel _ZN7rocprim17ROCPRIM_400000_NS6detail17trampoline_kernelINS0_14default_configENS1_20scan_config_selectorIN3c107complexIfEEEEZZNS1_9scan_implILNS1_25lookback_scan_determinismE0ELb0ELb0ES3_PKS7_PS7_S7_ZZZN2at6native31launch_logcumsumexp_cuda_kernelERKNSE_10TensorBaseESI_lENKUlvE_clEvENKUlvE2_clEvEUlS7_S7_E_S7_EEDaPvRmT3_T4_T5_mT6_P12ihipStream_tbENKUlT_T0_E_clISt17integral_constantIbLb0EESY_IbLb1EEEEDaSU_SV_EUlSU_E_NS1_11comp_targetILNS1_3genE8ELNS1_11target_archE1030ELNS1_3gpuE2ELNS1_3repE0EEENS1_30default_config_static_selectorELNS0_4arch9wavefront6targetE1EEEvT1_
		.amdhsa_group_segment_fixed_size 0
		.amdhsa_private_segment_fixed_size 0
		.amdhsa_kernarg_size 104
		.amdhsa_user_sgpr_count 2
		.amdhsa_user_sgpr_dispatch_ptr 0
		.amdhsa_user_sgpr_queue_ptr 0
		.amdhsa_user_sgpr_kernarg_segment_ptr 1
		.amdhsa_user_sgpr_dispatch_id 0
		.amdhsa_user_sgpr_kernarg_preload_length 0
		.amdhsa_user_sgpr_kernarg_preload_offset 0
		.amdhsa_user_sgpr_private_segment_size 0
		.amdhsa_uses_dynamic_stack 0
		.amdhsa_enable_private_segment 0
		.amdhsa_system_sgpr_workgroup_id_x 1
		.amdhsa_system_sgpr_workgroup_id_y 0
		.amdhsa_system_sgpr_workgroup_id_z 0
		.amdhsa_system_sgpr_workgroup_info 0
		.amdhsa_system_vgpr_workitem_id 0
		.amdhsa_next_free_vgpr 1
		.amdhsa_next_free_sgpr 0
		.amdhsa_accum_offset 4
		.amdhsa_reserve_vcc 0
		.amdhsa_float_round_mode_32 0
		.amdhsa_float_round_mode_16_64 0
		.amdhsa_float_denorm_mode_32 3
		.amdhsa_float_denorm_mode_16_64 3
		.amdhsa_dx10_clamp 1
		.amdhsa_ieee_mode 1
		.amdhsa_fp16_overflow 0
		.amdhsa_tg_split 0
		.amdhsa_exception_fp_ieee_invalid_op 0
		.amdhsa_exception_fp_denorm_src 0
		.amdhsa_exception_fp_ieee_div_zero 0
		.amdhsa_exception_fp_ieee_overflow 0
		.amdhsa_exception_fp_ieee_underflow 0
		.amdhsa_exception_fp_ieee_inexact 0
		.amdhsa_exception_int_div_zero 0
	.end_amdhsa_kernel
	.section	.text._ZN7rocprim17ROCPRIM_400000_NS6detail17trampoline_kernelINS0_14default_configENS1_20scan_config_selectorIN3c107complexIfEEEEZZNS1_9scan_implILNS1_25lookback_scan_determinismE0ELb0ELb0ES3_PKS7_PS7_S7_ZZZN2at6native31launch_logcumsumexp_cuda_kernelERKNSE_10TensorBaseESI_lENKUlvE_clEvENKUlvE2_clEvEUlS7_S7_E_S7_EEDaPvRmT3_T4_T5_mT6_P12ihipStream_tbENKUlT_T0_E_clISt17integral_constantIbLb0EESY_IbLb1EEEEDaSU_SV_EUlSU_E_NS1_11comp_targetILNS1_3genE8ELNS1_11target_archE1030ELNS1_3gpuE2ELNS1_3repE0EEENS1_30default_config_static_selectorELNS0_4arch9wavefront6targetE1EEEvT1_,"axG",@progbits,_ZN7rocprim17ROCPRIM_400000_NS6detail17trampoline_kernelINS0_14default_configENS1_20scan_config_selectorIN3c107complexIfEEEEZZNS1_9scan_implILNS1_25lookback_scan_determinismE0ELb0ELb0ES3_PKS7_PS7_S7_ZZZN2at6native31launch_logcumsumexp_cuda_kernelERKNSE_10TensorBaseESI_lENKUlvE_clEvENKUlvE2_clEvEUlS7_S7_E_S7_EEDaPvRmT3_T4_T5_mT6_P12ihipStream_tbENKUlT_T0_E_clISt17integral_constantIbLb0EESY_IbLb1EEEEDaSU_SV_EUlSU_E_NS1_11comp_targetILNS1_3genE8ELNS1_11target_archE1030ELNS1_3gpuE2ELNS1_3repE0EEENS1_30default_config_static_selectorELNS0_4arch9wavefront6targetE1EEEvT1_,comdat
.Lfunc_end337:
	.size	_ZN7rocprim17ROCPRIM_400000_NS6detail17trampoline_kernelINS0_14default_configENS1_20scan_config_selectorIN3c107complexIfEEEEZZNS1_9scan_implILNS1_25lookback_scan_determinismE0ELb0ELb0ES3_PKS7_PS7_S7_ZZZN2at6native31launch_logcumsumexp_cuda_kernelERKNSE_10TensorBaseESI_lENKUlvE_clEvENKUlvE2_clEvEUlS7_S7_E_S7_EEDaPvRmT3_T4_T5_mT6_P12ihipStream_tbENKUlT_T0_E_clISt17integral_constantIbLb0EESY_IbLb1EEEEDaSU_SV_EUlSU_E_NS1_11comp_targetILNS1_3genE8ELNS1_11target_archE1030ELNS1_3gpuE2ELNS1_3repE0EEENS1_30default_config_static_selectorELNS0_4arch9wavefront6targetE1EEEvT1_, .Lfunc_end337-_ZN7rocprim17ROCPRIM_400000_NS6detail17trampoline_kernelINS0_14default_configENS1_20scan_config_selectorIN3c107complexIfEEEEZZNS1_9scan_implILNS1_25lookback_scan_determinismE0ELb0ELb0ES3_PKS7_PS7_S7_ZZZN2at6native31launch_logcumsumexp_cuda_kernelERKNSE_10TensorBaseESI_lENKUlvE_clEvENKUlvE2_clEvEUlS7_S7_E_S7_EEDaPvRmT3_T4_T5_mT6_P12ihipStream_tbENKUlT_T0_E_clISt17integral_constantIbLb0EESY_IbLb1EEEEDaSU_SV_EUlSU_E_NS1_11comp_targetILNS1_3genE8ELNS1_11target_archE1030ELNS1_3gpuE2ELNS1_3repE0EEENS1_30default_config_static_selectorELNS0_4arch9wavefront6targetE1EEEvT1_
                                        ; -- End function
	.set _ZN7rocprim17ROCPRIM_400000_NS6detail17trampoline_kernelINS0_14default_configENS1_20scan_config_selectorIN3c107complexIfEEEEZZNS1_9scan_implILNS1_25lookback_scan_determinismE0ELb0ELb0ES3_PKS7_PS7_S7_ZZZN2at6native31launch_logcumsumexp_cuda_kernelERKNSE_10TensorBaseESI_lENKUlvE_clEvENKUlvE2_clEvEUlS7_S7_E_S7_EEDaPvRmT3_T4_T5_mT6_P12ihipStream_tbENKUlT_T0_E_clISt17integral_constantIbLb0EESY_IbLb1EEEEDaSU_SV_EUlSU_E_NS1_11comp_targetILNS1_3genE8ELNS1_11target_archE1030ELNS1_3gpuE2ELNS1_3repE0EEENS1_30default_config_static_selectorELNS0_4arch9wavefront6targetE1EEEvT1_.num_vgpr, 0
	.set _ZN7rocprim17ROCPRIM_400000_NS6detail17trampoline_kernelINS0_14default_configENS1_20scan_config_selectorIN3c107complexIfEEEEZZNS1_9scan_implILNS1_25lookback_scan_determinismE0ELb0ELb0ES3_PKS7_PS7_S7_ZZZN2at6native31launch_logcumsumexp_cuda_kernelERKNSE_10TensorBaseESI_lENKUlvE_clEvENKUlvE2_clEvEUlS7_S7_E_S7_EEDaPvRmT3_T4_T5_mT6_P12ihipStream_tbENKUlT_T0_E_clISt17integral_constantIbLb0EESY_IbLb1EEEEDaSU_SV_EUlSU_E_NS1_11comp_targetILNS1_3genE8ELNS1_11target_archE1030ELNS1_3gpuE2ELNS1_3repE0EEENS1_30default_config_static_selectorELNS0_4arch9wavefront6targetE1EEEvT1_.num_agpr, 0
	.set _ZN7rocprim17ROCPRIM_400000_NS6detail17trampoline_kernelINS0_14default_configENS1_20scan_config_selectorIN3c107complexIfEEEEZZNS1_9scan_implILNS1_25lookback_scan_determinismE0ELb0ELb0ES3_PKS7_PS7_S7_ZZZN2at6native31launch_logcumsumexp_cuda_kernelERKNSE_10TensorBaseESI_lENKUlvE_clEvENKUlvE2_clEvEUlS7_S7_E_S7_EEDaPvRmT3_T4_T5_mT6_P12ihipStream_tbENKUlT_T0_E_clISt17integral_constantIbLb0EESY_IbLb1EEEEDaSU_SV_EUlSU_E_NS1_11comp_targetILNS1_3genE8ELNS1_11target_archE1030ELNS1_3gpuE2ELNS1_3repE0EEENS1_30default_config_static_selectorELNS0_4arch9wavefront6targetE1EEEvT1_.numbered_sgpr, 0
	.set _ZN7rocprim17ROCPRIM_400000_NS6detail17trampoline_kernelINS0_14default_configENS1_20scan_config_selectorIN3c107complexIfEEEEZZNS1_9scan_implILNS1_25lookback_scan_determinismE0ELb0ELb0ES3_PKS7_PS7_S7_ZZZN2at6native31launch_logcumsumexp_cuda_kernelERKNSE_10TensorBaseESI_lENKUlvE_clEvENKUlvE2_clEvEUlS7_S7_E_S7_EEDaPvRmT3_T4_T5_mT6_P12ihipStream_tbENKUlT_T0_E_clISt17integral_constantIbLb0EESY_IbLb1EEEEDaSU_SV_EUlSU_E_NS1_11comp_targetILNS1_3genE8ELNS1_11target_archE1030ELNS1_3gpuE2ELNS1_3repE0EEENS1_30default_config_static_selectorELNS0_4arch9wavefront6targetE1EEEvT1_.num_named_barrier, 0
	.set _ZN7rocprim17ROCPRIM_400000_NS6detail17trampoline_kernelINS0_14default_configENS1_20scan_config_selectorIN3c107complexIfEEEEZZNS1_9scan_implILNS1_25lookback_scan_determinismE0ELb0ELb0ES3_PKS7_PS7_S7_ZZZN2at6native31launch_logcumsumexp_cuda_kernelERKNSE_10TensorBaseESI_lENKUlvE_clEvENKUlvE2_clEvEUlS7_S7_E_S7_EEDaPvRmT3_T4_T5_mT6_P12ihipStream_tbENKUlT_T0_E_clISt17integral_constantIbLb0EESY_IbLb1EEEEDaSU_SV_EUlSU_E_NS1_11comp_targetILNS1_3genE8ELNS1_11target_archE1030ELNS1_3gpuE2ELNS1_3repE0EEENS1_30default_config_static_selectorELNS0_4arch9wavefront6targetE1EEEvT1_.private_seg_size, 0
	.set _ZN7rocprim17ROCPRIM_400000_NS6detail17trampoline_kernelINS0_14default_configENS1_20scan_config_selectorIN3c107complexIfEEEEZZNS1_9scan_implILNS1_25lookback_scan_determinismE0ELb0ELb0ES3_PKS7_PS7_S7_ZZZN2at6native31launch_logcumsumexp_cuda_kernelERKNSE_10TensorBaseESI_lENKUlvE_clEvENKUlvE2_clEvEUlS7_S7_E_S7_EEDaPvRmT3_T4_T5_mT6_P12ihipStream_tbENKUlT_T0_E_clISt17integral_constantIbLb0EESY_IbLb1EEEEDaSU_SV_EUlSU_E_NS1_11comp_targetILNS1_3genE8ELNS1_11target_archE1030ELNS1_3gpuE2ELNS1_3repE0EEENS1_30default_config_static_selectorELNS0_4arch9wavefront6targetE1EEEvT1_.uses_vcc, 0
	.set _ZN7rocprim17ROCPRIM_400000_NS6detail17trampoline_kernelINS0_14default_configENS1_20scan_config_selectorIN3c107complexIfEEEEZZNS1_9scan_implILNS1_25lookback_scan_determinismE0ELb0ELb0ES3_PKS7_PS7_S7_ZZZN2at6native31launch_logcumsumexp_cuda_kernelERKNSE_10TensorBaseESI_lENKUlvE_clEvENKUlvE2_clEvEUlS7_S7_E_S7_EEDaPvRmT3_T4_T5_mT6_P12ihipStream_tbENKUlT_T0_E_clISt17integral_constantIbLb0EESY_IbLb1EEEEDaSU_SV_EUlSU_E_NS1_11comp_targetILNS1_3genE8ELNS1_11target_archE1030ELNS1_3gpuE2ELNS1_3repE0EEENS1_30default_config_static_selectorELNS0_4arch9wavefront6targetE1EEEvT1_.uses_flat_scratch, 0
	.set _ZN7rocprim17ROCPRIM_400000_NS6detail17trampoline_kernelINS0_14default_configENS1_20scan_config_selectorIN3c107complexIfEEEEZZNS1_9scan_implILNS1_25lookback_scan_determinismE0ELb0ELb0ES3_PKS7_PS7_S7_ZZZN2at6native31launch_logcumsumexp_cuda_kernelERKNSE_10TensorBaseESI_lENKUlvE_clEvENKUlvE2_clEvEUlS7_S7_E_S7_EEDaPvRmT3_T4_T5_mT6_P12ihipStream_tbENKUlT_T0_E_clISt17integral_constantIbLb0EESY_IbLb1EEEEDaSU_SV_EUlSU_E_NS1_11comp_targetILNS1_3genE8ELNS1_11target_archE1030ELNS1_3gpuE2ELNS1_3repE0EEENS1_30default_config_static_selectorELNS0_4arch9wavefront6targetE1EEEvT1_.has_dyn_sized_stack, 0
	.set _ZN7rocprim17ROCPRIM_400000_NS6detail17trampoline_kernelINS0_14default_configENS1_20scan_config_selectorIN3c107complexIfEEEEZZNS1_9scan_implILNS1_25lookback_scan_determinismE0ELb0ELb0ES3_PKS7_PS7_S7_ZZZN2at6native31launch_logcumsumexp_cuda_kernelERKNSE_10TensorBaseESI_lENKUlvE_clEvENKUlvE2_clEvEUlS7_S7_E_S7_EEDaPvRmT3_T4_T5_mT6_P12ihipStream_tbENKUlT_T0_E_clISt17integral_constantIbLb0EESY_IbLb1EEEEDaSU_SV_EUlSU_E_NS1_11comp_targetILNS1_3genE8ELNS1_11target_archE1030ELNS1_3gpuE2ELNS1_3repE0EEENS1_30default_config_static_selectorELNS0_4arch9wavefront6targetE1EEEvT1_.has_recursion, 0
	.set _ZN7rocprim17ROCPRIM_400000_NS6detail17trampoline_kernelINS0_14default_configENS1_20scan_config_selectorIN3c107complexIfEEEEZZNS1_9scan_implILNS1_25lookback_scan_determinismE0ELb0ELb0ES3_PKS7_PS7_S7_ZZZN2at6native31launch_logcumsumexp_cuda_kernelERKNSE_10TensorBaseESI_lENKUlvE_clEvENKUlvE2_clEvEUlS7_S7_E_S7_EEDaPvRmT3_T4_T5_mT6_P12ihipStream_tbENKUlT_T0_E_clISt17integral_constantIbLb0EESY_IbLb1EEEEDaSU_SV_EUlSU_E_NS1_11comp_targetILNS1_3genE8ELNS1_11target_archE1030ELNS1_3gpuE2ELNS1_3repE0EEENS1_30default_config_static_selectorELNS0_4arch9wavefront6targetE1EEEvT1_.has_indirect_call, 0
	.section	.AMDGPU.csdata,"",@progbits
; Kernel info:
; codeLenInByte = 0
; TotalNumSgprs: 6
; NumVgprs: 0
; NumAgprs: 0
; TotalNumVgprs: 0
; ScratchSize: 0
; MemoryBound: 0
; FloatMode: 240
; IeeeMode: 1
; LDSByteSize: 0 bytes/workgroup (compile time only)
; SGPRBlocks: 0
; VGPRBlocks: 0
; NumSGPRsForWavesPerEU: 6
; NumVGPRsForWavesPerEU: 1
; AccumOffset: 4
; Occupancy: 8
; WaveLimiterHint : 0
; COMPUTE_PGM_RSRC2:SCRATCH_EN: 0
; COMPUTE_PGM_RSRC2:USER_SGPR: 2
; COMPUTE_PGM_RSRC2:TRAP_HANDLER: 0
; COMPUTE_PGM_RSRC2:TGID_X_EN: 1
; COMPUTE_PGM_RSRC2:TGID_Y_EN: 0
; COMPUTE_PGM_RSRC2:TGID_Z_EN: 0
; COMPUTE_PGM_RSRC2:TIDIG_COMP_CNT: 0
; COMPUTE_PGM_RSRC3_GFX90A:ACCUM_OFFSET: 0
; COMPUTE_PGM_RSRC3_GFX90A:TG_SPLIT: 0
	.section	.text._ZN7rocprim17ROCPRIM_400000_NS6detail17trampoline_kernelINS0_14default_configENS1_20scan_config_selectorIN3c107complexIfEEEEZZNS1_9scan_implILNS1_25lookback_scan_determinismE0ELb0ELb0ES3_PKS7_PS7_S7_ZZZN2at6native31launch_logcumsumexp_cuda_kernelERKNSE_10TensorBaseESI_lENKUlvE_clEvENKUlvE2_clEvEUlS7_S7_E_S7_EEDaPvRmT3_T4_T5_mT6_P12ihipStream_tbENKUlT_T0_E_clISt17integral_constantIbLb0EESY_IbLb1EEEEDaSU_SV_EUlSU_E0_NS1_11comp_targetILNS1_3genE0ELNS1_11target_archE4294967295ELNS1_3gpuE0ELNS1_3repE0EEENS1_30default_config_static_selectorELNS0_4arch9wavefront6targetE1EEEvT1_,"axG",@progbits,_ZN7rocprim17ROCPRIM_400000_NS6detail17trampoline_kernelINS0_14default_configENS1_20scan_config_selectorIN3c107complexIfEEEEZZNS1_9scan_implILNS1_25lookback_scan_determinismE0ELb0ELb0ES3_PKS7_PS7_S7_ZZZN2at6native31launch_logcumsumexp_cuda_kernelERKNSE_10TensorBaseESI_lENKUlvE_clEvENKUlvE2_clEvEUlS7_S7_E_S7_EEDaPvRmT3_T4_T5_mT6_P12ihipStream_tbENKUlT_T0_E_clISt17integral_constantIbLb0EESY_IbLb1EEEEDaSU_SV_EUlSU_E0_NS1_11comp_targetILNS1_3genE0ELNS1_11target_archE4294967295ELNS1_3gpuE0ELNS1_3repE0EEENS1_30default_config_static_selectorELNS0_4arch9wavefront6targetE1EEEvT1_,comdat
	.globl	_ZN7rocprim17ROCPRIM_400000_NS6detail17trampoline_kernelINS0_14default_configENS1_20scan_config_selectorIN3c107complexIfEEEEZZNS1_9scan_implILNS1_25lookback_scan_determinismE0ELb0ELb0ES3_PKS7_PS7_S7_ZZZN2at6native31launch_logcumsumexp_cuda_kernelERKNSE_10TensorBaseESI_lENKUlvE_clEvENKUlvE2_clEvEUlS7_S7_E_S7_EEDaPvRmT3_T4_T5_mT6_P12ihipStream_tbENKUlT_T0_E_clISt17integral_constantIbLb0EESY_IbLb1EEEEDaSU_SV_EUlSU_E0_NS1_11comp_targetILNS1_3genE0ELNS1_11target_archE4294967295ELNS1_3gpuE0ELNS1_3repE0EEENS1_30default_config_static_selectorELNS0_4arch9wavefront6targetE1EEEvT1_ ; -- Begin function _ZN7rocprim17ROCPRIM_400000_NS6detail17trampoline_kernelINS0_14default_configENS1_20scan_config_selectorIN3c107complexIfEEEEZZNS1_9scan_implILNS1_25lookback_scan_determinismE0ELb0ELb0ES3_PKS7_PS7_S7_ZZZN2at6native31launch_logcumsumexp_cuda_kernelERKNSE_10TensorBaseESI_lENKUlvE_clEvENKUlvE2_clEvEUlS7_S7_E_S7_EEDaPvRmT3_T4_T5_mT6_P12ihipStream_tbENKUlT_T0_E_clISt17integral_constantIbLb0EESY_IbLb1EEEEDaSU_SV_EUlSU_E0_NS1_11comp_targetILNS1_3genE0ELNS1_11target_archE4294967295ELNS1_3gpuE0ELNS1_3repE0EEENS1_30default_config_static_selectorELNS0_4arch9wavefront6targetE1EEEvT1_
	.p2align	8
	.type	_ZN7rocprim17ROCPRIM_400000_NS6detail17trampoline_kernelINS0_14default_configENS1_20scan_config_selectorIN3c107complexIfEEEEZZNS1_9scan_implILNS1_25lookback_scan_determinismE0ELb0ELb0ES3_PKS7_PS7_S7_ZZZN2at6native31launch_logcumsumexp_cuda_kernelERKNSE_10TensorBaseESI_lENKUlvE_clEvENKUlvE2_clEvEUlS7_S7_E_S7_EEDaPvRmT3_T4_T5_mT6_P12ihipStream_tbENKUlT_T0_E_clISt17integral_constantIbLb0EESY_IbLb1EEEEDaSU_SV_EUlSU_E0_NS1_11comp_targetILNS1_3genE0ELNS1_11target_archE4294967295ELNS1_3gpuE0ELNS1_3repE0EEENS1_30default_config_static_selectorELNS0_4arch9wavefront6targetE1EEEvT1_,@function
_ZN7rocprim17ROCPRIM_400000_NS6detail17trampoline_kernelINS0_14default_configENS1_20scan_config_selectorIN3c107complexIfEEEEZZNS1_9scan_implILNS1_25lookback_scan_determinismE0ELb0ELb0ES3_PKS7_PS7_S7_ZZZN2at6native31launch_logcumsumexp_cuda_kernelERKNSE_10TensorBaseESI_lENKUlvE_clEvENKUlvE2_clEvEUlS7_S7_E_S7_EEDaPvRmT3_T4_T5_mT6_P12ihipStream_tbENKUlT_T0_E_clISt17integral_constantIbLb0EESY_IbLb1EEEEDaSU_SV_EUlSU_E0_NS1_11comp_targetILNS1_3genE0ELNS1_11target_archE4294967295ELNS1_3gpuE0ELNS1_3repE0EEENS1_30default_config_static_selectorELNS0_4arch9wavefront6targetE1EEEvT1_: ; @_ZN7rocprim17ROCPRIM_400000_NS6detail17trampoline_kernelINS0_14default_configENS1_20scan_config_selectorIN3c107complexIfEEEEZZNS1_9scan_implILNS1_25lookback_scan_determinismE0ELb0ELb0ES3_PKS7_PS7_S7_ZZZN2at6native31launch_logcumsumexp_cuda_kernelERKNSE_10TensorBaseESI_lENKUlvE_clEvENKUlvE2_clEvEUlS7_S7_E_S7_EEDaPvRmT3_T4_T5_mT6_P12ihipStream_tbENKUlT_T0_E_clISt17integral_constantIbLb0EESY_IbLb1EEEEDaSU_SV_EUlSU_E0_NS1_11comp_targetILNS1_3genE0ELNS1_11target_archE4294967295ELNS1_3gpuE0ELNS1_3repE0EEENS1_30default_config_static_selectorELNS0_4arch9wavefront6targetE1EEEvT1_
; %bb.0:
	s_mov_b64 s[28:29], s[0:1]
	s_load_dwordx4 s[0:3], s[28:29], 0x0
	v_mov_b32_e32 v27, v0
	v_lshlrev_b32_e32 v54, 3, v27
	s_mov_b32 s32, 0
	s_waitcnt lgkmcnt(0)
	s_load_dwordx2 s[4:5], s[0:1], 0x0
	v_cmp_gt_u32_e64 s[16:17], s2, v27
	s_waitcnt lgkmcnt(0)
	v_mov_b64_e32 v[0:1], s[4:5]
	s_and_saveexec_b64 s[6:7], s[16:17]
	s_cbranch_execz .LBB338_2
; %bb.1:
	global_load_dwordx2 v[0:1], v54, s[0:1]
.LBB338_2:
	s_or_b64 exec, exec, s[6:7]
	v_or_b32_e32 v2, 0x100, v27
	v_cmp_gt_u32_e64 s[18:19], s2, v2
	v_mov_b64_e32 v[2:3], s[4:5]
	s_and_saveexec_b64 s[6:7], s[18:19]
	s_cbranch_execz .LBB338_4
; %bb.3:
	global_load_dwordx2 v[2:3], v54, s[0:1] offset:2048
.LBB338_4:
	s_or_b64 exec, exec, s[6:7]
	v_or_b32_e32 v6, 0x200, v27
	v_cmp_gt_u32_e64 s[20:21], s2, v6
	v_mov_b64_e32 v[4:5], s[4:5]
	s_and_saveexec_b64 s[6:7], s[20:21]
	s_cbranch_execz .LBB338_6
; %bb.5:
	v_lshlrev_b32_e32 v4, 3, v6
	global_load_dwordx2 v[4:5], v4, s[0:1]
.LBB338_6:
	s_or_b64 exec, exec, s[6:7]
	v_or_b32_e32 v8, 0x300, v27
	v_cmp_gt_u32_e64 s[22:23], s2, v8
	v_mov_b64_e32 v[6:7], s[4:5]
	s_and_saveexec_b64 s[6:7], s[22:23]
	s_cbranch_execz .LBB338_8
; %bb.7:
	v_lshlrev_b32_e32 v6, 3, v8
	global_load_dwordx2 v[6:7], v6, s[0:1]
.LBB338_8:
	;; [unrolled: 10-line block ×4, first 2 shown]
	s_or_b64 exec, exec, s[2:3]
	s_waitcnt vmcnt(0)
	ds_write2st64_b64 v54, v[0:1], v[2:3] offset1:4
	ds_write2st64_b64 v54, v[4:5], v[6:7] offset0:8 offset1:12
	ds_write2st64_b64 v54, v[8:9], v[10:11] offset0:16 offset1:20
	v_mad_u32_u24 v0, v27, 40, v54
	s_waitcnt lgkmcnt(0)
	s_barrier
	ds_read_b128 v[32:35], v0
	ds_read_b128 v[48:51], v0 offset:16
	ds_read_b128 v[40:43], v0 offset:32
	s_getpc_b64 s[34:35]
	s_add_u32 s34, s34, _ZZZZN2at6native31launch_logcumsumexp_cuda_kernelERKNS_10TensorBaseES3_lENKUlvE_clEvENKUlvE2_clEvENKUlN3c107complexIfEES8_E_clES8_S8_@rel32@lo+4
	s_addc_u32 s35, s35, _ZZZZN2at6native31launch_logcumsumexp_cuda_kernelERKNS_10TensorBaseES3_lENKUlvE_clEvENKUlvE2_clEvENKUlN3c107complexIfEES8_E_clES8_S8_@rel32@hi+12
	s_waitcnt lgkmcnt(0)
	v_mov_b32_e32 v0, v32
	v_mov_b32_e32 v1, v33
	;; [unrolled: 1-line block ×4, first 2 shown]
	s_barrier
	s_swappc_b64 s[30:31], s[34:35]
	v_mov_b32_e32 v2, v48
	v_mov_b32_e32 v3, v49
	v_mov_b32_e32 v52, v0
	v_mov_b32_e32 v53, v1
	s_swappc_b64 s[30:31], s[34:35]
	v_mov_b32_e32 v2, v50
	v_mov_b32_e32 v3, v51
	v_mov_b32_e32 v36, v0
	v_mov_b32_e32 v37, v1
	;; [unrolled: 5-line block ×4, first 2 shown]
	s_swappc_b64 s[30:31], s[34:35]
	v_mov_b32_e32 v31, v0
	v_mbcnt_lo_u32_b32 v0, -1, 0
	v_mov_b32_e32 v30, v1
	v_mbcnt_hi_u32_b32 v55, -1, v0
	v_and_b32_e32 v28, 15, v55
	v_mov_b32_e32 v46, v31
	v_mov_b32_e32 v47, v30
	v_mov_b32_dpp v0, v31 row_shr:1 row_mask:0xf bank_mask:0xf
	v_mov_b32_dpp v1, v30 row_shr:1 row_mask:0xf bank_mask:0xf
	v_cmp_ne_u32_e32 vcc, 0, v28
	v_mov_b64_e32 v[2:3], v[46:47]
	s_and_saveexec_b64 s[36:37], vcc
	s_cbranch_execz .LBB338_14
; %bb.13:
	v_mov_b32_e32 v2, v31
	v_mov_b32_e32 v3, v30
	s_swappc_b64 s[30:31], s[34:35]
	v_mov_b32_e32 v2, v0
	v_mov_b32_e32 v3, v1
	;; [unrolled: 1-line block ×4, first 2 shown]
.LBB338_14:
	s_or_b64 exec, exec, s[36:37]
	v_mov_b32_dpp v0, v31 row_shr:2 row_mask:0xf bank_mask:0xf
	v_mov_b32_dpp v1, v30 row_shr:2 row_mask:0xf bank_mask:0xf
	v_cmp_lt_u32_e32 vcc, 1, v28
	s_and_saveexec_b64 s[34:35], vcc
	s_cbranch_execz .LBB338_16
; %bb.15:
	s_getpc_b64 s[0:1]
	s_add_u32 s0, s0, _ZZZZN2at6native31launch_logcumsumexp_cuda_kernelERKNS_10TensorBaseES3_lENKUlvE_clEvENKUlvE2_clEvENKUlN3c107complexIfEES8_E_clES8_S8_@rel32@lo+4
	s_addc_u32 s1, s1, _ZZZZN2at6native31launch_logcumsumexp_cuda_kernelERKNS_10TensorBaseES3_lENKUlvE_clEvENKUlvE2_clEvENKUlN3c107complexIfEES8_E_clES8_S8_@rel32@hi+12
	v_mov_b32_e32 v2, v31
	v_mov_b32_e32 v3, v30
	s_swappc_b64 s[30:31], s[0:1]
	v_mov_b32_e32 v2, v0
	v_mov_b32_e32 v3, v1
	;; [unrolled: 1-line block ×4, first 2 shown]
.LBB338_16:
	s_or_b64 exec, exec, s[34:35]
	s_nop 0
	v_mov_b32_dpp v0, v31 row_shr:4 row_mask:0xf bank_mask:0xf
	v_mov_b32_dpp v1, v30 row_shr:4 row_mask:0xf bank_mask:0xf
	v_cmp_lt_u32_e32 vcc, 3, v28
	s_and_saveexec_b64 s[34:35], vcc
	s_cbranch_execz .LBB338_18
; %bb.17:
	s_getpc_b64 s[0:1]
	s_add_u32 s0, s0, _ZZZZN2at6native31launch_logcumsumexp_cuda_kernelERKNS_10TensorBaseES3_lENKUlvE_clEvENKUlvE2_clEvENKUlN3c107complexIfEES8_E_clES8_S8_@rel32@lo+4
	s_addc_u32 s1, s1, _ZZZZN2at6native31launch_logcumsumexp_cuda_kernelERKNS_10TensorBaseES3_lENKUlvE_clEvENKUlvE2_clEvENKUlN3c107complexIfEES8_E_clES8_S8_@rel32@hi+12
	v_mov_b32_e32 v2, v31
	v_mov_b32_e32 v3, v30
	s_swappc_b64 s[30:31], s[0:1]
	v_mov_b32_e32 v2, v0
	v_mov_b32_e32 v3, v1
	;; [unrolled: 1-line block ×4, first 2 shown]
.LBB338_18:
	s_or_b64 exec, exec, s[34:35]
	s_nop 0
	v_mov_b32_dpp v0, v31 row_shr:8 row_mask:0xf bank_mask:0xf
	v_mov_b32_dpp v1, v30 row_shr:8 row_mask:0xf bank_mask:0xf
	v_cmp_lt_u32_e32 vcc, 7, v28
	s_and_saveexec_b64 s[34:35], vcc
	s_cbranch_execz .LBB338_20
; %bb.19:
	s_getpc_b64 s[0:1]
	s_add_u32 s0, s0, _ZZZZN2at6native31launch_logcumsumexp_cuda_kernelERKNS_10TensorBaseES3_lENKUlvE_clEvENKUlvE2_clEvENKUlN3c107complexIfEES8_E_clES8_S8_@rel32@lo+4
	s_addc_u32 s1, s1, _ZZZZN2at6native31launch_logcumsumexp_cuda_kernelERKNS_10TensorBaseES3_lENKUlvE_clEvENKUlvE2_clEvENKUlN3c107complexIfEES8_E_clES8_S8_@rel32@hi+12
	v_mov_b32_e32 v2, v31
	v_mov_b32_e32 v3, v30
	s_swappc_b64 s[30:31], s[0:1]
	v_mov_b32_e32 v2, v0
	v_mov_b32_e32 v3, v1
	;; [unrolled: 1-line block ×4, first 2 shown]
.LBB338_20:
	s_or_b64 exec, exec, s[34:35]
	v_and_b32_e32 v4, 16, v55
	v_mov_b32_dpp v0, v31 row_bcast:15 row_mask:0xf bank_mask:0xf
	v_mov_b32_dpp v1, v30 row_bcast:15 row_mask:0xf bank_mask:0xf
	v_cmp_ne_u32_e32 vcc, 0, v4
	s_and_saveexec_b64 s[34:35], vcc
	s_cbranch_execz .LBB338_22
; %bb.21:
	s_getpc_b64 s[0:1]
	s_add_u32 s0, s0, _ZZZZN2at6native31launch_logcumsumexp_cuda_kernelERKNS_10TensorBaseES3_lENKUlvE_clEvENKUlvE2_clEvENKUlN3c107complexIfEES8_E_clES8_S8_@rel32@lo+4
	s_addc_u32 s1, s1, _ZZZZN2at6native31launch_logcumsumexp_cuda_kernelERKNS_10TensorBaseES3_lENKUlvE_clEvENKUlvE2_clEvENKUlN3c107complexIfEES8_E_clES8_S8_@rel32@hi+12
	v_mov_b32_e32 v2, v31
	v_mov_b32_e32 v3, v30
	s_swappc_b64 s[30:31], s[0:1]
	v_mov_b32_e32 v2, v0
	v_mov_b32_e32 v3, v1
	;; [unrolled: 1-line block ×4, first 2 shown]
.LBB338_22:
	s_or_b64 exec, exec, s[34:35]
	s_nop 0
	v_mov_b32_dpp v0, v31 row_bcast:31 row_mask:0xf bank_mask:0xf
	v_mov_b32_dpp v1, v30 row_bcast:31 row_mask:0xf bank_mask:0xf
	v_cmp_lt_u32_e32 vcc, 31, v55
	s_and_saveexec_b64 s[34:35], vcc
	s_cbranch_execz .LBB338_24
; %bb.23:
	s_getpc_b64 s[0:1]
	s_add_u32 s0, s0, _ZZZZN2at6native31launch_logcumsumexp_cuda_kernelERKNS_10TensorBaseES3_lENKUlvE_clEvENKUlvE2_clEvENKUlN3c107complexIfEES8_E_clES8_S8_@rel32@lo+4
	s_addc_u32 s1, s1, _ZZZZN2at6native31launch_logcumsumexp_cuda_kernelERKNS_10TensorBaseES3_lENKUlvE_clEvENKUlvE2_clEvENKUlN3c107complexIfEES8_E_clES8_S8_@rel32@hi+12
	v_mov_b32_e32 v2, v31
	v_mov_b32_e32 v3, v30
	s_swappc_b64 s[30:31], s[0:1]
	v_mov_b32_e32 v2, v0
	v_mov_b32_e32 v3, v1
	;; [unrolled: 1-line block ×4, first 2 shown]
.LBB338_24:
	s_or_b64 exec, exec, s[34:35]
	v_or_b32_e32 v0, 63, v27
	v_lshrrev_b32_e32 v57, 6, v27
	v_cmp_eq_u32_e32 vcc, v27, v0
	s_and_saveexec_b64 s[0:1], vcc
; %bb.25:
	v_lshlrev_b32_e32 v0, 3, v57
	ds_write_b64 v0, v[2:3]
; %bb.26:
	s_or_b64 exec, exec, s[0:1]
	v_cmp_gt_u32_e32 vcc, 4, v27
	s_waitcnt lgkmcnt(0)
	s_barrier
	s_and_saveexec_b64 s[34:35], vcc
	s_cbranch_execz .LBB338_32
; %bb.27:
	ds_read_b64 v[2:3], v54
	v_and_b32_e32 v28, 3, v55
	v_cmp_ne_u32_e32 vcc, 0, v28
	s_waitcnt lgkmcnt(0)
	v_mov_b32_dpp v0, v2 row_shr:1 row_mask:0xf bank_mask:0xf
	v_mov_b32_dpp v1, v3 row_shr:1 row_mask:0xf bank_mask:0xf
	s_and_saveexec_b64 s[36:37], vcc
	s_cbranch_execz .LBB338_29
; %bb.28:
	s_getpc_b64 s[0:1]
	s_add_u32 s0, s0, _ZZZZN2at6native31launch_logcumsumexp_cuda_kernelERKNS_10TensorBaseES3_lENKUlvE_clEvENKUlvE2_clEvENKUlN3c107complexIfEES8_E_clES8_S8_@rel32@lo+4
	s_addc_u32 s1, s1, _ZZZZN2at6native31launch_logcumsumexp_cuda_kernelERKNS_10TensorBaseES3_lENKUlvE_clEvENKUlvE2_clEvENKUlN3c107complexIfEES8_E_clES8_S8_@rel32@hi+12
	s_swappc_b64 s[30:31], s[0:1]
	v_mov_b32_e32 v2, v0
	v_mov_b32_e32 v3, v1
.LBB338_29:
	s_or_b64 exec, exec, s[36:37]
	v_mov_b32_dpp v0, v2 row_shr:2 row_mask:0xf bank_mask:0xf
	v_mov_b32_dpp v1, v3 row_shr:2 row_mask:0xf bank_mask:0xf
	v_cmp_lt_u32_e32 vcc, 1, v28
	s_and_saveexec_b64 s[36:37], vcc
	s_cbranch_execz .LBB338_31
; %bb.30:
	s_getpc_b64 s[0:1]
	s_add_u32 s0, s0, _ZZZZN2at6native31launch_logcumsumexp_cuda_kernelERKNS_10TensorBaseES3_lENKUlvE_clEvENKUlvE2_clEvENKUlN3c107complexIfEES8_E_clES8_S8_@rel32@lo+4
	s_addc_u32 s1, s1, _ZZZZN2at6native31launch_logcumsumexp_cuda_kernelERKNS_10TensorBaseES3_lENKUlvE_clEvENKUlvE2_clEvENKUlN3c107complexIfEES8_E_clES8_S8_@rel32@hi+12
	s_swappc_b64 s[30:31], s[0:1]
	v_mov_b32_e32 v2, v0
	v_mov_b32_e32 v3, v1
.LBB338_31:
	s_or_b64 exec, exec, s[36:37]
	ds_write_b64 v54, v[2:3]
.LBB338_32:
	s_or_b64 exec, exec, s[34:35]
	s_load_dwordx2 s[28:29], s[28:29], 0x20
	v_mul_u32_u24_e32 v56, 40, v27
	v_cmp_lt_u32_e32 vcc, 63, v27
	v_mov_b32_e32 v28, 0
	v_mov_b32_e32 v29, 0
	s_waitcnt lgkmcnt(0)
	s_barrier
	s_and_saveexec_b64 s[34:35], vcc
	s_cbranch_execz .LBB338_34
; %bb.33:
	v_lshl_add_u32 v0, v57, 3, -8
	ds_read_b64 v[28:29], v0
	s_getpc_b64 s[0:1]
	s_add_u32 s0, s0, _ZZZZN2at6native31launch_logcumsumexp_cuda_kernelERKNS_10TensorBaseES3_lENKUlvE_clEvENKUlvE2_clEvENKUlN3c107complexIfEES8_E_clES8_S8_@rel32@lo+4
	s_addc_u32 s1, s1, _ZZZZN2at6native31launch_logcumsumexp_cuda_kernelERKNS_10TensorBaseES3_lENKUlvE_clEvENKUlvE2_clEvENKUlN3c107complexIfEES8_E_clES8_S8_@rel32@hi+12
	v_mov_b32_e32 v2, v31
	v_mov_b32_e32 v3, v30
	s_waitcnt lgkmcnt(0)
	v_mov_b32_e32 v0, v28
	v_mov_b32_e32 v1, v29
	s_swappc_b64 s[30:31], s[0:1]
	v_mov_b32_e32 v31, v0
	v_mov_b32_e32 v30, v1
.LBB338_34:
	s_or_b64 exec, exec, s[34:35]
	v_add_u32_e32 v0, -1, v55
	v_and_b32_e32 v1, 64, v55
	v_cmp_lt_i32_e32 vcc, v0, v1
	s_nop 1
	v_cndmask_b32_e32 v0, v0, v55, vcc
	v_lshlrev_b32_e32 v1, 2, v0
	ds_bpermute_b32 v0, v1, v31
	ds_bpermute_b32 v1, v1, v30
	v_cmp_ne_u32_e32 vcc, 0, v27
	s_and_saveexec_b64 s[0:1], vcc
	s_xor_b64 s[34:35], exec, s[0:1]
	s_cbranch_execz .LBB338_36
; %bb.35:
	v_cmp_eq_u32_e32 vcc, 0, v55
	s_getpc_b64 s[36:37]
	s_add_u32 s36, s36, _ZZZZN2at6native31launch_logcumsumexp_cuda_kernelERKNS_10TensorBaseES3_lENKUlvE_clEvENKUlvE2_clEvENKUlN3c107complexIfEES8_E_clES8_S8_@rel32@lo+4
	s_addc_u32 s37, s37, _ZZZZN2at6native31launch_logcumsumexp_cuda_kernelERKNS_10TensorBaseES3_lENKUlvE_clEvENKUlvE2_clEvENKUlN3c107complexIfEES8_E_clES8_S8_@rel32@hi+12
	s_waitcnt lgkmcnt(1)
	v_cndmask_b32_e32 v0, v0, v28, vcc
	s_waitcnt lgkmcnt(0)
	v_cndmask_b32_e32 v1, v1, v29, vcc
	v_mov_b32_e32 v2, v32
	v_mov_b32_e32 v3, v33
	s_swappc_b64 s[30:31], s[36:37]
	v_mov_b32_e32 v2, v34
	v_mov_b32_e32 v3, v35
	;; [unrolled: 1-line block ×4, first 2 shown]
	;;#ASMSTART
	;;#ASMEND
	s_swappc_b64 s[30:31], s[36:37]
	v_mov_b32_e32 v2, v48
	v_mov_b32_e32 v3, v49
	v_mov_b32_e32 v34, v0
	v_mov_b32_e32 v35, v1
	s_swappc_b64 s[30:31], s[36:37]
	v_mov_b32_e32 v2, v50
	v_mov_b32_e32 v3, v51
	v_mov_b32_e32 v36, v0
	v_mov_b32_e32 v37, v1
	;; [unrolled: 5-line block ×4, first 2 shown]
	s_swappc_b64 s[30:31], s[36:37]
	v_mov_b32_e32 v46, v0
	v_mov_b32_e32 v47, v1
                                        ; implicit-def: $vgpr52
                                        ; implicit-def: $vgpr53
.LBB338_36:
	s_andn2_saveexec_b64 s[0:1], s[34:35]
; %bb.37:
	v_mov_b32_e32 v34, v52
	v_mov_b32_e32 v35, v53
; %bb.38:
	s_or_b64 exec, exec, s[0:1]
	s_waitcnt lgkmcnt(1)
	v_add_u32_e32 v0, v54, v56
	s_waitcnt lgkmcnt(0)
	s_barrier
	ds_write_b128 v0, v[32:35]
	ds_write_b128 v0, v[36:39] offset:16
	ds_write_b128 v0, v[44:47] offset:32
	s_waitcnt lgkmcnt(0)
	s_barrier
	ds_read2st64_b64 v[4:7], v54 offset0:4 offset1:8
	ds_read2st64_b64 v[0:3], v54 offset0:12 offset1:16
	ds_read_b64 v[8:9], v54 offset:10240
	v_mov_b32_e32 v55, 0
	v_lshl_add_u64 v[10:11], s[28:29], 0, v[54:55]
	s_and_saveexec_b64 s[0:1], s[16:17]
	s_cbranch_execnz .LBB338_45
; %bb.39:
	s_or_b64 exec, exec, s[0:1]
	s_and_saveexec_b64 s[0:1], s[18:19]
	s_cbranch_execnz .LBB338_46
.LBB338_40:
	s_or_b64 exec, exec, s[0:1]
	s_and_saveexec_b64 s[0:1], s[20:21]
	s_cbranch_execnz .LBB338_47
.LBB338_41:
	s_or_b64 exec, exec, s[0:1]
	s_and_saveexec_b64 s[0:1], s[22:23]
	s_cbranch_execnz .LBB338_48
.LBB338_42:
	s_or_b64 exec, exec, s[0:1]
	s_and_saveexec_b64 s[0:1], s[24:25]
	s_cbranch_execnz .LBB338_49
.LBB338_43:
	s_or_b64 exec, exec, s[0:1]
	s_and_saveexec_b64 s[0:1], s[26:27]
	s_cbranch_execnz .LBB338_50
.LBB338_44:
	s_endpgm
.LBB338_45:
	ds_read_b64 v[12:13], v54
	s_waitcnt lgkmcnt(0)
	global_store_dwordx2 v[10:11], v[12:13], off
	s_or_b64 exec, exec, s[0:1]
	s_and_saveexec_b64 s[0:1], s[18:19]
	s_cbranch_execz .LBB338_40
.LBB338_46:
	s_waitcnt lgkmcnt(2)
	global_store_dwordx2 v[10:11], v[4:5], off offset:2048
	s_or_b64 exec, exec, s[0:1]
	s_and_saveexec_b64 s[0:1], s[20:21]
	s_cbranch_execz .LBB338_41
.LBB338_47:
	s_waitcnt lgkmcnt(2)
	v_add_co_u32_e32 v4, vcc, 0x1000, v10
	s_nop 1
	v_addc_co_u32_e32 v5, vcc, 0, v11, vcc
	global_store_dwordx2 v[4:5], v[6:7], off
	s_or_b64 exec, exec, s[0:1]
	s_and_saveexec_b64 s[0:1], s[22:23]
	s_cbranch_execz .LBB338_42
.LBB338_48:
	s_waitcnt lgkmcnt(2)
	v_add_co_u32_e32 v4, vcc, 0x1000, v10
	s_nop 1
	v_addc_co_u32_e32 v5, vcc, 0, v11, vcc
	s_waitcnt lgkmcnt(1)
	global_store_dwordx2 v[4:5], v[0:1], off offset:2048
	s_or_b64 exec, exec, s[0:1]
	s_and_saveexec_b64 s[0:1], s[24:25]
	s_cbranch_execz .LBB338_43
.LBB338_49:
	s_waitcnt lgkmcnt(1)
	v_add_co_u32_e32 v0, vcc, 0x2000, v10
	s_nop 1
	v_addc_co_u32_e32 v1, vcc, 0, v11, vcc
	global_store_dwordx2 v[0:1], v[2:3], off
	s_or_b64 exec, exec, s[0:1]
	s_and_saveexec_b64 s[0:1], s[26:27]
	s_cbranch_execz .LBB338_44
.LBB338_50:
	s_waitcnt lgkmcnt(1)
	v_add_co_u32_e32 v0, vcc, 0x2000, v10
	s_nop 1
	v_addc_co_u32_e32 v1, vcc, 0, v11, vcc
	s_waitcnt lgkmcnt(0)
	global_store_dwordx2 v[0:1], v[8:9], off offset:2048
	s_endpgm
	.section	.rodata,"a",@progbits
	.p2align	6, 0x0
	.amdhsa_kernel _ZN7rocprim17ROCPRIM_400000_NS6detail17trampoline_kernelINS0_14default_configENS1_20scan_config_selectorIN3c107complexIfEEEEZZNS1_9scan_implILNS1_25lookback_scan_determinismE0ELb0ELb0ES3_PKS7_PS7_S7_ZZZN2at6native31launch_logcumsumexp_cuda_kernelERKNSE_10TensorBaseESI_lENKUlvE_clEvENKUlvE2_clEvEUlS7_S7_E_S7_EEDaPvRmT3_T4_T5_mT6_P12ihipStream_tbENKUlT_T0_E_clISt17integral_constantIbLb0EESY_IbLb1EEEEDaSU_SV_EUlSU_E0_NS1_11comp_targetILNS1_3genE0ELNS1_11target_archE4294967295ELNS1_3gpuE0ELNS1_3repE0EEENS1_30default_config_static_selectorELNS0_4arch9wavefront6targetE1EEEvT1_
		.amdhsa_group_segment_fixed_size 12288
		.amdhsa_private_segment_fixed_size 0
		.amdhsa_kernarg_size 40
		.amdhsa_user_sgpr_count 2
		.amdhsa_user_sgpr_dispatch_ptr 0
		.amdhsa_user_sgpr_queue_ptr 0
		.amdhsa_user_sgpr_kernarg_segment_ptr 1
		.amdhsa_user_sgpr_dispatch_id 0
		.amdhsa_user_sgpr_kernarg_preload_length 0
		.amdhsa_user_sgpr_kernarg_preload_offset 0
		.amdhsa_user_sgpr_private_segment_size 0
		.amdhsa_uses_dynamic_stack 0
		.amdhsa_enable_private_segment 0
		.amdhsa_system_sgpr_workgroup_id_x 1
		.amdhsa_system_sgpr_workgroup_id_y 0
		.amdhsa_system_sgpr_workgroup_id_z 0
		.amdhsa_system_sgpr_workgroup_info 0
		.amdhsa_system_vgpr_workitem_id 0
		.amdhsa_next_free_vgpr 58
		.amdhsa_next_free_sgpr 38
		.amdhsa_accum_offset 60
		.amdhsa_reserve_vcc 1
		.amdhsa_float_round_mode_32 0
		.amdhsa_float_round_mode_16_64 0
		.amdhsa_float_denorm_mode_32 3
		.amdhsa_float_denorm_mode_16_64 3
		.amdhsa_dx10_clamp 1
		.amdhsa_ieee_mode 1
		.amdhsa_fp16_overflow 0
		.amdhsa_tg_split 0
		.amdhsa_exception_fp_ieee_invalid_op 0
		.amdhsa_exception_fp_denorm_src 0
		.amdhsa_exception_fp_ieee_div_zero 0
		.amdhsa_exception_fp_ieee_overflow 0
		.amdhsa_exception_fp_ieee_underflow 0
		.amdhsa_exception_fp_ieee_inexact 0
		.amdhsa_exception_int_div_zero 0
	.end_amdhsa_kernel
	.section	.text._ZN7rocprim17ROCPRIM_400000_NS6detail17trampoline_kernelINS0_14default_configENS1_20scan_config_selectorIN3c107complexIfEEEEZZNS1_9scan_implILNS1_25lookback_scan_determinismE0ELb0ELb0ES3_PKS7_PS7_S7_ZZZN2at6native31launch_logcumsumexp_cuda_kernelERKNSE_10TensorBaseESI_lENKUlvE_clEvENKUlvE2_clEvEUlS7_S7_E_S7_EEDaPvRmT3_T4_T5_mT6_P12ihipStream_tbENKUlT_T0_E_clISt17integral_constantIbLb0EESY_IbLb1EEEEDaSU_SV_EUlSU_E0_NS1_11comp_targetILNS1_3genE0ELNS1_11target_archE4294967295ELNS1_3gpuE0ELNS1_3repE0EEENS1_30default_config_static_selectorELNS0_4arch9wavefront6targetE1EEEvT1_,"axG",@progbits,_ZN7rocprim17ROCPRIM_400000_NS6detail17trampoline_kernelINS0_14default_configENS1_20scan_config_selectorIN3c107complexIfEEEEZZNS1_9scan_implILNS1_25lookback_scan_determinismE0ELb0ELb0ES3_PKS7_PS7_S7_ZZZN2at6native31launch_logcumsumexp_cuda_kernelERKNSE_10TensorBaseESI_lENKUlvE_clEvENKUlvE2_clEvEUlS7_S7_E_S7_EEDaPvRmT3_T4_T5_mT6_P12ihipStream_tbENKUlT_T0_E_clISt17integral_constantIbLb0EESY_IbLb1EEEEDaSU_SV_EUlSU_E0_NS1_11comp_targetILNS1_3genE0ELNS1_11target_archE4294967295ELNS1_3gpuE0ELNS1_3repE0EEENS1_30default_config_static_selectorELNS0_4arch9wavefront6targetE1EEEvT1_,comdat
.Lfunc_end338:
	.size	_ZN7rocprim17ROCPRIM_400000_NS6detail17trampoline_kernelINS0_14default_configENS1_20scan_config_selectorIN3c107complexIfEEEEZZNS1_9scan_implILNS1_25lookback_scan_determinismE0ELb0ELb0ES3_PKS7_PS7_S7_ZZZN2at6native31launch_logcumsumexp_cuda_kernelERKNSE_10TensorBaseESI_lENKUlvE_clEvENKUlvE2_clEvEUlS7_S7_E_S7_EEDaPvRmT3_T4_T5_mT6_P12ihipStream_tbENKUlT_T0_E_clISt17integral_constantIbLb0EESY_IbLb1EEEEDaSU_SV_EUlSU_E0_NS1_11comp_targetILNS1_3genE0ELNS1_11target_archE4294967295ELNS1_3gpuE0ELNS1_3repE0EEENS1_30default_config_static_selectorELNS0_4arch9wavefront6targetE1EEEvT1_, .Lfunc_end338-_ZN7rocprim17ROCPRIM_400000_NS6detail17trampoline_kernelINS0_14default_configENS1_20scan_config_selectorIN3c107complexIfEEEEZZNS1_9scan_implILNS1_25lookback_scan_determinismE0ELb0ELb0ES3_PKS7_PS7_S7_ZZZN2at6native31launch_logcumsumexp_cuda_kernelERKNSE_10TensorBaseESI_lENKUlvE_clEvENKUlvE2_clEvEUlS7_S7_E_S7_EEDaPvRmT3_T4_T5_mT6_P12ihipStream_tbENKUlT_T0_E_clISt17integral_constantIbLb0EESY_IbLb1EEEEDaSU_SV_EUlSU_E0_NS1_11comp_targetILNS1_3genE0ELNS1_11target_archE4294967295ELNS1_3gpuE0ELNS1_3repE0EEENS1_30default_config_static_selectorELNS0_4arch9wavefront6targetE1EEEvT1_
                                        ; -- End function
	.set _ZN7rocprim17ROCPRIM_400000_NS6detail17trampoline_kernelINS0_14default_configENS1_20scan_config_selectorIN3c107complexIfEEEEZZNS1_9scan_implILNS1_25lookback_scan_determinismE0ELb0ELb0ES3_PKS7_PS7_S7_ZZZN2at6native31launch_logcumsumexp_cuda_kernelERKNSE_10TensorBaseESI_lENKUlvE_clEvENKUlvE2_clEvEUlS7_S7_E_S7_EEDaPvRmT3_T4_T5_mT6_P12ihipStream_tbENKUlT_T0_E_clISt17integral_constantIbLb0EESY_IbLb1EEEEDaSU_SV_EUlSU_E0_NS1_11comp_targetILNS1_3genE0ELNS1_11target_archE4294967295ELNS1_3gpuE0ELNS1_3repE0EEENS1_30default_config_static_selectorELNS0_4arch9wavefront6targetE1EEEvT1_.num_vgpr, max(58, .L_ZZZZN2at6native31launch_logcumsumexp_cuda_kernelERKNS_10TensorBaseES3_lENKUlvE_clEvENKUlvE2_clEvENKUlN3c107complexIfEES8_E_clES8_S8_.num_vgpr)
	.set _ZN7rocprim17ROCPRIM_400000_NS6detail17trampoline_kernelINS0_14default_configENS1_20scan_config_selectorIN3c107complexIfEEEEZZNS1_9scan_implILNS1_25lookback_scan_determinismE0ELb0ELb0ES3_PKS7_PS7_S7_ZZZN2at6native31launch_logcumsumexp_cuda_kernelERKNSE_10TensorBaseESI_lENKUlvE_clEvENKUlvE2_clEvEUlS7_S7_E_S7_EEDaPvRmT3_T4_T5_mT6_P12ihipStream_tbENKUlT_T0_E_clISt17integral_constantIbLb0EESY_IbLb1EEEEDaSU_SV_EUlSU_E0_NS1_11comp_targetILNS1_3genE0ELNS1_11target_archE4294967295ELNS1_3gpuE0ELNS1_3repE0EEENS1_30default_config_static_selectorELNS0_4arch9wavefront6targetE1EEEvT1_.num_agpr, max(0, .L_ZZZZN2at6native31launch_logcumsumexp_cuda_kernelERKNS_10TensorBaseES3_lENKUlvE_clEvENKUlvE2_clEvENKUlN3c107complexIfEES8_E_clES8_S8_.num_agpr)
	.set _ZN7rocprim17ROCPRIM_400000_NS6detail17trampoline_kernelINS0_14default_configENS1_20scan_config_selectorIN3c107complexIfEEEEZZNS1_9scan_implILNS1_25lookback_scan_determinismE0ELb0ELb0ES3_PKS7_PS7_S7_ZZZN2at6native31launch_logcumsumexp_cuda_kernelERKNSE_10TensorBaseESI_lENKUlvE_clEvENKUlvE2_clEvEUlS7_S7_E_S7_EEDaPvRmT3_T4_T5_mT6_P12ihipStream_tbENKUlT_T0_E_clISt17integral_constantIbLb0EESY_IbLb1EEEEDaSU_SV_EUlSU_E0_NS1_11comp_targetILNS1_3genE0ELNS1_11target_archE4294967295ELNS1_3gpuE0ELNS1_3repE0EEENS1_30default_config_static_selectorELNS0_4arch9wavefront6targetE1EEEvT1_.numbered_sgpr, max(38, .L_ZZZZN2at6native31launch_logcumsumexp_cuda_kernelERKNS_10TensorBaseES3_lENKUlvE_clEvENKUlvE2_clEvENKUlN3c107complexIfEES8_E_clES8_S8_.numbered_sgpr)
	.set _ZN7rocprim17ROCPRIM_400000_NS6detail17trampoline_kernelINS0_14default_configENS1_20scan_config_selectorIN3c107complexIfEEEEZZNS1_9scan_implILNS1_25lookback_scan_determinismE0ELb0ELb0ES3_PKS7_PS7_S7_ZZZN2at6native31launch_logcumsumexp_cuda_kernelERKNSE_10TensorBaseESI_lENKUlvE_clEvENKUlvE2_clEvEUlS7_S7_E_S7_EEDaPvRmT3_T4_T5_mT6_P12ihipStream_tbENKUlT_T0_E_clISt17integral_constantIbLb0EESY_IbLb1EEEEDaSU_SV_EUlSU_E0_NS1_11comp_targetILNS1_3genE0ELNS1_11target_archE4294967295ELNS1_3gpuE0ELNS1_3repE0EEENS1_30default_config_static_selectorELNS0_4arch9wavefront6targetE1EEEvT1_.num_named_barrier, max(0, .L_ZZZZN2at6native31launch_logcumsumexp_cuda_kernelERKNS_10TensorBaseES3_lENKUlvE_clEvENKUlvE2_clEvENKUlN3c107complexIfEES8_E_clES8_S8_.num_named_barrier)
	.set _ZN7rocprim17ROCPRIM_400000_NS6detail17trampoline_kernelINS0_14default_configENS1_20scan_config_selectorIN3c107complexIfEEEEZZNS1_9scan_implILNS1_25lookback_scan_determinismE0ELb0ELb0ES3_PKS7_PS7_S7_ZZZN2at6native31launch_logcumsumexp_cuda_kernelERKNSE_10TensorBaseESI_lENKUlvE_clEvENKUlvE2_clEvEUlS7_S7_E_S7_EEDaPvRmT3_T4_T5_mT6_P12ihipStream_tbENKUlT_T0_E_clISt17integral_constantIbLb0EESY_IbLb1EEEEDaSU_SV_EUlSU_E0_NS1_11comp_targetILNS1_3genE0ELNS1_11target_archE4294967295ELNS1_3gpuE0ELNS1_3repE0EEENS1_30default_config_static_selectorELNS0_4arch9wavefront6targetE1EEEvT1_.private_seg_size, 0+max(.L_ZZZZN2at6native31launch_logcumsumexp_cuda_kernelERKNS_10TensorBaseES3_lENKUlvE_clEvENKUlvE2_clEvENKUlN3c107complexIfEES8_E_clES8_S8_.private_seg_size)
	.set _ZN7rocprim17ROCPRIM_400000_NS6detail17trampoline_kernelINS0_14default_configENS1_20scan_config_selectorIN3c107complexIfEEEEZZNS1_9scan_implILNS1_25lookback_scan_determinismE0ELb0ELb0ES3_PKS7_PS7_S7_ZZZN2at6native31launch_logcumsumexp_cuda_kernelERKNSE_10TensorBaseESI_lENKUlvE_clEvENKUlvE2_clEvEUlS7_S7_E_S7_EEDaPvRmT3_T4_T5_mT6_P12ihipStream_tbENKUlT_T0_E_clISt17integral_constantIbLb0EESY_IbLb1EEEEDaSU_SV_EUlSU_E0_NS1_11comp_targetILNS1_3genE0ELNS1_11target_archE4294967295ELNS1_3gpuE0ELNS1_3repE0EEENS1_30default_config_static_selectorELNS0_4arch9wavefront6targetE1EEEvT1_.uses_vcc, or(1, .L_ZZZZN2at6native31launch_logcumsumexp_cuda_kernelERKNS_10TensorBaseES3_lENKUlvE_clEvENKUlvE2_clEvENKUlN3c107complexIfEES8_E_clES8_S8_.uses_vcc)
	.set _ZN7rocprim17ROCPRIM_400000_NS6detail17trampoline_kernelINS0_14default_configENS1_20scan_config_selectorIN3c107complexIfEEEEZZNS1_9scan_implILNS1_25lookback_scan_determinismE0ELb0ELb0ES3_PKS7_PS7_S7_ZZZN2at6native31launch_logcumsumexp_cuda_kernelERKNSE_10TensorBaseESI_lENKUlvE_clEvENKUlvE2_clEvEUlS7_S7_E_S7_EEDaPvRmT3_T4_T5_mT6_P12ihipStream_tbENKUlT_T0_E_clISt17integral_constantIbLb0EESY_IbLb1EEEEDaSU_SV_EUlSU_E0_NS1_11comp_targetILNS1_3genE0ELNS1_11target_archE4294967295ELNS1_3gpuE0ELNS1_3repE0EEENS1_30default_config_static_selectorELNS0_4arch9wavefront6targetE1EEEvT1_.uses_flat_scratch, or(0, .L_ZZZZN2at6native31launch_logcumsumexp_cuda_kernelERKNS_10TensorBaseES3_lENKUlvE_clEvENKUlvE2_clEvENKUlN3c107complexIfEES8_E_clES8_S8_.uses_flat_scratch)
	.set _ZN7rocprim17ROCPRIM_400000_NS6detail17trampoline_kernelINS0_14default_configENS1_20scan_config_selectorIN3c107complexIfEEEEZZNS1_9scan_implILNS1_25lookback_scan_determinismE0ELb0ELb0ES3_PKS7_PS7_S7_ZZZN2at6native31launch_logcumsumexp_cuda_kernelERKNSE_10TensorBaseESI_lENKUlvE_clEvENKUlvE2_clEvEUlS7_S7_E_S7_EEDaPvRmT3_T4_T5_mT6_P12ihipStream_tbENKUlT_T0_E_clISt17integral_constantIbLb0EESY_IbLb1EEEEDaSU_SV_EUlSU_E0_NS1_11comp_targetILNS1_3genE0ELNS1_11target_archE4294967295ELNS1_3gpuE0ELNS1_3repE0EEENS1_30default_config_static_selectorELNS0_4arch9wavefront6targetE1EEEvT1_.has_dyn_sized_stack, or(0, .L_ZZZZN2at6native31launch_logcumsumexp_cuda_kernelERKNS_10TensorBaseES3_lENKUlvE_clEvENKUlvE2_clEvENKUlN3c107complexIfEES8_E_clES8_S8_.has_dyn_sized_stack)
	.set _ZN7rocprim17ROCPRIM_400000_NS6detail17trampoline_kernelINS0_14default_configENS1_20scan_config_selectorIN3c107complexIfEEEEZZNS1_9scan_implILNS1_25lookback_scan_determinismE0ELb0ELb0ES3_PKS7_PS7_S7_ZZZN2at6native31launch_logcumsumexp_cuda_kernelERKNSE_10TensorBaseESI_lENKUlvE_clEvENKUlvE2_clEvEUlS7_S7_E_S7_EEDaPvRmT3_T4_T5_mT6_P12ihipStream_tbENKUlT_T0_E_clISt17integral_constantIbLb0EESY_IbLb1EEEEDaSU_SV_EUlSU_E0_NS1_11comp_targetILNS1_3genE0ELNS1_11target_archE4294967295ELNS1_3gpuE0ELNS1_3repE0EEENS1_30default_config_static_selectorELNS0_4arch9wavefront6targetE1EEEvT1_.has_recursion, or(0, .L_ZZZZN2at6native31launch_logcumsumexp_cuda_kernelERKNS_10TensorBaseES3_lENKUlvE_clEvENKUlvE2_clEvENKUlN3c107complexIfEES8_E_clES8_S8_.has_recursion)
	.set _ZN7rocprim17ROCPRIM_400000_NS6detail17trampoline_kernelINS0_14default_configENS1_20scan_config_selectorIN3c107complexIfEEEEZZNS1_9scan_implILNS1_25lookback_scan_determinismE0ELb0ELb0ES3_PKS7_PS7_S7_ZZZN2at6native31launch_logcumsumexp_cuda_kernelERKNSE_10TensorBaseESI_lENKUlvE_clEvENKUlvE2_clEvEUlS7_S7_E_S7_EEDaPvRmT3_T4_T5_mT6_P12ihipStream_tbENKUlT_T0_E_clISt17integral_constantIbLb0EESY_IbLb1EEEEDaSU_SV_EUlSU_E0_NS1_11comp_targetILNS1_3genE0ELNS1_11target_archE4294967295ELNS1_3gpuE0ELNS1_3repE0EEENS1_30default_config_static_selectorELNS0_4arch9wavefront6targetE1EEEvT1_.has_indirect_call, or(0, .L_ZZZZN2at6native31launch_logcumsumexp_cuda_kernelERKNS_10TensorBaseES3_lENKUlvE_clEvENKUlvE2_clEvENKUlN3c107complexIfEES8_E_clES8_S8_.has_indirect_call)
	.section	.AMDGPU.csdata,"",@progbits
; Kernel info:
; codeLenInByte = 1924
; TotalNumSgprs: 44
; NumVgprs: 58
; NumAgprs: 0
; TotalNumVgprs: 58
; ScratchSize: 0
; MemoryBound: 0
; FloatMode: 240
; IeeeMode: 1
; LDSByteSize: 12288 bytes/workgroup (compile time only)
; SGPRBlocks: 5
; VGPRBlocks: 7
; NumSGPRsForWavesPerEU: 44
; NumVGPRsForWavesPerEU: 58
; AccumOffset: 60
; Occupancy: 8
; WaveLimiterHint : 0
; COMPUTE_PGM_RSRC2:SCRATCH_EN: 0
; COMPUTE_PGM_RSRC2:USER_SGPR: 2
; COMPUTE_PGM_RSRC2:TRAP_HANDLER: 0
; COMPUTE_PGM_RSRC2:TGID_X_EN: 1
; COMPUTE_PGM_RSRC2:TGID_Y_EN: 0
; COMPUTE_PGM_RSRC2:TGID_Z_EN: 0
; COMPUTE_PGM_RSRC2:TIDIG_COMP_CNT: 0
; COMPUTE_PGM_RSRC3_GFX90A:ACCUM_OFFSET: 14
; COMPUTE_PGM_RSRC3_GFX90A:TG_SPLIT: 0
	.section	.text._ZN7rocprim17ROCPRIM_400000_NS6detail17trampoline_kernelINS0_14default_configENS1_20scan_config_selectorIN3c107complexIfEEEEZZNS1_9scan_implILNS1_25lookback_scan_determinismE0ELb0ELb0ES3_PKS7_PS7_S7_ZZZN2at6native31launch_logcumsumexp_cuda_kernelERKNSE_10TensorBaseESI_lENKUlvE_clEvENKUlvE2_clEvEUlS7_S7_E_S7_EEDaPvRmT3_T4_T5_mT6_P12ihipStream_tbENKUlT_T0_E_clISt17integral_constantIbLb0EESY_IbLb1EEEEDaSU_SV_EUlSU_E0_NS1_11comp_targetILNS1_3genE5ELNS1_11target_archE942ELNS1_3gpuE9ELNS1_3repE0EEENS1_30default_config_static_selectorELNS0_4arch9wavefront6targetE1EEEvT1_,"axG",@progbits,_ZN7rocprim17ROCPRIM_400000_NS6detail17trampoline_kernelINS0_14default_configENS1_20scan_config_selectorIN3c107complexIfEEEEZZNS1_9scan_implILNS1_25lookback_scan_determinismE0ELb0ELb0ES3_PKS7_PS7_S7_ZZZN2at6native31launch_logcumsumexp_cuda_kernelERKNSE_10TensorBaseESI_lENKUlvE_clEvENKUlvE2_clEvEUlS7_S7_E_S7_EEDaPvRmT3_T4_T5_mT6_P12ihipStream_tbENKUlT_T0_E_clISt17integral_constantIbLb0EESY_IbLb1EEEEDaSU_SV_EUlSU_E0_NS1_11comp_targetILNS1_3genE5ELNS1_11target_archE942ELNS1_3gpuE9ELNS1_3repE0EEENS1_30default_config_static_selectorELNS0_4arch9wavefront6targetE1EEEvT1_,comdat
	.globl	_ZN7rocprim17ROCPRIM_400000_NS6detail17trampoline_kernelINS0_14default_configENS1_20scan_config_selectorIN3c107complexIfEEEEZZNS1_9scan_implILNS1_25lookback_scan_determinismE0ELb0ELb0ES3_PKS7_PS7_S7_ZZZN2at6native31launch_logcumsumexp_cuda_kernelERKNSE_10TensorBaseESI_lENKUlvE_clEvENKUlvE2_clEvEUlS7_S7_E_S7_EEDaPvRmT3_T4_T5_mT6_P12ihipStream_tbENKUlT_T0_E_clISt17integral_constantIbLb0EESY_IbLb1EEEEDaSU_SV_EUlSU_E0_NS1_11comp_targetILNS1_3genE5ELNS1_11target_archE942ELNS1_3gpuE9ELNS1_3repE0EEENS1_30default_config_static_selectorELNS0_4arch9wavefront6targetE1EEEvT1_ ; -- Begin function _ZN7rocprim17ROCPRIM_400000_NS6detail17trampoline_kernelINS0_14default_configENS1_20scan_config_selectorIN3c107complexIfEEEEZZNS1_9scan_implILNS1_25lookback_scan_determinismE0ELb0ELb0ES3_PKS7_PS7_S7_ZZZN2at6native31launch_logcumsumexp_cuda_kernelERKNSE_10TensorBaseESI_lENKUlvE_clEvENKUlvE2_clEvEUlS7_S7_E_S7_EEDaPvRmT3_T4_T5_mT6_P12ihipStream_tbENKUlT_T0_E_clISt17integral_constantIbLb0EESY_IbLb1EEEEDaSU_SV_EUlSU_E0_NS1_11comp_targetILNS1_3genE5ELNS1_11target_archE942ELNS1_3gpuE9ELNS1_3repE0EEENS1_30default_config_static_selectorELNS0_4arch9wavefront6targetE1EEEvT1_
	.p2align	8
	.type	_ZN7rocprim17ROCPRIM_400000_NS6detail17trampoline_kernelINS0_14default_configENS1_20scan_config_selectorIN3c107complexIfEEEEZZNS1_9scan_implILNS1_25lookback_scan_determinismE0ELb0ELb0ES3_PKS7_PS7_S7_ZZZN2at6native31launch_logcumsumexp_cuda_kernelERKNSE_10TensorBaseESI_lENKUlvE_clEvENKUlvE2_clEvEUlS7_S7_E_S7_EEDaPvRmT3_T4_T5_mT6_P12ihipStream_tbENKUlT_T0_E_clISt17integral_constantIbLb0EESY_IbLb1EEEEDaSU_SV_EUlSU_E0_NS1_11comp_targetILNS1_3genE5ELNS1_11target_archE942ELNS1_3gpuE9ELNS1_3repE0EEENS1_30default_config_static_selectorELNS0_4arch9wavefront6targetE1EEEvT1_,@function
_ZN7rocprim17ROCPRIM_400000_NS6detail17trampoline_kernelINS0_14default_configENS1_20scan_config_selectorIN3c107complexIfEEEEZZNS1_9scan_implILNS1_25lookback_scan_determinismE0ELb0ELb0ES3_PKS7_PS7_S7_ZZZN2at6native31launch_logcumsumexp_cuda_kernelERKNSE_10TensorBaseESI_lENKUlvE_clEvENKUlvE2_clEvEUlS7_S7_E_S7_EEDaPvRmT3_T4_T5_mT6_P12ihipStream_tbENKUlT_T0_E_clISt17integral_constantIbLb0EESY_IbLb1EEEEDaSU_SV_EUlSU_E0_NS1_11comp_targetILNS1_3genE5ELNS1_11target_archE942ELNS1_3gpuE9ELNS1_3repE0EEENS1_30default_config_static_selectorELNS0_4arch9wavefront6targetE1EEEvT1_: ; @_ZN7rocprim17ROCPRIM_400000_NS6detail17trampoline_kernelINS0_14default_configENS1_20scan_config_selectorIN3c107complexIfEEEEZZNS1_9scan_implILNS1_25lookback_scan_determinismE0ELb0ELb0ES3_PKS7_PS7_S7_ZZZN2at6native31launch_logcumsumexp_cuda_kernelERKNSE_10TensorBaseESI_lENKUlvE_clEvENKUlvE2_clEvEUlS7_S7_E_S7_EEDaPvRmT3_T4_T5_mT6_P12ihipStream_tbENKUlT_T0_E_clISt17integral_constantIbLb0EESY_IbLb1EEEEDaSU_SV_EUlSU_E0_NS1_11comp_targetILNS1_3genE5ELNS1_11target_archE942ELNS1_3gpuE9ELNS1_3repE0EEENS1_30default_config_static_selectorELNS0_4arch9wavefront6targetE1EEEvT1_
; %bb.0:
	.section	.rodata,"a",@progbits
	.p2align	6, 0x0
	.amdhsa_kernel _ZN7rocprim17ROCPRIM_400000_NS6detail17trampoline_kernelINS0_14default_configENS1_20scan_config_selectorIN3c107complexIfEEEEZZNS1_9scan_implILNS1_25lookback_scan_determinismE0ELb0ELb0ES3_PKS7_PS7_S7_ZZZN2at6native31launch_logcumsumexp_cuda_kernelERKNSE_10TensorBaseESI_lENKUlvE_clEvENKUlvE2_clEvEUlS7_S7_E_S7_EEDaPvRmT3_T4_T5_mT6_P12ihipStream_tbENKUlT_T0_E_clISt17integral_constantIbLb0EESY_IbLb1EEEEDaSU_SV_EUlSU_E0_NS1_11comp_targetILNS1_3genE5ELNS1_11target_archE942ELNS1_3gpuE9ELNS1_3repE0EEENS1_30default_config_static_selectorELNS0_4arch9wavefront6targetE1EEEvT1_
		.amdhsa_group_segment_fixed_size 0
		.amdhsa_private_segment_fixed_size 0
		.amdhsa_kernarg_size 40
		.amdhsa_user_sgpr_count 2
		.amdhsa_user_sgpr_dispatch_ptr 0
		.amdhsa_user_sgpr_queue_ptr 0
		.amdhsa_user_sgpr_kernarg_segment_ptr 1
		.amdhsa_user_sgpr_dispatch_id 0
		.amdhsa_user_sgpr_kernarg_preload_length 0
		.amdhsa_user_sgpr_kernarg_preload_offset 0
		.amdhsa_user_sgpr_private_segment_size 0
		.amdhsa_uses_dynamic_stack 0
		.amdhsa_enable_private_segment 0
		.amdhsa_system_sgpr_workgroup_id_x 1
		.amdhsa_system_sgpr_workgroup_id_y 0
		.amdhsa_system_sgpr_workgroup_id_z 0
		.amdhsa_system_sgpr_workgroup_info 0
		.amdhsa_system_vgpr_workitem_id 0
		.amdhsa_next_free_vgpr 1
		.amdhsa_next_free_sgpr 0
		.amdhsa_accum_offset 4
		.amdhsa_reserve_vcc 0
		.amdhsa_float_round_mode_32 0
		.amdhsa_float_round_mode_16_64 0
		.amdhsa_float_denorm_mode_32 3
		.amdhsa_float_denorm_mode_16_64 3
		.amdhsa_dx10_clamp 1
		.amdhsa_ieee_mode 1
		.amdhsa_fp16_overflow 0
		.amdhsa_tg_split 0
		.amdhsa_exception_fp_ieee_invalid_op 0
		.amdhsa_exception_fp_denorm_src 0
		.amdhsa_exception_fp_ieee_div_zero 0
		.amdhsa_exception_fp_ieee_overflow 0
		.amdhsa_exception_fp_ieee_underflow 0
		.amdhsa_exception_fp_ieee_inexact 0
		.amdhsa_exception_int_div_zero 0
	.end_amdhsa_kernel
	.section	.text._ZN7rocprim17ROCPRIM_400000_NS6detail17trampoline_kernelINS0_14default_configENS1_20scan_config_selectorIN3c107complexIfEEEEZZNS1_9scan_implILNS1_25lookback_scan_determinismE0ELb0ELb0ES3_PKS7_PS7_S7_ZZZN2at6native31launch_logcumsumexp_cuda_kernelERKNSE_10TensorBaseESI_lENKUlvE_clEvENKUlvE2_clEvEUlS7_S7_E_S7_EEDaPvRmT3_T4_T5_mT6_P12ihipStream_tbENKUlT_T0_E_clISt17integral_constantIbLb0EESY_IbLb1EEEEDaSU_SV_EUlSU_E0_NS1_11comp_targetILNS1_3genE5ELNS1_11target_archE942ELNS1_3gpuE9ELNS1_3repE0EEENS1_30default_config_static_selectorELNS0_4arch9wavefront6targetE1EEEvT1_,"axG",@progbits,_ZN7rocprim17ROCPRIM_400000_NS6detail17trampoline_kernelINS0_14default_configENS1_20scan_config_selectorIN3c107complexIfEEEEZZNS1_9scan_implILNS1_25lookback_scan_determinismE0ELb0ELb0ES3_PKS7_PS7_S7_ZZZN2at6native31launch_logcumsumexp_cuda_kernelERKNSE_10TensorBaseESI_lENKUlvE_clEvENKUlvE2_clEvEUlS7_S7_E_S7_EEDaPvRmT3_T4_T5_mT6_P12ihipStream_tbENKUlT_T0_E_clISt17integral_constantIbLb0EESY_IbLb1EEEEDaSU_SV_EUlSU_E0_NS1_11comp_targetILNS1_3genE5ELNS1_11target_archE942ELNS1_3gpuE9ELNS1_3repE0EEENS1_30default_config_static_selectorELNS0_4arch9wavefront6targetE1EEEvT1_,comdat
.Lfunc_end339:
	.size	_ZN7rocprim17ROCPRIM_400000_NS6detail17trampoline_kernelINS0_14default_configENS1_20scan_config_selectorIN3c107complexIfEEEEZZNS1_9scan_implILNS1_25lookback_scan_determinismE0ELb0ELb0ES3_PKS7_PS7_S7_ZZZN2at6native31launch_logcumsumexp_cuda_kernelERKNSE_10TensorBaseESI_lENKUlvE_clEvENKUlvE2_clEvEUlS7_S7_E_S7_EEDaPvRmT3_T4_T5_mT6_P12ihipStream_tbENKUlT_T0_E_clISt17integral_constantIbLb0EESY_IbLb1EEEEDaSU_SV_EUlSU_E0_NS1_11comp_targetILNS1_3genE5ELNS1_11target_archE942ELNS1_3gpuE9ELNS1_3repE0EEENS1_30default_config_static_selectorELNS0_4arch9wavefront6targetE1EEEvT1_, .Lfunc_end339-_ZN7rocprim17ROCPRIM_400000_NS6detail17trampoline_kernelINS0_14default_configENS1_20scan_config_selectorIN3c107complexIfEEEEZZNS1_9scan_implILNS1_25lookback_scan_determinismE0ELb0ELb0ES3_PKS7_PS7_S7_ZZZN2at6native31launch_logcumsumexp_cuda_kernelERKNSE_10TensorBaseESI_lENKUlvE_clEvENKUlvE2_clEvEUlS7_S7_E_S7_EEDaPvRmT3_T4_T5_mT6_P12ihipStream_tbENKUlT_T0_E_clISt17integral_constantIbLb0EESY_IbLb1EEEEDaSU_SV_EUlSU_E0_NS1_11comp_targetILNS1_3genE5ELNS1_11target_archE942ELNS1_3gpuE9ELNS1_3repE0EEENS1_30default_config_static_selectorELNS0_4arch9wavefront6targetE1EEEvT1_
                                        ; -- End function
	.set _ZN7rocprim17ROCPRIM_400000_NS6detail17trampoline_kernelINS0_14default_configENS1_20scan_config_selectorIN3c107complexIfEEEEZZNS1_9scan_implILNS1_25lookback_scan_determinismE0ELb0ELb0ES3_PKS7_PS7_S7_ZZZN2at6native31launch_logcumsumexp_cuda_kernelERKNSE_10TensorBaseESI_lENKUlvE_clEvENKUlvE2_clEvEUlS7_S7_E_S7_EEDaPvRmT3_T4_T5_mT6_P12ihipStream_tbENKUlT_T0_E_clISt17integral_constantIbLb0EESY_IbLb1EEEEDaSU_SV_EUlSU_E0_NS1_11comp_targetILNS1_3genE5ELNS1_11target_archE942ELNS1_3gpuE9ELNS1_3repE0EEENS1_30default_config_static_selectorELNS0_4arch9wavefront6targetE1EEEvT1_.num_vgpr, 0
	.set _ZN7rocprim17ROCPRIM_400000_NS6detail17trampoline_kernelINS0_14default_configENS1_20scan_config_selectorIN3c107complexIfEEEEZZNS1_9scan_implILNS1_25lookback_scan_determinismE0ELb0ELb0ES3_PKS7_PS7_S7_ZZZN2at6native31launch_logcumsumexp_cuda_kernelERKNSE_10TensorBaseESI_lENKUlvE_clEvENKUlvE2_clEvEUlS7_S7_E_S7_EEDaPvRmT3_T4_T5_mT6_P12ihipStream_tbENKUlT_T0_E_clISt17integral_constantIbLb0EESY_IbLb1EEEEDaSU_SV_EUlSU_E0_NS1_11comp_targetILNS1_3genE5ELNS1_11target_archE942ELNS1_3gpuE9ELNS1_3repE0EEENS1_30default_config_static_selectorELNS0_4arch9wavefront6targetE1EEEvT1_.num_agpr, 0
	.set _ZN7rocprim17ROCPRIM_400000_NS6detail17trampoline_kernelINS0_14default_configENS1_20scan_config_selectorIN3c107complexIfEEEEZZNS1_9scan_implILNS1_25lookback_scan_determinismE0ELb0ELb0ES3_PKS7_PS7_S7_ZZZN2at6native31launch_logcumsumexp_cuda_kernelERKNSE_10TensorBaseESI_lENKUlvE_clEvENKUlvE2_clEvEUlS7_S7_E_S7_EEDaPvRmT3_T4_T5_mT6_P12ihipStream_tbENKUlT_T0_E_clISt17integral_constantIbLb0EESY_IbLb1EEEEDaSU_SV_EUlSU_E0_NS1_11comp_targetILNS1_3genE5ELNS1_11target_archE942ELNS1_3gpuE9ELNS1_3repE0EEENS1_30default_config_static_selectorELNS0_4arch9wavefront6targetE1EEEvT1_.numbered_sgpr, 0
	.set _ZN7rocprim17ROCPRIM_400000_NS6detail17trampoline_kernelINS0_14default_configENS1_20scan_config_selectorIN3c107complexIfEEEEZZNS1_9scan_implILNS1_25lookback_scan_determinismE0ELb0ELb0ES3_PKS7_PS7_S7_ZZZN2at6native31launch_logcumsumexp_cuda_kernelERKNSE_10TensorBaseESI_lENKUlvE_clEvENKUlvE2_clEvEUlS7_S7_E_S7_EEDaPvRmT3_T4_T5_mT6_P12ihipStream_tbENKUlT_T0_E_clISt17integral_constantIbLb0EESY_IbLb1EEEEDaSU_SV_EUlSU_E0_NS1_11comp_targetILNS1_3genE5ELNS1_11target_archE942ELNS1_3gpuE9ELNS1_3repE0EEENS1_30default_config_static_selectorELNS0_4arch9wavefront6targetE1EEEvT1_.num_named_barrier, 0
	.set _ZN7rocprim17ROCPRIM_400000_NS6detail17trampoline_kernelINS0_14default_configENS1_20scan_config_selectorIN3c107complexIfEEEEZZNS1_9scan_implILNS1_25lookback_scan_determinismE0ELb0ELb0ES3_PKS7_PS7_S7_ZZZN2at6native31launch_logcumsumexp_cuda_kernelERKNSE_10TensorBaseESI_lENKUlvE_clEvENKUlvE2_clEvEUlS7_S7_E_S7_EEDaPvRmT3_T4_T5_mT6_P12ihipStream_tbENKUlT_T0_E_clISt17integral_constantIbLb0EESY_IbLb1EEEEDaSU_SV_EUlSU_E0_NS1_11comp_targetILNS1_3genE5ELNS1_11target_archE942ELNS1_3gpuE9ELNS1_3repE0EEENS1_30default_config_static_selectorELNS0_4arch9wavefront6targetE1EEEvT1_.private_seg_size, 0
	.set _ZN7rocprim17ROCPRIM_400000_NS6detail17trampoline_kernelINS0_14default_configENS1_20scan_config_selectorIN3c107complexIfEEEEZZNS1_9scan_implILNS1_25lookback_scan_determinismE0ELb0ELb0ES3_PKS7_PS7_S7_ZZZN2at6native31launch_logcumsumexp_cuda_kernelERKNSE_10TensorBaseESI_lENKUlvE_clEvENKUlvE2_clEvEUlS7_S7_E_S7_EEDaPvRmT3_T4_T5_mT6_P12ihipStream_tbENKUlT_T0_E_clISt17integral_constantIbLb0EESY_IbLb1EEEEDaSU_SV_EUlSU_E0_NS1_11comp_targetILNS1_3genE5ELNS1_11target_archE942ELNS1_3gpuE9ELNS1_3repE0EEENS1_30default_config_static_selectorELNS0_4arch9wavefront6targetE1EEEvT1_.uses_vcc, 0
	.set _ZN7rocprim17ROCPRIM_400000_NS6detail17trampoline_kernelINS0_14default_configENS1_20scan_config_selectorIN3c107complexIfEEEEZZNS1_9scan_implILNS1_25lookback_scan_determinismE0ELb0ELb0ES3_PKS7_PS7_S7_ZZZN2at6native31launch_logcumsumexp_cuda_kernelERKNSE_10TensorBaseESI_lENKUlvE_clEvENKUlvE2_clEvEUlS7_S7_E_S7_EEDaPvRmT3_T4_T5_mT6_P12ihipStream_tbENKUlT_T0_E_clISt17integral_constantIbLb0EESY_IbLb1EEEEDaSU_SV_EUlSU_E0_NS1_11comp_targetILNS1_3genE5ELNS1_11target_archE942ELNS1_3gpuE9ELNS1_3repE0EEENS1_30default_config_static_selectorELNS0_4arch9wavefront6targetE1EEEvT1_.uses_flat_scratch, 0
	.set _ZN7rocprim17ROCPRIM_400000_NS6detail17trampoline_kernelINS0_14default_configENS1_20scan_config_selectorIN3c107complexIfEEEEZZNS1_9scan_implILNS1_25lookback_scan_determinismE0ELb0ELb0ES3_PKS7_PS7_S7_ZZZN2at6native31launch_logcumsumexp_cuda_kernelERKNSE_10TensorBaseESI_lENKUlvE_clEvENKUlvE2_clEvEUlS7_S7_E_S7_EEDaPvRmT3_T4_T5_mT6_P12ihipStream_tbENKUlT_T0_E_clISt17integral_constantIbLb0EESY_IbLb1EEEEDaSU_SV_EUlSU_E0_NS1_11comp_targetILNS1_3genE5ELNS1_11target_archE942ELNS1_3gpuE9ELNS1_3repE0EEENS1_30default_config_static_selectorELNS0_4arch9wavefront6targetE1EEEvT1_.has_dyn_sized_stack, 0
	.set _ZN7rocprim17ROCPRIM_400000_NS6detail17trampoline_kernelINS0_14default_configENS1_20scan_config_selectorIN3c107complexIfEEEEZZNS1_9scan_implILNS1_25lookback_scan_determinismE0ELb0ELb0ES3_PKS7_PS7_S7_ZZZN2at6native31launch_logcumsumexp_cuda_kernelERKNSE_10TensorBaseESI_lENKUlvE_clEvENKUlvE2_clEvEUlS7_S7_E_S7_EEDaPvRmT3_T4_T5_mT6_P12ihipStream_tbENKUlT_T0_E_clISt17integral_constantIbLb0EESY_IbLb1EEEEDaSU_SV_EUlSU_E0_NS1_11comp_targetILNS1_3genE5ELNS1_11target_archE942ELNS1_3gpuE9ELNS1_3repE0EEENS1_30default_config_static_selectorELNS0_4arch9wavefront6targetE1EEEvT1_.has_recursion, 0
	.set _ZN7rocprim17ROCPRIM_400000_NS6detail17trampoline_kernelINS0_14default_configENS1_20scan_config_selectorIN3c107complexIfEEEEZZNS1_9scan_implILNS1_25lookback_scan_determinismE0ELb0ELb0ES3_PKS7_PS7_S7_ZZZN2at6native31launch_logcumsumexp_cuda_kernelERKNSE_10TensorBaseESI_lENKUlvE_clEvENKUlvE2_clEvEUlS7_S7_E_S7_EEDaPvRmT3_T4_T5_mT6_P12ihipStream_tbENKUlT_T0_E_clISt17integral_constantIbLb0EESY_IbLb1EEEEDaSU_SV_EUlSU_E0_NS1_11comp_targetILNS1_3genE5ELNS1_11target_archE942ELNS1_3gpuE9ELNS1_3repE0EEENS1_30default_config_static_selectorELNS0_4arch9wavefront6targetE1EEEvT1_.has_indirect_call, 0
	.section	.AMDGPU.csdata,"",@progbits
; Kernel info:
; codeLenInByte = 0
; TotalNumSgprs: 6
; NumVgprs: 0
; NumAgprs: 0
; TotalNumVgprs: 0
; ScratchSize: 0
; MemoryBound: 0
; FloatMode: 240
; IeeeMode: 1
; LDSByteSize: 0 bytes/workgroup (compile time only)
; SGPRBlocks: 0
; VGPRBlocks: 0
; NumSGPRsForWavesPerEU: 6
; NumVGPRsForWavesPerEU: 1
; AccumOffset: 4
; Occupancy: 8
; WaveLimiterHint : 0
; COMPUTE_PGM_RSRC2:SCRATCH_EN: 0
; COMPUTE_PGM_RSRC2:USER_SGPR: 2
; COMPUTE_PGM_RSRC2:TRAP_HANDLER: 0
; COMPUTE_PGM_RSRC2:TGID_X_EN: 1
; COMPUTE_PGM_RSRC2:TGID_Y_EN: 0
; COMPUTE_PGM_RSRC2:TGID_Z_EN: 0
; COMPUTE_PGM_RSRC2:TIDIG_COMP_CNT: 0
; COMPUTE_PGM_RSRC3_GFX90A:ACCUM_OFFSET: 0
; COMPUTE_PGM_RSRC3_GFX90A:TG_SPLIT: 0
	.section	.text._ZN7rocprim17ROCPRIM_400000_NS6detail17trampoline_kernelINS0_14default_configENS1_20scan_config_selectorIN3c107complexIfEEEEZZNS1_9scan_implILNS1_25lookback_scan_determinismE0ELb0ELb0ES3_PKS7_PS7_S7_ZZZN2at6native31launch_logcumsumexp_cuda_kernelERKNSE_10TensorBaseESI_lENKUlvE_clEvENKUlvE2_clEvEUlS7_S7_E_S7_EEDaPvRmT3_T4_T5_mT6_P12ihipStream_tbENKUlT_T0_E_clISt17integral_constantIbLb0EESY_IbLb1EEEEDaSU_SV_EUlSU_E0_NS1_11comp_targetILNS1_3genE4ELNS1_11target_archE910ELNS1_3gpuE8ELNS1_3repE0EEENS1_30default_config_static_selectorELNS0_4arch9wavefront6targetE1EEEvT1_,"axG",@progbits,_ZN7rocprim17ROCPRIM_400000_NS6detail17trampoline_kernelINS0_14default_configENS1_20scan_config_selectorIN3c107complexIfEEEEZZNS1_9scan_implILNS1_25lookback_scan_determinismE0ELb0ELb0ES3_PKS7_PS7_S7_ZZZN2at6native31launch_logcumsumexp_cuda_kernelERKNSE_10TensorBaseESI_lENKUlvE_clEvENKUlvE2_clEvEUlS7_S7_E_S7_EEDaPvRmT3_T4_T5_mT6_P12ihipStream_tbENKUlT_T0_E_clISt17integral_constantIbLb0EESY_IbLb1EEEEDaSU_SV_EUlSU_E0_NS1_11comp_targetILNS1_3genE4ELNS1_11target_archE910ELNS1_3gpuE8ELNS1_3repE0EEENS1_30default_config_static_selectorELNS0_4arch9wavefront6targetE1EEEvT1_,comdat
	.globl	_ZN7rocprim17ROCPRIM_400000_NS6detail17trampoline_kernelINS0_14default_configENS1_20scan_config_selectorIN3c107complexIfEEEEZZNS1_9scan_implILNS1_25lookback_scan_determinismE0ELb0ELb0ES3_PKS7_PS7_S7_ZZZN2at6native31launch_logcumsumexp_cuda_kernelERKNSE_10TensorBaseESI_lENKUlvE_clEvENKUlvE2_clEvEUlS7_S7_E_S7_EEDaPvRmT3_T4_T5_mT6_P12ihipStream_tbENKUlT_T0_E_clISt17integral_constantIbLb0EESY_IbLb1EEEEDaSU_SV_EUlSU_E0_NS1_11comp_targetILNS1_3genE4ELNS1_11target_archE910ELNS1_3gpuE8ELNS1_3repE0EEENS1_30default_config_static_selectorELNS0_4arch9wavefront6targetE1EEEvT1_ ; -- Begin function _ZN7rocprim17ROCPRIM_400000_NS6detail17trampoline_kernelINS0_14default_configENS1_20scan_config_selectorIN3c107complexIfEEEEZZNS1_9scan_implILNS1_25lookback_scan_determinismE0ELb0ELb0ES3_PKS7_PS7_S7_ZZZN2at6native31launch_logcumsumexp_cuda_kernelERKNSE_10TensorBaseESI_lENKUlvE_clEvENKUlvE2_clEvEUlS7_S7_E_S7_EEDaPvRmT3_T4_T5_mT6_P12ihipStream_tbENKUlT_T0_E_clISt17integral_constantIbLb0EESY_IbLb1EEEEDaSU_SV_EUlSU_E0_NS1_11comp_targetILNS1_3genE4ELNS1_11target_archE910ELNS1_3gpuE8ELNS1_3repE0EEENS1_30default_config_static_selectorELNS0_4arch9wavefront6targetE1EEEvT1_
	.p2align	8
	.type	_ZN7rocprim17ROCPRIM_400000_NS6detail17trampoline_kernelINS0_14default_configENS1_20scan_config_selectorIN3c107complexIfEEEEZZNS1_9scan_implILNS1_25lookback_scan_determinismE0ELb0ELb0ES3_PKS7_PS7_S7_ZZZN2at6native31launch_logcumsumexp_cuda_kernelERKNSE_10TensorBaseESI_lENKUlvE_clEvENKUlvE2_clEvEUlS7_S7_E_S7_EEDaPvRmT3_T4_T5_mT6_P12ihipStream_tbENKUlT_T0_E_clISt17integral_constantIbLb0EESY_IbLb1EEEEDaSU_SV_EUlSU_E0_NS1_11comp_targetILNS1_3genE4ELNS1_11target_archE910ELNS1_3gpuE8ELNS1_3repE0EEENS1_30default_config_static_selectorELNS0_4arch9wavefront6targetE1EEEvT1_,@function
_ZN7rocprim17ROCPRIM_400000_NS6detail17trampoline_kernelINS0_14default_configENS1_20scan_config_selectorIN3c107complexIfEEEEZZNS1_9scan_implILNS1_25lookback_scan_determinismE0ELb0ELb0ES3_PKS7_PS7_S7_ZZZN2at6native31launch_logcumsumexp_cuda_kernelERKNSE_10TensorBaseESI_lENKUlvE_clEvENKUlvE2_clEvEUlS7_S7_E_S7_EEDaPvRmT3_T4_T5_mT6_P12ihipStream_tbENKUlT_T0_E_clISt17integral_constantIbLb0EESY_IbLb1EEEEDaSU_SV_EUlSU_E0_NS1_11comp_targetILNS1_3genE4ELNS1_11target_archE910ELNS1_3gpuE8ELNS1_3repE0EEENS1_30default_config_static_selectorELNS0_4arch9wavefront6targetE1EEEvT1_: ; @_ZN7rocprim17ROCPRIM_400000_NS6detail17trampoline_kernelINS0_14default_configENS1_20scan_config_selectorIN3c107complexIfEEEEZZNS1_9scan_implILNS1_25lookback_scan_determinismE0ELb0ELb0ES3_PKS7_PS7_S7_ZZZN2at6native31launch_logcumsumexp_cuda_kernelERKNSE_10TensorBaseESI_lENKUlvE_clEvENKUlvE2_clEvEUlS7_S7_E_S7_EEDaPvRmT3_T4_T5_mT6_P12ihipStream_tbENKUlT_T0_E_clISt17integral_constantIbLb0EESY_IbLb1EEEEDaSU_SV_EUlSU_E0_NS1_11comp_targetILNS1_3genE4ELNS1_11target_archE910ELNS1_3gpuE8ELNS1_3repE0EEENS1_30default_config_static_selectorELNS0_4arch9wavefront6targetE1EEEvT1_
; %bb.0:
	.section	.rodata,"a",@progbits
	.p2align	6, 0x0
	.amdhsa_kernel _ZN7rocprim17ROCPRIM_400000_NS6detail17trampoline_kernelINS0_14default_configENS1_20scan_config_selectorIN3c107complexIfEEEEZZNS1_9scan_implILNS1_25lookback_scan_determinismE0ELb0ELb0ES3_PKS7_PS7_S7_ZZZN2at6native31launch_logcumsumexp_cuda_kernelERKNSE_10TensorBaseESI_lENKUlvE_clEvENKUlvE2_clEvEUlS7_S7_E_S7_EEDaPvRmT3_T4_T5_mT6_P12ihipStream_tbENKUlT_T0_E_clISt17integral_constantIbLb0EESY_IbLb1EEEEDaSU_SV_EUlSU_E0_NS1_11comp_targetILNS1_3genE4ELNS1_11target_archE910ELNS1_3gpuE8ELNS1_3repE0EEENS1_30default_config_static_selectorELNS0_4arch9wavefront6targetE1EEEvT1_
		.amdhsa_group_segment_fixed_size 0
		.amdhsa_private_segment_fixed_size 0
		.amdhsa_kernarg_size 40
		.amdhsa_user_sgpr_count 2
		.amdhsa_user_sgpr_dispatch_ptr 0
		.amdhsa_user_sgpr_queue_ptr 0
		.amdhsa_user_sgpr_kernarg_segment_ptr 1
		.amdhsa_user_sgpr_dispatch_id 0
		.amdhsa_user_sgpr_kernarg_preload_length 0
		.amdhsa_user_sgpr_kernarg_preload_offset 0
		.amdhsa_user_sgpr_private_segment_size 0
		.amdhsa_uses_dynamic_stack 0
		.amdhsa_enable_private_segment 0
		.amdhsa_system_sgpr_workgroup_id_x 1
		.amdhsa_system_sgpr_workgroup_id_y 0
		.amdhsa_system_sgpr_workgroup_id_z 0
		.amdhsa_system_sgpr_workgroup_info 0
		.amdhsa_system_vgpr_workitem_id 0
		.amdhsa_next_free_vgpr 1
		.amdhsa_next_free_sgpr 0
		.amdhsa_accum_offset 4
		.amdhsa_reserve_vcc 0
		.amdhsa_float_round_mode_32 0
		.amdhsa_float_round_mode_16_64 0
		.amdhsa_float_denorm_mode_32 3
		.amdhsa_float_denorm_mode_16_64 3
		.amdhsa_dx10_clamp 1
		.amdhsa_ieee_mode 1
		.amdhsa_fp16_overflow 0
		.amdhsa_tg_split 0
		.amdhsa_exception_fp_ieee_invalid_op 0
		.amdhsa_exception_fp_denorm_src 0
		.amdhsa_exception_fp_ieee_div_zero 0
		.amdhsa_exception_fp_ieee_overflow 0
		.amdhsa_exception_fp_ieee_underflow 0
		.amdhsa_exception_fp_ieee_inexact 0
		.amdhsa_exception_int_div_zero 0
	.end_amdhsa_kernel
	.section	.text._ZN7rocprim17ROCPRIM_400000_NS6detail17trampoline_kernelINS0_14default_configENS1_20scan_config_selectorIN3c107complexIfEEEEZZNS1_9scan_implILNS1_25lookback_scan_determinismE0ELb0ELb0ES3_PKS7_PS7_S7_ZZZN2at6native31launch_logcumsumexp_cuda_kernelERKNSE_10TensorBaseESI_lENKUlvE_clEvENKUlvE2_clEvEUlS7_S7_E_S7_EEDaPvRmT3_T4_T5_mT6_P12ihipStream_tbENKUlT_T0_E_clISt17integral_constantIbLb0EESY_IbLb1EEEEDaSU_SV_EUlSU_E0_NS1_11comp_targetILNS1_3genE4ELNS1_11target_archE910ELNS1_3gpuE8ELNS1_3repE0EEENS1_30default_config_static_selectorELNS0_4arch9wavefront6targetE1EEEvT1_,"axG",@progbits,_ZN7rocprim17ROCPRIM_400000_NS6detail17trampoline_kernelINS0_14default_configENS1_20scan_config_selectorIN3c107complexIfEEEEZZNS1_9scan_implILNS1_25lookback_scan_determinismE0ELb0ELb0ES3_PKS7_PS7_S7_ZZZN2at6native31launch_logcumsumexp_cuda_kernelERKNSE_10TensorBaseESI_lENKUlvE_clEvENKUlvE2_clEvEUlS7_S7_E_S7_EEDaPvRmT3_T4_T5_mT6_P12ihipStream_tbENKUlT_T0_E_clISt17integral_constantIbLb0EESY_IbLb1EEEEDaSU_SV_EUlSU_E0_NS1_11comp_targetILNS1_3genE4ELNS1_11target_archE910ELNS1_3gpuE8ELNS1_3repE0EEENS1_30default_config_static_selectorELNS0_4arch9wavefront6targetE1EEEvT1_,comdat
.Lfunc_end340:
	.size	_ZN7rocprim17ROCPRIM_400000_NS6detail17trampoline_kernelINS0_14default_configENS1_20scan_config_selectorIN3c107complexIfEEEEZZNS1_9scan_implILNS1_25lookback_scan_determinismE0ELb0ELb0ES3_PKS7_PS7_S7_ZZZN2at6native31launch_logcumsumexp_cuda_kernelERKNSE_10TensorBaseESI_lENKUlvE_clEvENKUlvE2_clEvEUlS7_S7_E_S7_EEDaPvRmT3_T4_T5_mT6_P12ihipStream_tbENKUlT_T0_E_clISt17integral_constantIbLb0EESY_IbLb1EEEEDaSU_SV_EUlSU_E0_NS1_11comp_targetILNS1_3genE4ELNS1_11target_archE910ELNS1_3gpuE8ELNS1_3repE0EEENS1_30default_config_static_selectorELNS0_4arch9wavefront6targetE1EEEvT1_, .Lfunc_end340-_ZN7rocprim17ROCPRIM_400000_NS6detail17trampoline_kernelINS0_14default_configENS1_20scan_config_selectorIN3c107complexIfEEEEZZNS1_9scan_implILNS1_25lookback_scan_determinismE0ELb0ELb0ES3_PKS7_PS7_S7_ZZZN2at6native31launch_logcumsumexp_cuda_kernelERKNSE_10TensorBaseESI_lENKUlvE_clEvENKUlvE2_clEvEUlS7_S7_E_S7_EEDaPvRmT3_T4_T5_mT6_P12ihipStream_tbENKUlT_T0_E_clISt17integral_constantIbLb0EESY_IbLb1EEEEDaSU_SV_EUlSU_E0_NS1_11comp_targetILNS1_3genE4ELNS1_11target_archE910ELNS1_3gpuE8ELNS1_3repE0EEENS1_30default_config_static_selectorELNS0_4arch9wavefront6targetE1EEEvT1_
                                        ; -- End function
	.set _ZN7rocprim17ROCPRIM_400000_NS6detail17trampoline_kernelINS0_14default_configENS1_20scan_config_selectorIN3c107complexIfEEEEZZNS1_9scan_implILNS1_25lookback_scan_determinismE0ELb0ELb0ES3_PKS7_PS7_S7_ZZZN2at6native31launch_logcumsumexp_cuda_kernelERKNSE_10TensorBaseESI_lENKUlvE_clEvENKUlvE2_clEvEUlS7_S7_E_S7_EEDaPvRmT3_T4_T5_mT6_P12ihipStream_tbENKUlT_T0_E_clISt17integral_constantIbLb0EESY_IbLb1EEEEDaSU_SV_EUlSU_E0_NS1_11comp_targetILNS1_3genE4ELNS1_11target_archE910ELNS1_3gpuE8ELNS1_3repE0EEENS1_30default_config_static_selectorELNS0_4arch9wavefront6targetE1EEEvT1_.num_vgpr, 0
	.set _ZN7rocprim17ROCPRIM_400000_NS6detail17trampoline_kernelINS0_14default_configENS1_20scan_config_selectorIN3c107complexIfEEEEZZNS1_9scan_implILNS1_25lookback_scan_determinismE0ELb0ELb0ES3_PKS7_PS7_S7_ZZZN2at6native31launch_logcumsumexp_cuda_kernelERKNSE_10TensorBaseESI_lENKUlvE_clEvENKUlvE2_clEvEUlS7_S7_E_S7_EEDaPvRmT3_T4_T5_mT6_P12ihipStream_tbENKUlT_T0_E_clISt17integral_constantIbLb0EESY_IbLb1EEEEDaSU_SV_EUlSU_E0_NS1_11comp_targetILNS1_3genE4ELNS1_11target_archE910ELNS1_3gpuE8ELNS1_3repE0EEENS1_30default_config_static_selectorELNS0_4arch9wavefront6targetE1EEEvT1_.num_agpr, 0
	.set _ZN7rocprim17ROCPRIM_400000_NS6detail17trampoline_kernelINS0_14default_configENS1_20scan_config_selectorIN3c107complexIfEEEEZZNS1_9scan_implILNS1_25lookback_scan_determinismE0ELb0ELb0ES3_PKS7_PS7_S7_ZZZN2at6native31launch_logcumsumexp_cuda_kernelERKNSE_10TensorBaseESI_lENKUlvE_clEvENKUlvE2_clEvEUlS7_S7_E_S7_EEDaPvRmT3_T4_T5_mT6_P12ihipStream_tbENKUlT_T0_E_clISt17integral_constantIbLb0EESY_IbLb1EEEEDaSU_SV_EUlSU_E0_NS1_11comp_targetILNS1_3genE4ELNS1_11target_archE910ELNS1_3gpuE8ELNS1_3repE0EEENS1_30default_config_static_selectorELNS0_4arch9wavefront6targetE1EEEvT1_.numbered_sgpr, 0
	.set _ZN7rocprim17ROCPRIM_400000_NS6detail17trampoline_kernelINS0_14default_configENS1_20scan_config_selectorIN3c107complexIfEEEEZZNS1_9scan_implILNS1_25lookback_scan_determinismE0ELb0ELb0ES3_PKS7_PS7_S7_ZZZN2at6native31launch_logcumsumexp_cuda_kernelERKNSE_10TensorBaseESI_lENKUlvE_clEvENKUlvE2_clEvEUlS7_S7_E_S7_EEDaPvRmT3_T4_T5_mT6_P12ihipStream_tbENKUlT_T0_E_clISt17integral_constantIbLb0EESY_IbLb1EEEEDaSU_SV_EUlSU_E0_NS1_11comp_targetILNS1_3genE4ELNS1_11target_archE910ELNS1_3gpuE8ELNS1_3repE0EEENS1_30default_config_static_selectorELNS0_4arch9wavefront6targetE1EEEvT1_.num_named_barrier, 0
	.set _ZN7rocprim17ROCPRIM_400000_NS6detail17trampoline_kernelINS0_14default_configENS1_20scan_config_selectorIN3c107complexIfEEEEZZNS1_9scan_implILNS1_25lookback_scan_determinismE0ELb0ELb0ES3_PKS7_PS7_S7_ZZZN2at6native31launch_logcumsumexp_cuda_kernelERKNSE_10TensorBaseESI_lENKUlvE_clEvENKUlvE2_clEvEUlS7_S7_E_S7_EEDaPvRmT3_T4_T5_mT6_P12ihipStream_tbENKUlT_T0_E_clISt17integral_constantIbLb0EESY_IbLb1EEEEDaSU_SV_EUlSU_E0_NS1_11comp_targetILNS1_3genE4ELNS1_11target_archE910ELNS1_3gpuE8ELNS1_3repE0EEENS1_30default_config_static_selectorELNS0_4arch9wavefront6targetE1EEEvT1_.private_seg_size, 0
	.set _ZN7rocprim17ROCPRIM_400000_NS6detail17trampoline_kernelINS0_14default_configENS1_20scan_config_selectorIN3c107complexIfEEEEZZNS1_9scan_implILNS1_25lookback_scan_determinismE0ELb0ELb0ES3_PKS7_PS7_S7_ZZZN2at6native31launch_logcumsumexp_cuda_kernelERKNSE_10TensorBaseESI_lENKUlvE_clEvENKUlvE2_clEvEUlS7_S7_E_S7_EEDaPvRmT3_T4_T5_mT6_P12ihipStream_tbENKUlT_T0_E_clISt17integral_constantIbLb0EESY_IbLb1EEEEDaSU_SV_EUlSU_E0_NS1_11comp_targetILNS1_3genE4ELNS1_11target_archE910ELNS1_3gpuE8ELNS1_3repE0EEENS1_30default_config_static_selectorELNS0_4arch9wavefront6targetE1EEEvT1_.uses_vcc, 0
	.set _ZN7rocprim17ROCPRIM_400000_NS6detail17trampoline_kernelINS0_14default_configENS1_20scan_config_selectorIN3c107complexIfEEEEZZNS1_9scan_implILNS1_25lookback_scan_determinismE0ELb0ELb0ES3_PKS7_PS7_S7_ZZZN2at6native31launch_logcumsumexp_cuda_kernelERKNSE_10TensorBaseESI_lENKUlvE_clEvENKUlvE2_clEvEUlS7_S7_E_S7_EEDaPvRmT3_T4_T5_mT6_P12ihipStream_tbENKUlT_T0_E_clISt17integral_constantIbLb0EESY_IbLb1EEEEDaSU_SV_EUlSU_E0_NS1_11comp_targetILNS1_3genE4ELNS1_11target_archE910ELNS1_3gpuE8ELNS1_3repE0EEENS1_30default_config_static_selectorELNS0_4arch9wavefront6targetE1EEEvT1_.uses_flat_scratch, 0
	.set _ZN7rocprim17ROCPRIM_400000_NS6detail17trampoline_kernelINS0_14default_configENS1_20scan_config_selectorIN3c107complexIfEEEEZZNS1_9scan_implILNS1_25lookback_scan_determinismE0ELb0ELb0ES3_PKS7_PS7_S7_ZZZN2at6native31launch_logcumsumexp_cuda_kernelERKNSE_10TensorBaseESI_lENKUlvE_clEvENKUlvE2_clEvEUlS7_S7_E_S7_EEDaPvRmT3_T4_T5_mT6_P12ihipStream_tbENKUlT_T0_E_clISt17integral_constantIbLb0EESY_IbLb1EEEEDaSU_SV_EUlSU_E0_NS1_11comp_targetILNS1_3genE4ELNS1_11target_archE910ELNS1_3gpuE8ELNS1_3repE0EEENS1_30default_config_static_selectorELNS0_4arch9wavefront6targetE1EEEvT1_.has_dyn_sized_stack, 0
	.set _ZN7rocprim17ROCPRIM_400000_NS6detail17trampoline_kernelINS0_14default_configENS1_20scan_config_selectorIN3c107complexIfEEEEZZNS1_9scan_implILNS1_25lookback_scan_determinismE0ELb0ELb0ES3_PKS7_PS7_S7_ZZZN2at6native31launch_logcumsumexp_cuda_kernelERKNSE_10TensorBaseESI_lENKUlvE_clEvENKUlvE2_clEvEUlS7_S7_E_S7_EEDaPvRmT3_T4_T5_mT6_P12ihipStream_tbENKUlT_T0_E_clISt17integral_constantIbLb0EESY_IbLb1EEEEDaSU_SV_EUlSU_E0_NS1_11comp_targetILNS1_3genE4ELNS1_11target_archE910ELNS1_3gpuE8ELNS1_3repE0EEENS1_30default_config_static_selectorELNS0_4arch9wavefront6targetE1EEEvT1_.has_recursion, 0
	.set _ZN7rocprim17ROCPRIM_400000_NS6detail17trampoline_kernelINS0_14default_configENS1_20scan_config_selectorIN3c107complexIfEEEEZZNS1_9scan_implILNS1_25lookback_scan_determinismE0ELb0ELb0ES3_PKS7_PS7_S7_ZZZN2at6native31launch_logcumsumexp_cuda_kernelERKNSE_10TensorBaseESI_lENKUlvE_clEvENKUlvE2_clEvEUlS7_S7_E_S7_EEDaPvRmT3_T4_T5_mT6_P12ihipStream_tbENKUlT_T0_E_clISt17integral_constantIbLb0EESY_IbLb1EEEEDaSU_SV_EUlSU_E0_NS1_11comp_targetILNS1_3genE4ELNS1_11target_archE910ELNS1_3gpuE8ELNS1_3repE0EEENS1_30default_config_static_selectorELNS0_4arch9wavefront6targetE1EEEvT1_.has_indirect_call, 0
	.section	.AMDGPU.csdata,"",@progbits
; Kernel info:
; codeLenInByte = 0
; TotalNumSgprs: 6
; NumVgprs: 0
; NumAgprs: 0
; TotalNumVgprs: 0
; ScratchSize: 0
; MemoryBound: 0
; FloatMode: 240
; IeeeMode: 1
; LDSByteSize: 0 bytes/workgroup (compile time only)
; SGPRBlocks: 0
; VGPRBlocks: 0
; NumSGPRsForWavesPerEU: 6
; NumVGPRsForWavesPerEU: 1
; AccumOffset: 4
; Occupancy: 8
; WaveLimiterHint : 0
; COMPUTE_PGM_RSRC2:SCRATCH_EN: 0
; COMPUTE_PGM_RSRC2:USER_SGPR: 2
; COMPUTE_PGM_RSRC2:TRAP_HANDLER: 0
; COMPUTE_PGM_RSRC2:TGID_X_EN: 1
; COMPUTE_PGM_RSRC2:TGID_Y_EN: 0
; COMPUTE_PGM_RSRC2:TGID_Z_EN: 0
; COMPUTE_PGM_RSRC2:TIDIG_COMP_CNT: 0
; COMPUTE_PGM_RSRC3_GFX90A:ACCUM_OFFSET: 0
; COMPUTE_PGM_RSRC3_GFX90A:TG_SPLIT: 0
	.section	.text._ZN7rocprim17ROCPRIM_400000_NS6detail17trampoline_kernelINS0_14default_configENS1_20scan_config_selectorIN3c107complexIfEEEEZZNS1_9scan_implILNS1_25lookback_scan_determinismE0ELb0ELb0ES3_PKS7_PS7_S7_ZZZN2at6native31launch_logcumsumexp_cuda_kernelERKNSE_10TensorBaseESI_lENKUlvE_clEvENKUlvE2_clEvEUlS7_S7_E_S7_EEDaPvRmT3_T4_T5_mT6_P12ihipStream_tbENKUlT_T0_E_clISt17integral_constantIbLb0EESY_IbLb1EEEEDaSU_SV_EUlSU_E0_NS1_11comp_targetILNS1_3genE3ELNS1_11target_archE908ELNS1_3gpuE7ELNS1_3repE0EEENS1_30default_config_static_selectorELNS0_4arch9wavefront6targetE1EEEvT1_,"axG",@progbits,_ZN7rocprim17ROCPRIM_400000_NS6detail17trampoline_kernelINS0_14default_configENS1_20scan_config_selectorIN3c107complexIfEEEEZZNS1_9scan_implILNS1_25lookback_scan_determinismE0ELb0ELb0ES3_PKS7_PS7_S7_ZZZN2at6native31launch_logcumsumexp_cuda_kernelERKNSE_10TensorBaseESI_lENKUlvE_clEvENKUlvE2_clEvEUlS7_S7_E_S7_EEDaPvRmT3_T4_T5_mT6_P12ihipStream_tbENKUlT_T0_E_clISt17integral_constantIbLb0EESY_IbLb1EEEEDaSU_SV_EUlSU_E0_NS1_11comp_targetILNS1_3genE3ELNS1_11target_archE908ELNS1_3gpuE7ELNS1_3repE0EEENS1_30default_config_static_selectorELNS0_4arch9wavefront6targetE1EEEvT1_,comdat
	.globl	_ZN7rocprim17ROCPRIM_400000_NS6detail17trampoline_kernelINS0_14default_configENS1_20scan_config_selectorIN3c107complexIfEEEEZZNS1_9scan_implILNS1_25lookback_scan_determinismE0ELb0ELb0ES3_PKS7_PS7_S7_ZZZN2at6native31launch_logcumsumexp_cuda_kernelERKNSE_10TensorBaseESI_lENKUlvE_clEvENKUlvE2_clEvEUlS7_S7_E_S7_EEDaPvRmT3_T4_T5_mT6_P12ihipStream_tbENKUlT_T0_E_clISt17integral_constantIbLb0EESY_IbLb1EEEEDaSU_SV_EUlSU_E0_NS1_11comp_targetILNS1_3genE3ELNS1_11target_archE908ELNS1_3gpuE7ELNS1_3repE0EEENS1_30default_config_static_selectorELNS0_4arch9wavefront6targetE1EEEvT1_ ; -- Begin function _ZN7rocprim17ROCPRIM_400000_NS6detail17trampoline_kernelINS0_14default_configENS1_20scan_config_selectorIN3c107complexIfEEEEZZNS1_9scan_implILNS1_25lookback_scan_determinismE0ELb0ELb0ES3_PKS7_PS7_S7_ZZZN2at6native31launch_logcumsumexp_cuda_kernelERKNSE_10TensorBaseESI_lENKUlvE_clEvENKUlvE2_clEvEUlS7_S7_E_S7_EEDaPvRmT3_T4_T5_mT6_P12ihipStream_tbENKUlT_T0_E_clISt17integral_constantIbLb0EESY_IbLb1EEEEDaSU_SV_EUlSU_E0_NS1_11comp_targetILNS1_3genE3ELNS1_11target_archE908ELNS1_3gpuE7ELNS1_3repE0EEENS1_30default_config_static_selectorELNS0_4arch9wavefront6targetE1EEEvT1_
	.p2align	8
	.type	_ZN7rocprim17ROCPRIM_400000_NS6detail17trampoline_kernelINS0_14default_configENS1_20scan_config_selectorIN3c107complexIfEEEEZZNS1_9scan_implILNS1_25lookback_scan_determinismE0ELb0ELb0ES3_PKS7_PS7_S7_ZZZN2at6native31launch_logcumsumexp_cuda_kernelERKNSE_10TensorBaseESI_lENKUlvE_clEvENKUlvE2_clEvEUlS7_S7_E_S7_EEDaPvRmT3_T4_T5_mT6_P12ihipStream_tbENKUlT_T0_E_clISt17integral_constantIbLb0EESY_IbLb1EEEEDaSU_SV_EUlSU_E0_NS1_11comp_targetILNS1_3genE3ELNS1_11target_archE908ELNS1_3gpuE7ELNS1_3repE0EEENS1_30default_config_static_selectorELNS0_4arch9wavefront6targetE1EEEvT1_,@function
_ZN7rocprim17ROCPRIM_400000_NS6detail17trampoline_kernelINS0_14default_configENS1_20scan_config_selectorIN3c107complexIfEEEEZZNS1_9scan_implILNS1_25lookback_scan_determinismE0ELb0ELb0ES3_PKS7_PS7_S7_ZZZN2at6native31launch_logcumsumexp_cuda_kernelERKNSE_10TensorBaseESI_lENKUlvE_clEvENKUlvE2_clEvEUlS7_S7_E_S7_EEDaPvRmT3_T4_T5_mT6_P12ihipStream_tbENKUlT_T0_E_clISt17integral_constantIbLb0EESY_IbLb1EEEEDaSU_SV_EUlSU_E0_NS1_11comp_targetILNS1_3genE3ELNS1_11target_archE908ELNS1_3gpuE7ELNS1_3repE0EEENS1_30default_config_static_selectorELNS0_4arch9wavefront6targetE1EEEvT1_: ; @_ZN7rocprim17ROCPRIM_400000_NS6detail17trampoline_kernelINS0_14default_configENS1_20scan_config_selectorIN3c107complexIfEEEEZZNS1_9scan_implILNS1_25lookback_scan_determinismE0ELb0ELb0ES3_PKS7_PS7_S7_ZZZN2at6native31launch_logcumsumexp_cuda_kernelERKNSE_10TensorBaseESI_lENKUlvE_clEvENKUlvE2_clEvEUlS7_S7_E_S7_EEDaPvRmT3_T4_T5_mT6_P12ihipStream_tbENKUlT_T0_E_clISt17integral_constantIbLb0EESY_IbLb1EEEEDaSU_SV_EUlSU_E0_NS1_11comp_targetILNS1_3genE3ELNS1_11target_archE908ELNS1_3gpuE7ELNS1_3repE0EEENS1_30default_config_static_selectorELNS0_4arch9wavefront6targetE1EEEvT1_
; %bb.0:
	.section	.rodata,"a",@progbits
	.p2align	6, 0x0
	.amdhsa_kernel _ZN7rocprim17ROCPRIM_400000_NS6detail17trampoline_kernelINS0_14default_configENS1_20scan_config_selectorIN3c107complexIfEEEEZZNS1_9scan_implILNS1_25lookback_scan_determinismE0ELb0ELb0ES3_PKS7_PS7_S7_ZZZN2at6native31launch_logcumsumexp_cuda_kernelERKNSE_10TensorBaseESI_lENKUlvE_clEvENKUlvE2_clEvEUlS7_S7_E_S7_EEDaPvRmT3_T4_T5_mT6_P12ihipStream_tbENKUlT_T0_E_clISt17integral_constantIbLb0EESY_IbLb1EEEEDaSU_SV_EUlSU_E0_NS1_11comp_targetILNS1_3genE3ELNS1_11target_archE908ELNS1_3gpuE7ELNS1_3repE0EEENS1_30default_config_static_selectorELNS0_4arch9wavefront6targetE1EEEvT1_
		.amdhsa_group_segment_fixed_size 0
		.amdhsa_private_segment_fixed_size 0
		.amdhsa_kernarg_size 40
		.amdhsa_user_sgpr_count 2
		.amdhsa_user_sgpr_dispatch_ptr 0
		.amdhsa_user_sgpr_queue_ptr 0
		.amdhsa_user_sgpr_kernarg_segment_ptr 1
		.amdhsa_user_sgpr_dispatch_id 0
		.amdhsa_user_sgpr_kernarg_preload_length 0
		.amdhsa_user_sgpr_kernarg_preload_offset 0
		.amdhsa_user_sgpr_private_segment_size 0
		.amdhsa_uses_dynamic_stack 0
		.amdhsa_enable_private_segment 0
		.amdhsa_system_sgpr_workgroup_id_x 1
		.amdhsa_system_sgpr_workgroup_id_y 0
		.amdhsa_system_sgpr_workgroup_id_z 0
		.amdhsa_system_sgpr_workgroup_info 0
		.amdhsa_system_vgpr_workitem_id 0
		.amdhsa_next_free_vgpr 1
		.amdhsa_next_free_sgpr 0
		.amdhsa_accum_offset 4
		.amdhsa_reserve_vcc 0
		.amdhsa_float_round_mode_32 0
		.amdhsa_float_round_mode_16_64 0
		.amdhsa_float_denorm_mode_32 3
		.amdhsa_float_denorm_mode_16_64 3
		.amdhsa_dx10_clamp 1
		.amdhsa_ieee_mode 1
		.amdhsa_fp16_overflow 0
		.amdhsa_tg_split 0
		.amdhsa_exception_fp_ieee_invalid_op 0
		.amdhsa_exception_fp_denorm_src 0
		.amdhsa_exception_fp_ieee_div_zero 0
		.amdhsa_exception_fp_ieee_overflow 0
		.amdhsa_exception_fp_ieee_underflow 0
		.amdhsa_exception_fp_ieee_inexact 0
		.amdhsa_exception_int_div_zero 0
	.end_amdhsa_kernel
	.section	.text._ZN7rocprim17ROCPRIM_400000_NS6detail17trampoline_kernelINS0_14default_configENS1_20scan_config_selectorIN3c107complexIfEEEEZZNS1_9scan_implILNS1_25lookback_scan_determinismE0ELb0ELb0ES3_PKS7_PS7_S7_ZZZN2at6native31launch_logcumsumexp_cuda_kernelERKNSE_10TensorBaseESI_lENKUlvE_clEvENKUlvE2_clEvEUlS7_S7_E_S7_EEDaPvRmT3_T4_T5_mT6_P12ihipStream_tbENKUlT_T0_E_clISt17integral_constantIbLb0EESY_IbLb1EEEEDaSU_SV_EUlSU_E0_NS1_11comp_targetILNS1_3genE3ELNS1_11target_archE908ELNS1_3gpuE7ELNS1_3repE0EEENS1_30default_config_static_selectorELNS0_4arch9wavefront6targetE1EEEvT1_,"axG",@progbits,_ZN7rocprim17ROCPRIM_400000_NS6detail17trampoline_kernelINS0_14default_configENS1_20scan_config_selectorIN3c107complexIfEEEEZZNS1_9scan_implILNS1_25lookback_scan_determinismE0ELb0ELb0ES3_PKS7_PS7_S7_ZZZN2at6native31launch_logcumsumexp_cuda_kernelERKNSE_10TensorBaseESI_lENKUlvE_clEvENKUlvE2_clEvEUlS7_S7_E_S7_EEDaPvRmT3_T4_T5_mT6_P12ihipStream_tbENKUlT_T0_E_clISt17integral_constantIbLb0EESY_IbLb1EEEEDaSU_SV_EUlSU_E0_NS1_11comp_targetILNS1_3genE3ELNS1_11target_archE908ELNS1_3gpuE7ELNS1_3repE0EEENS1_30default_config_static_selectorELNS0_4arch9wavefront6targetE1EEEvT1_,comdat
.Lfunc_end341:
	.size	_ZN7rocprim17ROCPRIM_400000_NS6detail17trampoline_kernelINS0_14default_configENS1_20scan_config_selectorIN3c107complexIfEEEEZZNS1_9scan_implILNS1_25lookback_scan_determinismE0ELb0ELb0ES3_PKS7_PS7_S7_ZZZN2at6native31launch_logcumsumexp_cuda_kernelERKNSE_10TensorBaseESI_lENKUlvE_clEvENKUlvE2_clEvEUlS7_S7_E_S7_EEDaPvRmT3_T4_T5_mT6_P12ihipStream_tbENKUlT_T0_E_clISt17integral_constantIbLb0EESY_IbLb1EEEEDaSU_SV_EUlSU_E0_NS1_11comp_targetILNS1_3genE3ELNS1_11target_archE908ELNS1_3gpuE7ELNS1_3repE0EEENS1_30default_config_static_selectorELNS0_4arch9wavefront6targetE1EEEvT1_, .Lfunc_end341-_ZN7rocprim17ROCPRIM_400000_NS6detail17trampoline_kernelINS0_14default_configENS1_20scan_config_selectorIN3c107complexIfEEEEZZNS1_9scan_implILNS1_25lookback_scan_determinismE0ELb0ELb0ES3_PKS7_PS7_S7_ZZZN2at6native31launch_logcumsumexp_cuda_kernelERKNSE_10TensorBaseESI_lENKUlvE_clEvENKUlvE2_clEvEUlS7_S7_E_S7_EEDaPvRmT3_T4_T5_mT6_P12ihipStream_tbENKUlT_T0_E_clISt17integral_constantIbLb0EESY_IbLb1EEEEDaSU_SV_EUlSU_E0_NS1_11comp_targetILNS1_3genE3ELNS1_11target_archE908ELNS1_3gpuE7ELNS1_3repE0EEENS1_30default_config_static_selectorELNS0_4arch9wavefront6targetE1EEEvT1_
                                        ; -- End function
	.set _ZN7rocprim17ROCPRIM_400000_NS6detail17trampoline_kernelINS0_14default_configENS1_20scan_config_selectorIN3c107complexIfEEEEZZNS1_9scan_implILNS1_25lookback_scan_determinismE0ELb0ELb0ES3_PKS7_PS7_S7_ZZZN2at6native31launch_logcumsumexp_cuda_kernelERKNSE_10TensorBaseESI_lENKUlvE_clEvENKUlvE2_clEvEUlS7_S7_E_S7_EEDaPvRmT3_T4_T5_mT6_P12ihipStream_tbENKUlT_T0_E_clISt17integral_constantIbLb0EESY_IbLb1EEEEDaSU_SV_EUlSU_E0_NS1_11comp_targetILNS1_3genE3ELNS1_11target_archE908ELNS1_3gpuE7ELNS1_3repE0EEENS1_30default_config_static_selectorELNS0_4arch9wavefront6targetE1EEEvT1_.num_vgpr, 0
	.set _ZN7rocprim17ROCPRIM_400000_NS6detail17trampoline_kernelINS0_14default_configENS1_20scan_config_selectorIN3c107complexIfEEEEZZNS1_9scan_implILNS1_25lookback_scan_determinismE0ELb0ELb0ES3_PKS7_PS7_S7_ZZZN2at6native31launch_logcumsumexp_cuda_kernelERKNSE_10TensorBaseESI_lENKUlvE_clEvENKUlvE2_clEvEUlS7_S7_E_S7_EEDaPvRmT3_T4_T5_mT6_P12ihipStream_tbENKUlT_T0_E_clISt17integral_constantIbLb0EESY_IbLb1EEEEDaSU_SV_EUlSU_E0_NS1_11comp_targetILNS1_3genE3ELNS1_11target_archE908ELNS1_3gpuE7ELNS1_3repE0EEENS1_30default_config_static_selectorELNS0_4arch9wavefront6targetE1EEEvT1_.num_agpr, 0
	.set _ZN7rocprim17ROCPRIM_400000_NS6detail17trampoline_kernelINS0_14default_configENS1_20scan_config_selectorIN3c107complexIfEEEEZZNS1_9scan_implILNS1_25lookback_scan_determinismE0ELb0ELb0ES3_PKS7_PS7_S7_ZZZN2at6native31launch_logcumsumexp_cuda_kernelERKNSE_10TensorBaseESI_lENKUlvE_clEvENKUlvE2_clEvEUlS7_S7_E_S7_EEDaPvRmT3_T4_T5_mT6_P12ihipStream_tbENKUlT_T0_E_clISt17integral_constantIbLb0EESY_IbLb1EEEEDaSU_SV_EUlSU_E0_NS1_11comp_targetILNS1_3genE3ELNS1_11target_archE908ELNS1_3gpuE7ELNS1_3repE0EEENS1_30default_config_static_selectorELNS0_4arch9wavefront6targetE1EEEvT1_.numbered_sgpr, 0
	.set _ZN7rocprim17ROCPRIM_400000_NS6detail17trampoline_kernelINS0_14default_configENS1_20scan_config_selectorIN3c107complexIfEEEEZZNS1_9scan_implILNS1_25lookback_scan_determinismE0ELb0ELb0ES3_PKS7_PS7_S7_ZZZN2at6native31launch_logcumsumexp_cuda_kernelERKNSE_10TensorBaseESI_lENKUlvE_clEvENKUlvE2_clEvEUlS7_S7_E_S7_EEDaPvRmT3_T4_T5_mT6_P12ihipStream_tbENKUlT_T0_E_clISt17integral_constantIbLb0EESY_IbLb1EEEEDaSU_SV_EUlSU_E0_NS1_11comp_targetILNS1_3genE3ELNS1_11target_archE908ELNS1_3gpuE7ELNS1_3repE0EEENS1_30default_config_static_selectorELNS0_4arch9wavefront6targetE1EEEvT1_.num_named_barrier, 0
	.set _ZN7rocprim17ROCPRIM_400000_NS6detail17trampoline_kernelINS0_14default_configENS1_20scan_config_selectorIN3c107complexIfEEEEZZNS1_9scan_implILNS1_25lookback_scan_determinismE0ELb0ELb0ES3_PKS7_PS7_S7_ZZZN2at6native31launch_logcumsumexp_cuda_kernelERKNSE_10TensorBaseESI_lENKUlvE_clEvENKUlvE2_clEvEUlS7_S7_E_S7_EEDaPvRmT3_T4_T5_mT6_P12ihipStream_tbENKUlT_T0_E_clISt17integral_constantIbLb0EESY_IbLb1EEEEDaSU_SV_EUlSU_E0_NS1_11comp_targetILNS1_3genE3ELNS1_11target_archE908ELNS1_3gpuE7ELNS1_3repE0EEENS1_30default_config_static_selectorELNS0_4arch9wavefront6targetE1EEEvT1_.private_seg_size, 0
	.set _ZN7rocprim17ROCPRIM_400000_NS6detail17trampoline_kernelINS0_14default_configENS1_20scan_config_selectorIN3c107complexIfEEEEZZNS1_9scan_implILNS1_25lookback_scan_determinismE0ELb0ELb0ES3_PKS7_PS7_S7_ZZZN2at6native31launch_logcumsumexp_cuda_kernelERKNSE_10TensorBaseESI_lENKUlvE_clEvENKUlvE2_clEvEUlS7_S7_E_S7_EEDaPvRmT3_T4_T5_mT6_P12ihipStream_tbENKUlT_T0_E_clISt17integral_constantIbLb0EESY_IbLb1EEEEDaSU_SV_EUlSU_E0_NS1_11comp_targetILNS1_3genE3ELNS1_11target_archE908ELNS1_3gpuE7ELNS1_3repE0EEENS1_30default_config_static_selectorELNS0_4arch9wavefront6targetE1EEEvT1_.uses_vcc, 0
	.set _ZN7rocprim17ROCPRIM_400000_NS6detail17trampoline_kernelINS0_14default_configENS1_20scan_config_selectorIN3c107complexIfEEEEZZNS1_9scan_implILNS1_25lookback_scan_determinismE0ELb0ELb0ES3_PKS7_PS7_S7_ZZZN2at6native31launch_logcumsumexp_cuda_kernelERKNSE_10TensorBaseESI_lENKUlvE_clEvENKUlvE2_clEvEUlS7_S7_E_S7_EEDaPvRmT3_T4_T5_mT6_P12ihipStream_tbENKUlT_T0_E_clISt17integral_constantIbLb0EESY_IbLb1EEEEDaSU_SV_EUlSU_E0_NS1_11comp_targetILNS1_3genE3ELNS1_11target_archE908ELNS1_3gpuE7ELNS1_3repE0EEENS1_30default_config_static_selectorELNS0_4arch9wavefront6targetE1EEEvT1_.uses_flat_scratch, 0
	.set _ZN7rocprim17ROCPRIM_400000_NS6detail17trampoline_kernelINS0_14default_configENS1_20scan_config_selectorIN3c107complexIfEEEEZZNS1_9scan_implILNS1_25lookback_scan_determinismE0ELb0ELb0ES3_PKS7_PS7_S7_ZZZN2at6native31launch_logcumsumexp_cuda_kernelERKNSE_10TensorBaseESI_lENKUlvE_clEvENKUlvE2_clEvEUlS7_S7_E_S7_EEDaPvRmT3_T4_T5_mT6_P12ihipStream_tbENKUlT_T0_E_clISt17integral_constantIbLb0EESY_IbLb1EEEEDaSU_SV_EUlSU_E0_NS1_11comp_targetILNS1_3genE3ELNS1_11target_archE908ELNS1_3gpuE7ELNS1_3repE0EEENS1_30default_config_static_selectorELNS0_4arch9wavefront6targetE1EEEvT1_.has_dyn_sized_stack, 0
	.set _ZN7rocprim17ROCPRIM_400000_NS6detail17trampoline_kernelINS0_14default_configENS1_20scan_config_selectorIN3c107complexIfEEEEZZNS1_9scan_implILNS1_25lookback_scan_determinismE0ELb0ELb0ES3_PKS7_PS7_S7_ZZZN2at6native31launch_logcumsumexp_cuda_kernelERKNSE_10TensorBaseESI_lENKUlvE_clEvENKUlvE2_clEvEUlS7_S7_E_S7_EEDaPvRmT3_T4_T5_mT6_P12ihipStream_tbENKUlT_T0_E_clISt17integral_constantIbLb0EESY_IbLb1EEEEDaSU_SV_EUlSU_E0_NS1_11comp_targetILNS1_3genE3ELNS1_11target_archE908ELNS1_3gpuE7ELNS1_3repE0EEENS1_30default_config_static_selectorELNS0_4arch9wavefront6targetE1EEEvT1_.has_recursion, 0
	.set _ZN7rocprim17ROCPRIM_400000_NS6detail17trampoline_kernelINS0_14default_configENS1_20scan_config_selectorIN3c107complexIfEEEEZZNS1_9scan_implILNS1_25lookback_scan_determinismE0ELb0ELb0ES3_PKS7_PS7_S7_ZZZN2at6native31launch_logcumsumexp_cuda_kernelERKNSE_10TensorBaseESI_lENKUlvE_clEvENKUlvE2_clEvEUlS7_S7_E_S7_EEDaPvRmT3_T4_T5_mT6_P12ihipStream_tbENKUlT_T0_E_clISt17integral_constantIbLb0EESY_IbLb1EEEEDaSU_SV_EUlSU_E0_NS1_11comp_targetILNS1_3genE3ELNS1_11target_archE908ELNS1_3gpuE7ELNS1_3repE0EEENS1_30default_config_static_selectorELNS0_4arch9wavefront6targetE1EEEvT1_.has_indirect_call, 0
	.section	.AMDGPU.csdata,"",@progbits
; Kernel info:
; codeLenInByte = 0
; TotalNumSgprs: 6
; NumVgprs: 0
; NumAgprs: 0
; TotalNumVgprs: 0
; ScratchSize: 0
; MemoryBound: 0
; FloatMode: 240
; IeeeMode: 1
; LDSByteSize: 0 bytes/workgroup (compile time only)
; SGPRBlocks: 0
; VGPRBlocks: 0
; NumSGPRsForWavesPerEU: 6
; NumVGPRsForWavesPerEU: 1
; AccumOffset: 4
; Occupancy: 8
; WaveLimiterHint : 0
; COMPUTE_PGM_RSRC2:SCRATCH_EN: 0
; COMPUTE_PGM_RSRC2:USER_SGPR: 2
; COMPUTE_PGM_RSRC2:TRAP_HANDLER: 0
; COMPUTE_PGM_RSRC2:TGID_X_EN: 1
; COMPUTE_PGM_RSRC2:TGID_Y_EN: 0
; COMPUTE_PGM_RSRC2:TGID_Z_EN: 0
; COMPUTE_PGM_RSRC2:TIDIG_COMP_CNT: 0
; COMPUTE_PGM_RSRC3_GFX90A:ACCUM_OFFSET: 0
; COMPUTE_PGM_RSRC3_GFX90A:TG_SPLIT: 0
	.section	.text._ZN7rocprim17ROCPRIM_400000_NS6detail17trampoline_kernelINS0_14default_configENS1_20scan_config_selectorIN3c107complexIfEEEEZZNS1_9scan_implILNS1_25lookback_scan_determinismE0ELb0ELb0ES3_PKS7_PS7_S7_ZZZN2at6native31launch_logcumsumexp_cuda_kernelERKNSE_10TensorBaseESI_lENKUlvE_clEvENKUlvE2_clEvEUlS7_S7_E_S7_EEDaPvRmT3_T4_T5_mT6_P12ihipStream_tbENKUlT_T0_E_clISt17integral_constantIbLb0EESY_IbLb1EEEEDaSU_SV_EUlSU_E0_NS1_11comp_targetILNS1_3genE2ELNS1_11target_archE906ELNS1_3gpuE6ELNS1_3repE0EEENS1_30default_config_static_selectorELNS0_4arch9wavefront6targetE1EEEvT1_,"axG",@progbits,_ZN7rocprim17ROCPRIM_400000_NS6detail17trampoline_kernelINS0_14default_configENS1_20scan_config_selectorIN3c107complexIfEEEEZZNS1_9scan_implILNS1_25lookback_scan_determinismE0ELb0ELb0ES3_PKS7_PS7_S7_ZZZN2at6native31launch_logcumsumexp_cuda_kernelERKNSE_10TensorBaseESI_lENKUlvE_clEvENKUlvE2_clEvEUlS7_S7_E_S7_EEDaPvRmT3_T4_T5_mT6_P12ihipStream_tbENKUlT_T0_E_clISt17integral_constantIbLb0EESY_IbLb1EEEEDaSU_SV_EUlSU_E0_NS1_11comp_targetILNS1_3genE2ELNS1_11target_archE906ELNS1_3gpuE6ELNS1_3repE0EEENS1_30default_config_static_selectorELNS0_4arch9wavefront6targetE1EEEvT1_,comdat
	.globl	_ZN7rocprim17ROCPRIM_400000_NS6detail17trampoline_kernelINS0_14default_configENS1_20scan_config_selectorIN3c107complexIfEEEEZZNS1_9scan_implILNS1_25lookback_scan_determinismE0ELb0ELb0ES3_PKS7_PS7_S7_ZZZN2at6native31launch_logcumsumexp_cuda_kernelERKNSE_10TensorBaseESI_lENKUlvE_clEvENKUlvE2_clEvEUlS7_S7_E_S7_EEDaPvRmT3_T4_T5_mT6_P12ihipStream_tbENKUlT_T0_E_clISt17integral_constantIbLb0EESY_IbLb1EEEEDaSU_SV_EUlSU_E0_NS1_11comp_targetILNS1_3genE2ELNS1_11target_archE906ELNS1_3gpuE6ELNS1_3repE0EEENS1_30default_config_static_selectorELNS0_4arch9wavefront6targetE1EEEvT1_ ; -- Begin function _ZN7rocprim17ROCPRIM_400000_NS6detail17trampoline_kernelINS0_14default_configENS1_20scan_config_selectorIN3c107complexIfEEEEZZNS1_9scan_implILNS1_25lookback_scan_determinismE0ELb0ELb0ES3_PKS7_PS7_S7_ZZZN2at6native31launch_logcumsumexp_cuda_kernelERKNSE_10TensorBaseESI_lENKUlvE_clEvENKUlvE2_clEvEUlS7_S7_E_S7_EEDaPvRmT3_T4_T5_mT6_P12ihipStream_tbENKUlT_T0_E_clISt17integral_constantIbLb0EESY_IbLb1EEEEDaSU_SV_EUlSU_E0_NS1_11comp_targetILNS1_3genE2ELNS1_11target_archE906ELNS1_3gpuE6ELNS1_3repE0EEENS1_30default_config_static_selectorELNS0_4arch9wavefront6targetE1EEEvT1_
	.p2align	8
	.type	_ZN7rocprim17ROCPRIM_400000_NS6detail17trampoline_kernelINS0_14default_configENS1_20scan_config_selectorIN3c107complexIfEEEEZZNS1_9scan_implILNS1_25lookback_scan_determinismE0ELb0ELb0ES3_PKS7_PS7_S7_ZZZN2at6native31launch_logcumsumexp_cuda_kernelERKNSE_10TensorBaseESI_lENKUlvE_clEvENKUlvE2_clEvEUlS7_S7_E_S7_EEDaPvRmT3_T4_T5_mT6_P12ihipStream_tbENKUlT_T0_E_clISt17integral_constantIbLb0EESY_IbLb1EEEEDaSU_SV_EUlSU_E0_NS1_11comp_targetILNS1_3genE2ELNS1_11target_archE906ELNS1_3gpuE6ELNS1_3repE0EEENS1_30default_config_static_selectorELNS0_4arch9wavefront6targetE1EEEvT1_,@function
_ZN7rocprim17ROCPRIM_400000_NS6detail17trampoline_kernelINS0_14default_configENS1_20scan_config_selectorIN3c107complexIfEEEEZZNS1_9scan_implILNS1_25lookback_scan_determinismE0ELb0ELb0ES3_PKS7_PS7_S7_ZZZN2at6native31launch_logcumsumexp_cuda_kernelERKNSE_10TensorBaseESI_lENKUlvE_clEvENKUlvE2_clEvEUlS7_S7_E_S7_EEDaPvRmT3_T4_T5_mT6_P12ihipStream_tbENKUlT_T0_E_clISt17integral_constantIbLb0EESY_IbLb1EEEEDaSU_SV_EUlSU_E0_NS1_11comp_targetILNS1_3genE2ELNS1_11target_archE906ELNS1_3gpuE6ELNS1_3repE0EEENS1_30default_config_static_selectorELNS0_4arch9wavefront6targetE1EEEvT1_: ; @_ZN7rocprim17ROCPRIM_400000_NS6detail17trampoline_kernelINS0_14default_configENS1_20scan_config_selectorIN3c107complexIfEEEEZZNS1_9scan_implILNS1_25lookback_scan_determinismE0ELb0ELb0ES3_PKS7_PS7_S7_ZZZN2at6native31launch_logcumsumexp_cuda_kernelERKNSE_10TensorBaseESI_lENKUlvE_clEvENKUlvE2_clEvEUlS7_S7_E_S7_EEDaPvRmT3_T4_T5_mT6_P12ihipStream_tbENKUlT_T0_E_clISt17integral_constantIbLb0EESY_IbLb1EEEEDaSU_SV_EUlSU_E0_NS1_11comp_targetILNS1_3genE2ELNS1_11target_archE906ELNS1_3gpuE6ELNS1_3repE0EEENS1_30default_config_static_selectorELNS0_4arch9wavefront6targetE1EEEvT1_
; %bb.0:
	.section	.rodata,"a",@progbits
	.p2align	6, 0x0
	.amdhsa_kernel _ZN7rocprim17ROCPRIM_400000_NS6detail17trampoline_kernelINS0_14default_configENS1_20scan_config_selectorIN3c107complexIfEEEEZZNS1_9scan_implILNS1_25lookback_scan_determinismE0ELb0ELb0ES3_PKS7_PS7_S7_ZZZN2at6native31launch_logcumsumexp_cuda_kernelERKNSE_10TensorBaseESI_lENKUlvE_clEvENKUlvE2_clEvEUlS7_S7_E_S7_EEDaPvRmT3_T4_T5_mT6_P12ihipStream_tbENKUlT_T0_E_clISt17integral_constantIbLb0EESY_IbLb1EEEEDaSU_SV_EUlSU_E0_NS1_11comp_targetILNS1_3genE2ELNS1_11target_archE906ELNS1_3gpuE6ELNS1_3repE0EEENS1_30default_config_static_selectorELNS0_4arch9wavefront6targetE1EEEvT1_
		.amdhsa_group_segment_fixed_size 0
		.amdhsa_private_segment_fixed_size 0
		.amdhsa_kernarg_size 40
		.amdhsa_user_sgpr_count 2
		.amdhsa_user_sgpr_dispatch_ptr 0
		.amdhsa_user_sgpr_queue_ptr 0
		.amdhsa_user_sgpr_kernarg_segment_ptr 1
		.amdhsa_user_sgpr_dispatch_id 0
		.amdhsa_user_sgpr_kernarg_preload_length 0
		.amdhsa_user_sgpr_kernarg_preload_offset 0
		.amdhsa_user_sgpr_private_segment_size 0
		.amdhsa_uses_dynamic_stack 0
		.amdhsa_enable_private_segment 0
		.amdhsa_system_sgpr_workgroup_id_x 1
		.amdhsa_system_sgpr_workgroup_id_y 0
		.amdhsa_system_sgpr_workgroup_id_z 0
		.amdhsa_system_sgpr_workgroup_info 0
		.amdhsa_system_vgpr_workitem_id 0
		.amdhsa_next_free_vgpr 1
		.amdhsa_next_free_sgpr 0
		.amdhsa_accum_offset 4
		.amdhsa_reserve_vcc 0
		.amdhsa_float_round_mode_32 0
		.amdhsa_float_round_mode_16_64 0
		.amdhsa_float_denorm_mode_32 3
		.amdhsa_float_denorm_mode_16_64 3
		.amdhsa_dx10_clamp 1
		.amdhsa_ieee_mode 1
		.amdhsa_fp16_overflow 0
		.amdhsa_tg_split 0
		.amdhsa_exception_fp_ieee_invalid_op 0
		.amdhsa_exception_fp_denorm_src 0
		.amdhsa_exception_fp_ieee_div_zero 0
		.amdhsa_exception_fp_ieee_overflow 0
		.amdhsa_exception_fp_ieee_underflow 0
		.amdhsa_exception_fp_ieee_inexact 0
		.amdhsa_exception_int_div_zero 0
	.end_amdhsa_kernel
	.section	.text._ZN7rocprim17ROCPRIM_400000_NS6detail17trampoline_kernelINS0_14default_configENS1_20scan_config_selectorIN3c107complexIfEEEEZZNS1_9scan_implILNS1_25lookback_scan_determinismE0ELb0ELb0ES3_PKS7_PS7_S7_ZZZN2at6native31launch_logcumsumexp_cuda_kernelERKNSE_10TensorBaseESI_lENKUlvE_clEvENKUlvE2_clEvEUlS7_S7_E_S7_EEDaPvRmT3_T4_T5_mT6_P12ihipStream_tbENKUlT_T0_E_clISt17integral_constantIbLb0EESY_IbLb1EEEEDaSU_SV_EUlSU_E0_NS1_11comp_targetILNS1_3genE2ELNS1_11target_archE906ELNS1_3gpuE6ELNS1_3repE0EEENS1_30default_config_static_selectorELNS0_4arch9wavefront6targetE1EEEvT1_,"axG",@progbits,_ZN7rocprim17ROCPRIM_400000_NS6detail17trampoline_kernelINS0_14default_configENS1_20scan_config_selectorIN3c107complexIfEEEEZZNS1_9scan_implILNS1_25lookback_scan_determinismE0ELb0ELb0ES3_PKS7_PS7_S7_ZZZN2at6native31launch_logcumsumexp_cuda_kernelERKNSE_10TensorBaseESI_lENKUlvE_clEvENKUlvE2_clEvEUlS7_S7_E_S7_EEDaPvRmT3_T4_T5_mT6_P12ihipStream_tbENKUlT_T0_E_clISt17integral_constantIbLb0EESY_IbLb1EEEEDaSU_SV_EUlSU_E0_NS1_11comp_targetILNS1_3genE2ELNS1_11target_archE906ELNS1_3gpuE6ELNS1_3repE0EEENS1_30default_config_static_selectorELNS0_4arch9wavefront6targetE1EEEvT1_,comdat
.Lfunc_end342:
	.size	_ZN7rocprim17ROCPRIM_400000_NS6detail17trampoline_kernelINS0_14default_configENS1_20scan_config_selectorIN3c107complexIfEEEEZZNS1_9scan_implILNS1_25lookback_scan_determinismE0ELb0ELb0ES3_PKS7_PS7_S7_ZZZN2at6native31launch_logcumsumexp_cuda_kernelERKNSE_10TensorBaseESI_lENKUlvE_clEvENKUlvE2_clEvEUlS7_S7_E_S7_EEDaPvRmT3_T4_T5_mT6_P12ihipStream_tbENKUlT_T0_E_clISt17integral_constantIbLb0EESY_IbLb1EEEEDaSU_SV_EUlSU_E0_NS1_11comp_targetILNS1_3genE2ELNS1_11target_archE906ELNS1_3gpuE6ELNS1_3repE0EEENS1_30default_config_static_selectorELNS0_4arch9wavefront6targetE1EEEvT1_, .Lfunc_end342-_ZN7rocprim17ROCPRIM_400000_NS6detail17trampoline_kernelINS0_14default_configENS1_20scan_config_selectorIN3c107complexIfEEEEZZNS1_9scan_implILNS1_25lookback_scan_determinismE0ELb0ELb0ES3_PKS7_PS7_S7_ZZZN2at6native31launch_logcumsumexp_cuda_kernelERKNSE_10TensorBaseESI_lENKUlvE_clEvENKUlvE2_clEvEUlS7_S7_E_S7_EEDaPvRmT3_T4_T5_mT6_P12ihipStream_tbENKUlT_T0_E_clISt17integral_constantIbLb0EESY_IbLb1EEEEDaSU_SV_EUlSU_E0_NS1_11comp_targetILNS1_3genE2ELNS1_11target_archE906ELNS1_3gpuE6ELNS1_3repE0EEENS1_30default_config_static_selectorELNS0_4arch9wavefront6targetE1EEEvT1_
                                        ; -- End function
	.set _ZN7rocprim17ROCPRIM_400000_NS6detail17trampoline_kernelINS0_14default_configENS1_20scan_config_selectorIN3c107complexIfEEEEZZNS1_9scan_implILNS1_25lookback_scan_determinismE0ELb0ELb0ES3_PKS7_PS7_S7_ZZZN2at6native31launch_logcumsumexp_cuda_kernelERKNSE_10TensorBaseESI_lENKUlvE_clEvENKUlvE2_clEvEUlS7_S7_E_S7_EEDaPvRmT3_T4_T5_mT6_P12ihipStream_tbENKUlT_T0_E_clISt17integral_constantIbLb0EESY_IbLb1EEEEDaSU_SV_EUlSU_E0_NS1_11comp_targetILNS1_3genE2ELNS1_11target_archE906ELNS1_3gpuE6ELNS1_3repE0EEENS1_30default_config_static_selectorELNS0_4arch9wavefront6targetE1EEEvT1_.num_vgpr, 0
	.set _ZN7rocprim17ROCPRIM_400000_NS6detail17trampoline_kernelINS0_14default_configENS1_20scan_config_selectorIN3c107complexIfEEEEZZNS1_9scan_implILNS1_25lookback_scan_determinismE0ELb0ELb0ES3_PKS7_PS7_S7_ZZZN2at6native31launch_logcumsumexp_cuda_kernelERKNSE_10TensorBaseESI_lENKUlvE_clEvENKUlvE2_clEvEUlS7_S7_E_S7_EEDaPvRmT3_T4_T5_mT6_P12ihipStream_tbENKUlT_T0_E_clISt17integral_constantIbLb0EESY_IbLb1EEEEDaSU_SV_EUlSU_E0_NS1_11comp_targetILNS1_3genE2ELNS1_11target_archE906ELNS1_3gpuE6ELNS1_3repE0EEENS1_30default_config_static_selectorELNS0_4arch9wavefront6targetE1EEEvT1_.num_agpr, 0
	.set _ZN7rocprim17ROCPRIM_400000_NS6detail17trampoline_kernelINS0_14default_configENS1_20scan_config_selectorIN3c107complexIfEEEEZZNS1_9scan_implILNS1_25lookback_scan_determinismE0ELb0ELb0ES3_PKS7_PS7_S7_ZZZN2at6native31launch_logcumsumexp_cuda_kernelERKNSE_10TensorBaseESI_lENKUlvE_clEvENKUlvE2_clEvEUlS7_S7_E_S7_EEDaPvRmT3_T4_T5_mT6_P12ihipStream_tbENKUlT_T0_E_clISt17integral_constantIbLb0EESY_IbLb1EEEEDaSU_SV_EUlSU_E0_NS1_11comp_targetILNS1_3genE2ELNS1_11target_archE906ELNS1_3gpuE6ELNS1_3repE0EEENS1_30default_config_static_selectorELNS0_4arch9wavefront6targetE1EEEvT1_.numbered_sgpr, 0
	.set _ZN7rocprim17ROCPRIM_400000_NS6detail17trampoline_kernelINS0_14default_configENS1_20scan_config_selectorIN3c107complexIfEEEEZZNS1_9scan_implILNS1_25lookback_scan_determinismE0ELb0ELb0ES3_PKS7_PS7_S7_ZZZN2at6native31launch_logcumsumexp_cuda_kernelERKNSE_10TensorBaseESI_lENKUlvE_clEvENKUlvE2_clEvEUlS7_S7_E_S7_EEDaPvRmT3_T4_T5_mT6_P12ihipStream_tbENKUlT_T0_E_clISt17integral_constantIbLb0EESY_IbLb1EEEEDaSU_SV_EUlSU_E0_NS1_11comp_targetILNS1_3genE2ELNS1_11target_archE906ELNS1_3gpuE6ELNS1_3repE0EEENS1_30default_config_static_selectorELNS0_4arch9wavefront6targetE1EEEvT1_.num_named_barrier, 0
	.set _ZN7rocprim17ROCPRIM_400000_NS6detail17trampoline_kernelINS0_14default_configENS1_20scan_config_selectorIN3c107complexIfEEEEZZNS1_9scan_implILNS1_25lookback_scan_determinismE0ELb0ELb0ES3_PKS7_PS7_S7_ZZZN2at6native31launch_logcumsumexp_cuda_kernelERKNSE_10TensorBaseESI_lENKUlvE_clEvENKUlvE2_clEvEUlS7_S7_E_S7_EEDaPvRmT3_T4_T5_mT6_P12ihipStream_tbENKUlT_T0_E_clISt17integral_constantIbLb0EESY_IbLb1EEEEDaSU_SV_EUlSU_E0_NS1_11comp_targetILNS1_3genE2ELNS1_11target_archE906ELNS1_3gpuE6ELNS1_3repE0EEENS1_30default_config_static_selectorELNS0_4arch9wavefront6targetE1EEEvT1_.private_seg_size, 0
	.set _ZN7rocprim17ROCPRIM_400000_NS6detail17trampoline_kernelINS0_14default_configENS1_20scan_config_selectorIN3c107complexIfEEEEZZNS1_9scan_implILNS1_25lookback_scan_determinismE0ELb0ELb0ES3_PKS7_PS7_S7_ZZZN2at6native31launch_logcumsumexp_cuda_kernelERKNSE_10TensorBaseESI_lENKUlvE_clEvENKUlvE2_clEvEUlS7_S7_E_S7_EEDaPvRmT3_T4_T5_mT6_P12ihipStream_tbENKUlT_T0_E_clISt17integral_constantIbLb0EESY_IbLb1EEEEDaSU_SV_EUlSU_E0_NS1_11comp_targetILNS1_3genE2ELNS1_11target_archE906ELNS1_3gpuE6ELNS1_3repE0EEENS1_30default_config_static_selectorELNS0_4arch9wavefront6targetE1EEEvT1_.uses_vcc, 0
	.set _ZN7rocprim17ROCPRIM_400000_NS6detail17trampoline_kernelINS0_14default_configENS1_20scan_config_selectorIN3c107complexIfEEEEZZNS1_9scan_implILNS1_25lookback_scan_determinismE0ELb0ELb0ES3_PKS7_PS7_S7_ZZZN2at6native31launch_logcumsumexp_cuda_kernelERKNSE_10TensorBaseESI_lENKUlvE_clEvENKUlvE2_clEvEUlS7_S7_E_S7_EEDaPvRmT3_T4_T5_mT6_P12ihipStream_tbENKUlT_T0_E_clISt17integral_constantIbLb0EESY_IbLb1EEEEDaSU_SV_EUlSU_E0_NS1_11comp_targetILNS1_3genE2ELNS1_11target_archE906ELNS1_3gpuE6ELNS1_3repE0EEENS1_30default_config_static_selectorELNS0_4arch9wavefront6targetE1EEEvT1_.uses_flat_scratch, 0
	.set _ZN7rocprim17ROCPRIM_400000_NS6detail17trampoline_kernelINS0_14default_configENS1_20scan_config_selectorIN3c107complexIfEEEEZZNS1_9scan_implILNS1_25lookback_scan_determinismE0ELb0ELb0ES3_PKS7_PS7_S7_ZZZN2at6native31launch_logcumsumexp_cuda_kernelERKNSE_10TensorBaseESI_lENKUlvE_clEvENKUlvE2_clEvEUlS7_S7_E_S7_EEDaPvRmT3_T4_T5_mT6_P12ihipStream_tbENKUlT_T0_E_clISt17integral_constantIbLb0EESY_IbLb1EEEEDaSU_SV_EUlSU_E0_NS1_11comp_targetILNS1_3genE2ELNS1_11target_archE906ELNS1_3gpuE6ELNS1_3repE0EEENS1_30default_config_static_selectorELNS0_4arch9wavefront6targetE1EEEvT1_.has_dyn_sized_stack, 0
	.set _ZN7rocprim17ROCPRIM_400000_NS6detail17trampoline_kernelINS0_14default_configENS1_20scan_config_selectorIN3c107complexIfEEEEZZNS1_9scan_implILNS1_25lookback_scan_determinismE0ELb0ELb0ES3_PKS7_PS7_S7_ZZZN2at6native31launch_logcumsumexp_cuda_kernelERKNSE_10TensorBaseESI_lENKUlvE_clEvENKUlvE2_clEvEUlS7_S7_E_S7_EEDaPvRmT3_T4_T5_mT6_P12ihipStream_tbENKUlT_T0_E_clISt17integral_constantIbLb0EESY_IbLb1EEEEDaSU_SV_EUlSU_E0_NS1_11comp_targetILNS1_3genE2ELNS1_11target_archE906ELNS1_3gpuE6ELNS1_3repE0EEENS1_30default_config_static_selectorELNS0_4arch9wavefront6targetE1EEEvT1_.has_recursion, 0
	.set _ZN7rocprim17ROCPRIM_400000_NS6detail17trampoline_kernelINS0_14default_configENS1_20scan_config_selectorIN3c107complexIfEEEEZZNS1_9scan_implILNS1_25lookback_scan_determinismE0ELb0ELb0ES3_PKS7_PS7_S7_ZZZN2at6native31launch_logcumsumexp_cuda_kernelERKNSE_10TensorBaseESI_lENKUlvE_clEvENKUlvE2_clEvEUlS7_S7_E_S7_EEDaPvRmT3_T4_T5_mT6_P12ihipStream_tbENKUlT_T0_E_clISt17integral_constantIbLb0EESY_IbLb1EEEEDaSU_SV_EUlSU_E0_NS1_11comp_targetILNS1_3genE2ELNS1_11target_archE906ELNS1_3gpuE6ELNS1_3repE0EEENS1_30default_config_static_selectorELNS0_4arch9wavefront6targetE1EEEvT1_.has_indirect_call, 0
	.section	.AMDGPU.csdata,"",@progbits
; Kernel info:
; codeLenInByte = 0
; TotalNumSgprs: 6
; NumVgprs: 0
; NumAgprs: 0
; TotalNumVgprs: 0
; ScratchSize: 0
; MemoryBound: 0
; FloatMode: 240
; IeeeMode: 1
; LDSByteSize: 0 bytes/workgroup (compile time only)
; SGPRBlocks: 0
; VGPRBlocks: 0
; NumSGPRsForWavesPerEU: 6
; NumVGPRsForWavesPerEU: 1
; AccumOffset: 4
; Occupancy: 8
; WaveLimiterHint : 0
; COMPUTE_PGM_RSRC2:SCRATCH_EN: 0
; COMPUTE_PGM_RSRC2:USER_SGPR: 2
; COMPUTE_PGM_RSRC2:TRAP_HANDLER: 0
; COMPUTE_PGM_RSRC2:TGID_X_EN: 1
; COMPUTE_PGM_RSRC2:TGID_Y_EN: 0
; COMPUTE_PGM_RSRC2:TGID_Z_EN: 0
; COMPUTE_PGM_RSRC2:TIDIG_COMP_CNT: 0
; COMPUTE_PGM_RSRC3_GFX90A:ACCUM_OFFSET: 0
; COMPUTE_PGM_RSRC3_GFX90A:TG_SPLIT: 0
	.section	.text._ZN7rocprim17ROCPRIM_400000_NS6detail17trampoline_kernelINS0_14default_configENS1_20scan_config_selectorIN3c107complexIfEEEEZZNS1_9scan_implILNS1_25lookback_scan_determinismE0ELb0ELb0ES3_PKS7_PS7_S7_ZZZN2at6native31launch_logcumsumexp_cuda_kernelERKNSE_10TensorBaseESI_lENKUlvE_clEvENKUlvE2_clEvEUlS7_S7_E_S7_EEDaPvRmT3_T4_T5_mT6_P12ihipStream_tbENKUlT_T0_E_clISt17integral_constantIbLb0EESY_IbLb1EEEEDaSU_SV_EUlSU_E0_NS1_11comp_targetILNS1_3genE10ELNS1_11target_archE1201ELNS1_3gpuE5ELNS1_3repE0EEENS1_30default_config_static_selectorELNS0_4arch9wavefront6targetE1EEEvT1_,"axG",@progbits,_ZN7rocprim17ROCPRIM_400000_NS6detail17trampoline_kernelINS0_14default_configENS1_20scan_config_selectorIN3c107complexIfEEEEZZNS1_9scan_implILNS1_25lookback_scan_determinismE0ELb0ELb0ES3_PKS7_PS7_S7_ZZZN2at6native31launch_logcumsumexp_cuda_kernelERKNSE_10TensorBaseESI_lENKUlvE_clEvENKUlvE2_clEvEUlS7_S7_E_S7_EEDaPvRmT3_T4_T5_mT6_P12ihipStream_tbENKUlT_T0_E_clISt17integral_constantIbLb0EESY_IbLb1EEEEDaSU_SV_EUlSU_E0_NS1_11comp_targetILNS1_3genE10ELNS1_11target_archE1201ELNS1_3gpuE5ELNS1_3repE0EEENS1_30default_config_static_selectorELNS0_4arch9wavefront6targetE1EEEvT1_,comdat
	.globl	_ZN7rocprim17ROCPRIM_400000_NS6detail17trampoline_kernelINS0_14default_configENS1_20scan_config_selectorIN3c107complexIfEEEEZZNS1_9scan_implILNS1_25lookback_scan_determinismE0ELb0ELb0ES3_PKS7_PS7_S7_ZZZN2at6native31launch_logcumsumexp_cuda_kernelERKNSE_10TensorBaseESI_lENKUlvE_clEvENKUlvE2_clEvEUlS7_S7_E_S7_EEDaPvRmT3_T4_T5_mT6_P12ihipStream_tbENKUlT_T0_E_clISt17integral_constantIbLb0EESY_IbLb1EEEEDaSU_SV_EUlSU_E0_NS1_11comp_targetILNS1_3genE10ELNS1_11target_archE1201ELNS1_3gpuE5ELNS1_3repE0EEENS1_30default_config_static_selectorELNS0_4arch9wavefront6targetE1EEEvT1_ ; -- Begin function _ZN7rocprim17ROCPRIM_400000_NS6detail17trampoline_kernelINS0_14default_configENS1_20scan_config_selectorIN3c107complexIfEEEEZZNS1_9scan_implILNS1_25lookback_scan_determinismE0ELb0ELb0ES3_PKS7_PS7_S7_ZZZN2at6native31launch_logcumsumexp_cuda_kernelERKNSE_10TensorBaseESI_lENKUlvE_clEvENKUlvE2_clEvEUlS7_S7_E_S7_EEDaPvRmT3_T4_T5_mT6_P12ihipStream_tbENKUlT_T0_E_clISt17integral_constantIbLb0EESY_IbLb1EEEEDaSU_SV_EUlSU_E0_NS1_11comp_targetILNS1_3genE10ELNS1_11target_archE1201ELNS1_3gpuE5ELNS1_3repE0EEENS1_30default_config_static_selectorELNS0_4arch9wavefront6targetE1EEEvT1_
	.p2align	8
	.type	_ZN7rocprim17ROCPRIM_400000_NS6detail17trampoline_kernelINS0_14default_configENS1_20scan_config_selectorIN3c107complexIfEEEEZZNS1_9scan_implILNS1_25lookback_scan_determinismE0ELb0ELb0ES3_PKS7_PS7_S7_ZZZN2at6native31launch_logcumsumexp_cuda_kernelERKNSE_10TensorBaseESI_lENKUlvE_clEvENKUlvE2_clEvEUlS7_S7_E_S7_EEDaPvRmT3_T4_T5_mT6_P12ihipStream_tbENKUlT_T0_E_clISt17integral_constantIbLb0EESY_IbLb1EEEEDaSU_SV_EUlSU_E0_NS1_11comp_targetILNS1_3genE10ELNS1_11target_archE1201ELNS1_3gpuE5ELNS1_3repE0EEENS1_30default_config_static_selectorELNS0_4arch9wavefront6targetE1EEEvT1_,@function
_ZN7rocprim17ROCPRIM_400000_NS6detail17trampoline_kernelINS0_14default_configENS1_20scan_config_selectorIN3c107complexIfEEEEZZNS1_9scan_implILNS1_25lookback_scan_determinismE0ELb0ELb0ES3_PKS7_PS7_S7_ZZZN2at6native31launch_logcumsumexp_cuda_kernelERKNSE_10TensorBaseESI_lENKUlvE_clEvENKUlvE2_clEvEUlS7_S7_E_S7_EEDaPvRmT3_T4_T5_mT6_P12ihipStream_tbENKUlT_T0_E_clISt17integral_constantIbLb0EESY_IbLb1EEEEDaSU_SV_EUlSU_E0_NS1_11comp_targetILNS1_3genE10ELNS1_11target_archE1201ELNS1_3gpuE5ELNS1_3repE0EEENS1_30default_config_static_selectorELNS0_4arch9wavefront6targetE1EEEvT1_: ; @_ZN7rocprim17ROCPRIM_400000_NS6detail17trampoline_kernelINS0_14default_configENS1_20scan_config_selectorIN3c107complexIfEEEEZZNS1_9scan_implILNS1_25lookback_scan_determinismE0ELb0ELb0ES3_PKS7_PS7_S7_ZZZN2at6native31launch_logcumsumexp_cuda_kernelERKNSE_10TensorBaseESI_lENKUlvE_clEvENKUlvE2_clEvEUlS7_S7_E_S7_EEDaPvRmT3_T4_T5_mT6_P12ihipStream_tbENKUlT_T0_E_clISt17integral_constantIbLb0EESY_IbLb1EEEEDaSU_SV_EUlSU_E0_NS1_11comp_targetILNS1_3genE10ELNS1_11target_archE1201ELNS1_3gpuE5ELNS1_3repE0EEENS1_30default_config_static_selectorELNS0_4arch9wavefront6targetE1EEEvT1_
; %bb.0:
	.section	.rodata,"a",@progbits
	.p2align	6, 0x0
	.amdhsa_kernel _ZN7rocprim17ROCPRIM_400000_NS6detail17trampoline_kernelINS0_14default_configENS1_20scan_config_selectorIN3c107complexIfEEEEZZNS1_9scan_implILNS1_25lookback_scan_determinismE0ELb0ELb0ES3_PKS7_PS7_S7_ZZZN2at6native31launch_logcumsumexp_cuda_kernelERKNSE_10TensorBaseESI_lENKUlvE_clEvENKUlvE2_clEvEUlS7_S7_E_S7_EEDaPvRmT3_T4_T5_mT6_P12ihipStream_tbENKUlT_T0_E_clISt17integral_constantIbLb0EESY_IbLb1EEEEDaSU_SV_EUlSU_E0_NS1_11comp_targetILNS1_3genE10ELNS1_11target_archE1201ELNS1_3gpuE5ELNS1_3repE0EEENS1_30default_config_static_selectorELNS0_4arch9wavefront6targetE1EEEvT1_
		.amdhsa_group_segment_fixed_size 0
		.amdhsa_private_segment_fixed_size 0
		.amdhsa_kernarg_size 40
		.amdhsa_user_sgpr_count 2
		.amdhsa_user_sgpr_dispatch_ptr 0
		.amdhsa_user_sgpr_queue_ptr 0
		.amdhsa_user_sgpr_kernarg_segment_ptr 1
		.amdhsa_user_sgpr_dispatch_id 0
		.amdhsa_user_sgpr_kernarg_preload_length 0
		.amdhsa_user_sgpr_kernarg_preload_offset 0
		.amdhsa_user_sgpr_private_segment_size 0
		.amdhsa_uses_dynamic_stack 0
		.amdhsa_enable_private_segment 0
		.amdhsa_system_sgpr_workgroup_id_x 1
		.amdhsa_system_sgpr_workgroup_id_y 0
		.amdhsa_system_sgpr_workgroup_id_z 0
		.amdhsa_system_sgpr_workgroup_info 0
		.amdhsa_system_vgpr_workitem_id 0
		.amdhsa_next_free_vgpr 1
		.amdhsa_next_free_sgpr 0
		.amdhsa_accum_offset 4
		.amdhsa_reserve_vcc 0
		.amdhsa_float_round_mode_32 0
		.amdhsa_float_round_mode_16_64 0
		.amdhsa_float_denorm_mode_32 3
		.amdhsa_float_denorm_mode_16_64 3
		.amdhsa_dx10_clamp 1
		.amdhsa_ieee_mode 1
		.amdhsa_fp16_overflow 0
		.amdhsa_tg_split 0
		.amdhsa_exception_fp_ieee_invalid_op 0
		.amdhsa_exception_fp_denorm_src 0
		.amdhsa_exception_fp_ieee_div_zero 0
		.amdhsa_exception_fp_ieee_overflow 0
		.amdhsa_exception_fp_ieee_underflow 0
		.amdhsa_exception_fp_ieee_inexact 0
		.amdhsa_exception_int_div_zero 0
	.end_amdhsa_kernel
	.section	.text._ZN7rocprim17ROCPRIM_400000_NS6detail17trampoline_kernelINS0_14default_configENS1_20scan_config_selectorIN3c107complexIfEEEEZZNS1_9scan_implILNS1_25lookback_scan_determinismE0ELb0ELb0ES3_PKS7_PS7_S7_ZZZN2at6native31launch_logcumsumexp_cuda_kernelERKNSE_10TensorBaseESI_lENKUlvE_clEvENKUlvE2_clEvEUlS7_S7_E_S7_EEDaPvRmT3_T4_T5_mT6_P12ihipStream_tbENKUlT_T0_E_clISt17integral_constantIbLb0EESY_IbLb1EEEEDaSU_SV_EUlSU_E0_NS1_11comp_targetILNS1_3genE10ELNS1_11target_archE1201ELNS1_3gpuE5ELNS1_3repE0EEENS1_30default_config_static_selectorELNS0_4arch9wavefront6targetE1EEEvT1_,"axG",@progbits,_ZN7rocprim17ROCPRIM_400000_NS6detail17trampoline_kernelINS0_14default_configENS1_20scan_config_selectorIN3c107complexIfEEEEZZNS1_9scan_implILNS1_25lookback_scan_determinismE0ELb0ELb0ES3_PKS7_PS7_S7_ZZZN2at6native31launch_logcumsumexp_cuda_kernelERKNSE_10TensorBaseESI_lENKUlvE_clEvENKUlvE2_clEvEUlS7_S7_E_S7_EEDaPvRmT3_T4_T5_mT6_P12ihipStream_tbENKUlT_T0_E_clISt17integral_constantIbLb0EESY_IbLb1EEEEDaSU_SV_EUlSU_E0_NS1_11comp_targetILNS1_3genE10ELNS1_11target_archE1201ELNS1_3gpuE5ELNS1_3repE0EEENS1_30default_config_static_selectorELNS0_4arch9wavefront6targetE1EEEvT1_,comdat
.Lfunc_end343:
	.size	_ZN7rocprim17ROCPRIM_400000_NS6detail17trampoline_kernelINS0_14default_configENS1_20scan_config_selectorIN3c107complexIfEEEEZZNS1_9scan_implILNS1_25lookback_scan_determinismE0ELb0ELb0ES3_PKS7_PS7_S7_ZZZN2at6native31launch_logcumsumexp_cuda_kernelERKNSE_10TensorBaseESI_lENKUlvE_clEvENKUlvE2_clEvEUlS7_S7_E_S7_EEDaPvRmT3_T4_T5_mT6_P12ihipStream_tbENKUlT_T0_E_clISt17integral_constantIbLb0EESY_IbLb1EEEEDaSU_SV_EUlSU_E0_NS1_11comp_targetILNS1_3genE10ELNS1_11target_archE1201ELNS1_3gpuE5ELNS1_3repE0EEENS1_30default_config_static_selectorELNS0_4arch9wavefront6targetE1EEEvT1_, .Lfunc_end343-_ZN7rocprim17ROCPRIM_400000_NS6detail17trampoline_kernelINS0_14default_configENS1_20scan_config_selectorIN3c107complexIfEEEEZZNS1_9scan_implILNS1_25lookback_scan_determinismE0ELb0ELb0ES3_PKS7_PS7_S7_ZZZN2at6native31launch_logcumsumexp_cuda_kernelERKNSE_10TensorBaseESI_lENKUlvE_clEvENKUlvE2_clEvEUlS7_S7_E_S7_EEDaPvRmT3_T4_T5_mT6_P12ihipStream_tbENKUlT_T0_E_clISt17integral_constantIbLb0EESY_IbLb1EEEEDaSU_SV_EUlSU_E0_NS1_11comp_targetILNS1_3genE10ELNS1_11target_archE1201ELNS1_3gpuE5ELNS1_3repE0EEENS1_30default_config_static_selectorELNS0_4arch9wavefront6targetE1EEEvT1_
                                        ; -- End function
	.set _ZN7rocprim17ROCPRIM_400000_NS6detail17trampoline_kernelINS0_14default_configENS1_20scan_config_selectorIN3c107complexIfEEEEZZNS1_9scan_implILNS1_25lookback_scan_determinismE0ELb0ELb0ES3_PKS7_PS7_S7_ZZZN2at6native31launch_logcumsumexp_cuda_kernelERKNSE_10TensorBaseESI_lENKUlvE_clEvENKUlvE2_clEvEUlS7_S7_E_S7_EEDaPvRmT3_T4_T5_mT6_P12ihipStream_tbENKUlT_T0_E_clISt17integral_constantIbLb0EESY_IbLb1EEEEDaSU_SV_EUlSU_E0_NS1_11comp_targetILNS1_3genE10ELNS1_11target_archE1201ELNS1_3gpuE5ELNS1_3repE0EEENS1_30default_config_static_selectorELNS0_4arch9wavefront6targetE1EEEvT1_.num_vgpr, 0
	.set _ZN7rocprim17ROCPRIM_400000_NS6detail17trampoline_kernelINS0_14default_configENS1_20scan_config_selectorIN3c107complexIfEEEEZZNS1_9scan_implILNS1_25lookback_scan_determinismE0ELb0ELb0ES3_PKS7_PS7_S7_ZZZN2at6native31launch_logcumsumexp_cuda_kernelERKNSE_10TensorBaseESI_lENKUlvE_clEvENKUlvE2_clEvEUlS7_S7_E_S7_EEDaPvRmT3_T4_T5_mT6_P12ihipStream_tbENKUlT_T0_E_clISt17integral_constantIbLb0EESY_IbLb1EEEEDaSU_SV_EUlSU_E0_NS1_11comp_targetILNS1_3genE10ELNS1_11target_archE1201ELNS1_3gpuE5ELNS1_3repE0EEENS1_30default_config_static_selectorELNS0_4arch9wavefront6targetE1EEEvT1_.num_agpr, 0
	.set _ZN7rocprim17ROCPRIM_400000_NS6detail17trampoline_kernelINS0_14default_configENS1_20scan_config_selectorIN3c107complexIfEEEEZZNS1_9scan_implILNS1_25lookback_scan_determinismE0ELb0ELb0ES3_PKS7_PS7_S7_ZZZN2at6native31launch_logcumsumexp_cuda_kernelERKNSE_10TensorBaseESI_lENKUlvE_clEvENKUlvE2_clEvEUlS7_S7_E_S7_EEDaPvRmT3_T4_T5_mT6_P12ihipStream_tbENKUlT_T0_E_clISt17integral_constantIbLb0EESY_IbLb1EEEEDaSU_SV_EUlSU_E0_NS1_11comp_targetILNS1_3genE10ELNS1_11target_archE1201ELNS1_3gpuE5ELNS1_3repE0EEENS1_30default_config_static_selectorELNS0_4arch9wavefront6targetE1EEEvT1_.numbered_sgpr, 0
	.set _ZN7rocprim17ROCPRIM_400000_NS6detail17trampoline_kernelINS0_14default_configENS1_20scan_config_selectorIN3c107complexIfEEEEZZNS1_9scan_implILNS1_25lookback_scan_determinismE0ELb0ELb0ES3_PKS7_PS7_S7_ZZZN2at6native31launch_logcumsumexp_cuda_kernelERKNSE_10TensorBaseESI_lENKUlvE_clEvENKUlvE2_clEvEUlS7_S7_E_S7_EEDaPvRmT3_T4_T5_mT6_P12ihipStream_tbENKUlT_T0_E_clISt17integral_constantIbLb0EESY_IbLb1EEEEDaSU_SV_EUlSU_E0_NS1_11comp_targetILNS1_3genE10ELNS1_11target_archE1201ELNS1_3gpuE5ELNS1_3repE0EEENS1_30default_config_static_selectorELNS0_4arch9wavefront6targetE1EEEvT1_.num_named_barrier, 0
	.set _ZN7rocprim17ROCPRIM_400000_NS6detail17trampoline_kernelINS0_14default_configENS1_20scan_config_selectorIN3c107complexIfEEEEZZNS1_9scan_implILNS1_25lookback_scan_determinismE0ELb0ELb0ES3_PKS7_PS7_S7_ZZZN2at6native31launch_logcumsumexp_cuda_kernelERKNSE_10TensorBaseESI_lENKUlvE_clEvENKUlvE2_clEvEUlS7_S7_E_S7_EEDaPvRmT3_T4_T5_mT6_P12ihipStream_tbENKUlT_T0_E_clISt17integral_constantIbLb0EESY_IbLb1EEEEDaSU_SV_EUlSU_E0_NS1_11comp_targetILNS1_3genE10ELNS1_11target_archE1201ELNS1_3gpuE5ELNS1_3repE0EEENS1_30default_config_static_selectorELNS0_4arch9wavefront6targetE1EEEvT1_.private_seg_size, 0
	.set _ZN7rocprim17ROCPRIM_400000_NS6detail17trampoline_kernelINS0_14default_configENS1_20scan_config_selectorIN3c107complexIfEEEEZZNS1_9scan_implILNS1_25lookback_scan_determinismE0ELb0ELb0ES3_PKS7_PS7_S7_ZZZN2at6native31launch_logcumsumexp_cuda_kernelERKNSE_10TensorBaseESI_lENKUlvE_clEvENKUlvE2_clEvEUlS7_S7_E_S7_EEDaPvRmT3_T4_T5_mT6_P12ihipStream_tbENKUlT_T0_E_clISt17integral_constantIbLb0EESY_IbLb1EEEEDaSU_SV_EUlSU_E0_NS1_11comp_targetILNS1_3genE10ELNS1_11target_archE1201ELNS1_3gpuE5ELNS1_3repE0EEENS1_30default_config_static_selectorELNS0_4arch9wavefront6targetE1EEEvT1_.uses_vcc, 0
	.set _ZN7rocprim17ROCPRIM_400000_NS6detail17trampoline_kernelINS0_14default_configENS1_20scan_config_selectorIN3c107complexIfEEEEZZNS1_9scan_implILNS1_25lookback_scan_determinismE0ELb0ELb0ES3_PKS7_PS7_S7_ZZZN2at6native31launch_logcumsumexp_cuda_kernelERKNSE_10TensorBaseESI_lENKUlvE_clEvENKUlvE2_clEvEUlS7_S7_E_S7_EEDaPvRmT3_T4_T5_mT6_P12ihipStream_tbENKUlT_T0_E_clISt17integral_constantIbLb0EESY_IbLb1EEEEDaSU_SV_EUlSU_E0_NS1_11comp_targetILNS1_3genE10ELNS1_11target_archE1201ELNS1_3gpuE5ELNS1_3repE0EEENS1_30default_config_static_selectorELNS0_4arch9wavefront6targetE1EEEvT1_.uses_flat_scratch, 0
	.set _ZN7rocprim17ROCPRIM_400000_NS6detail17trampoline_kernelINS0_14default_configENS1_20scan_config_selectorIN3c107complexIfEEEEZZNS1_9scan_implILNS1_25lookback_scan_determinismE0ELb0ELb0ES3_PKS7_PS7_S7_ZZZN2at6native31launch_logcumsumexp_cuda_kernelERKNSE_10TensorBaseESI_lENKUlvE_clEvENKUlvE2_clEvEUlS7_S7_E_S7_EEDaPvRmT3_T4_T5_mT6_P12ihipStream_tbENKUlT_T0_E_clISt17integral_constantIbLb0EESY_IbLb1EEEEDaSU_SV_EUlSU_E0_NS1_11comp_targetILNS1_3genE10ELNS1_11target_archE1201ELNS1_3gpuE5ELNS1_3repE0EEENS1_30default_config_static_selectorELNS0_4arch9wavefront6targetE1EEEvT1_.has_dyn_sized_stack, 0
	.set _ZN7rocprim17ROCPRIM_400000_NS6detail17trampoline_kernelINS0_14default_configENS1_20scan_config_selectorIN3c107complexIfEEEEZZNS1_9scan_implILNS1_25lookback_scan_determinismE0ELb0ELb0ES3_PKS7_PS7_S7_ZZZN2at6native31launch_logcumsumexp_cuda_kernelERKNSE_10TensorBaseESI_lENKUlvE_clEvENKUlvE2_clEvEUlS7_S7_E_S7_EEDaPvRmT3_T4_T5_mT6_P12ihipStream_tbENKUlT_T0_E_clISt17integral_constantIbLb0EESY_IbLb1EEEEDaSU_SV_EUlSU_E0_NS1_11comp_targetILNS1_3genE10ELNS1_11target_archE1201ELNS1_3gpuE5ELNS1_3repE0EEENS1_30default_config_static_selectorELNS0_4arch9wavefront6targetE1EEEvT1_.has_recursion, 0
	.set _ZN7rocprim17ROCPRIM_400000_NS6detail17trampoline_kernelINS0_14default_configENS1_20scan_config_selectorIN3c107complexIfEEEEZZNS1_9scan_implILNS1_25lookback_scan_determinismE0ELb0ELb0ES3_PKS7_PS7_S7_ZZZN2at6native31launch_logcumsumexp_cuda_kernelERKNSE_10TensorBaseESI_lENKUlvE_clEvENKUlvE2_clEvEUlS7_S7_E_S7_EEDaPvRmT3_T4_T5_mT6_P12ihipStream_tbENKUlT_T0_E_clISt17integral_constantIbLb0EESY_IbLb1EEEEDaSU_SV_EUlSU_E0_NS1_11comp_targetILNS1_3genE10ELNS1_11target_archE1201ELNS1_3gpuE5ELNS1_3repE0EEENS1_30default_config_static_selectorELNS0_4arch9wavefront6targetE1EEEvT1_.has_indirect_call, 0
	.section	.AMDGPU.csdata,"",@progbits
; Kernel info:
; codeLenInByte = 0
; TotalNumSgprs: 6
; NumVgprs: 0
; NumAgprs: 0
; TotalNumVgprs: 0
; ScratchSize: 0
; MemoryBound: 0
; FloatMode: 240
; IeeeMode: 1
; LDSByteSize: 0 bytes/workgroup (compile time only)
; SGPRBlocks: 0
; VGPRBlocks: 0
; NumSGPRsForWavesPerEU: 6
; NumVGPRsForWavesPerEU: 1
; AccumOffset: 4
; Occupancy: 8
; WaveLimiterHint : 0
; COMPUTE_PGM_RSRC2:SCRATCH_EN: 0
; COMPUTE_PGM_RSRC2:USER_SGPR: 2
; COMPUTE_PGM_RSRC2:TRAP_HANDLER: 0
; COMPUTE_PGM_RSRC2:TGID_X_EN: 1
; COMPUTE_PGM_RSRC2:TGID_Y_EN: 0
; COMPUTE_PGM_RSRC2:TGID_Z_EN: 0
; COMPUTE_PGM_RSRC2:TIDIG_COMP_CNT: 0
; COMPUTE_PGM_RSRC3_GFX90A:ACCUM_OFFSET: 0
; COMPUTE_PGM_RSRC3_GFX90A:TG_SPLIT: 0
	.section	.text._ZN7rocprim17ROCPRIM_400000_NS6detail17trampoline_kernelINS0_14default_configENS1_20scan_config_selectorIN3c107complexIfEEEEZZNS1_9scan_implILNS1_25lookback_scan_determinismE0ELb0ELb0ES3_PKS7_PS7_S7_ZZZN2at6native31launch_logcumsumexp_cuda_kernelERKNSE_10TensorBaseESI_lENKUlvE_clEvENKUlvE2_clEvEUlS7_S7_E_S7_EEDaPvRmT3_T4_T5_mT6_P12ihipStream_tbENKUlT_T0_E_clISt17integral_constantIbLb0EESY_IbLb1EEEEDaSU_SV_EUlSU_E0_NS1_11comp_targetILNS1_3genE10ELNS1_11target_archE1200ELNS1_3gpuE4ELNS1_3repE0EEENS1_30default_config_static_selectorELNS0_4arch9wavefront6targetE1EEEvT1_,"axG",@progbits,_ZN7rocprim17ROCPRIM_400000_NS6detail17trampoline_kernelINS0_14default_configENS1_20scan_config_selectorIN3c107complexIfEEEEZZNS1_9scan_implILNS1_25lookback_scan_determinismE0ELb0ELb0ES3_PKS7_PS7_S7_ZZZN2at6native31launch_logcumsumexp_cuda_kernelERKNSE_10TensorBaseESI_lENKUlvE_clEvENKUlvE2_clEvEUlS7_S7_E_S7_EEDaPvRmT3_T4_T5_mT6_P12ihipStream_tbENKUlT_T0_E_clISt17integral_constantIbLb0EESY_IbLb1EEEEDaSU_SV_EUlSU_E0_NS1_11comp_targetILNS1_3genE10ELNS1_11target_archE1200ELNS1_3gpuE4ELNS1_3repE0EEENS1_30default_config_static_selectorELNS0_4arch9wavefront6targetE1EEEvT1_,comdat
	.globl	_ZN7rocprim17ROCPRIM_400000_NS6detail17trampoline_kernelINS0_14default_configENS1_20scan_config_selectorIN3c107complexIfEEEEZZNS1_9scan_implILNS1_25lookback_scan_determinismE0ELb0ELb0ES3_PKS7_PS7_S7_ZZZN2at6native31launch_logcumsumexp_cuda_kernelERKNSE_10TensorBaseESI_lENKUlvE_clEvENKUlvE2_clEvEUlS7_S7_E_S7_EEDaPvRmT3_T4_T5_mT6_P12ihipStream_tbENKUlT_T0_E_clISt17integral_constantIbLb0EESY_IbLb1EEEEDaSU_SV_EUlSU_E0_NS1_11comp_targetILNS1_3genE10ELNS1_11target_archE1200ELNS1_3gpuE4ELNS1_3repE0EEENS1_30default_config_static_selectorELNS0_4arch9wavefront6targetE1EEEvT1_ ; -- Begin function _ZN7rocprim17ROCPRIM_400000_NS6detail17trampoline_kernelINS0_14default_configENS1_20scan_config_selectorIN3c107complexIfEEEEZZNS1_9scan_implILNS1_25lookback_scan_determinismE0ELb0ELb0ES3_PKS7_PS7_S7_ZZZN2at6native31launch_logcumsumexp_cuda_kernelERKNSE_10TensorBaseESI_lENKUlvE_clEvENKUlvE2_clEvEUlS7_S7_E_S7_EEDaPvRmT3_T4_T5_mT6_P12ihipStream_tbENKUlT_T0_E_clISt17integral_constantIbLb0EESY_IbLb1EEEEDaSU_SV_EUlSU_E0_NS1_11comp_targetILNS1_3genE10ELNS1_11target_archE1200ELNS1_3gpuE4ELNS1_3repE0EEENS1_30default_config_static_selectorELNS0_4arch9wavefront6targetE1EEEvT1_
	.p2align	8
	.type	_ZN7rocprim17ROCPRIM_400000_NS6detail17trampoline_kernelINS0_14default_configENS1_20scan_config_selectorIN3c107complexIfEEEEZZNS1_9scan_implILNS1_25lookback_scan_determinismE0ELb0ELb0ES3_PKS7_PS7_S7_ZZZN2at6native31launch_logcumsumexp_cuda_kernelERKNSE_10TensorBaseESI_lENKUlvE_clEvENKUlvE2_clEvEUlS7_S7_E_S7_EEDaPvRmT3_T4_T5_mT6_P12ihipStream_tbENKUlT_T0_E_clISt17integral_constantIbLb0EESY_IbLb1EEEEDaSU_SV_EUlSU_E0_NS1_11comp_targetILNS1_3genE10ELNS1_11target_archE1200ELNS1_3gpuE4ELNS1_3repE0EEENS1_30default_config_static_selectorELNS0_4arch9wavefront6targetE1EEEvT1_,@function
_ZN7rocprim17ROCPRIM_400000_NS6detail17trampoline_kernelINS0_14default_configENS1_20scan_config_selectorIN3c107complexIfEEEEZZNS1_9scan_implILNS1_25lookback_scan_determinismE0ELb0ELb0ES3_PKS7_PS7_S7_ZZZN2at6native31launch_logcumsumexp_cuda_kernelERKNSE_10TensorBaseESI_lENKUlvE_clEvENKUlvE2_clEvEUlS7_S7_E_S7_EEDaPvRmT3_T4_T5_mT6_P12ihipStream_tbENKUlT_T0_E_clISt17integral_constantIbLb0EESY_IbLb1EEEEDaSU_SV_EUlSU_E0_NS1_11comp_targetILNS1_3genE10ELNS1_11target_archE1200ELNS1_3gpuE4ELNS1_3repE0EEENS1_30default_config_static_selectorELNS0_4arch9wavefront6targetE1EEEvT1_: ; @_ZN7rocprim17ROCPRIM_400000_NS6detail17trampoline_kernelINS0_14default_configENS1_20scan_config_selectorIN3c107complexIfEEEEZZNS1_9scan_implILNS1_25lookback_scan_determinismE0ELb0ELb0ES3_PKS7_PS7_S7_ZZZN2at6native31launch_logcumsumexp_cuda_kernelERKNSE_10TensorBaseESI_lENKUlvE_clEvENKUlvE2_clEvEUlS7_S7_E_S7_EEDaPvRmT3_T4_T5_mT6_P12ihipStream_tbENKUlT_T0_E_clISt17integral_constantIbLb0EESY_IbLb1EEEEDaSU_SV_EUlSU_E0_NS1_11comp_targetILNS1_3genE10ELNS1_11target_archE1200ELNS1_3gpuE4ELNS1_3repE0EEENS1_30default_config_static_selectorELNS0_4arch9wavefront6targetE1EEEvT1_
; %bb.0:
	.section	.rodata,"a",@progbits
	.p2align	6, 0x0
	.amdhsa_kernel _ZN7rocprim17ROCPRIM_400000_NS6detail17trampoline_kernelINS0_14default_configENS1_20scan_config_selectorIN3c107complexIfEEEEZZNS1_9scan_implILNS1_25lookback_scan_determinismE0ELb0ELb0ES3_PKS7_PS7_S7_ZZZN2at6native31launch_logcumsumexp_cuda_kernelERKNSE_10TensorBaseESI_lENKUlvE_clEvENKUlvE2_clEvEUlS7_S7_E_S7_EEDaPvRmT3_T4_T5_mT6_P12ihipStream_tbENKUlT_T0_E_clISt17integral_constantIbLb0EESY_IbLb1EEEEDaSU_SV_EUlSU_E0_NS1_11comp_targetILNS1_3genE10ELNS1_11target_archE1200ELNS1_3gpuE4ELNS1_3repE0EEENS1_30default_config_static_selectorELNS0_4arch9wavefront6targetE1EEEvT1_
		.amdhsa_group_segment_fixed_size 0
		.amdhsa_private_segment_fixed_size 0
		.amdhsa_kernarg_size 40
		.amdhsa_user_sgpr_count 2
		.amdhsa_user_sgpr_dispatch_ptr 0
		.amdhsa_user_sgpr_queue_ptr 0
		.amdhsa_user_sgpr_kernarg_segment_ptr 1
		.amdhsa_user_sgpr_dispatch_id 0
		.amdhsa_user_sgpr_kernarg_preload_length 0
		.amdhsa_user_sgpr_kernarg_preload_offset 0
		.amdhsa_user_sgpr_private_segment_size 0
		.amdhsa_uses_dynamic_stack 0
		.amdhsa_enable_private_segment 0
		.amdhsa_system_sgpr_workgroup_id_x 1
		.amdhsa_system_sgpr_workgroup_id_y 0
		.amdhsa_system_sgpr_workgroup_id_z 0
		.amdhsa_system_sgpr_workgroup_info 0
		.amdhsa_system_vgpr_workitem_id 0
		.amdhsa_next_free_vgpr 1
		.amdhsa_next_free_sgpr 0
		.amdhsa_accum_offset 4
		.amdhsa_reserve_vcc 0
		.amdhsa_float_round_mode_32 0
		.amdhsa_float_round_mode_16_64 0
		.amdhsa_float_denorm_mode_32 3
		.amdhsa_float_denorm_mode_16_64 3
		.amdhsa_dx10_clamp 1
		.amdhsa_ieee_mode 1
		.amdhsa_fp16_overflow 0
		.amdhsa_tg_split 0
		.amdhsa_exception_fp_ieee_invalid_op 0
		.amdhsa_exception_fp_denorm_src 0
		.amdhsa_exception_fp_ieee_div_zero 0
		.amdhsa_exception_fp_ieee_overflow 0
		.amdhsa_exception_fp_ieee_underflow 0
		.amdhsa_exception_fp_ieee_inexact 0
		.amdhsa_exception_int_div_zero 0
	.end_amdhsa_kernel
	.section	.text._ZN7rocprim17ROCPRIM_400000_NS6detail17trampoline_kernelINS0_14default_configENS1_20scan_config_selectorIN3c107complexIfEEEEZZNS1_9scan_implILNS1_25lookback_scan_determinismE0ELb0ELb0ES3_PKS7_PS7_S7_ZZZN2at6native31launch_logcumsumexp_cuda_kernelERKNSE_10TensorBaseESI_lENKUlvE_clEvENKUlvE2_clEvEUlS7_S7_E_S7_EEDaPvRmT3_T4_T5_mT6_P12ihipStream_tbENKUlT_T0_E_clISt17integral_constantIbLb0EESY_IbLb1EEEEDaSU_SV_EUlSU_E0_NS1_11comp_targetILNS1_3genE10ELNS1_11target_archE1200ELNS1_3gpuE4ELNS1_3repE0EEENS1_30default_config_static_selectorELNS0_4arch9wavefront6targetE1EEEvT1_,"axG",@progbits,_ZN7rocprim17ROCPRIM_400000_NS6detail17trampoline_kernelINS0_14default_configENS1_20scan_config_selectorIN3c107complexIfEEEEZZNS1_9scan_implILNS1_25lookback_scan_determinismE0ELb0ELb0ES3_PKS7_PS7_S7_ZZZN2at6native31launch_logcumsumexp_cuda_kernelERKNSE_10TensorBaseESI_lENKUlvE_clEvENKUlvE2_clEvEUlS7_S7_E_S7_EEDaPvRmT3_T4_T5_mT6_P12ihipStream_tbENKUlT_T0_E_clISt17integral_constantIbLb0EESY_IbLb1EEEEDaSU_SV_EUlSU_E0_NS1_11comp_targetILNS1_3genE10ELNS1_11target_archE1200ELNS1_3gpuE4ELNS1_3repE0EEENS1_30default_config_static_selectorELNS0_4arch9wavefront6targetE1EEEvT1_,comdat
.Lfunc_end344:
	.size	_ZN7rocprim17ROCPRIM_400000_NS6detail17trampoline_kernelINS0_14default_configENS1_20scan_config_selectorIN3c107complexIfEEEEZZNS1_9scan_implILNS1_25lookback_scan_determinismE0ELb0ELb0ES3_PKS7_PS7_S7_ZZZN2at6native31launch_logcumsumexp_cuda_kernelERKNSE_10TensorBaseESI_lENKUlvE_clEvENKUlvE2_clEvEUlS7_S7_E_S7_EEDaPvRmT3_T4_T5_mT6_P12ihipStream_tbENKUlT_T0_E_clISt17integral_constantIbLb0EESY_IbLb1EEEEDaSU_SV_EUlSU_E0_NS1_11comp_targetILNS1_3genE10ELNS1_11target_archE1200ELNS1_3gpuE4ELNS1_3repE0EEENS1_30default_config_static_selectorELNS0_4arch9wavefront6targetE1EEEvT1_, .Lfunc_end344-_ZN7rocprim17ROCPRIM_400000_NS6detail17trampoline_kernelINS0_14default_configENS1_20scan_config_selectorIN3c107complexIfEEEEZZNS1_9scan_implILNS1_25lookback_scan_determinismE0ELb0ELb0ES3_PKS7_PS7_S7_ZZZN2at6native31launch_logcumsumexp_cuda_kernelERKNSE_10TensorBaseESI_lENKUlvE_clEvENKUlvE2_clEvEUlS7_S7_E_S7_EEDaPvRmT3_T4_T5_mT6_P12ihipStream_tbENKUlT_T0_E_clISt17integral_constantIbLb0EESY_IbLb1EEEEDaSU_SV_EUlSU_E0_NS1_11comp_targetILNS1_3genE10ELNS1_11target_archE1200ELNS1_3gpuE4ELNS1_3repE0EEENS1_30default_config_static_selectorELNS0_4arch9wavefront6targetE1EEEvT1_
                                        ; -- End function
	.set _ZN7rocprim17ROCPRIM_400000_NS6detail17trampoline_kernelINS0_14default_configENS1_20scan_config_selectorIN3c107complexIfEEEEZZNS1_9scan_implILNS1_25lookback_scan_determinismE0ELb0ELb0ES3_PKS7_PS7_S7_ZZZN2at6native31launch_logcumsumexp_cuda_kernelERKNSE_10TensorBaseESI_lENKUlvE_clEvENKUlvE2_clEvEUlS7_S7_E_S7_EEDaPvRmT3_T4_T5_mT6_P12ihipStream_tbENKUlT_T0_E_clISt17integral_constantIbLb0EESY_IbLb1EEEEDaSU_SV_EUlSU_E0_NS1_11comp_targetILNS1_3genE10ELNS1_11target_archE1200ELNS1_3gpuE4ELNS1_3repE0EEENS1_30default_config_static_selectorELNS0_4arch9wavefront6targetE1EEEvT1_.num_vgpr, 0
	.set _ZN7rocprim17ROCPRIM_400000_NS6detail17trampoline_kernelINS0_14default_configENS1_20scan_config_selectorIN3c107complexIfEEEEZZNS1_9scan_implILNS1_25lookback_scan_determinismE0ELb0ELb0ES3_PKS7_PS7_S7_ZZZN2at6native31launch_logcumsumexp_cuda_kernelERKNSE_10TensorBaseESI_lENKUlvE_clEvENKUlvE2_clEvEUlS7_S7_E_S7_EEDaPvRmT3_T4_T5_mT6_P12ihipStream_tbENKUlT_T0_E_clISt17integral_constantIbLb0EESY_IbLb1EEEEDaSU_SV_EUlSU_E0_NS1_11comp_targetILNS1_3genE10ELNS1_11target_archE1200ELNS1_3gpuE4ELNS1_3repE0EEENS1_30default_config_static_selectorELNS0_4arch9wavefront6targetE1EEEvT1_.num_agpr, 0
	.set _ZN7rocprim17ROCPRIM_400000_NS6detail17trampoline_kernelINS0_14default_configENS1_20scan_config_selectorIN3c107complexIfEEEEZZNS1_9scan_implILNS1_25lookback_scan_determinismE0ELb0ELb0ES3_PKS7_PS7_S7_ZZZN2at6native31launch_logcumsumexp_cuda_kernelERKNSE_10TensorBaseESI_lENKUlvE_clEvENKUlvE2_clEvEUlS7_S7_E_S7_EEDaPvRmT3_T4_T5_mT6_P12ihipStream_tbENKUlT_T0_E_clISt17integral_constantIbLb0EESY_IbLb1EEEEDaSU_SV_EUlSU_E0_NS1_11comp_targetILNS1_3genE10ELNS1_11target_archE1200ELNS1_3gpuE4ELNS1_3repE0EEENS1_30default_config_static_selectorELNS0_4arch9wavefront6targetE1EEEvT1_.numbered_sgpr, 0
	.set _ZN7rocprim17ROCPRIM_400000_NS6detail17trampoline_kernelINS0_14default_configENS1_20scan_config_selectorIN3c107complexIfEEEEZZNS1_9scan_implILNS1_25lookback_scan_determinismE0ELb0ELb0ES3_PKS7_PS7_S7_ZZZN2at6native31launch_logcumsumexp_cuda_kernelERKNSE_10TensorBaseESI_lENKUlvE_clEvENKUlvE2_clEvEUlS7_S7_E_S7_EEDaPvRmT3_T4_T5_mT6_P12ihipStream_tbENKUlT_T0_E_clISt17integral_constantIbLb0EESY_IbLb1EEEEDaSU_SV_EUlSU_E0_NS1_11comp_targetILNS1_3genE10ELNS1_11target_archE1200ELNS1_3gpuE4ELNS1_3repE0EEENS1_30default_config_static_selectorELNS0_4arch9wavefront6targetE1EEEvT1_.num_named_barrier, 0
	.set _ZN7rocprim17ROCPRIM_400000_NS6detail17trampoline_kernelINS0_14default_configENS1_20scan_config_selectorIN3c107complexIfEEEEZZNS1_9scan_implILNS1_25lookback_scan_determinismE0ELb0ELb0ES3_PKS7_PS7_S7_ZZZN2at6native31launch_logcumsumexp_cuda_kernelERKNSE_10TensorBaseESI_lENKUlvE_clEvENKUlvE2_clEvEUlS7_S7_E_S7_EEDaPvRmT3_T4_T5_mT6_P12ihipStream_tbENKUlT_T0_E_clISt17integral_constantIbLb0EESY_IbLb1EEEEDaSU_SV_EUlSU_E0_NS1_11comp_targetILNS1_3genE10ELNS1_11target_archE1200ELNS1_3gpuE4ELNS1_3repE0EEENS1_30default_config_static_selectorELNS0_4arch9wavefront6targetE1EEEvT1_.private_seg_size, 0
	.set _ZN7rocprim17ROCPRIM_400000_NS6detail17trampoline_kernelINS0_14default_configENS1_20scan_config_selectorIN3c107complexIfEEEEZZNS1_9scan_implILNS1_25lookback_scan_determinismE0ELb0ELb0ES3_PKS7_PS7_S7_ZZZN2at6native31launch_logcumsumexp_cuda_kernelERKNSE_10TensorBaseESI_lENKUlvE_clEvENKUlvE2_clEvEUlS7_S7_E_S7_EEDaPvRmT3_T4_T5_mT6_P12ihipStream_tbENKUlT_T0_E_clISt17integral_constantIbLb0EESY_IbLb1EEEEDaSU_SV_EUlSU_E0_NS1_11comp_targetILNS1_3genE10ELNS1_11target_archE1200ELNS1_3gpuE4ELNS1_3repE0EEENS1_30default_config_static_selectorELNS0_4arch9wavefront6targetE1EEEvT1_.uses_vcc, 0
	.set _ZN7rocprim17ROCPRIM_400000_NS6detail17trampoline_kernelINS0_14default_configENS1_20scan_config_selectorIN3c107complexIfEEEEZZNS1_9scan_implILNS1_25lookback_scan_determinismE0ELb0ELb0ES3_PKS7_PS7_S7_ZZZN2at6native31launch_logcumsumexp_cuda_kernelERKNSE_10TensorBaseESI_lENKUlvE_clEvENKUlvE2_clEvEUlS7_S7_E_S7_EEDaPvRmT3_T4_T5_mT6_P12ihipStream_tbENKUlT_T0_E_clISt17integral_constantIbLb0EESY_IbLb1EEEEDaSU_SV_EUlSU_E0_NS1_11comp_targetILNS1_3genE10ELNS1_11target_archE1200ELNS1_3gpuE4ELNS1_3repE0EEENS1_30default_config_static_selectorELNS0_4arch9wavefront6targetE1EEEvT1_.uses_flat_scratch, 0
	.set _ZN7rocprim17ROCPRIM_400000_NS6detail17trampoline_kernelINS0_14default_configENS1_20scan_config_selectorIN3c107complexIfEEEEZZNS1_9scan_implILNS1_25lookback_scan_determinismE0ELb0ELb0ES3_PKS7_PS7_S7_ZZZN2at6native31launch_logcumsumexp_cuda_kernelERKNSE_10TensorBaseESI_lENKUlvE_clEvENKUlvE2_clEvEUlS7_S7_E_S7_EEDaPvRmT3_T4_T5_mT6_P12ihipStream_tbENKUlT_T0_E_clISt17integral_constantIbLb0EESY_IbLb1EEEEDaSU_SV_EUlSU_E0_NS1_11comp_targetILNS1_3genE10ELNS1_11target_archE1200ELNS1_3gpuE4ELNS1_3repE0EEENS1_30default_config_static_selectorELNS0_4arch9wavefront6targetE1EEEvT1_.has_dyn_sized_stack, 0
	.set _ZN7rocprim17ROCPRIM_400000_NS6detail17trampoline_kernelINS0_14default_configENS1_20scan_config_selectorIN3c107complexIfEEEEZZNS1_9scan_implILNS1_25lookback_scan_determinismE0ELb0ELb0ES3_PKS7_PS7_S7_ZZZN2at6native31launch_logcumsumexp_cuda_kernelERKNSE_10TensorBaseESI_lENKUlvE_clEvENKUlvE2_clEvEUlS7_S7_E_S7_EEDaPvRmT3_T4_T5_mT6_P12ihipStream_tbENKUlT_T0_E_clISt17integral_constantIbLb0EESY_IbLb1EEEEDaSU_SV_EUlSU_E0_NS1_11comp_targetILNS1_3genE10ELNS1_11target_archE1200ELNS1_3gpuE4ELNS1_3repE0EEENS1_30default_config_static_selectorELNS0_4arch9wavefront6targetE1EEEvT1_.has_recursion, 0
	.set _ZN7rocprim17ROCPRIM_400000_NS6detail17trampoline_kernelINS0_14default_configENS1_20scan_config_selectorIN3c107complexIfEEEEZZNS1_9scan_implILNS1_25lookback_scan_determinismE0ELb0ELb0ES3_PKS7_PS7_S7_ZZZN2at6native31launch_logcumsumexp_cuda_kernelERKNSE_10TensorBaseESI_lENKUlvE_clEvENKUlvE2_clEvEUlS7_S7_E_S7_EEDaPvRmT3_T4_T5_mT6_P12ihipStream_tbENKUlT_T0_E_clISt17integral_constantIbLb0EESY_IbLb1EEEEDaSU_SV_EUlSU_E0_NS1_11comp_targetILNS1_3genE10ELNS1_11target_archE1200ELNS1_3gpuE4ELNS1_3repE0EEENS1_30default_config_static_selectorELNS0_4arch9wavefront6targetE1EEEvT1_.has_indirect_call, 0
	.section	.AMDGPU.csdata,"",@progbits
; Kernel info:
; codeLenInByte = 0
; TotalNumSgprs: 6
; NumVgprs: 0
; NumAgprs: 0
; TotalNumVgprs: 0
; ScratchSize: 0
; MemoryBound: 0
; FloatMode: 240
; IeeeMode: 1
; LDSByteSize: 0 bytes/workgroup (compile time only)
; SGPRBlocks: 0
; VGPRBlocks: 0
; NumSGPRsForWavesPerEU: 6
; NumVGPRsForWavesPerEU: 1
; AccumOffset: 4
; Occupancy: 8
; WaveLimiterHint : 0
; COMPUTE_PGM_RSRC2:SCRATCH_EN: 0
; COMPUTE_PGM_RSRC2:USER_SGPR: 2
; COMPUTE_PGM_RSRC2:TRAP_HANDLER: 0
; COMPUTE_PGM_RSRC2:TGID_X_EN: 1
; COMPUTE_PGM_RSRC2:TGID_Y_EN: 0
; COMPUTE_PGM_RSRC2:TGID_Z_EN: 0
; COMPUTE_PGM_RSRC2:TIDIG_COMP_CNT: 0
; COMPUTE_PGM_RSRC3_GFX90A:ACCUM_OFFSET: 0
; COMPUTE_PGM_RSRC3_GFX90A:TG_SPLIT: 0
	.section	.text._ZN7rocprim17ROCPRIM_400000_NS6detail17trampoline_kernelINS0_14default_configENS1_20scan_config_selectorIN3c107complexIfEEEEZZNS1_9scan_implILNS1_25lookback_scan_determinismE0ELb0ELb0ES3_PKS7_PS7_S7_ZZZN2at6native31launch_logcumsumexp_cuda_kernelERKNSE_10TensorBaseESI_lENKUlvE_clEvENKUlvE2_clEvEUlS7_S7_E_S7_EEDaPvRmT3_T4_T5_mT6_P12ihipStream_tbENKUlT_T0_E_clISt17integral_constantIbLb0EESY_IbLb1EEEEDaSU_SV_EUlSU_E0_NS1_11comp_targetILNS1_3genE9ELNS1_11target_archE1100ELNS1_3gpuE3ELNS1_3repE0EEENS1_30default_config_static_selectorELNS0_4arch9wavefront6targetE1EEEvT1_,"axG",@progbits,_ZN7rocprim17ROCPRIM_400000_NS6detail17trampoline_kernelINS0_14default_configENS1_20scan_config_selectorIN3c107complexIfEEEEZZNS1_9scan_implILNS1_25lookback_scan_determinismE0ELb0ELb0ES3_PKS7_PS7_S7_ZZZN2at6native31launch_logcumsumexp_cuda_kernelERKNSE_10TensorBaseESI_lENKUlvE_clEvENKUlvE2_clEvEUlS7_S7_E_S7_EEDaPvRmT3_T4_T5_mT6_P12ihipStream_tbENKUlT_T0_E_clISt17integral_constantIbLb0EESY_IbLb1EEEEDaSU_SV_EUlSU_E0_NS1_11comp_targetILNS1_3genE9ELNS1_11target_archE1100ELNS1_3gpuE3ELNS1_3repE0EEENS1_30default_config_static_selectorELNS0_4arch9wavefront6targetE1EEEvT1_,comdat
	.globl	_ZN7rocprim17ROCPRIM_400000_NS6detail17trampoline_kernelINS0_14default_configENS1_20scan_config_selectorIN3c107complexIfEEEEZZNS1_9scan_implILNS1_25lookback_scan_determinismE0ELb0ELb0ES3_PKS7_PS7_S7_ZZZN2at6native31launch_logcumsumexp_cuda_kernelERKNSE_10TensorBaseESI_lENKUlvE_clEvENKUlvE2_clEvEUlS7_S7_E_S7_EEDaPvRmT3_T4_T5_mT6_P12ihipStream_tbENKUlT_T0_E_clISt17integral_constantIbLb0EESY_IbLb1EEEEDaSU_SV_EUlSU_E0_NS1_11comp_targetILNS1_3genE9ELNS1_11target_archE1100ELNS1_3gpuE3ELNS1_3repE0EEENS1_30default_config_static_selectorELNS0_4arch9wavefront6targetE1EEEvT1_ ; -- Begin function _ZN7rocprim17ROCPRIM_400000_NS6detail17trampoline_kernelINS0_14default_configENS1_20scan_config_selectorIN3c107complexIfEEEEZZNS1_9scan_implILNS1_25lookback_scan_determinismE0ELb0ELb0ES3_PKS7_PS7_S7_ZZZN2at6native31launch_logcumsumexp_cuda_kernelERKNSE_10TensorBaseESI_lENKUlvE_clEvENKUlvE2_clEvEUlS7_S7_E_S7_EEDaPvRmT3_T4_T5_mT6_P12ihipStream_tbENKUlT_T0_E_clISt17integral_constantIbLb0EESY_IbLb1EEEEDaSU_SV_EUlSU_E0_NS1_11comp_targetILNS1_3genE9ELNS1_11target_archE1100ELNS1_3gpuE3ELNS1_3repE0EEENS1_30default_config_static_selectorELNS0_4arch9wavefront6targetE1EEEvT1_
	.p2align	8
	.type	_ZN7rocprim17ROCPRIM_400000_NS6detail17trampoline_kernelINS0_14default_configENS1_20scan_config_selectorIN3c107complexIfEEEEZZNS1_9scan_implILNS1_25lookback_scan_determinismE0ELb0ELb0ES3_PKS7_PS7_S7_ZZZN2at6native31launch_logcumsumexp_cuda_kernelERKNSE_10TensorBaseESI_lENKUlvE_clEvENKUlvE2_clEvEUlS7_S7_E_S7_EEDaPvRmT3_T4_T5_mT6_P12ihipStream_tbENKUlT_T0_E_clISt17integral_constantIbLb0EESY_IbLb1EEEEDaSU_SV_EUlSU_E0_NS1_11comp_targetILNS1_3genE9ELNS1_11target_archE1100ELNS1_3gpuE3ELNS1_3repE0EEENS1_30default_config_static_selectorELNS0_4arch9wavefront6targetE1EEEvT1_,@function
_ZN7rocprim17ROCPRIM_400000_NS6detail17trampoline_kernelINS0_14default_configENS1_20scan_config_selectorIN3c107complexIfEEEEZZNS1_9scan_implILNS1_25lookback_scan_determinismE0ELb0ELb0ES3_PKS7_PS7_S7_ZZZN2at6native31launch_logcumsumexp_cuda_kernelERKNSE_10TensorBaseESI_lENKUlvE_clEvENKUlvE2_clEvEUlS7_S7_E_S7_EEDaPvRmT3_T4_T5_mT6_P12ihipStream_tbENKUlT_T0_E_clISt17integral_constantIbLb0EESY_IbLb1EEEEDaSU_SV_EUlSU_E0_NS1_11comp_targetILNS1_3genE9ELNS1_11target_archE1100ELNS1_3gpuE3ELNS1_3repE0EEENS1_30default_config_static_selectorELNS0_4arch9wavefront6targetE1EEEvT1_: ; @_ZN7rocprim17ROCPRIM_400000_NS6detail17trampoline_kernelINS0_14default_configENS1_20scan_config_selectorIN3c107complexIfEEEEZZNS1_9scan_implILNS1_25lookback_scan_determinismE0ELb0ELb0ES3_PKS7_PS7_S7_ZZZN2at6native31launch_logcumsumexp_cuda_kernelERKNSE_10TensorBaseESI_lENKUlvE_clEvENKUlvE2_clEvEUlS7_S7_E_S7_EEDaPvRmT3_T4_T5_mT6_P12ihipStream_tbENKUlT_T0_E_clISt17integral_constantIbLb0EESY_IbLb1EEEEDaSU_SV_EUlSU_E0_NS1_11comp_targetILNS1_3genE9ELNS1_11target_archE1100ELNS1_3gpuE3ELNS1_3repE0EEENS1_30default_config_static_selectorELNS0_4arch9wavefront6targetE1EEEvT1_
; %bb.0:
	.section	.rodata,"a",@progbits
	.p2align	6, 0x0
	.amdhsa_kernel _ZN7rocprim17ROCPRIM_400000_NS6detail17trampoline_kernelINS0_14default_configENS1_20scan_config_selectorIN3c107complexIfEEEEZZNS1_9scan_implILNS1_25lookback_scan_determinismE0ELb0ELb0ES3_PKS7_PS7_S7_ZZZN2at6native31launch_logcumsumexp_cuda_kernelERKNSE_10TensorBaseESI_lENKUlvE_clEvENKUlvE2_clEvEUlS7_S7_E_S7_EEDaPvRmT3_T4_T5_mT6_P12ihipStream_tbENKUlT_T0_E_clISt17integral_constantIbLb0EESY_IbLb1EEEEDaSU_SV_EUlSU_E0_NS1_11comp_targetILNS1_3genE9ELNS1_11target_archE1100ELNS1_3gpuE3ELNS1_3repE0EEENS1_30default_config_static_selectorELNS0_4arch9wavefront6targetE1EEEvT1_
		.amdhsa_group_segment_fixed_size 0
		.amdhsa_private_segment_fixed_size 0
		.amdhsa_kernarg_size 40
		.amdhsa_user_sgpr_count 2
		.amdhsa_user_sgpr_dispatch_ptr 0
		.amdhsa_user_sgpr_queue_ptr 0
		.amdhsa_user_sgpr_kernarg_segment_ptr 1
		.amdhsa_user_sgpr_dispatch_id 0
		.amdhsa_user_sgpr_kernarg_preload_length 0
		.amdhsa_user_sgpr_kernarg_preload_offset 0
		.amdhsa_user_sgpr_private_segment_size 0
		.amdhsa_uses_dynamic_stack 0
		.amdhsa_enable_private_segment 0
		.amdhsa_system_sgpr_workgroup_id_x 1
		.amdhsa_system_sgpr_workgroup_id_y 0
		.amdhsa_system_sgpr_workgroup_id_z 0
		.amdhsa_system_sgpr_workgroup_info 0
		.amdhsa_system_vgpr_workitem_id 0
		.amdhsa_next_free_vgpr 1
		.amdhsa_next_free_sgpr 0
		.amdhsa_accum_offset 4
		.amdhsa_reserve_vcc 0
		.amdhsa_float_round_mode_32 0
		.amdhsa_float_round_mode_16_64 0
		.amdhsa_float_denorm_mode_32 3
		.amdhsa_float_denorm_mode_16_64 3
		.amdhsa_dx10_clamp 1
		.amdhsa_ieee_mode 1
		.amdhsa_fp16_overflow 0
		.amdhsa_tg_split 0
		.amdhsa_exception_fp_ieee_invalid_op 0
		.amdhsa_exception_fp_denorm_src 0
		.amdhsa_exception_fp_ieee_div_zero 0
		.amdhsa_exception_fp_ieee_overflow 0
		.amdhsa_exception_fp_ieee_underflow 0
		.amdhsa_exception_fp_ieee_inexact 0
		.amdhsa_exception_int_div_zero 0
	.end_amdhsa_kernel
	.section	.text._ZN7rocprim17ROCPRIM_400000_NS6detail17trampoline_kernelINS0_14default_configENS1_20scan_config_selectorIN3c107complexIfEEEEZZNS1_9scan_implILNS1_25lookback_scan_determinismE0ELb0ELb0ES3_PKS7_PS7_S7_ZZZN2at6native31launch_logcumsumexp_cuda_kernelERKNSE_10TensorBaseESI_lENKUlvE_clEvENKUlvE2_clEvEUlS7_S7_E_S7_EEDaPvRmT3_T4_T5_mT6_P12ihipStream_tbENKUlT_T0_E_clISt17integral_constantIbLb0EESY_IbLb1EEEEDaSU_SV_EUlSU_E0_NS1_11comp_targetILNS1_3genE9ELNS1_11target_archE1100ELNS1_3gpuE3ELNS1_3repE0EEENS1_30default_config_static_selectorELNS0_4arch9wavefront6targetE1EEEvT1_,"axG",@progbits,_ZN7rocprim17ROCPRIM_400000_NS6detail17trampoline_kernelINS0_14default_configENS1_20scan_config_selectorIN3c107complexIfEEEEZZNS1_9scan_implILNS1_25lookback_scan_determinismE0ELb0ELb0ES3_PKS7_PS7_S7_ZZZN2at6native31launch_logcumsumexp_cuda_kernelERKNSE_10TensorBaseESI_lENKUlvE_clEvENKUlvE2_clEvEUlS7_S7_E_S7_EEDaPvRmT3_T4_T5_mT6_P12ihipStream_tbENKUlT_T0_E_clISt17integral_constantIbLb0EESY_IbLb1EEEEDaSU_SV_EUlSU_E0_NS1_11comp_targetILNS1_3genE9ELNS1_11target_archE1100ELNS1_3gpuE3ELNS1_3repE0EEENS1_30default_config_static_selectorELNS0_4arch9wavefront6targetE1EEEvT1_,comdat
.Lfunc_end345:
	.size	_ZN7rocprim17ROCPRIM_400000_NS6detail17trampoline_kernelINS0_14default_configENS1_20scan_config_selectorIN3c107complexIfEEEEZZNS1_9scan_implILNS1_25lookback_scan_determinismE0ELb0ELb0ES3_PKS7_PS7_S7_ZZZN2at6native31launch_logcumsumexp_cuda_kernelERKNSE_10TensorBaseESI_lENKUlvE_clEvENKUlvE2_clEvEUlS7_S7_E_S7_EEDaPvRmT3_T4_T5_mT6_P12ihipStream_tbENKUlT_T0_E_clISt17integral_constantIbLb0EESY_IbLb1EEEEDaSU_SV_EUlSU_E0_NS1_11comp_targetILNS1_3genE9ELNS1_11target_archE1100ELNS1_3gpuE3ELNS1_3repE0EEENS1_30default_config_static_selectorELNS0_4arch9wavefront6targetE1EEEvT1_, .Lfunc_end345-_ZN7rocprim17ROCPRIM_400000_NS6detail17trampoline_kernelINS0_14default_configENS1_20scan_config_selectorIN3c107complexIfEEEEZZNS1_9scan_implILNS1_25lookback_scan_determinismE0ELb0ELb0ES3_PKS7_PS7_S7_ZZZN2at6native31launch_logcumsumexp_cuda_kernelERKNSE_10TensorBaseESI_lENKUlvE_clEvENKUlvE2_clEvEUlS7_S7_E_S7_EEDaPvRmT3_T4_T5_mT6_P12ihipStream_tbENKUlT_T0_E_clISt17integral_constantIbLb0EESY_IbLb1EEEEDaSU_SV_EUlSU_E0_NS1_11comp_targetILNS1_3genE9ELNS1_11target_archE1100ELNS1_3gpuE3ELNS1_3repE0EEENS1_30default_config_static_selectorELNS0_4arch9wavefront6targetE1EEEvT1_
                                        ; -- End function
	.set _ZN7rocprim17ROCPRIM_400000_NS6detail17trampoline_kernelINS0_14default_configENS1_20scan_config_selectorIN3c107complexIfEEEEZZNS1_9scan_implILNS1_25lookback_scan_determinismE0ELb0ELb0ES3_PKS7_PS7_S7_ZZZN2at6native31launch_logcumsumexp_cuda_kernelERKNSE_10TensorBaseESI_lENKUlvE_clEvENKUlvE2_clEvEUlS7_S7_E_S7_EEDaPvRmT3_T4_T5_mT6_P12ihipStream_tbENKUlT_T0_E_clISt17integral_constantIbLb0EESY_IbLb1EEEEDaSU_SV_EUlSU_E0_NS1_11comp_targetILNS1_3genE9ELNS1_11target_archE1100ELNS1_3gpuE3ELNS1_3repE0EEENS1_30default_config_static_selectorELNS0_4arch9wavefront6targetE1EEEvT1_.num_vgpr, 0
	.set _ZN7rocprim17ROCPRIM_400000_NS6detail17trampoline_kernelINS0_14default_configENS1_20scan_config_selectorIN3c107complexIfEEEEZZNS1_9scan_implILNS1_25lookback_scan_determinismE0ELb0ELb0ES3_PKS7_PS7_S7_ZZZN2at6native31launch_logcumsumexp_cuda_kernelERKNSE_10TensorBaseESI_lENKUlvE_clEvENKUlvE2_clEvEUlS7_S7_E_S7_EEDaPvRmT3_T4_T5_mT6_P12ihipStream_tbENKUlT_T0_E_clISt17integral_constantIbLb0EESY_IbLb1EEEEDaSU_SV_EUlSU_E0_NS1_11comp_targetILNS1_3genE9ELNS1_11target_archE1100ELNS1_3gpuE3ELNS1_3repE0EEENS1_30default_config_static_selectorELNS0_4arch9wavefront6targetE1EEEvT1_.num_agpr, 0
	.set _ZN7rocprim17ROCPRIM_400000_NS6detail17trampoline_kernelINS0_14default_configENS1_20scan_config_selectorIN3c107complexIfEEEEZZNS1_9scan_implILNS1_25lookback_scan_determinismE0ELb0ELb0ES3_PKS7_PS7_S7_ZZZN2at6native31launch_logcumsumexp_cuda_kernelERKNSE_10TensorBaseESI_lENKUlvE_clEvENKUlvE2_clEvEUlS7_S7_E_S7_EEDaPvRmT3_T4_T5_mT6_P12ihipStream_tbENKUlT_T0_E_clISt17integral_constantIbLb0EESY_IbLb1EEEEDaSU_SV_EUlSU_E0_NS1_11comp_targetILNS1_3genE9ELNS1_11target_archE1100ELNS1_3gpuE3ELNS1_3repE0EEENS1_30default_config_static_selectorELNS0_4arch9wavefront6targetE1EEEvT1_.numbered_sgpr, 0
	.set _ZN7rocprim17ROCPRIM_400000_NS6detail17trampoline_kernelINS0_14default_configENS1_20scan_config_selectorIN3c107complexIfEEEEZZNS1_9scan_implILNS1_25lookback_scan_determinismE0ELb0ELb0ES3_PKS7_PS7_S7_ZZZN2at6native31launch_logcumsumexp_cuda_kernelERKNSE_10TensorBaseESI_lENKUlvE_clEvENKUlvE2_clEvEUlS7_S7_E_S7_EEDaPvRmT3_T4_T5_mT6_P12ihipStream_tbENKUlT_T0_E_clISt17integral_constantIbLb0EESY_IbLb1EEEEDaSU_SV_EUlSU_E0_NS1_11comp_targetILNS1_3genE9ELNS1_11target_archE1100ELNS1_3gpuE3ELNS1_3repE0EEENS1_30default_config_static_selectorELNS0_4arch9wavefront6targetE1EEEvT1_.num_named_barrier, 0
	.set _ZN7rocprim17ROCPRIM_400000_NS6detail17trampoline_kernelINS0_14default_configENS1_20scan_config_selectorIN3c107complexIfEEEEZZNS1_9scan_implILNS1_25lookback_scan_determinismE0ELb0ELb0ES3_PKS7_PS7_S7_ZZZN2at6native31launch_logcumsumexp_cuda_kernelERKNSE_10TensorBaseESI_lENKUlvE_clEvENKUlvE2_clEvEUlS7_S7_E_S7_EEDaPvRmT3_T4_T5_mT6_P12ihipStream_tbENKUlT_T0_E_clISt17integral_constantIbLb0EESY_IbLb1EEEEDaSU_SV_EUlSU_E0_NS1_11comp_targetILNS1_3genE9ELNS1_11target_archE1100ELNS1_3gpuE3ELNS1_3repE0EEENS1_30default_config_static_selectorELNS0_4arch9wavefront6targetE1EEEvT1_.private_seg_size, 0
	.set _ZN7rocprim17ROCPRIM_400000_NS6detail17trampoline_kernelINS0_14default_configENS1_20scan_config_selectorIN3c107complexIfEEEEZZNS1_9scan_implILNS1_25lookback_scan_determinismE0ELb0ELb0ES3_PKS7_PS7_S7_ZZZN2at6native31launch_logcumsumexp_cuda_kernelERKNSE_10TensorBaseESI_lENKUlvE_clEvENKUlvE2_clEvEUlS7_S7_E_S7_EEDaPvRmT3_T4_T5_mT6_P12ihipStream_tbENKUlT_T0_E_clISt17integral_constantIbLb0EESY_IbLb1EEEEDaSU_SV_EUlSU_E0_NS1_11comp_targetILNS1_3genE9ELNS1_11target_archE1100ELNS1_3gpuE3ELNS1_3repE0EEENS1_30default_config_static_selectorELNS0_4arch9wavefront6targetE1EEEvT1_.uses_vcc, 0
	.set _ZN7rocprim17ROCPRIM_400000_NS6detail17trampoline_kernelINS0_14default_configENS1_20scan_config_selectorIN3c107complexIfEEEEZZNS1_9scan_implILNS1_25lookback_scan_determinismE0ELb0ELb0ES3_PKS7_PS7_S7_ZZZN2at6native31launch_logcumsumexp_cuda_kernelERKNSE_10TensorBaseESI_lENKUlvE_clEvENKUlvE2_clEvEUlS7_S7_E_S7_EEDaPvRmT3_T4_T5_mT6_P12ihipStream_tbENKUlT_T0_E_clISt17integral_constantIbLb0EESY_IbLb1EEEEDaSU_SV_EUlSU_E0_NS1_11comp_targetILNS1_3genE9ELNS1_11target_archE1100ELNS1_3gpuE3ELNS1_3repE0EEENS1_30default_config_static_selectorELNS0_4arch9wavefront6targetE1EEEvT1_.uses_flat_scratch, 0
	.set _ZN7rocprim17ROCPRIM_400000_NS6detail17trampoline_kernelINS0_14default_configENS1_20scan_config_selectorIN3c107complexIfEEEEZZNS1_9scan_implILNS1_25lookback_scan_determinismE0ELb0ELb0ES3_PKS7_PS7_S7_ZZZN2at6native31launch_logcumsumexp_cuda_kernelERKNSE_10TensorBaseESI_lENKUlvE_clEvENKUlvE2_clEvEUlS7_S7_E_S7_EEDaPvRmT3_T4_T5_mT6_P12ihipStream_tbENKUlT_T0_E_clISt17integral_constantIbLb0EESY_IbLb1EEEEDaSU_SV_EUlSU_E0_NS1_11comp_targetILNS1_3genE9ELNS1_11target_archE1100ELNS1_3gpuE3ELNS1_3repE0EEENS1_30default_config_static_selectorELNS0_4arch9wavefront6targetE1EEEvT1_.has_dyn_sized_stack, 0
	.set _ZN7rocprim17ROCPRIM_400000_NS6detail17trampoline_kernelINS0_14default_configENS1_20scan_config_selectorIN3c107complexIfEEEEZZNS1_9scan_implILNS1_25lookback_scan_determinismE0ELb0ELb0ES3_PKS7_PS7_S7_ZZZN2at6native31launch_logcumsumexp_cuda_kernelERKNSE_10TensorBaseESI_lENKUlvE_clEvENKUlvE2_clEvEUlS7_S7_E_S7_EEDaPvRmT3_T4_T5_mT6_P12ihipStream_tbENKUlT_T0_E_clISt17integral_constantIbLb0EESY_IbLb1EEEEDaSU_SV_EUlSU_E0_NS1_11comp_targetILNS1_3genE9ELNS1_11target_archE1100ELNS1_3gpuE3ELNS1_3repE0EEENS1_30default_config_static_selectorELNS0_4arch9wavefront6targetE1EEEvT1_.has_recursion, 0
	.set _ZN7rocprim17ROCPRIM_400000_NS6detail17trampoline_kernelINS0_14default_configENS1_20scan_config_selectorIN3c107complexIfEEEEZZNS1_9scan_implILNS1_25lookback_scan_determinismE0ELb0ELb0ES3_PKS7_PS7_S7_ZZZN2at6native31launch_logcumsumexp_cuda_kernelERKNSE_10TensorBaseESI_lENKUlvE_clEvENKUlvE2_clEvEUlS7_S7_E_S7_EEDaPvRmT3_T4_T5_mT6_P12ihipStream_tbENKUlT_T0_E_clISt17integral_constantIbLb0EESY_IbLb1EEEEDaSU_SV_EUlSU_E0_NS1_11comp_targetILNS1_3genE9ELNS1_11target_archE1100ELNS1_3gpuE3ELNS1_3repE0EEENS1_30default_config_static_selectorELNS0_4arch9wavefront6targetE1EEEvT1_.has_indirect_call, 0
	.section	.AMDGPU.csdata,"",@progbits
; Kernel info:
; codeLenInByte = 0
; TotalNumSgprs: 6
; NumVgprs: 0
; NumAgprs: 0
; TotalNumVgprs: 0
; ScratchSize: 0
; MemoryBound: 0
; FloatMode: 240
; IeeeMode: 1
; LDSByteSize: 0 bytes/workgroup (compile time only)
; SGPRBlocks: 0
; VGPRBlocks: 0
; NumSGPRsForWavesPerEU: 6
; NumVGPRsForWavesPerEU: 1
; AccumOffset: 4
; Occupancy: 8
; WaveLimiterHint : 0
; COMPUTE_PGM_RSRC2:SCRATCH_EN: 0
; COMPUTE_PGM_RSRC2:USER_SGPR: 2
; COMPUTE_PGM_RSRC2:TRAP_HANDLER: 0
; COMPUTE_PGM_RSRC2:TGID_X_EN: 1
; COMPUTE_PGM_RSRC2:TGID_Y_EN: 0
; COMPUTE_PGM_RSRC2:TGID_Z_EN: 0
; COMPUTE_PGM_RSRC2:TIDIG_COMP_CNT: 0
; COMPUTE_PGM_RSRC3_GFX90A:ACCUM_OFFSET: 0
; COMPUTE_PGM_RSRC3_GFX90A:TG_SPLIT: 0
	.section	.text._ZN7rocprim17ROCPRIM_400000_NS6detail17trampoline_kernelINS0_14default_configENS1_20scan_config_selectorIN3c107complexIfEEEEZZNS1_9scan_implILNS1_25lookback_scan_determinismE0ELb0ELb0ES3_PKS7_PS7_S7_ZZZN2at6native31launch_logcumsumexp_cuda_kernelERKNSE_10TensorBaseESI_lENKUlvE_clEvENKUlvE2_clEvEUlS7_S7_E_S7_EEDaPvRmT3_T4_T5_mT6_P12ihipStream_tbENKUlT_T0_E_clISt17integral_constantIbLb0EESY_IbLb1EEEEDaSU_SV_EUlSU_E0_NS1_11comp_targetILNS1_3genE8ELNS1_11target_archE1030ELNS1_3gpuE2ELNS1_3repE0EEENS1_30default_config_static_selectorELNS0_4arch9wavefront6targetE1EEEvT1_,"axG",@progbits,_ZN7rocprim17ROCPRIM_400000_NS6detail17trampoline_kernelINS0_14default_configENS1_20scan_config_selectorIN3c107complexIfEEEEZZNS1_9scan_implILNS1_25lookback_scan_determinismE0ELb0ELb0ES3_PKS7_PS7_S7_ZZZN2at6native31launch_logcumsumexp_cuda_kernelERKNSE_10TensorBaseESI_lENKUlvE_clEvENKUlvE2_clEvEUlS7_S7_E_S7_EEDaPvRmT3_T4_T5_mT6_P12ihipStream_tbENKUlT_T0_E_clISt17integral_constantIbLb0EESY_IbLb1EEEEDaSU_SV_EUlSU_E0_NS1_11comp_targetILNS1_3genE8ELNS1_11target_archE1030ELNS1_3gpuE2ELNS1_3repE0EEENS1_30default_config_static_selectorELNS0_4arch9wavefront6targetE1EEEvT1_,comdat
	.globl	_ZN7rocprim17ROCPRIM_400000_NS6detail17trampoline_kernelINS0_14default_configENS1_20scan_config_selectorIN3c107complexIfEEEEZZNS1_9scan_implILNS1_25lookback_scan_determinismE0ELb0ELb0ES3_PKS7_PS7_S7_ZZZN2at6native31launch_logcumsumexp_cuda_kernelERKNSE_10TensorBaseESI_lENKUlvE_clEvENKUlvE2_clEvEUlS7_S7_E_S7_EEDaPvRmT3_T4_T5_mT6_P12ihipStream_tbENKUlT_T0_E_clISt17integral_constantIbLb0EESY_IbLb1EEEEDaSU_SV_EUlSU_E0_NS1_11comp_targetILNS1_3genE8ELNS1_11target_archE1030ELNS1_3gpuE2ELNS1_3repE0EEENS1_30default_config_static_selectorELNS0_4arch9wavefront6targetE1EEEvT1_ ; -- Begin function _ZN7rocprim17ROCPRIM_400000_NS6detail17trampoline_kernelINS0_14default_configENS1_20scan_config_selectorIN3c107complexIfEEEEZZNS1_9scan_implILNS1_25lookback_scan_determinismE0ELb0ELb0ES3_PKS7_PS7_S7_ZZZN2at6native31launch_logcumsumexp_cuda_kernelERKNSE_10TensorBaseESI_lENKUlvE_clEvENKUlvE2_clEvEUlS7_S7_E_S7_EEDaPvRmT3_T4_T5_mT6_P12ihipStream_tbENKUlT_T0_E_clISt17integral_constantIbLb0EESY_IbLb1EEEEDaSU_SV_EUlSU_E0_NS1_11comp_targetILNS1_3genE8ELNS1_11target_archE1030ELNS1_3gpuE2ELNS1_3repE0EEENS1_30default_config_static_selectorELNS0_4arch9wavefront6targetE1EEEvT1_
	.p2align	8
	.type	_ZN7rocprim17ROCPRIM_400000_NS6detail17trampoline_kernelINS0_14default_configENS1_20scan_config_selectorIN3c107complexIfEEEEZZNS1_9scan_implILNS1_25lookback_scan_determinismE0ELb0ELb0ES3_PKS7_PS7_S7_ZZZN2at6native31launch_logcumsumexp_cuda_kernelERKNSE_10TensorBaseESI_lENKUlvE_clEvENKUlvE2_clEvEUlS7_S7_E_S7_EEDaPvRmT3_T4_T5_mT6_P12ihipStream_tbENKUlT_T0_E_clISt17integral_constantIbLb0EESY_IbLb1EEEEDaSU_SV_EUlSU_E0_NS1_11comp_targetILNS1_3genE8ELNS1_11target_archE1030ELNS1_3gpuE2ELNS1_3repE0EEENS1_30default_config_static_selectorELNS0_4arch9wavefront6targetE1EEEvT1_,@function
_ZN7rocprim17ROCPRIM_400000_NS6detail17trampoline_kernelINS0_14default_configENS1_20scan_config_selectorIN3c107complexIfEEEEZZNS1_9scan_implILNS1_25lookback_scan_determinismE0ELb0ELb0ES3_PKS7_PS7_S7_ZZZN2at6native31launch_logcumsumexp_cuda_kernelERKNSE_10TensorBaseESI_lENKUlvE_clEvENKUlvE2_clEvEUlS7_S7_E_S7_EEDaPvRmT3_T4_T5_mT6_P12ihipStream_tbENKUlT_T0_E_clISt17integral_constantIbLb0EESY_IbLb1EEEEDaSU_SV_EUlSU_E0_NS1_11comp_targetILNS1_3genE8ELNS1_11target_archE1030ELNS1_3gpuE2ELNS1_3repE0EEENS1_30default_config_static_selectorELNS0_4arch9wavefront6targetE1EEEvT1_: ; @_ZN7rocprim17ROCPRIM_400000_NS6detail17trampoline_kernelINS0_14default_configENS1_20scan_config_selectorIN3c107complexIfEEEEZZNS1_9scan_implILNS1_25lookback_scan_determinismE0ELb0ELb0ES3_PKS7_PS7_S7_ZZZN2at6native31launch_logcumsumexp_cuda_kernelERKNSE_10TensorBaseESI_lENKUlvE_clEvENKUlvE2_clEvEUlS7_S7_E_S7_EEDaPvRmT3_T4_T5_mT6_P12ihipStream_tbENKUlT_T0_E_clISt17integral_constantIbLb0EESY_IbLb1EEEEDaSU_SV_EUlSU_E0_NS1_11comp_targetILNS1_3genE8ELNS1_11target_archE1030ELNS1_3gpuE2ELNS1_3repE0EEENS1_30default_config_static_selectorELNS0_4arch9wavefront6targetE1EEEvT1_
; %bb.0:
	.section	.rodata,"a",@progbits
	.p2align	6, 0x0
	.amdhsa_kernel _ZN7rocprim17ROCPRIM_400000_NS6detail17trampoline_kernelINS0_14default_configENS1_20scan_config_selectorIN3c107complexIfEEEEZZNS1_9scan_implILNS1_25lookback_scan_determinismE0ELb0ELb0ES3_PKS7_PS7_S7_ZZZN2at6native31launch_logcumsumexp_cuda_kernelERKNSE_10TensorBaseESI_lENKUlvE_clEvENKUlvE2_clEvEUlS7_S7_E_S7_EEDaPvRmT3_T4_T5_mT6_P12ihipStream_tbENKUlT_T0_E_clISt17integral_constantIbLb0EESY_IbLb1EEEEDaSU_SV_EUlSU_E0_NS1_11comp_targetILNS1_3genE8ELNS1_11target_archE1030ELNS1_3gpuE2ELNS1_3repE0EEENS1_30default_config_static_selectorELNS0_4arch9wavefront6targetE1EEEvT1_
		.amdhsa_group_segment_fixed_size 0
		.amdhsa_private_segment_fixed_size 0
		.amdhsa_kernarg_size 40
		.amdhsa_user_sgpr_count 2
		.amdhsa_user_sgpr_dispatch_ptr 0
		.amdhsa_user_sgpr_queue_ptr 0
		.amdhsa_user_sgpr_kernarg_segment_ptr 1
		.amdhsa_user_sgpr_dispatch_id 0
		.amdhsa_user_sgpr_kernarg_preload_length 0
		.amdhsa_user_sgpr_kernarg_preload_offset 0
		.amdhsa_user_sgpr_private_segment_size 0
		.amdhsa_uses_dynamic_stack 0
		.amdhsa_enable_private_segment 0
		.amdhsa_system_sgpr_workgroup_id_x 1
		.amdhsa_system_sgpr_workgroup_id_y 0
		.amdhsa_system_sgpr_workgroup_id_z 0
		.amdhsa_system_sgpr_workgroup_info 0
		.amdhsa_system_vgpr_workitem_id 0
		.amdhsa_next_free_vgpr 1
		.amdhsa_next_free_sgpr 0
		.amdhsa_accum_offset 4
		.amdhsa_reserve_vcc 0
		.amdhsa_float_round_mode_32 0
		.amdhsa_float_round_mode_16_64 0
		.amdhsa_float_denorm_mode_32 3
		.amdhsa_float_denorm_mode_16_64 3
		.amdhsa_dx10_clamp 1
		.amdhsa_ieee_mode 1
		.amdhsa_fp16_overflow 0
		.amdhsa_tg_split 0
		.amdhsa_exception_fp_ieee_invalid_op 0
		.amdhsa_exception_fp_denorm_src 0
		.amdhsa_exception_fp_ieee_div_zero 0
		.amdhsa_exception_fp_ieee_overflow 0
		.amdhsa_exception_fp_ieee_underflow 0
		.amdhsa_exception_fp_ieee_inexact 0
		.amdhsa_exception_int_div_zero 0
	.end_amdhsa_kernel
	.section	.text._ZN7rocprim17ROCPRIM_400000_NS6detail17trampoline_kernelINS0_14default_configENS1_20scan_config_selectorIN3c107complexIfEEEEZZNS1_9scan_implILNS1_25lookback_scan_determinismE0ELb0ELb0ES3_PKS7_PS7_S7_ZZZN2at6native31launch_logcumsumexp_cuda_kernelERKNSE_10TensorBaseESI_lENKUlvE_clEvENKUlvE2_clEvEUlS7_S7_E_S7_EEDaPvRmT3_T4_T5_mT6_P12ihipStream_tbENKUlT_T0_E_clISt17integral_constantIbLb0EESY_IbLb1EEEEDaSU_SV_EUlSU_E0_NS1_11comp_targetILNS1_3genE8ELNS1_11target_archE1030ELNS1_3gpuE2ELNS1_3repE0EEENS1_30default_config_static_selectorELNS0_4arch9wavefront6targetE1EEEvT1_,"axG",@progbits,_ZN7rocprim17ROCPRIM_400000_NS6detail17trampoline_kernelINS0_14default_configENS1_20scan_config_selectorIN3c107complexIfEEEEZZNS1_9scan_implILNS1_25lookback_scan_determinismE0ELb0ELb0ES3_PKS7_PS7_S7_ZZZN2at6native31launch_logcumsumexp_cuda_kernelERKNSE_10TensorBaseESI_lENKUlvE_clEvENKUlvE2_clEvEUlS7_S7_E_S7_EEDaPvRmT3_T4_T5_mT6_P12ihipStream_tbENKUlT_T0_E_clISt17integral_constantIbLb0EESY_IbLb1EEEEDaSU_SV_EUlSU_E0_NS1_11comp_targetILNS1_3genE8ELNS1_11target_archE1030ELNS1_3gpuE2ELNS1_3repE0EEENS1_30default_config_static_selectorELNS0_4arch9wavefront6targetE1EEEvT1_,comdat
.Lfunc_end346:
	.size	_ZN7rocprim17ROCPRIM_400000_NS6detail17trampoline_kernelINS0_14default_configENS1_20scan_config_selectorIN3c107complexIfEEEEZZNS1_9scan_implILNS1_25lookback_scan_determinismE0ELb0ELb0ES3_PKS7_PS7_S7_ZZZN2at6native31launch_logcumsumexp_cuda_kernelERKNSE_10TensorBaseESI_lENKUlvE_clEvENKUlvE2_clEvEUlS7_S7_E_S7_EEDaPvRmT3_T4_T5_mT6_P12ihipStream_tbENKUlT_T0_E_clISt17integral_constantIbLb0EESY_IbLb1EEEEDaSU_SV_EUlSU_E0_NS1_11comp_targetILNS1_3genE8ELNS1_11target_archE1030ELNS1_3gpuE2ELNS1_3repE0EEENS1_30default_config_static_selectorELNS0_4arch9wavefront6targetE1EEEvT1_, .Lfunc_end346-_ZN7rocprim17ROCPRIM_400000_NS6detail17trampoline_kernelINS0_14default_configENS1_20scan_config_selectorIN3c107complexIfEEEEZZNS1_9scan_implILNS1_25lookback_scan_determinismE0ELb0ELb0ES3_PKS7_PS7_S7_ZZZN2at6native31launch_logcumsumexp_cuda_kernelERKNSE_10TensorBaseESI_lENKUlvE_clEvENKUlvE2_clEvEUlS7_S7_E_S7_EEDaPvRmT3_T4_T5_mT6_P12ihipStream_tbENKUlT_T0_E_clISt17integral_constantIbLb0EESY_IbLb1EEEEDaSU_SV_EUlSU_E0_NS1_11comp_targetILNS1_3genE8ELNS1_11target_archE1030ELNS1_3gpuE2ELNS1_3repE0EEENS1_30default_config_static_selectorELNS0_4arch9wavefront6targetE1EEEvT1_
                                        ; -- End function
	.set _ZN7rocprim17ROCPRIM_400000_NS6detail17trampoline_kernelINS0_14default_configENS1_20scan_config_selectorIN3c107complexIfEEEEZZNS1_9scan_implILNS1_25lookback_scan_determinismE0ELb0ELb0ES3_PKS7_PS7_S7_ZZZN2at6native31launch_logcumsumexp_cuda_kernelERKNSE_10TensorBaseESI_lENKUlvE_clEvENKUlvE2_clEvEUlS7_S7_E_S7_EEDaPvRmT3_T4_T5_mT6_P12ihipStream_tbENKUlT_T0_E_clISt17integral_constantIbLb0EESY_IbLb1EEEEDaSU_SV_EUlSU_E0_NS1_11comp_targetILNS1_3genE8ELNS1_11target_archE1030ELNS1_3gpuE2ELNS1_3repE0EEENS1_30default_config_static_selectorELNS0_4arch9wavefront6targetE1EEEvT1_.num_vgpr, 0
	.set _ZN7rocprim17ROCPRIM_400000_NS6detail17trampoline_kernelINS0_14default_configENS1_20scan_config_selectorIN3c107complexIfEEEEZZNS1_9scan_implILNS1_25lookback_scan_determinismE0ELb0ELb0ES3_PKS7_PS7_S7_ZZZN2at6native31launch_logcumsumexp_cuda_kernelERKNSE_10TensorBaseESI_lENKUlvE_clEvENKUlvE2_clEvEUlS7_S7_E_S7_EEDaPvRmT3_T4_T5_mT6_P12ihipStream_tbENKUlT_T0_E_clISt17integral_constantIbLb0EESY_IbLb1EEEEDaSU_SV_EUlSU_E0_NS1_11comp_targetILNS1_3genE8ELNS1_11target_archE1030ELNS1_3gpuE2ELNS1_3repE0EEENS1_30default_config_static_selectorELNS0_4arch9wavefront6targetE1EEEvT1_.num_agpr, 0
	.set _ZN7rocprim17ROCPRIM_400000_NS6detail17trampoline_kernelINS0_14default_configENS1_20scan_config_selectorIN3c107complexIfEEEEZZNS1_9scan_implILNS1_25lookback_scan_determinismE0ELb0ELb0ES3_PKS7_PS7_S7_ZZZN2at6native31launch_logcumsumexp_cuda_kernelERKNSE_10TensorBaseESI_lENKUlvE_clEvENKUlvE2_clEvEUlS7_S7_E_S7_EEDaPvRmT3_T4_T5_mT6_P12ihipStream_tbENKUlT_T0_E_clISt17integral_constantIbLb0EESY_IbLb1EEEEDaSU_SV_EUlSU_E0_NS1_11comp_targetILNS1_3genE8ELNS1_11target_archE1030ELNS1_3gpuE2ELNS1_3repE0EEENS1_30default_config_static_selectorELNS0_4arch9wavefront6targetE1EEEvT1_.numbered_sgpr, 0
	.set _ZN7rocprim17ROCPRIM_400000_NS6detail17trampoline_kernelINS0_14default_configENS1_20scan_config_selectorIN3c107complexIfEEEEZZNS1_9scan_implILNS1_25lookback_scan_determinismE0ELb0ELb0ES3_PKS7_PS7_S7_ZZZN2at6native31launch_logcumsumexp_cuda_kernelERKNSE_10TensorBaseESI_lENKUlvE_clEvENKUlvE2_clEvEUlS7_S7_E_S7_EEDaPvRmT3_T4_T5_mT6_P12ihipStream_tbENKUlT_T0_E_clISt17integral_constantIbLb0EESY_IbLb1EEEEDaSU_SV_EUlSU_E0_NS1_11comp_targetILNS1_3genE8ELNS1_11target_archE1030ELNS1_3gpuE2ELNS1_3repE0EEENS1_30default_config_static_selectorELNS0_4arch9wavefront6targetE1EEEvT1_.num_named_barrier, 0
	.set _ZN7rocprim17ROCPRIM_400000_NS6detail17trampoline_kernelINS0_14default_configENS1_20scan_config_selectorIN3c107complexIfEEEEZZNS1_9scan_implILNS1_25lookback_scan_determinismE0ELb0ELb0ES3_PKS7_PS7_S7_ZZZN2at6native31launch_logcumsumexp_cuda_kernelERKNSE_10TensorBaseESI_lENKUlvE_clEvENKUlvE2_clEvEUlS7_S7_E_S7_EEDaPvRmT3_T4_T5_mT6_P12ihipStream_tbENKUlT_T0_E_clISt17integral_constantIbLb0EESY_IbLb1EEEEDaSU_SV_EUlSU_E0_NS1_11comp_targetILNS1_3genE8ELNS1_11target_archE1030ELNS1_3gpuE2ELNS1_3repE0EEENS1_30default_config_static_selectorELNS0_4arch9wavefront6targetE1EEEvT1_.private_seg_size, 0
	.set _ZN7rocprim17ROCPRIM_400000_NS6detail17trampoline_kernelINS0_14default_configENS1_20scan_config_selectorIN3c107complexIfEEEEZZNS1_9scan_implILNS1_25lookback_scan_determinismE0ELb0ELb0ES3_PKS7_PS7_S7_ZZZN2at6native31launch_logcumsumexp_cuda_kernelERKNSE_10TensorBaseESI_lENKUlvE_clEvENKUlvE2_clEvEUlS7_S7_E_S7_EEDaPvRmT3_T4_T5_mT6_P12ihipStream_tbENKUlT_T0_E_clISt17integral_constantIbLb0EESY_IbLb1EEEEDaSU_SV_EUlSU_E0_NS1_11comp_targetILNS1_3genE8ELNS1_11target_archE1030ELNS1_3gpuE2ELNS1_3repE0EEENS1_30default_config_static_selectorELNS0_4arch9wavefront6targetE1EEEvT1_.uses_vcc, 0
	.set _ZN7rocprim17ROCPRIM_400000_NS6detail17trampoline_kernelINS0_14default_configENS1_20scan_config_selectorIN3c107complexIfEEEEZZNS1_9scan_implILNS1_25lookback_scan_determinismE0ELb0ELb0ES3_PKS7_PS7_S7_ZZZN2at6native31launch_logcumsumexp_cuda_kernelERKNSE_10TensorBaseESI_lENKUlvE_clEvENKUlvE2_clEvEUlS7_S7_E_S7_EEDaPvRmT3_T4_T5_mT6_P12ihipStream_tbENKUlT_T0_E_clISt17integral_constantIbLb0EESY_IbLb1EEEEDaSU_SV_EUlSU_E0_NS1_11comp_targetILNS1_3genE8ELNS1_11target_archE1030ELNS1_3gpuE2ELNS1_3repE0EEENS1_30default_config_static_selectorELNS0_4arch9wavefront6targetE1EEEvT1_.uses_flat_scratch, 0
	.set _ZN7rocprim17ROCPRIM_400000_NS6detail17trampoline_kernelINS0_14default_configENS1_20scan_config_selectorIN3c107complexIfEEEEZZNS1_9scan_implILNS1_25lookback_scan_determinismE0ELb0ELb0ES3_PKS7_PS7_S7_ZZZN2at6native31launch_logcumsumexp_cuda_kernelERKNSE_10TensorBaseESI_lENKUlvE_clEvENKUlvE2_clEvEUlS7_S7_E_S7_EEDaPvRmT3_T4_T5_mT6_P12ihipStream_tbENKUlT_T0_E_clISt17integral_constantIbLb0EESY_IbLb1EEEEDaSU_SV_EUlSU_E0_NS1_11comp_targetILNS1_3genE8ELNS1_11target_archE1030ELNS1_3gpuE2ELNS1_3repE0EEENS1_30default_config_static_selectorELNS0_4arch9wavefront6targetE1EEEvT1_.has_dyn_sized_stack, 0
	.set _ZN7rocprim17ROCPRIM_400000_NS6detail17trampoline_kernelINS0_14default_configENS1_20scan_config_selectorIN3c107complexIfEEEEZZNS1_9scan_implILNS1_25lookback_scan_determinismE0ELb0ELb0ES3_PKS7_PS7_S7_ZZZN2at6native31launch_logcumsumexp_cuda_kernelERKNSE_10TensorBaseESI_lENKUlvE_clEvENKUlvE2_clEvEUlS7_S7_E_S7_EEDaPvRmT3_T4_T5_mT6_P12ihipStream_tbENKUlT_T0_E_clISt17integral_constantIbLb0EESY_IbLb1EEEEDaSU_SV_EUlSU_E0_NS1_11comp_targetILNS1_3genE8ELNS1_11target_archE1030ELNS1_3gpuE2ELNS1_3repE0EEENS1_30default_config_static_selectorELNS0_4arch9wavefront6targetE1EEEvT1_.has_recursion, 0
	.set _ZN7rocprim17ROCPRIM_400000_NS6detail17trampoline_kernelINS0_14default_configENS1_20scan_config_selectorIN3c107complexIfEEEEZZNS1_9scan_implILNS1_25lookback_scan_determinismE0ELb0ELb0ES3_PKS7_PS7_S7_ZZZN2at6native31launch_logcumsumexp_cuda_kernelERKNSE_10TensorBaseESI_lENKUlvE_clEvENKUlvE2_clEvEUlS7_S7_E_S7_EEDaPvRmT3_T4_T5_mT6_P12ihipStream_tbENKUlT_T0_E_clISt17integral_constantIbLb0EESY_IbLb1EEEEDaSU_SV_EUlSU_E0_NS1_11comp_targetILNS1_3genE8ELNS1_11target_archE1030ELNS1_3gpuE2ELNS1_3repE0EEENS1_30default_config_static_selectorELNS0_4arch9wavefront6targetE1EEEvT1_.has_indirect_call, 0
	.section	.AMDGPU.csdata,"",@progbits
; Kernel info:
; codeLenInByte = 0
; TotalNumSgprs: 6
; NumVgprs: 0
; NumAgprs: 0
; TotalNumVgprs: 0
; ScratchSize: 0
; MemoryBound: 0
; FloatMode: 240
; IeeeMode: 1
; LDSByteSize: 0 bytes/workgroup (compile time only)
; SGPRBlocks: 0
; VGPRBlocks: 0
; NumSGPRsForWavesPerEU: 6
; NumVGPRsForWavesPerEU: 1
; AccumOffset: 4
; Occupancy: 8
; WaveLimiterHint : 0
; COMPUTE_PGM_RSRC2:SCRATCH_EN: 0
; COMPUTE_PGM_RSRC2:USER_SGPR: 2
; COMPUTE_PGM_RSRC2:TRAP_HANDLER: 0
; COMPUTE_PGM_RSRC2:TGID_X_EN: 1
; COMPUTE_PGM_RSRC2:TGID_Y_EN: 0
; COMPUTE_PGM_RSRC2:TGID_Z_EN: 0
; COMPUTE_PGM_RSRC2:TIDIG_COMP_CNT: 0
; COMPUTE_PGM_RSRC3_GFX90A:ACCUM_OFFSET: 0
; COMPUTE_PGM_RSRC3_GFX90A:TG_SPLIT: 0
	.section	.text._ZN2at6native32tensor_kernel_scan_innermost_dimIN3c107complexIfEEZZZNS0_31launch_logcumsumexp_cuda_kernelERKNS_10TensorBaseES7_lENKUlvE_clEvENKUlvE2_clEvEUlS4_S4_E_EEvPT_PKSB_jjjSB_T0_,"axG",@progbits,_ZN2at6native32tensor_kernel_scan_innermost_dimIN3c107complexIfEEZZZNS0_31launch_logcumsumexp_cuda_kernelERKNS_10TensorBaseES7_lENKUlvE_clEvENKUlvE2_clEvEUlS4_S4_E_EEvPT_PKSB_jjjSB_T0_,comdat
	.globl	_ZN2at6native32tensor_kernel_scan_innermost_dimIN3c107complexIfEEZZZNS0_31launch_logcumsumexp_cuda_kernelERKNS_10TensorBaseES7_lENKUlvE_clEvENKUlvE2_clEvEUlS4_S4_E_EEvPT_PKSB_jjjSB_T0_ ; -- Begin function _ZN2at6native32tensor_kernel_scan_innermost_dimIN3c107complexIfEEZZZNS0_31launch_logcumsumexp_cuda_kernelERKNS_10TensorBaseES7_lENKUlvE_clEvENKUlvE2_clEvEUlS4_S4_E_EEvPT_PKSB_jjjSB_T0_
	.p2align	8
	.type	_ZN2at6native32tensor_kernel_scan_innermost_dimIN3c107complexIfEEZZZNS0_31launch_logcumsumexp_cuda_kernelERKNS_10TensorBaseES7_lENKUlvE_clEvENKUlvE2_clEvEUlS4_S4_E_EEvPT_PKSB_jjjSB_T0_,@function
_ZN2at6native32tensor_kernel_scan_innermost_dimIN3c107complexIfEEZZZNS0_31launch_logcumsumexp_cuda_kernelERKNS_10TensorBaseES7_lENKUlvE_clEvENKUlvE2_clEvEUlS4_S4_E_EEvPT_PKSB_jjjSB_T0_: ; @_ZN2at6native32tensor_kernel_scan_innermost_dimIN3c107complexIfEEZZZNS0_31launch_logcumsumexp_cuda_kernelERKNS_10TensorBaseES7_lENKUlvE_clEvENKUlvE2_clEvEUlS4_S4_E_EEvPT_PKSB_jjjSB_T0_
; %bb.0:
	s_load_dwordx8 s[20:27], s[0:1], 0x0
	s_load_dwordx2 s[18:19], s[0:1], 0x20
	v_bfe_u32 v2, v0, 10, 10
	s_waitcnt lgkmcnt(0)
	s_lshl_b32 s3, 2, s26
	v_mul_lo_u32 v1, s3, v2
	s_mul_hi_u32 s4, s24, s25
	v_lshl_add_u32 v30, v1, 3, 0
	s_cmp_lg_u32 s4, 0
	s_mov_b64 s[4:5], -1
	s_cbranch_scc1 .LBB347_122
; %bb.1:
	s_load_dword s6, s[0:1], 0x3c
	s_add_u32 s4, s0, 48
	s_addc_u32 s5, s1, 0
	s_waitcnt lgkmcnt(0)
	s_lshr_b32 s6, s6, 16
	s_mul_i32 s27, s2, s6
	s_cmp_ge_u32 s27, s24
	s_cbranch_scc1 .LBB347_121
; %bb.2:
	s_load_dword s44, s[4:5], 0x0
	s_lshl_b32 s33, 1, s26
	s_cmp_lg_u32 s25, 0
	s_cselect_b64 s[8:9], -1, 0
	v_and_b32_e32 v1, 0x3ff, v0
	v_lshl_add_u32 v3, v1, 3, v30
	s_lshl_b32 s4, s3, 3
	v_cndmask_b32_e64 v4, 0, 1, s[8:9]
	v_lshl_add_u32 v31, s33, 3, v3
	v_cmp_eq_u32_e64 s[10:11], 0, v1
	v_add3_u32 v32, v30, s4, -8
	s_waitcnt lgkmcnt(0)
	s_mul_i32 s44, s44, s6
	s_add_i32 s45, s26, 1
	v_cmp_ne_u32_e64 s[4:5], 1, v4
	v_mov_b32_e32 v5, 0
	s_movk_i32 s46, 0x1f8
	s_brev_b32 s47, -2
	s_brev_b32 s48, 18
	s_mov_b32 s49, 0x800000
	s_mov_b32 s50, 0xfe5163ab
	;; [unrolled: 1-line block ×15, first 2 shown]
	s_brev_b32 s64, 1
	v_mov_b32_e32 v33, 0x3c0881c4
	v_mov_b32_e32 v34, 0xbab64f3b
	v_mov_b32_e32 v6, 1.0
	s_mov_b32 s65, 0x3f317217
	s_mov_b32 s66, 0x3f2aaaab
	v_mov_b32_e32 v35, 0x3ecc95a3
	s_mov_b32 s67, 0x3f317218
	s_mov_b32 s68, 0x33800000
	s_movk_i32 s69, 0x204
	v_mov_b32_e32 v36, 0xbc7a590c
	v_mov_b32_e32 v9, -1.0
	v_mov_b32_e32 v10, 0x7fc00000
	v_not_b32_e32 v37, 63
	v_not_b32_e32 v38, 31
	v_mov_b32_e32 v39, 0x7f800000
	v_mov_b32_e32 v40, 0x41b17218
	;; [unrolled: 1-line block ×7, first 2 shown]
                                        ; implicit-def: $vgpr4
                                        ; implicit-def: $vgpr4
	;; [unrolled: 1-line block ×10, first 2 shown]
	s_branch .LBB347_4
.LBB347_3:                              ;   in Loop: Header=BB347_4 Depth=1
	s_add_i32 s27, s27, s44
	s_cmp_ge_u32 s27, s24
	s_cbranch_scc1 .LBB347_121
.LBB347_4:                              ; =>This Loop Header: Depth=1
                                        ;     Child Loop BB347_7 Depth 2
                                        ;       Child Loop BB347_69 Depth 3
	s_and_b64 vcc, exec, s[4:5]
	s_cbranch_vccnz .LBB347_3
; %bb.5:                                ;   in Loop: Header=BB347_4 Depth=1
	v_add_u32_e32 v7, s27, v2
	v_mul_lo_u32 v4, v7, s25
	v_lshlrev_b64 v[16:17], 3, v[4:5]
	v_lshl_add_u64 v[14:15], s[22:23], 0, v[16:17]
	v_lshl_add_u64 v[16:17], s[20:21], 0, v[16:17]
	v_cmp_gt_u32_e32 vcc, s24, v7
	v_cmp_le_u32_e64 s[6:7], s24, v7
	s_mov_b32 s70, 0
	v_mov_b64_e32 v[22:23], s[18:19]
	s_branch .LBB347_7
.LBB347_6:                              ;   in Loop: Header=BB347_7 Depth=2
	s_or_b64 exec, exec, s[12:13]
	ds_read_b64 v[22:23], v32
	s_add_i32 s70, s70, s3
	s_cmp_ge_u32 s70, s25
	s_waitcnt lgkmcnt(0)
	s_barrier
	s_cbranch_scc1 .LBB347_3
.LBB347_7:                              ;   Parent Loop BB347_4 Depth=1
                                        ; =>  This Loop Header: Depth=2
                                        ;       Child Loop BB347_69 Depth 3
	v_add_u32_e32 v20, s70, v1
	v_add_u32_e32 v18, s33, v20
	s_and_saveexec_b64 s[28:29], vcc
	s_cbranch_execz .LBB347_62
; %bb.8:                                ;   in Loop: Header=BB347_7 Depth=2
	v_cmp_gt_u32_e64 s[8:9], s25, v20
	v_mov_b64_e32 v[24:25], s[18:19]
	s_and_saveexec_b64 s[12:13], s[8:9]
	s_cbranch_execz .LBB347_10
; %bb.9:                                ;   in Loop: Header=BB347_7 Depth=2
	v_mov_b32_e32 v21, v5
	v_lshl_add_u64 v[24:25], v[20:21], 3, v[14:15]
	global_load_dwordx2 v[24:25], v[24:25], off
.LBB347_10:                             ;   in Loop: Header=BB347_7 Depth=2
	s_or_b64 exec, exec, s[12:13]
	s_waitcnt vmcnt(0)
	ds_write_b64 v3, v[24:25]
	v_cmp_gt_u32_e64 s[8:9], s25, v18
	v_mov_b64_e32 v[24:25], s[18:19]
	s_and_saveexec_b64 s[12:13], s[8:9]
	s_cbranch_execz .LBB347_12
; %bb.11:                               ;   in Loop: Header=BB347_7 Depth=2
	v_mov_b32_e32 v19, v5
	v_lshl_add_u64 v[24:25], v[18:19], 3, v[14:15]
	global_load_dwordx2 v[24:25], v[24:25], off
.LBB347_12:                             ;   in Loop: Header=BB347_7 Depth=2
	s_or_b64 exec, exec, s[12:13]
	s_waitcnt vmcnt(0)
	ds_write_b64 v31, v[24:25]
	s_and_b64 exec, exec, s[10:11]
	s_cbranch_execz .LBB347_62
; %bb.13:                               ;   in Loop: Header=BB347_7 Depth=2
	ds_read_b64 v[28:29], v30
	v_cmp_o_f32_e64 s[8:9], v22, v23
	v_mov_b32_e32 v27, v23
	v_mov_b64_e32 v[24:25], v[22:23]
	s_and_saveexec_b64 s[16:17], s[8:9]
	s_cbranch_execz .LBB347_15
; %bb.14:                               ;   in Loop: Header=BB347_7 Depth=2
	s_waitcnt lgkmcnt(0)
	v_cmp_u_f32_e64 s[12:13], v28, v29
	v_cmp_lt_f32_e64 s[14:15], v28, v22
	s_or_b64 s[12:13], s[14:15], s[12:13]
	v_cndmask_b32_e64 v27, v23, v29, s[12:13]
	v_cndmask_b32_e64 v26, v22, v28, s[12:13]
	v_mov_b64_e32 v[24:25], v[26:27]
.LBB347_15:                             ;   in Loop: Header=BB347_7 Depth=2
	s_or_b64 exec, exec, s[16:17]
	s_and_saveexec_b64 s[12:13], s[8:9]
	s_xor_b64 s[14:15], exec, s[12:13]
	s_cbranch_execz .LBB347_17
; %bb.16:                               ;   in Loop: Header=BB347_7 Depth=2
	s_waitcnt lgkmcnt(0)
	v_cmp_u_f32_e64 s[8:9], v28, v29
	v_cmp_ge_f32_e64 s[12:13], v28, v22
	s_or_b64 s[8:9], s[12:13], s[8:9]
	v_cndmask_b32_e64 v23, v23, v29, s[8:9]
	v_cndmask_b32_e64 v22, v22, v28, s[8:9]
.LBB347_17:                             ;   in Loop: Header=BB347_7 Depth=2
	s_andn2_saveexec_b64 s[8:9], s[14:15]
	s_or_b64 exec, exec, s[8:9]
	v_mov_b32_e32 v11, v10
	v_cmp_o_f32_e64 s[8:9], v24, v25
	s_waitcnt lgkmcnt(0)
	v_mov_b64_e32 v[28:29], v[10:11]
	s_and_saveexec_b64 s[30:31], s[8:9]
	s_cbranch_execz .LBB347_61
; %bb.18:                               ;   in Loop: Header=BB347_7 Depth=2
	v_cmp_class_f32_e64 s[12:13], v24, s46
	v_cmp_neq_f32_e64 s[8:9], v22, v24
	s_or_b64 s[8:9], s[12:13], s[8:9]
	s_and_saveexec_b64 s[12:13], s[8:9]
	s_xor_b64 s[34:35], exec, s[12:13]
	s_cbranch_execz .LBB347_34
; %bb.19:                               ;   in Loop: Header=BB347_7 Depth=2
	v_pk_add_f32 v[24:25], v[24:25], v[22:23] neg_lo:[0,1] neg_hi:[0,1]
                                        ; implicit-def: $vgpr26
	s_nop 0
	v_and_b32_e32 v7, 0x7fffffff, v25
	v_lshrrev_b32_e32 v4, 23, v7
	v_and_b32_e32 v8, 0x7fffff, v7
	v_cmp_nlt_f32_e64 s[36:37], |v25|, s48
	v_add_u32_e32 v13, 0xffffff88, v4
	v_or_b32_e32 v11, 0x800000, v8
                                        ; implicit-def: $vgpr8
	s_and_saveexec_b64 s[8:9], s[36:37]
	s_xor_b64 s[38:39], exec, s[8:9]
	s_cbranch_execz .LBB347_21
; %bb.20:                               ;   in Loop: Header=BB347_7 Depth=2
	v_cmp_lt_u32_e64 s[8:9], 63, v13
	v_mad_u64_u32 v[26:27], s[16:17], v11, s50, 0
	s_nop 0
	v_cndmask_b32_e64 v4, 0, v37, s[8:9]
	v_add_u32_e32 v4, v4, v13
	v_cmp_lt_u32_e64 s[12:13], 31, v4
	s_nop 1
	v_cndmask_b32_e64 v8, 0, v38, s[12:13]
	v_add_u32_e32 v4, v8, v4
	v_cmp_lt_u32_e64 s[14:15], 31, v4
	s_nop 1
	v_cndmask_b32_e64 v8, 0, v38, s[14:15]
	v_add_u32_e32 v8, v8, v4
	v_mov_b32_e32 v4, v27
	v_mad_u64_u32 v[28:29], s[16:17], v11, s51, v[4:5]
	v_mov_b32_e32 v4, v29
	v_mad_u64_u32 v[46:47], s[16:17], v11, s52, v[4:5]
	;; [unrolled: 2-line block ×6, first 2 shown]
	v_cndmask_b32_e64 v19, v52, v48, s[8:9]
	v_cndmask_b32_e64 v4, v54, v50, s[8:9]
	;; [unrolled: 1-line block ×7, first 2 shown]
	v_sub_u32_e32 v29, 32, v8
	v_cmp_eq_u32_e64 s[16:17], 0, v8
	v_cndmask_b32_e64 v8, v48, v28, s[8:9]
	v_cndmask_b32_e64 v4, v4, v21, s[14:15]
	;; [unrolled: 1-line block ×4, first 2 shown]
	v_alignbit_b32 v45, v4, v21, v29
	v_cndmask_b32_e64 v19, v19, v27, s[14:15]
	v_cndmask_b32_e64 v4, v45, v4, s[16:17]
	v_alignbit_b32 v28, v21, v19, v29
	v_cndmask_b32_e64 v26, v46, v26, s[8:9]
	v_cndmask_b32_e64 v21, v28, v21, s[16:17]
	v_bfe_u32 v47, v4, 29, 1
	v_cndmask_b32_e64 v8, v8, v26, s[12:13]
	v_alignbit_b32 v28, v4, v21, 30
	v_sub_u32_e32 v48, 0, v47
	v_cndmask_b32_e64 v8, v27, v8, s[14:15]
	v_xor_b32_e32 v28, v28, v48
	v_alignbit_b32 v26, v19, v8, v29
	v_cndmask_b32_e64 v19, v26, v19, s[16:17]
	v_ffbh_u32_e32 v26, v28
	v_alignbit_b32 v21, v21, v19, 30
	v_min_u32_e32 v26, 32, v26
	v_alignbit_b32 v8, v19, v8, 30
	v_xor_b32_e32 v21, v21, v48
	v_sub_u32_e32 v27, 31, v26
	v_xor_b32_e32 v8, v8, v48
	v_alignbit_b32 v28, v28, v21, v27
	v_alignbit_b32 v8, v21, v8, v27
	;; [unrolled: 1-line block ×3, first 2 shown]
	v_ffbh_u32_e32 v21, v19
	v_min_u32_e32 v21, 32, v21
	v_lshrrev_b32_e32 v45, 29, v4
	v_not_b32_e32 v27, v21
	v_alignbit_b32 v8, v19, v8, v27
	v_lshlrev_b32_e32 v19, 31, v45
	v_or_b32_e32 v27, 0x33000000, v19
	v_add_lshl_u32 v21, v21, v26, 23
	v_lshrrev_b32_e32 v8, 9, v8
	v_sub_u32_e32 v21, v27, v21
	v_or_b32_e32 v19, 0.5, v19
	v_lshlrev_b32_e32 v26, 23, v26
	v_or_b32_e32 v8, v21, v8
	v_lshrrev_b32_e32 v21, 9, v28
	v_sub_u32_e32 v19, v19, v26
	v_or_b32_e32 v19, v21, v19
	v_mul_f32_e32 v21, 0x3fc90fda, v19
	v_fma_f32 v26, v19, s57, -v21
	v_fmac_f32_e32 v26, 0x33a22168, v19
	v_fmac_f32_e32 v26, 0x3fc90fda, v8
	v_lshrrev_b32_e32 v4, 30, v4
	v_add_f32_e32 v26, v21, v26
	v_add_u32_e32 v8, v47, v4
.LBB347_21:                             ;   in Loop: Header=BB347_7 Depth=2
	s_or_saveexec_b64 s[8:9], s[38:39]
	v_mul_f32_e64 v4, |v25|, s58
	v_rndne_f32_e32 v19, v4
	s_xor_b64 exec, exec, s[8:9]
; %bb.22:                               ;   in Loop: Header=BB347_7 Depth=2
	v_cvt_i32_f32_e32 v8, v19
	v_fma_f32 v26, v19, s59, |v25|
	v_fmac_f32_e32 v26, 0xb3a22168, v19
	v_fmac_f32_e32 v26, 0xa7c234c4, v19
; %bb.23:                               ;   in Loop: Header=BB347_7 Depth=2
	s_or_b64 exec, exec, s[8:9]
                                        ; implicit-def: $vgpr4
                                        ; implicit-def: $vgpr29
	s_and_saveexec_b64 s[8:9], s[36:37]
	s_xor_b64 s[36:37], exec, s[8:9]
	s_cbranch_execz .LBB347_25
; %bb.24:                               ;   in Loop: Header=BB347_7 Depth=2
	v_cmp_lt_u32_e64 s[8:9], 63, v13
	v_mad_u64_u32 v[28:29], s[16:17], v11, s50, 0
	s_nop 0
	v_cndmask_b32_e64 v4, 0, v37, s[8:9]
	v_add_u32_e32 v4, v4, v13
	v_cmp_lt_u32_e64 s[12:13], 31, v4
	s_nop 1
	v_cndmask_b32_e64 v13, 0, v38, s[12:13]
	v_add_u32_e32 v4, v13, v4
	v_cmp_lt_u32_e64 s[14:15], 31, v4
	s_nop 1
	v_cndmask_b32_e64 v13, 0, v38, s[14:15]
	v_add_u32_e32 v13, v13, v4
	v_mov_b32_e32 v4, v29
	v_mad_u64_u32 v[46:47], s[16:17], v11, s51, v[4:5]
	v_mov_b32_e32 v4, v47
	v_mad_u64_u32 v[48:49], s[16:17], v11, s52, v[4:5]
	;; [unrolled: 2-line block ×6, first 2 shown]
	v_cndmask_b32_e64 v19, v54, v50, s[8:9]
	v_cndmask_b32_e64 v4, v56, v52, s[8:9]
	;; [unrolled: 1-line block ×7, first 2 shown]
	v_sub_u32_e32 v27, 32, v13
	v_cmp_eq_u32_e64 s[16:17], 0, v13
	v_cndmask_b32_e64 v13, v50, v46, s[8:9]
	v_cndmask_b32_e64 v4, v4, v11, s[14:15]
	;; [unrolled: 1-line block ×4, first 2 shown]
	v_alignbit_b32 v29, v4, v11, v27
	v_cndmask_b32_e64 v19, v19, v21, s[14:15]
	v_cndmask_b32_e64 v4, v29, v4, s[16:17]
	v_alignbit_b32 v29, v11, v19, v27
	v_cndmask_b32_e64 v28, v48, v28, s[8:9]
	v_cndmask_b32_e64 v11, v29, v11, s[16:17]
	v_bfe_u32 v46, v4, 29, 1
	v_cndmask_b32_e64 v13, v13, v28, s[12:13]
	v_alignbit_b32 v29, v4, v11, 30
	v_sub_u32_e32 v47, 0, v46
	v_cndmask_b32_e64 v13, v21, v13, s[14:15]
	v_xor_b32_e32 v29, v29, v47
	v_alignbit_b32 v21, v19, v13, v27
	v_cndmask_b32_e64 v19, v21, v19, s[16:17]
	v_ffbh_u32_e32 v21, v29
	v_alignbit_b32 v11, v11, v19, 30
	v_min_u32_e32 v21, 32, v21
	v_alignbit_b32 v13, v19, v13, 30
	v_xor_b32_e32 v11, v11, v47
	v_sub_u32_e32 v27, 31, v21
	v_xor_b32_e32 v13, v13, v47
	v_alignbit_b32 v28, v29, v11, v27
	v_alignbit_b32 v11, v11, v13, v27
	;; [unrolled: 1-line block ×3, first 2 shown]
	v_ffbh_u32_e32 v19, v13
	v_min_u32_e32 v19, 32, v19
	v_lshrrev_b32_e32 v45, 29, v4
	v_not_b32_e32 v27, v19
	v_alignbit_b32 v11, v13, v11, v27
	v_lshlrev_b32_e32 v13, 31, v45
	v_or_b32_e32 v27, 0x33000000, v13
	v_add_lshl_u32 v19, v19, v21, 23
	v_lshrrev_b32_e32 v11, 9, v11
	v_sub_u32_e32 v19, v27, v19
	v_or_b32_e32 v13, 0.5, v13
	v_lshlrev_b32_e32 v21, 23, v21
	v_or_b32_e32 v11, v19, v11
	v_lshrrev_b32_e32 v19, 9, v28
	v_sub_u32_e32 v13, v13, v21
	v_or_b32_e32 v13, v19, v13
	v_mul_f32_e32 v19, 0x3fc90fda, v13
	v_fma_f32 v21, v13, s57, -v19
	v_fmac_f32_e32 v21, 0x33a22168, v13
	v_fmac_f32_e32 v21, 0x3fc90fda, v11
	v_lshrrev_b32_e32 v4, 30, v4
	v_add_f32_e32 v29, v19, v21
	v_add_u32_e32 v4, v46, v4
                                        ; implicit-def: $vgpr19
	s_andn2_saveexec_b64 s[8:9], s[36:37]
	s_cbranch_execnz .LBB347_26
	s_branch .LBB347_27
.LBB347_25:                             ;   in Loop: Header=BB347_7 Depth=2
	s_andn2_saveexec_b64 s[8:9], s[36:37]
.LBB347_26:                             ;   in Loop: Header=BB347_7 Depth=2
	v_cvt_i32_f32_e32 v4, v19
	v_fma_f32 v29, v19, s59, |v25|
	v_fmac_f32_e32 v29, 0xb3a22168, v19
	v_fmac_f32_e32 v29, 0xa7c234c4, v19
.LBB347_27:                             ;   in Loop: Header=BB347_7 Depth=2
	s_or_b64 exec, exec, s[8:9]
	v_mul_f32_e32 v11, 0x3fb8aa3b, v24
	v_rndne_f32_e32 v13, v11
	v_sub_f32_e32 v19, v11, v13
	v_fma_f32 v11, v24, s60, -v11
	v_fmac_f32_e32 v11, 0x32a5705f, v24
	v_add_f32_e32 v11, v19, v11
	v_cvt_i32_f32_e32 v13, v13
	v_exp_f32_e32 v11, v11
	v_mul_f32_e32 v27, v29, v29
	v_fmamk_f32 v19, v27, 0xb94c1982, v33
	v_fmaak_f32 v47, v27, v19, 0xbe2aaa9d
	v_ldexp_f32 v11, v11, v13
	v_and_b32_e32 v13, 1, v4
	v_lshlrev_b32_e32 v4, 30, v4
	v_mov_b32_e32 v46, v26
	v_and_b32_e32 v4, 0x80000000, v4
	v_xor_b32_e32 v7, v7, v25
	v_pk_mul_f32 v[46:47], v[26:27], v[46:47]
	v_xor_b32_e32 v4, v7, v4
	v_fmamk_f32 v7, v46, 0x37d75334, v34
	v_fmaak_f32 v7, v46, v7, 0x3d2aabf7
	v_fmaak_f32 v28, v46, v7, 0xbf000004
	v_fmamk_f32 v7, v46, 0xb94c1982, v33
	v_fmamk_f32 v19, v27, 0x37d75334, v34
	v_fmaak_f32 v7, v46, v7, 0xbe2aaa9d
	v_cmp_ngt_f32_e64 s[8:9], s61, v24
	v_fmaak_f32 v19, v27, v19, 0x3d2aabf7
	v_mul_f32_e32 v7, v46, v7
	v_cndmask_b32_e64 v11, 0, v11, s[8:9]
	v_cmp_nlt_f32_e64 s[8:9], s62, v24
	v_fmaak_f32 v19, v27, v19, 0xbf000004
	v_fmac_f32_e32 v26, v26, v7
	v_mov_b32_e32 v7, v29
	v_cndmask_b32_e64 v24, v39, v11, s[8:9]
	v_lshlrev_b32_e32 v11, 30, v8
	v_and_b32_e32 v8, 1, v8
	v_fma_f32 v19, v27, v19, 1.0
	v_pk_fma_f32 v[28:29], v[46:47], v[28:29], v[6:7]
	v_cmp_eq_u32_e64 s[8:9], 0, v13
	v_and_b32_e32 v11, 0x80000000, v11
	s_nop 0
	v_cndmask_b32_e64 v7, v19, v29, s[8:9]
	v_cmp_eq_u32_e64 s[8:9], 0, v8
	v_xor_b32_e32 v4, v4, v7
	s_nop 0
	v_cndmask_b32_e64 v8, -v26, v28, s[8:9]
	v_xor_b32_e32 v7, v11, v8
	v_cmp_class_f32_e64 s[8:9], v25, s46
	s_nop 1
	v_cndmask_b32_e64 v27, v10, v4, s[8:9]
	v_cndmask_b32_e64 v26, v10, v7, s[8:9]
	v_pk_mul_f32 v[24:25], v[24:25], v[26:27] op_sel_hi:[0,1]
	v_max_f32_e64 v4, |v24|, |v25|
	v_cvt_f64_f32_e32 v[26:27], v4
	v_frexp_exp_i32_f64_e32 v7, v[26:27]
	v_sub_u32_e32 v8, 0, v7
	v_ldexp_f32 v11, |v24|, v8
	v_ldexp_f32 v8, |v25|, v8
	v_mul_f32_e32 v8, v8, v8
	v_fmac_f32_e32 v8, v11, v11
	v_sqrt_f32_e32 v8, v8
	v_cmp_eq_f32_e64 s[8:9], s63, v4
	v_add_f32_e32 v4, 1.0, v24
                                        ; implicit-def: $vgpr26
	v_ldexp_f32 v8, v8, v7
	v_cmp_ngt_f32_e64 s[12:13], 0.5, v8
	v_max_f32_e64 v7, |v4|, |v25|
	s_or_b64 s[8:9], s[8:9], s[12:13]
	s_and_saveexec_b64 s[12:13], s[8:9]
	s_xor_b64 s[14:15], exec, s[12:13]
	s_cbranch_execz .LBB347_29
; %bb.28:                               ;   in Loop: Header=BB347_7 Depth=2
	v_cvt_f64_f32_e32 v[26:27], v7
	v_frexp_exp_i32_f64_e32 v8, v[26:27]
	v_sub_u32_e32 v11, 0, v8
	v_ldexp_f32 v13, |v4|, v11
	v_ldexp_f32 v11, |v25|, v11
	v_mul_f32_e32 v11, v11, v11
	v_fmac_f32_e32 v11, v13, v13
	v_sqrt_f32_e32 v11, v11
	v_cmp_neq_f32_e64 s[8:9], s63, v7
	v_ldexp_f32 v8, v11, v8
	s_nop 0
	v_cndmask_b32_e64 v8, v39, v8, s[8:9]
	v_cmp_gt_f32_e64 s[8:9], s49, v8
	s_nop 1
	v_cndmask_b32_e64 v11, 0, 32, s[8:9]
	v_ldexp_f32 v8, v8, v11
	v_log_f32_e32 v8, v8
	s_nop 0
	v_mul_f32_e32 v11, 0x3f317217, v8
	v_fma_f32 v11, v8, s65, -v11
	v_fmac_f32_e32 v11, 0x3377d1cf, v8
	v_fmac_f32_e32 v11, 0x3f317217, v8
	v_cmp_lt_f32_e64 s[12:13], |v8|, s63
	s_nop 1
	v_cndmask_b32_e64 v8, v8, v11, s[12:13]
	v_cndmask_b32_e64 v11, 0, v40, s[8:9]
	v_sub_f32_e32 v26, v8, v11
.LBB347_29:                             ;   in Loop: Header=BB347_7 Depth=2
	s_andn2_saveexec_b64 s[12:13], s[14:15]
	s_cbranch_execz .LBB347_33
; %bb.30:                               ;   in Loop: Header=BB347_7 Depth=2
	v_add_f32_e32 v26, 2.0, v24
	v_mov_b32_e32 v27, v25
	v_pk_mul_f32 v[26:27], v[24:25], v[26:27]
	s_nop 0
	v_add_f32_e32 v8, v26, v27
	v_cmp_neq_f32_e64 s[8:9], 0, v8
	s_and_saveexec_b64 s[14:15], s[8:9]
	s_cbranch_execz .LBB347_32
; %bb.31:                               ;   in Loop: Header=BB347_7 Depth=2
	v_add_f32_e32 v11, 1.0, v8
	v_add_f32_e32 v13, -1.0, v11
	v_sub_f32_e32 v19, v13, v11
	v_add_f32_e32 v19, 1.0, v19
	v_sub_f32_e32 v13, v8, v13
	v_add_f32_e32 v13, v13, v19
	v_frexp_mant_f32_e32 v19, v11
	v_cvt_f64_f32_e32 v[26:27], v11
	v_frexp_exp_i32_f64_e32 v21, v[26:27]
	v_cmp_gt_f32_e64 s[8:9], s66, v19
	s_nop 1
	v_subbrev_co_u32_e64 v19, s[8:9], 0, v21, s[8:9]
	v_sub_u32_e32 v21, 0, v19
	v_ldexp_f32 v11, v11, v21
	v_ldexp_f32 v13, v13, v21
	v_add_f32_e32 v21, -1.0, v11
	v_add_f32_e32 v26, 1.0, v11
	v_add_f32_e32 v24, 1.0, v21
	v_add_f32_e32 v27, -1.0, v26
	v_sub_f32_e32 v24, v11, v24
	v_sub_f32_e32 v11, v11, v27
	v_add_f32_e32 v11, v13, v11
	v_add_f32_e32 v24, v13, v24
	;; [unrolled: 1-line block ×3, first 2 shown]
	v_rcp_f32_e32 v45, v13
	v_add_f32_e32 v27, v21, v24
	v_sub_f32_e32 v21, v27, v21
	v_sub_f32_e32 v21, v24, v21
	v_mul_f32_e32 v24, v27, v45
	v_sub_f32_e32 v26, v13, v26
	v_mul_f32_e32 v28, v13, v24
	v_sub_f32_e32 v11, v11, v26
	v_fma_f32 v46, v24, v13, -v28
	v_fmac_f32_e32 v46, v24, v11
	v_add_f32_e32 v26, v28, v46
	v_sub_f32_e32 v29, v27, v26
	v_pk_add_f32 v[48:49], v[26:27], v[28:29] neg_lo:[0,1] neg_hi:[0,1]
	v_mov_b32_e32 v47, v26
	v_pk_add_f32 v[26:27], v[48:49], v[46:47] neg_lo:[0,1] neg_hi:[0,1]
	v_cmp_neq_f32_e64 s[8:9], s63, v8
	v_add_f32_e32 v21, v21, v27
	v_add_f32_e32 v21, v26, v21
	;; [unrolled: 1-line block ×3, first 2 shown]
	v_mul_f32_e32 v50, v45, v27
	v_mul_f32_e32 v28, v13, v50
	v_fma_f32 v46, v50, v13, -v28
	v_fmac_f32_e32 v46, v50, v11
	v_add_f32_e32 v26, v28, v46
	v_sub_f32_e32 v11, v29, v27
	v_sub_f32_e32 v29, v27, v26
	v_pk_add_f32 v[48:49], v[26:27], v[28:29] neg_lo:[0,1] neg_hi:[0,1]
	v_mov_b32_e32 v47, v26
	v_add_f32_e32 v11, v21, v11
	v_pk_add_f32 v[26:27], v[48:49], v[46:47] neg_lo:[0,1] neg_hi:[0,1]
	v_add_f32_e32 v21, v24, v50
	v_add_f32_e32 v11, v11, v27
	;; [unrolled: 1-line block ×4, first 2 shown]
	v_sub_f32_e32 v13, v21, v24
	v_mul_f32_e32 v11, v45, v11
	v_sub_f32_e32 v13, v50, v13
	v_add_f32_e32 v11, v13, v11
	v_add_f32_e32 v24, v21, v11
	v_cvt_f32_i32_e32 v26, v19
	v_mul_f32_e32 v27, v24, v24
	v_fmamk_f32 v13, v27, 0x3e9b6dac, v35
	v_fmaak_f32 v13, v27, v13, 0x3f2aaada
	v_mul_f32_e32 v27, v24, v27
	v_pk_mul_f32 v[46:47], v[26:27], v[12:13]
	v_ldexp_f32 v29, v24, 1
	v_fma_f32 v28, v26, s67, -v46
	v_fmac_f32_e32 v28, 0xb102e308, v26
	v_sub_f32_e32 v19, v24, v21
	v_pk_add_f32 v[26:27], v[46:47], v[28:29]
	v_sub_f32_e32 v11, v11, v19
	v_sub_f32_e32 v13, v27, v29
	v_ldexp_f32 v11, v11, 1
	v_sub_f32_e32 v13, v47, v13
	v_add_f32_e32 v49, v11, v13
	v_mov_b32_e32 v48, v46
	v_pk_add_f32 v[46:47], v[26:27], v[46:47] neg_lo:[0,1] neg_hi:[0,1]
	v_pk_add_f32 v[50:51], v[26:27], v[48:49]
	v_mov_b32_e32 v29, v26
	v_mov_b32_e32 v47, v51
	v_pk_add_f32 v[52:53], v[28:29], v[46:47] neg_lo:[0,1] neg_hi:[0,1]
	v_pk_add_f32 v[28:29], v[28:29], v[46:47]
	v_mov_b32_e32 v48, v49
	v_pk_add_f32 v[46:47], v[28:29], v[26:27] op_sel:[1,0] op_sel_hi:[0,1] neg_lo:[0,1] neg_hi:[0,1]
	v_pk_add_f32 v[54:55], v[50:51], v[46:47] op_sel_hi:[1,0] neg_lo:[0,1] neg_hi:[0,1]
	v_mov_b32_e32 v50, v51
	v_mov_b32_e32 v51, v29
	v_pk_mov_b32 v[46:47], v[26:27], v[46:47] op_sel:[1,0]
	v_mov_b32_e32 v49, v26
	v_pk_add_f32 v[46:47], v[50:51], v[46:47] neg_lo:[0,1] neg_hi:[0,1]
	v_mov_b32_e32 v54, v52
	v_pk_add_f32 v[26:27], v[48:49], v[46:47] neg_lo:[0,1] neg_hi:[0,1]
	v_mov_b32_e32 v53, v29
	v_pk_add_f32 v[46:47], v[54:55], v[26:27]
	s_nop 0
	v_pk_add_f32 v[48:49], v[46:47], v[46:47] op_sel:[0,1] op_sel_hi:[1,0]
	s_nop 0
	v_pk_add_f32 v[28:29], v[28:29], v[48:49] op_sel:[1,0] op_sel_hi:[0,1]
	v_mov_b32_e32 v47, v28
	v_pk_add_f32 v[50:51], v[46:47], v[52:53] neg_lo:[0,1] neg_hi:[0,1]
	v_mov_b32_e32 v27, v48
	v_sub_f32_e32 v11, v46, v50
	v_pk_add_f32 v[26:27], v[26:27], v[50:51] neg_lo:[0,1] neg_hi:[0,1]
	v_sub_f32_e32 v11, v52, v11
	v_add_f32_e32 v11, v26, v11
	v_add_f32_e32 v11, v11, v27
	;; [unrolled: 1-line block ×3, first 2 shown]
	v_cndmask_b32_e64 v11, v39, v11, s[8:9]
	v_cmp_ngt_f32_e64 s[8:9], -1.0, v8
	s_nop 1
	v_cndmask_b32_e64 v11, v10, v11, s[8:9]
	v_cmp_neq_f32_e64 s[8:9], -1.0, v8
	s_nop 1
	v_cndmask_b32_e64 v11, v41, v11, s[8:9]
	v_cmp_lt_f32_e64 s[8:9], |v8|, s68
	s_nop 1
	v_cndmask_b32_e64 v8, v11, v8, s[8:9]
	v_mul_f32_e32 v24, 0.5, v8
.LBB347_32:                             ;   in Loop: Header=BB347_7 Depth=2
	s_or_b64 exec, exec, s[14:15]
	v_mov_b32_e32 v26, v24
.LBB347_33:                             ;   in Loop: Header=BB347_7 Depth=2
	s_or_b64 exec, exec, s[12:13]
	v_max_f32_e64 v13, |v25|, |v25|
	v_max_f32_e64 v19, |v4|, |v4|
	v_min_f32_e32 v13, v19, v13
	v_frexp_mant_f32_e32 v19, v7
	v_rcp_f32_e32 v19, v19
	v_frexp_exp_i32_f32_e32 v7, v7
	v_frexp_exp_i32_f32_e32 v21, v13
	v_frexp_mant_f32_e32 v13, v13
	v_mul_f32_e32 v13, v13, v19
	v_sub_u32_e32 v7, v21, v7
	v_ldexp_f32 v7, v13, v7
	v_mul_f32_e32 v13, v7, v7
	v_fmamk_f32 v19, v13, 0x3b2d2a58, v36
	v_fmaak_f32 v19, v13, v19, 0x3d29fb3f
	v_fmaak_f32 v19, v13, v19, 0xbd97d4d7
	;; [unrolled: 1-line block ×6, first 2 shown]
	v_mul_f32_e32 v13, v13, v19
	v_cmp_gt_i32_e64 s[12:13], 0, v4
	v_fmac_f32_e32 v7, v7, v13
	v_sub_f32_e32 v13, 0x3fc90fdb, v7
	v_cndmask_b32_e64 v11, 0, v44, s[12:13]
	v_cmp_gt_f32_e64 s[12:13], |v25|, |v4|
	v_cmp_gt_f32_e64 s[8:9], 0, v4
	v_cmp_class_f32_e64 s[14:15], v25, s69
	v_cndmask_b32_e64 v7, v7, v13, s[12:13]
	v_sub_f32_e32 v13, 0x40490fdb, v7
	v_cmp_class_f32_e64 s[16:17], v4, s69
	v_cndmask_b32_e64 v8, v42, v43, s[8:9]
	v_cndmask_b32_e64 v7, v7, v13, s[8:9]
	v_cmp_eq_f32_e64 s[8:9], 0, v25
	s_nop 1
	v_cndmask_b32_e64 v7, v7, v11, s[8:9]
	s_and_b64 s[8:9], s[16:17], s[14:15]
	v_cndmask_b32_e64 v7, v7, v8, s[8:9]
	v_cmp_o_f32_e64 s[8:9], v4, v25
	s_nop 1
	v_cndmask_b32_e64 v4, v10, v7, s[8:9]
	v_bfi_b32 v27, s47, v4, v25
	v_pk_add_f32 v[24:25], v[22:23], v[26:27]
                                        ; implicit-def: $vgpr27
                                        ; implicit-def: $vgpr23
.LBB347_34:                             ;   in Loop: Header=BB347_7 Depth=2
	s_andn2_saveexec_b64 s[34:35], s[34:35]
	s_cbranch_execz .LBB347_60
; %bb.35:                               ;   in Loop: Header=BB347_7 Depth=2
	v_cmp_ngt_f32_e64 s[8:9], 0, v24
	s_and_saveexec_b64 s[36:37], s[8:9]
	s_cbranch_execz .LBB347_59
; %bb.36:                               ;   in Loop: Header=BB347_7 Depth=2
	v_and_b32_e32 v7, 0x7fffffff, v25
	v_lshrrev_b32_e32 v4, 23, v7
	v_and_b32_e32 v8, 0x7fffff, v7
	v_cmp_nlt_f32_e64 s[38:39], |v25|, s48
	v_add_u32_e32 v22, 0xffffff88, v4
	v_or_b32_e32 v21, 0x800000, v8
                                        ; implicit-def: $vgpr11
                                        ; implicit-def: $vgpr8
	s_and_saveexec_b64 s[8:9], s[38:39]
	s_xor_b64 s[40:41], exec, s[8:9]
	s_cbranch_execz .LBB347_38
; %bb.37:                               ;   in Loop: Header=BB347_7 Depth=2
	v_cmp_lt_u32_e64 s[8:9], 63, v22
	v_mad_u64_u32 v[28:29], s[16:17], v21, s50, 0
	s_nop 0
	v_cndmask_b32_e64 v4, 0, v37, s[8:9]
	v_add_u32_e32 v4, v4, v22
	v_cmp_lt_u32_e64 s[12:13], 31, v4
	s_nop 1
	v_cndmask_b32_e64 v8, 0, v38, s[12:13]
	v_add_u32_e32 v4, v8, v4
	v_cmp_lt_u32_e64 s[14:15], 31, v4
	s_nop 1
	v_cndmask_b32_e64 v8, 0, v38, s[14:15]
	v_add_u32_e32 v8, v8, v4
	v_mov_b32_e32 v4, v29
	v_mad_u64_u32 v[46:47], s[16:17], v21, s51, v[4:5]
	v_mov_b32_e32 v4, v47
	v_mad_u64_u32 v[48:49], s[16:17], v21, s52, v[4:5]
	;; [unrolled: 2-line block ×6, first 2 shown]
	v_cndmask_b32_e64 v11, v54, v50, s[8:9]
	v_cndmask_b32_e64 v4, v56, v52, s[8:9]
	;; [unrolled: 1-line block ×7, first 2 shown]
	v_sub_u32_e32 v24, 32, v8
	v_cmp_eq_u32_e64 s[16:17], 0, v8
	v_cndmask_b32_e64 v8, v50, v46, s[8:9]
	v_cndmask_b32_e64 v4, v4, v13, s[14:15]
	;; [unrolled: 1-line block ×4, first 2 shown]
	v_alignbit_b32 v26, v4, v13, v24
	v_cndmask_b32_e64 v11, v11, v19, s[14:15]
	v_cndmask_b32_e64 v4, v26, v4, s[16:17]
	v_alignbit_b32 v26, v13, v11, v24
	v_cndmask_b32_e64 v28, v48, v28, s[8:9]
	v_cndmask_b32_e64 v13, v26, v13, s[16:17]
	v_bfe_u32 v45, v4, 29, 1
	v_cndmask_b32_e64 v8, v8, v28, s[12:13]
	v_alignbit_b32 v26, v4, v13, 30
	v_sub_u32_e32 v46, 0, v45
	v_cndmask_b32_e64 v8, v19, v8, s[14:15]
	v_xor_b32_e32 v26, v26, v46
	v_alignbit_b32 v19, v11, v8, v24
	v_cndmask_b32_e64 v11, v19, v11, s[16:17]
	v_ffbh_u32_e32 v19, v26
	v_alignbit_b32 v13, v13, v11, 30
	v_min_u32_e32 v19, 32, v19
	v_alignbit_b32 v8, v11, v8, 30
	v_xor_b32_e32 v13, v13, v46
	v_sub_u32_e32 v24, 31, v19
	v_xor_b32_e32 v8, v8, v46
	v_alignbit_b32 v26, v26, v13, v24
	v_alignbit_b32 v8, v13, v8, v24
	v_alignbit_b32 v11, v26, v8, 9
	v_ffbh_u32_e32 v13, v11
	v_min_u32_e32 v13, 32, v13
	v_lshrrev_b32_e32 v29, 29, v4
	v_not_b32_e32 v24, v13
	v_alignbit_b32 v8, v11, v8, v24
	v_lshlrev_b32_e32 v11, 31, v29
	v_or_b32_e32 v24, 0x33000000, v11
	v_add_lshl_u32 v13, v13, v19, 23
	v_lshrrev_b32_e32 v8, 9, v8
	v_sub_u32_e32 v13, v24, v13
	v_or_b32_e32 v11, 0.5, v11
	v_lshlrev_b32_e32 v19, 23, v19
	v_or_b32_e32 v8, v13, v8
	v_lshrrev_b32_e32 v13, 9, v26
	v_sub_u32_e32 v11, v11, v19
	v_or_b32_e32 v11, v13, v11
	v_mul_f32_e32 v13, 0x3fc90fda, v11
	v_fma_f32 v19, v11, s57, -v13
	v_fmac_f32_e32 v19, 0x33a22168, v11
	v_fmac_f32_e32 v19, 0x3fc90fda, v8
	v_lshrrev_b32_e32 v4, 30, v4
	v_add_f32_e32 v8, v13, v19
	v_add_u32_e32 v11, v45, v4
.LBB347_38:                             ;   in Loop: Header=BB347_7 Depth=2
	s_or_saveexec_b64 s[8:9], s[40:41]
	v_mul_f32_e64 v4, |v25|, s58
	v_rndne_f32_e32 v4, v4
	s_xor_b64 exec, exec, s[8:9]
; %bb.39:                               ;   in Loop: Header=BB347_7 Depth=2
	v_cvt_i32_f32_e32 v11, v4
	v_fma_f32 v8, v4, s59, |v25|
	v_fmac_f32_e32 v8, 0xb3a22168, v4
	v_fmac_f32_e32 v8, 0xa7c234c4, v4
; %bb.40:                               ;   in Loop: Header=BB347_7 Depth=2
	s_or_b64 exec, exec, s[8:9]
                                        ; implicit-def: $vgpr13
                                        ; implicit-def: $vgpr19
	s_and_saveexec_b64 s[8:9], s[38:39]
	s_xor_b64 s[38:39], exec, s[8:9]
	s_cbranch_execz .LBB347_42
; %bb.41:                               ;   in Loop: Header=BB347_7 Depth=2
	v_cmp_lt_u32_e64 s[8:9], 63, v22
	v_mad_u64_u32 v[28:29], s[16:17], v21, s50, 0
	s_nop 0
	v_cndmask_b32_e64 v4, 0, v37, s[8:9]
	v_add_u32_e32 v4, v4, v22
	v_cmp_lt_u32_e64 s[12:13], 31, v4
	s_nop 1
	v_cndmask_b32_e64 v13, 0, v38, s[12:13]
	v_add_u32_e32 v4, v13, v4
	v_cmp_lt_u32_e64 s[14:15], 31, v4
	s_nop 1
	v_cndmask_b32_e64 v13, 0, v38, s[14:15]
	v_add_u32_e32 v13, v13, v4
	v_mov_b32_e32 v4, v29
	v_mad_u64_u32 v[46:47], s[16:17], v21, s51, v[4:5]
	v_mov_b32_e32 v4, v47
	v_mad_u64_u32 v[48:49], s[16:17], v21, s52, v[4:5]
	;; [unrolled: 2-line block ×6, first 2 shown]
	v_cndmask_b32_e64 v19, v54, v50, s[8:9]
	v_cndmask_b32_e64 v4, v56, v52, s[8:9]
	;; [unrolled: 1-line block ×7, first 2 shown]
	v_sub_u32_e32 v24, 32, v13
	v_cmp_eq_u32_e64 s[16:17], 0, v13
	v_cndmask_b32_e64 v13, v50, v46, s[8:9]
	v_cndmask_b32_e64 v4, v4, v21, s[14:15]
	;; [unrolled: 1-line block ×4, first 2 shown]
	v_alignbit_b32 v26, v4, v21, v24
	v_cndmask_b32_e64 v19, v19, v22, s[14:15]
	v_cndmask_b32_e64 v4, v26, v4, s[16:17]
	v_alignbit_b32 v26, v21, v19, v24
	v_cndmask_b32_e64 v28, v48, v28, s[8:9]
	v_cndmask_b32_e64 v21, v26, v21, s[16:17]
	v_bfe_u32 v45, v4, 29, 1
	v_cndmask_b32_e64 v13, v13, v28, s[12:13]
	v_alignbit_b32 v26, v4, v21, 30
	v_sub_u32_e32 v46, 0, v45
	v_cndmask_b32_e64 v13, v22, v13, s[14:15]
	v_xor_b32_e32 v26, v26, v46
	v_alignbit_b32 v22, v19, v13, v24
	v_cndmask_b32_e64 v19, v22, v19, s[16:17]
	v_ffbh_u32_e32 v22, v26
	v_alignbit_b32 v21, v21, v19, 30
	v_min_u32_e32 v22, 32, v22
	v_alignbit_b32 v13, v19, v13, 30
	v_xor_b32_e32 v21, v21, v46
	v_sub_u32_e32 v24, 31, v22
	v_xor_b32_e32 v13, v13, v46
	v_alignbit_b32 v26, v26, v21, v24
	v_alignbit_b32 v13, v21, v13, v24
	v_alignbit_b32 v19, v26, v13, 9
	v_ffbh_u32_e32 v21, v19
	v_min_u32_e32 v21, 32, v21
	v_lshrrev_b32_e32 v29, 29, v4
	v_not_b32_e32 v24, v21
	v_alignbit_b32 v13, v19, v13, v24
	v_lshlrev_b32_e32 v19, 31, v29
	v_or_b32_e32 v24, 0x33000000, v19
	v_add_lshl_u32 v21, v21, v22, 23
	v_lshrrev_b32_e32 v13, 9, v13
	v_sub_u32_e32 v21, v24, v21
	v_or_b32_e32 v19, 0.5, v19
	v_lshlrev_b32_e32 v22, 23, v22
	v_or_b32_e32 v13, v21, v13
	v_lshrrev_b32_e32 v21, 9, v26
	v_sub_u32_e32 v19, v19, v22
	v_or_b32_e32 v19, v21, v19
	v_mul_f32_e32 v21, 0x3fc90fda, v19
	v_fma_f32 v22, v19, s57, -v21
	v_fmac_f32_e32 v22, 0x33a22168, v19
	v_fmac_f32_e32 v22, 0x3fc90fda, v13
	v_lshrrev_b32_e32 v4, 30, v4
	v_add_f32_e32 v19, v21, v22
	v_add_u32_e32 v13, v45, v4
                                        ; implicit-def: $vgpr4
	s_andn2_saveexec_b64 s[8:9], s[38:39]
	s_cbranch_execnz .LBB347_43
	s_branch .LBB347_44
.LBB347_42:                             ;   in Loop: Header=BB347_7 Depth=2
	s_andn2_saveexec_b64 s[8:9], s[38:39]
.LBB347_43:                             ;   in Loop: Header=BB347_7 Depth=2
	v_cvt_i32_f32_e32 v13, v4
	v_fma_f32 v19, v4, s59, |v25|
	v_fmac_f32_e32 v19, 0xb3a22168, v4
	v_fmac_f32_e32 v19, 0xa7c234c4, v4
.LBB347_44:                             ;   in Loop: Header=BB347_7 Depth=2
	s_or_b64 exec, exec, s[8:9]
	v_and_b32_e32 v21, 0x7fffffff, v23
	v_lshrrev_b32_e32 v4, 23, v21
	v_and_b32_e32 v22, 0x7fffff, v21
	v_cmp_nlt_f32_e64 s[38:39], |v23|, s48
	v_add_u32_e32 v28, 0xffffff88, v4
	v_or_b32_e32 v26, 0x800000, v22
                                        ; implicit-def: $vgpr24
                                        ; implicit-def: $vgpr22
	s_and_saveexec_b64 s[8:9], s[38:39]
	s_xor_b64 s[40:41], exec, s[8:9]
	s_cbranch_execz .LBB347_46
; %bb.45:                               ;   in Loop: Header=BB347_7 Depth=2
	v_cmp_lt_u32_e64 s[8:9], 63, v28
	v_mad_u64_u32 v[46:47], s[16:17], v26, s50, 0
	s_nop 0
	v_cndmask_b32_e64 v4, 0, v37, s[8:9]
	v_add_u32_e32 v4, v4, v28
	v_cmp_lt_u32_e64 s[12:13], 31, v4
	s_nop 1
	v_cndmask_b32_e64 v22, 0, v38, s[12:13]
	v_add_u32_e32 v4, v22, v4
	v_cmp_lt_u32_e64 s[14:15], 31, v4
	s_nop 1
	v_cndmask_b32_e64 v22, 0, v38, s[14:15]
	v_add_u32_e32 v22, v22, v4
	v_mov_b32_e32 v4, v47
	v_mad_u64_u32 v[48:49], s[16:17], v26, s51, v[4:5]
	v_mov_b32_e32 v4, v49
	v_mad_u64_u32 v[50:51], s[16:17], v26, s52, v[4:5]
	;; [unrolled: 2-line block ×6, first 2 shown]
	v_cndmask_b32_e64 v24, v56, v52, s[8:9]
	v_cndmask_b32_e64 v4, v58, v54, s[8:9]
	;; [unrolled: 1-line block ×7, first 2 shown]
	v_sub_u32_e32 v47, 32, v22
	v_cmp_eq_u32_e64 s[16:17], 0, v22
	v_cndmask_b32_e64 v22, v52, v48, s[8:9]
	v_cndmask_b32_e64 v4, v4, v29, s[14:15]
	v_cndmask_b32_e64 v29, v29, v24, s[14:15]
	v_cndmask_b32_e64 v45, v45, v22, s[12:13]
	v_alignbit_b32 v49, v4, v29, v47
	v_cndmask_b32_e64 v24, v24, v45, s[14:15]
	v_cndmask_b32_e64 v4, v49, v4, s[16:17]
	v_alignbit_b32 v48, v29, v24, v47
	v_cndmask_b32_e64 v46, v50, v46, s[8:9]
	v_cndmask_b32_e64 v29, v48, v29, s[16:17]
	v_bfe_u32 v51, v4, 29, 1
	v_cndmask_b32_e64 v22, v22, v46, s[12:13]
	v_alignbit_b32 v48, v4, v29, 30
	v_sub_u32_e32 v52, 0, v51
	v_cndmask_b32_e64 v22, v45, v22, s[14:15]
	v_xor_b32_e32 v48, v48, v52
	v_alignbit_b32 v45, v24, v22, v47
	v_cndmask_b32_e64 v24, v45, v24, s[16:17]
	v_ffbh_u32_e32 v45, v48
	v_alignbit_b32 v29, v29, v24, 30
	v_min_u32_e32 v45, 32, v45
	v_alignbit_b32 v22, v24, v22, 30
	v_xor_b32_e32 v29, v29, v52
	v_sub_u32_e32 v46, 31, v45
	v_xor_b32_e32 v22, v22, v52
	v_alignbit_b32 v47, v48, v29, v46
	v_alignbit_b32 v22, v29, v22, v46
	;; [unrolled: 1-line block ×3, first 2 shown]
	v_ffbh_u32_e32 v29, v24
	v_min_u32_e32 v29, 32, v29
	v_lshrrev_b32_e32 v49, 29, v4
	v_not_b32_e32 v46, v29
	v_alignbit_b32 v22, v24, v22, v46
	v_lshlrev_b32_e32 v24, 31, v49
	v_or_b32_e32 v46, 0x33000000, v24
	v_add_lshl_u32 v29, v29, v45, 23
	v_lshrrev_b32_e32 v22, 9, v22
	v_sub_u32_e32 v29, v46, v29
	v_or_b32_e32 v24, 0.5, v24
	v_lshlrev_b32_e32 v45, 23, v45
	v_or_b32_e32 v22, v29, v22
	v_lshrrev_b32_e32 v29, 9, v47
	v_sub_u32_e32 v24, v24, v45
	v_or_b32_e32 v24, v29, v24
	v_mul_f32_e32 v29, 0x3fc90fda, v24
	v_fma_f32 v45, v24, s57, -v29
	v_fmac_f32_e32 v45, 0x33a22168, v24
	v_fmac_f32_e32 v45, 0x3fc90fda, v22
	v_lshrrev_b32_e32 v4, 30, v4
	v_add_f32_e32 v22, v29, v45
	v_add_u32_e32 v24, v51, v4
.LBB347_46:                             ;   in Loop: Header=BB347_7 Depth=2
	s_or_saveexec_b64 s[8:9], s[40:41]
	v_mul_f32_e64 v4, |v23|, s58
	v_rndne_f32_e32 v45, v4
	s_xor_b64 exec, exec, s[8:9]
; %bb.47:                               ;   in Loop: Header=BB347_7 Depth=2
	v_cvt_i32_f32_e32 v24, v45
	v_fma_f32 v22, v45, s59, |v23|
	v_fmac_f32_e32 v22, 0xb3a22168, v45
	v_fmac_f32_e32 v22, 0xa7c234c4, v45
; %bb.48:                               ;   in Loop: Header=BB347_7 Depth=2
	s_or_b64 exec, exec, s[8:9]
                                        ; implicit-def: $vgpr4
                                        ; implicit-def: $vgpr29
	s_and_saveexec_b64 s[8:9], s[38:39]
	s_xor_b64 s[38:39], exec, s[8:9]
	s_cbranch_execz .LBB347_50
; %bb.49:                               ;   in Loop: Header=BB347_7 Depth=2
	v_cmp_lt_u32_e64 s[8:9], 63, v28
	s_nop 1
	v_cndmask_b32_e64 v4, 0, v37, s[8:9]
	v_add_u32_e32 v4, v4, v28
	v_cmp_lt_u32_e64 s[12:13], 31, v4
	s_nop 1
	v_cndmask_b32_e64 v28, 0, v38, s[12:13]
	v_add_u32_e32 v4, v28, v4
	;; [unrolled: 4-line block ×3, first 2 shown]
	v_mad_u64_u32 v[28:29], s[16:17], v26, s50, 0
	v_mov_b32_e32 v4, v29
	v_mad_u64_u32 v[46:47], s[16:17], v26, s51, v[4:5]
	v_mov_b32_e32 v4, v47
	;; [unrolled: 2-line block ×6, first 2 shown]
	v_mad_u64_u32 v[56:57], s[16:17], v26, s56, v[4:5]
	v_cndmask_b32_e64 v29, v54, v50, s[8:9]
	v_cndmask_b32_e64 v4, v56, v52, s[8:9]
	;; [unrolled: 1-line block ×7, first 2 shown]
	v_sub_u32_e32 v49, 32, v45
	v_cmp_eq_u32_e64 s[16:17], 0, v45
	v_cndmask_b32_e64 v45, v50, v46, s[8:9]
	v_cndmask_b32_e64 v4, v4, v26, s[14:15]
	;; [unrolled: 1-line block ×4, first 2 shown]
	v_alignbit_b32 v51, v4, v26, v49
	v_cndmask_b32_e64 v29, v29, v46, s[14:15]
	v_cndmask_b32_e64 v4, v51, v4, s[16:17]
	v_alignbit_b32 v47, v26, v29, v49
	v_cndmask_b32_e64 v28, v48, v28, s[8:9]
	v_cndmask_b32_e64 v26, v47, v26, s[16:17]
	v_bfe_u32 v51, v4, 29, 1
	v_cndmask_b32_e64 v28, v45, v28, s[12:13]
	v_alignbit_b32 v47, v4, v26, 30
	v_sub_u32_e32 v52, 0, v51
	v_cndmask_b32_e64 v28, v46, v28, s[14:15]
	v_xor_b32_e32 v47, v47, v52
	v_alignbit_b32 v45, v29, v28, v49
	v_cndmask_b32_e64 v29, v45, v29, s[16:17]
	v_ffbh_u32_e32 v45, v47
	v_alignbit_b32 v26, v26, v29, 30
	v_min_u32_e32 v45, 32, v45
	v_alignbit_b32 v28, v29, v28, 30
	v_xor_b32_e32 v26, v26, v52
	v_sub_u32_e32 v46, 31, v45
	v_xor_b32_e32 v28, v28, v52
	v_alignbit_b32 v47, v47, v26, v46
	v_alignbit_b32 v26, v26, v28, v46
	;; [unrolled: 1-line block ×3, first 2 shown]
	v_ffbh_u32_e32 v29, v28
	v_min_u32_e32 v29, 32, v29
	v_lshrrev_b32_e32 v50, 29, v4
	v_not_b32_e32 v46, v29
	v_alignbit_b32 v26, v28, v26, v46
	v_lshlrev_b32_e32 v28, 31, v50
	v_or_b32_e32 v46, 0x33000000, v28
	v_add_lshl_u32 v29, v29, v45, 23
	v_lshrrev_b32_e32 v26, 9, v26
	v_sub_u32_e32 v29, v46, v29
	v_or_b32_e32 v28, 0.5, v28
	v_lshlrev_b32_e32 v45, 23, v45
	v_or_b32_e32 v26, v29, v26
	v_lshrrev_b32_e32 v29, 9, v47
	v_sub_u32_e32 v28, v28, v45
	v_or_b32_e32 v28, v29, v28
	v_mul_f32_e32 v29, 0x3fc90fda, v28
	v_fma_f32 v45, v28, s57, -v29
	v_fmac_f32_e32 v45, 0x33a22168, v28
	v_fmac_f32_e32 v45, 0x3fc90fda, v26
	v_lshrrev_b32_e32 v4, 30, v4
	v_add_f32_e32 v29, v29, v45
	v_add_u32_e32 v4, v51, v4
                                        ; implicit-def: $vgpr45
	s_andn2_saveexec_b64 s[8:9], s[38:39]
	s_cbranch_execnz .LBB347_51
	s_branch .LBB347_52
.LBB347_50:                             ;   in Loop: Header=BB347_7 Depth=2
	s_andn2_saveexec_b64 s[8:9], s[38:39]
.LBB347_51:                             ;   in Loop: Header=BB347_7 Depth=2
	v_cvt_i32_f32_e32 v4, v45
	v_fma_f32 v29, v45, s59, |v23|
	v_fmac_f32_e32 v29, 0xb3a22168, v45
	v_fmac_f32_e32 v29, 0xa7c234c4, v45
.LBB347_52:                             ;   in Loop: Header=BB347_7 Depth=2
	s_or_b64 exec, exec, s[8:9]
	v_mul_f32_e32 v28, v8, v8
	v_fmamk_f32 v45, v28, 0xb94c1982, v33
	v_fmaak_f32 v45, v28, v45, 0xbe2aaa9d
	v_mul_f32_e32 v45, v28, v45
	v_fmac_f32_e32 v8, v8, v45
	v_fmamk_f32 v45, v28, 0x37d75334, v34
	v_fmaak_f32 v45, v28, v45, 0x3d2aabf7
	v_lshlrev_b32_e32 v26, 30, v11
	v_and_b32_e32 v11, 1, v11
	v_fmaak_f32 v45, v28, v45, 0xbf000004
	v_and_b32_e32 v26, 0x80000000, v26
	v_fma_f32 v28, v28, v45, 1.0
	v_cmp_eq_u32_e64 s[8:9], 0, v11
	v_xor_b32_e32 v7, v7, v27
	v_xor_b32_e32 v7, v7, v26
	v_cndmask_b32_e64 v8, v28, v8, s[8:9]
	v_xor_b32_e32 v7, v7, v8
	v_mul_f32_e32 v8, v19, v19
	v_fmamk_f32 v11, v8, 0xb94c1982, v33
	v_fmaak_f32 v11, v8, v11, 0xbe2aaa9d
	v_mul_f32_e32 v11, v8, v11
	v_fmac_f32_e32 v19, v19, v11
	v_fmamk_f32 v11, v8, 0x37d75334, v34
	v_fmaak_f32 v11, v8, v11, 0x3d2aabf7
	v_fmaak_f32 v11, v8, v11, 0xbf000004
	v_fma_f32 v8, v8, v11, 1.0
	v_and_b32_e32 v11, 1, v13
	v_cmp_eq_u32_e64 s[12:13], 0, v11
	v_lshlrev_b32_e32 v11, 30, v13
	v_mul_f32_e32 v13, v22, v22
	v_cndmask_b32_e64 v8, -v19, v8, s[12:13]
	v_fmamk_f32 v19, v13, 0xb94c1982, v33
	v_cmp_class_f32_e64 s[8:9], v25, s46
	v_bitop3_b32 v8, v11, v8, s64 bitop3:0x6c
	v_fmaak_f32 v19, v13, v19, 0xbe2aaa9d
	v_cndmask_b32_e64 v8, v10, v8, s[8:9]
	v_mul_f32_e32 v19, v13, v19
	v_cndmask_b32_e64 v7, v10, v7, s[8:9]
	v_mul_f32_e32 v11, 0x7f800000, v8
	v_cmp_neq_f32_e64 s[8:9], 0, v8
	v_fmac_f32_e32 v22, v22, v19
	v_fmamk_f32 v19, v13, 0x37d75334, v34
	v_cndmask_b32_e64 v11, 0, v11, s[8:9]
	v_mul_f32_e32 v8, 0x7f800000, v7
	v_cmp_neq_f32_e64 s[8:9], 0, v7
	v_fmaak_f32 v19, v13, v19, 0x3d2aabf7
	v_fmaak_f32 v19, v13, v19, 0xbf000004
	v_cndmask_b32_e64 v26, 0, v8, s[8:9]
	v_and_b32_e32 v8, 1, v24
	v_lshlrev_b32_e32 v7, 30, v24
	v_fma_f32 v13, v13, v19, 1.0
	v_cmp_eq_u32_e64 s[8:9], 0, v8
	v_and_b32_e32 v7, 0x80000000, v7
	s_nop 0
	v_cndmask_b32_e64 v8, v13, v22, s[8:9]
	v_xor_b32_e32 v13, v21, v23
	v_xor_b32_e32 v7, v13, v7
	;; [unrolled: 1-line block ×3, first 2 shown]
	v_mul_f32_e32 v8, v29, v29
	v_fmamk_f32 v13, v8, 0xb94c1982, v33
	v_fmaak_f32 v13, v8, v13, 0xbe2aaa9d
	v_mul_f32_e32 v13, v8, v13
	v_fmac_f32_e32 v29, v29, v13
	v_fmamk_f32 v13, v8, 0x37d75334, v34
	v_fmaak_f32 v13, v8, v13, 0x3d2aabf7
	v_fmaak_f32 v13, v8, v13, 0xbf000004
	v_fma_f32 v8, v8, v13, 1.0
	v_and_b32_e32 v13, 1, v4
	v_cmp_eq_u32_e64 s[12:13], 0, v13
	v_lshlrev_b32_e32 v4, 30, v4
	v_cmp_class_f32_e64 s[8:9], v23, s46
	v_cndmask_b32_e64 v8, -v29, v8, s[12:13]
	v_bitop3_b32 v4, v4, v8, s64 bitop3:0x6c
	v_cndmask_b32_e64 v4, v10, v4, s[8:9]
	v_cndmask_b32_e64 v7, v10, v7, s[8:9]
	v_mul_f32_e32 v8, 0x7f800000, v4
	v_cmp_neq_f32_e64 s[8:9], 0, v4
	s_nop 1
	v_cndmask_b32_e64 v4, 0, v8, s[8:9]
	v_mul_f32_e32 v8, 0x7f800000, v7
	v_cmp_neq_f32_e64 s[8:9], 0, v7
	v_add_f32_e32 v27, v11, v4
	s_nop 0
	v_cndmask_b32_e64 v8, 0, v8, s[8:9]
	v_pk_add_f32 v[22:23], v[26:27], v[8:9]
	s_nop 0
	v_max_f32_e64 v4, |v23|, |v22|
	v_cvt_f64_f32_e32 v[24:25], v4
	v_frexp_exp_i32_f64_e32 v7, v[24:25]
	v_sub_u32_e32 v8, 0, v7
	v_ldexp_f32 v11, |v23|, v8
	v_ldexp_f32 v8, |v22|, v8
	v_mul_f32_e32 v8, v8, v8
	v_fmac_f32_e32 v8, v11, v11
	v_sqrt_f32_e32 v8, v8
	v_cmp_eq_f32_e64 s[8:9], s63, v4
	v_add_f32_e32 v4, 1.0, v23
                                        ; implicit-def: $vgpr24
	v_ldexp_f32 v8, v8, v7
	v_cmp_ngt_f32_e64 s[12:13], 0.5, v8
	v_max_f32_e64 v7, |v4|, |v22|
	s_or_b64 s[8:9], s[8:9], s[12:13]
	s_and_saveexec_b64 s[12:13], s[8:9]
	s_xor_b64 s[14:15], exec, s[12:13]
	s_cbranch_execz .LBB347_54
; %bb.53:                               ;   in Loop: Header=BB347_7 Depth=2
	v_cvt_f64_f32_e32 v[24:25], v7
	v_frexp_exp_i32_f64_e32 v8, v[24:25]
	v_sub_u32_e32 v11, 0, v8
	v_ldexp_f32 v13, |v4|, v11
	v_ldexp_f32 v11, |v22|, v11
	v_mul_f32_e32 v11, v11, v11
	v_fmac_f32_e32 v11, v13, v13
	v_sqrt_f32_e32 v11, v11
	v_cmp_neq_f32_e64 s[8:9], s63, v7
	v_ldexp_f32 v8, v11, v8
	s_nop 0
	v_cndmask_b32_e64 v8, v39, v8, s[8:9]
	v_cmp_gt_f32_e64 s[8:9], s49, v8
	s_nop 1
	v_cndmask_b32_e64 v11, 0, 32, s[8:9]
	v_ldexp_f32 v8, v8, v11
	v_log_f32_e32 v8, v8
	s_nop 0
	v_mul_f32_e32 v11, 0x3f317217, v8
	v_fma_f32 v11, v8, s65, -v11
	v_fmac_f32_e32 v11, 0x3377d1cf, v8
	v_fmac_f32_e32 v11, 0x3f317217, v8
	v_cmp_lt_f32_e64 s[12:13], |v8|, s63
	s_nop 1
	v_cndmask_b32_e64 v8, v8, v11, s[12:13]
	v_cndmask_b32_e64 v11, 0, v40, s[8:9]
	v_sub_f32_e32 v24, v8, v11
.LBB347_54:                             ;   in Loop: Header=BB347_7 Depth=2
	s_andn2_saveexec_b64 s[12:13], s[14:15]
	s_cbranch_execz .LBB347_58
; %bb.55:                               ;   in Loop: Header=BB347_7 Depth=2
	v_add_f32_e32 v25, 2.0, v23
	v_mov_b32_e32 v24, v22
	v_pk_mul_f32 v[24:25], v[22:23], v[24:25]
	s_nop 0
	v_add_f32_e32 v8, v24, v25
	v_cmp_neq_f32_e64 s[8:9], 0, v8
	s_and_saveexec_b64 s[14:15], s[8:9]
	s_cbranch_execz .LBB347_57
; %bb.56:                               ;   in Loop: Header=BB347_7 Depth=2
	v_add_f32_e32 v11, 1.0, v8
	v_add_f32_e32 v13, -1.0, v11
	v_sub_f32_e32 v19, v13, v11
	v_add_f32_e32 v19, 1.0, v19
	v_sub_f32_e32 v13, v8, v13
	v_add_f32_e32 v13, v13, v19
	v_frexp_mant_f32_e32 v19, v11
	v_cvt_f64_f32_e32 v[24:25], v11
	v_frexp_exp_i32_f64_e32 v21, v[24:25]
	v_cmp_gt_f32_e64 s[8:9], s66, v19
	s_nop 1
	v_subbrev_co_u32_e64 v19, s[8:9], 0, v21, s[8:9]
	v_sub_u32_e32 v21, 0, v19
	v_ldexp_f32 v11, v11, v21
	v_ldexp_f32 v13, v13, v21
	v_add_f32_e32 v21, -1.0, v11
	v_add_f32_e32 v24, 1.0, v11
	v_add_f32_e32 v23, 1.0, v21
	v_add_f32_e32 v25, -1.0, v24
	v_sub_f32_e32 v23, v11, v23
	v_sub_f32_e32 v11, v11, v25
	v_add_f32_e32 v11, v13, v11
	v_add_f32_e32 v23, v13, v23
	;; [unrolled: 1-line block ×3, first 2 shown]
	v_rcp_f32_e32 v45, v13
	v_add_f32_e32 v25, v21, v23
	v_sub_f32_e32 v21, v25, v21
	v_sub_f32_e32 v21, v23, v21
	v_mul_f32_e32 v23, v25, v45
	v_sub_f32_e32 v24, v13, v24
	v_mul_f32_e32 v26, v13, v23
	v_sub_f32_e32 v11, v11, v24
	v_fma_f32 v28, v23, v13, -v26
	v_fmac_f32_e32 v28, v23, v11
	v_add_f32_e32 v24, v26, v28
	v_sub_f32_e32 v27, v25, v24
	v_pk_add_f32 v[46:47], v[24:25], v[26:27] neg_lo:[0,1] neg_hi:[0,1]
	v_mov_b32_e32 v29, v24
	v_pk_add_f32 v[24:25], v[46:47], v[28:29] neg_lo:[0,1] neg_hi:[0,1]
	v_cmp_neq_f32_e64 s[8:9], s63, v8
	v_add_f32_e32 v21, v21, v25
	v_add_f32_e32 v21, v24, v21
	;; [unrolled: 1-line block ×3, first 2 shown]
	v_mul_f32_e32 v48, v45, v25
	v_mul_f32_e32 v26, v13, v48
	v_fma_f32 v28, v48, v13, -v26
	v_fmac_f32_e32 v28, v48, v11
	v_add_f32_e32 v24, v26, v28
	v_sub_f32_e32 v11, v27, v25
	v_sub_f32_e32 v27, v25, v24
	v_pk_add_f32 v[46:47], v[24:25], v[26:27] neg_lo:[0,1] neg_hi:[0,1]
	v_mov_b32_e32 v29, v24
	v_add_f32_e32 v11, v21, v11
	v_pk_add_f32 v[24:25], v[46:47], v[28:29] neg_lo:[0,1] neg_hi:[0,1]
	v_add_f32_e32 v21, v23, v48
	v_add_f32_e32 v11, v11, v25
	;; [unrolled: 1-line block ×4, first 2 shown]
	v_sub_f32_e32 v13, v21, v23
	v_mul_f32_e32 v11, v45, v11
	v_sub_f32_e32 v13, v48, v13
	v_add_f32_e32 v11, v13, v11
	v_add_f32_e32 v23, v21, v11
	v_cvt_f32_i32_e32 v24, v19
	v_mul_f32_e32 v25, v23, v23
	v_fmamk_f32 v13, v25, 0x3e9b6dac, v35
	v_fmaak_f32 v13, v25, v13, 0x3f2aaada
	v_mul_f32_e32 v25, v23, v25
	v_pk_mul_f32 v[28:29], v[24:25], v[12:13]
	v_ldexp_f32 v27, v23, 1
	v_fma_f32 v26, v24, s67, -v28
	v_fmac_f32_e32 v26, 0xb102e308, v24
	v_sub_f32_e32 v19, v23, v21
	v_pk_add_f32 v[24:25], v[28:29], v[26:27]
	v_sub_f32_e32 v11, v11, v19
	v_sub_f32_e32 v13, v25, v27
	v_ldexp_f32 v11, v11, 1
	v_sub_f32_e32 v13, v29, v13
	v_add_f32_e32 v47, v11, v13
	v_mov_b32_e32 v46, v28
	v_pk_add_f32 v[28:29], v[24:25], v[28:29] neg_lo:[0,1] neg_hi:[0,1]
	v_pk_add_f32 v[48:49], v[24:25], v[46:47]
	v_mov_b32_e32 v27, v24
	v_mov_b32_e32 v29, v49
	v_pk_add_f32 v[50:51], v[26:27], v[28:29] neg_lo:[0,1] neg_hi:[0,1]
	v_pk_add_f32 v[26:27], v[26:27], v[28:29]
	v_mov_b32_e32 v46, v47
	v_pk_add_f32 v[28:29], v[26:27], v[24:25] op_sel:[1,0] op_sel_hi:[0,1] neg_lo:[0,1] neg_hi:[0,1]
	v_pk_add_f32 v[52:53], v[48:49], v[28:29] op_sel_hi:[1,0] neg_lo:[0,1] neg_hi:[0,1]
	v_mov_b32_e32 v48, v49
	v_mov_b32_e32 v49, v27
	v_pk_mov_b32 v[28:29], v[24:25], v[28:29] op_sel:[1,0]
	v_mov_b32_e32 v47, v24
	v_pk_add_f32 v[28:29], v[48:49], v[28:29] neg_lo:[0,1] neg_hi:[0,1]
	v_mov_b32_e32 v52, v50
	v_pk_add_f32 v[24:25], v[46:47], v[28:29] neg_lo:[0,1] neg_hi:[0,1]
	v_mov_b32_e32 v51, v27
	v_pk_add_f32 v[28:29], v[52:53], v[24:25]
	s_nop 0
	v_pk_add_f32 v[46:47], v[28:29], v[28:29] op_sel:[0,1] op_sel_hi:[1,0]
	s_nop 0
	v_pk_add_f32 v[26:27], v[26:27], v[46:47] op_sel:[1,0] op_sel_hi:[0,1]
	v_mov_b32_e32 v29, v26
	v_pk_add_f32 v[48:49], v[28:29], v[50:51] neg_lo:[0,1] neg_hi:[0,1]
	v_mov_b32_e32 v25, v46
	v_sub_f32_e32 v11, v28, v48
	v_pk_add_f32 v[24:25], v[24:25], v[48:49] neg_lo:[0,1] neg_hi:[0,1]
	v_sub_f32_e32 v11, v50, v11
	v_add_f32_e32 v11, v24, v11
	v_add_f32_e32 v11, v11, v25
	;; [unrolled: 1-line block ×3, first 2 shown]
	v_cndmask_b32_e64 v11, v39, v11, s[8:9]
	v_cmp_ngt_f32_e64 s[8:9], -1.0, v8
	s_nop 1
	v_cndmask_b32_e64 v11, v10, v11, s[8:9]
	v_cmp_neq_f32_e64 s[8:9], -1.0, v8
	s_nop 1
	v_cndmask_b32_e64 v11, v41, v11, s[8:9]
	v_cmp_lt_f32_e64 s[8:9], |v8|, s68
	s_nop 1
	v_cndmask_b32_e64 v8, v11, v8, s[8:9]
	v_mul_f32_e32 v23, 0.5, v8
.LBB347_57:                             ;   in Loop: Header=BB347_7 Depth=2
	s_or_b64 exec, exec, s[14:15]
	v_mov_b32_e32 v24, v23
.LBB347_58:                             ;   in Loop: Header=BB347_7 Depth=2
	s_or_b64 exec, exec, s[12:13]
	v_max_f32_e64 v13, |v22|, |v22|
	v_max_f32_e64 v19, |v4|, |v4|
	v_min_f32_e32 v13, v19, v13
	v_frexp_mant_f32_e32 v19, v7
	v_rcp_f32_e32 v19, v19
	v_frexp_exp_i32_f32_e32 v7, v7
	v_frexp_exp_i32_f32_e32 v21, v13
	v_frexp_mant_f32_e32 v13, v13
	v_mul_f32_e32 v13, v13, v19
	v_sub_u32_e32 v7, v21, v7
	v_ldexp_f32 v7, v13, v7
	v_mul_f32_e32 v13, v7, v7
	v_fmamk_f32 v19, v13, 0x3b2d2a58, v36
	v_fmaak_f32 v19, v13, v19, 0x3d29fb3f
	v_fmaak_f32 v19, v13, v19, 0xbd97d4d7
	v_fmaak_f32 v19, v13, v19, 0x3dd931b2
	v_fmaak_f32 v19, v13, v19, 0xbe1160e6
	v_fmaak_f32 v19, v13, v19, 0x3e4cb8bf
	v_fmaak_f32 v19, v13, v19, 0xbeaaaa62
	v_mul_f32_e32 v13, v13, v19
	v_cmp_gt_i32_e64 s[12:13], 0, v4
	v_fmac_f32_e32 v7, v7, v13
	v_sub_f32_e32 v13, 0x3fc90fdb, v7
	v_cndmask_b32_e64 v11, 0, v44, s[12:13]
	v_cmp_gt_f32_e64 s[12:13], |v22|, |v4|
	v_cmp_gt_f32_e64 s[8:9], 0, v4
	v_cmp_class_f32_e64 s[14:15], v22, s69
	v_cndmask_b32_e64 v7, v7, v13, s[12:13]
	v_sub_f32_e32 v13, 0x40490fdb, v7
	v_cmp_class_f32_e64 s[16:17], v4, s69
	v_cndmask_b32_e64 v8, v42, v43, s[8:9]
	v_cndmask_b32_e64 v7, v7, v13, s[8:9]
	v_cmp_eq_f32_e64 s[8:9], 0, v22
	s_nop 1
	v_cndmask_b32_e64 v7, v7, v11, s[8:9]
	s_and_b64 s[8:9], s[14:15], s[16:17]
	v_cndmask_b32_e64 v7, v7, v8, s[8:9]
	v_cmp_o_f32_e64 s[8:9], v4, v22
	s_nop 1
	v_cndmask_b32_e64 v4, v10, v7, s[8:9]
	v_bfi_b32 v25, s47, v4, v22
.LBB347_59:                             ;   in Loop: Header=BB347_7 Depth=2
	s_or_b64 exec, exec, s[36:37]
.LBB347_60:                             ;   in Loop: Header=BB347_7 Depth=2
	s_or_b64 exec, exec, s[34:35]
	v_mov_b64_e32 v[28:29], v[24:25]
.LBB347_61:                             ;   in Loop: Header=BB347_7 Depth=2
	s_or_b64 exec, exec, s[30:31]
	ds_write_b64 v30, v[28:29]
.LBB347_62:                             ;   in Loop: Header=BB347_7 Depth=2
	s_or_b64 exec, exec, s[28:29]
	v_mov_b32_e32 v4, 0
	s_mov_b64 s[28:29], 0
	s_waitcnt lgkmcnt(0)
	s_barrier
	s_branch .LBB347_69
.LBB347_63:                             ;   in Loop: Header=BB347_69 Depth=3
	s_or_b64 exec, exec, s[14:15]
	v_mov_b32_e32 v24, v23
.LBB347_64:                             ;   in Loop: Header=BB347_69 Depth=3
	s_or_b64 exec, exec, s[12:13]
	v_max_f32_e64 v13, |v22|, |v22|
	v_max_f32_e64 v23, |v4|, |v4|
	v_min_f32_e32 v13, v23, v13
	v_frexp_mant_f32_e32 v23, v7
	v_rcp_f32_e32 v23, v23
	v_frexp_exp_i32_f32_e32 v7, v7
	v_frexp_exp_i32_f32_e32 v25, v13
	v_frexp_mant_f32_e32 v13, v13
	v_mul_f32_e32 v13, v13, v23
	v_sub_u32_e32 v7, v25, v7
	v_ldexp_f32 v7, v13, v7
	v_mul_f32_e32 v13, v7, v7
	v_fmamk_f32 v23, v13, 0x3b2d2a58, v36
	v_fmaak_f32 v23, v13, v23, 0x3d29fb3f
	v_fmaak_f32 v23, v13, v23, 0xbd97d4d7
	;; [unrolled: 1-line block ×6, first 2 shown]
	v_mul_f32_e32 v13, v13, v23
	v_cmp_gt_i32_e64 s[12:13], 0, v4
	v_fmac_f32_e32 v7, v7, v13
	v_sub_f32_e32 v13, 0x3fc90fdb, v7
	v_cndmask_b32_e64 v11, 0, v44, s[12:13]
	v_cmp_gt_f32_e64 s[12:13], |v22|, |v4|
	v_cmp_gt_f32_e64 s[8:9], 0, v4
	v_cmp_class_f32_e64 s[14:15], v22, s69
	v_cndmask_b32_e64 v7, v7, v13, s[12:13]
	v_sub_f32_e32 v13, 0x40490fdb, v7
	v_cmp_class_f32_e64 s[16:17], v4, s69
	v_cndmask_b32_e64 v8, v42, v43, s[8:9]
	v_cndmask_b32_e64 v7, v7, v13, s[8:9]
	v_cmp_eq_f32_e64 s[8:9], 0, v22
	s_nop 1
	v_cndmask_b32_e64 v7, v7, v11, s[8:9]
	s_and_b64 s[8:9], s[14:15], s[16:17]
	v_cndmask_b32_e64 v7, v7, v8, s[8:9]
	v_cmp_o_f32_e64 s[8:9], v4, v22
	s_nop 1
	v_cndmask_b32_e64 v4, v10, v7, s[8:9]
	v_bfi_b32 v25, s47, v4, v22
.LBB347_65:                             ;   in Loop: Header=BB347_69 Depth=3
	s_or_b64 exec, exec, s[38:39]
.LBB347_66:                             ;   in Loop: Header=BB347_69 Depth=3
	s_or_b64 exec, exec, s[36:37]
	v_mov_b64_e32 v[28:29], v[24:25]
.LBB347_67:                             ;   in Loop: Header=BB347_69 Depth=3
	s_or_b64 exec, exec, s[34:35]
	ds_write_b64 v21, v[28:29]
.LBB347_68:                             ;   in Loop: Header=BB347_69 Depth=3
	s_or_b64 exec, exec, s[30:31]
	v_cmp_eq_u32_e64 s[8:9], s45, v19
	s_or_b64 s[28:29], s[8:9], s[28:29]
	v_mov_b32_e32 v4, v19
	s_waitcnt lgkmcnt(0)
	s_barrier
	s_andn2_b64 exec, exec, s[28:29]
	s_cbranch_execz .LBB347_116
.LBB347_69:                             ;   Parent Loop BB347_4 Depth=1
                                        ;     Parent Loop BB347_7 Depth=2
                                        ; =>    This Inner Loop Header: Depth=3
	v_add_u32_e32 v19, 1, v4
	s_and_saveexec_b64 s[8:9], s[6:7]
	s_xor_b64 s[8:9], exec, s[8:9]
; %bb.70:                               ;   in Loop: Header=BB347_69 Depth=3
	v_add_u32_e32 v19, 1, v4
                                        ; implicit-def: $vgpr4
; %bb.71:                               ;   in Loop: Header=BB347_69 Depth=3
	s_andn2_saveexec_b64 s[30:31], s[8:9]
	s_cbranch_execz .LBB347_68
; %bb.72:                               ;   in Loop: Header=BB347_69 Depth=3
	v_lshlrev_b32_e64 v7, v4, 1
	v_lshrrev_b32_e32 v8, v4, v1
	v_lshl_or_b32 v7, v8, v19, v7
	v_bfm_b32 v4, v4, 0
	v_lshl_add_u32 v7, v7, 3, v30
	v_add_u32_e32 v8, -8, v7
	v_and_b32_e32 v4, v4, v1
	ds_read_b64 v[22:23], v8
	v_lshl_add_u32 v21, v4, 3, v7
	ds_read_b64 v[28:29], v21
	s_waitcnt lgkmcnt(1)
	v_cmp_o_f32_e64 s[8:9], v22, v23
	v_mov_b32_e32 v27, v23
	v_mov_b64_e32 v[24:25], v[22:23]
	s_and_saveexec_b64 s[16:17], s[8:9]
	s_cbranch_execz .LBB347_74
; %bb.73:                               ;   in Loop: Header=BB347_69 Depth=3
	s_waitcnt lgkmcnt(0)
	v_cmp_u_f32_e64 s[12:13], v28, v29
	v_cmp_lt_f32_e64 s[14:15], v28, v22
	s_or_b64 s[12:13], s[12:13], s[14:15]
	v_cndmask_b32_e64 v27, v23, v29, s[12:13]
	v_cndmask_b32_e64 v26, v22, v28, s[12:13]
	v_mov_b64_e32 v[24:25], v[26:27]
.LBB347_74:                             ;   in Loop: Header=BB347_69 Depth=3
	s_or_b64 exec, exec, s[16:17]
	s_and_saveexec_b64 s[12:13], s[8:9]
	s_xor_b64 s[14:15], exec, s[12:13]
	s_cbranch_execz .LBB347_76
; %bb.75:                               ;   in Loop: Header=BB347_69 Depth=3
	s_waitcnt lgkmcnt(0)
	v_cmp_u_f32_e64 s[8:9], v28, v29
	v_cmp_ge_f32_e64 s[12:13], v28, v22
	s_or_b64 s[8:9], s[8:9], s[12:13]
	v_cndmask_b32_e64 v23, v23, v29, s[8:9]
	v_cndmask_b32_e64 v22, v22, v28, s[8:9]
.LBB347_76:                             ;   in Loop: Header=BB347_69 Depth=3
	s_andn2_saveexec_b64 s[8:9], s[14:15]
	s_or_b64 exec, exec, s[8:9]
	v_mov_b32_e32 v11, v10
	v_cmp_o_f32_e64 s[8:9], v24, v25
	s_waitcnt lgkmcnt(0)
	v_mov_b64_e32 v[28:29], v[10:11]
	s_and_saveexec_b64 s[34:35], s[8:9]
	s_cbranch_execz .LBB347_67
; %bb.77:                               ;   in Loop: Header=BB347_69 Depth=3
	v_cmp_class_f32_e64 s[12:13], v24, s46
	v_cmp_neq_f32_e64 s[8:9], v22, v24
	s_or_b64 s[8:9], s[12:13], s[8:9]
	s_and_saveexec_b64 s[12:13], s[8:9]
	s_xor_b64 s[36:37], exec, s[12:13]
	s_cbranch_execz .LBB347_93
; %bb.78:                               ;   in Loop: Header=BB347_69 Depth=3
	v_pk_add_f32 v[24:25], v[24:25], v[22:23] neg_lo:[0,1] neg_hi:[0,1]
                                        ; implicit-def: $vgpr26
	s_nop 0
	v_and_b32_e32 v7, 0x7fffffff, v25
	v_lshrrev_b32_e32 v4, 23, v7
	v_and_b32_e32 v8, 0x7fffff, v7
	v_cmp_nlt_f32_e64 s[38:39], |v25|, s48
	v_add_u32_e32 v13, 0xffffff88, v4
	v_or_b32_e32 v11, 0x800000, v8
                                        ; implicit-def: $vgpr8
	s_and_saveexec_b64 s[8:9], s[38:39]
	s_xor_b64 s[40:41], exec, s[8:9]
	s_cbranch_execz .LBB347_80
; %bb.79:                               ;   in Loop: Header=BB347_69 Depth=3
	v_cmp_lt_u32_e64 s[8:9], 63, v13
	v_mad_u64_u32 v[26:27], s[16:17], v11, s50, 0
	s_nop 0
	v_cndmask_b32_e64 v4, 0, v37, s[8:9]
	v_add_u32_e32 v4, v4, v13
	v_cmp_lt_u32_e64 s[12:13], 31, v4
	s_nop 1
	v_cndmask_b32_e64 v8, 0, v38, s[12:13]
	v_add_u32_e32 v4, v8, v4
	v_cmp_lt_u32_e64 s[14:15], 31, v4
	s_nop 1
	v_cndmask_b32_e64 v8, 0, v38, s[14:15]
	v_add_u32_e32 v8, v8, v4
	v_mov_b32_e32 v4, v27
	v_mad_u64_u32 v[28:29], s[16:17], v11, s51, v[4:5]
	v_mov_b32_e32 v4, v29
	v_mad_u64_u32 v[46:47], s[16:17], v11, s52, v[4:5]
	;; [unrolled: 2-line block ×6, first 2 shown]
	v_cndmask_b32_e64 v27, v52, v48, s[8:9]
	v_cndmask_b32_e64 v4, v54, v50, s[8:9]
	;; [unrolled: 1-line block ×7, first 2 shown]
	v_sub_u32_e32 v47, 32, v8
	v_cmp_eq_u32_e64 s[16:17], 0, v8
	v_cndmask_b32_e64 v8, v48, v28, s[8:9]
	v_cndmask_b32_e64 v4, v4, v29, s[14:15]
	;; [unrolled: 1-line block ×4, first 2 shown]
	v_alignbit_b32 v49, v4, v29, v47
	v_cndmask_b32_e64 v27, v27, v28, s[14:15]
	v_cndmask_b32_e64 v4, v49, v4, s[16:17]
	v_alignbit_b32 v45, v29, v27, v47
	v_cndmask_b32_e64 v26, v46, v26, s[8:9]
	v_cndmask_b32_e64 v29, v45, v29, s[16:17]
	v_bfe_u32 v49, v4, 29, 1
	v_cndmask_b32_e64 v8, v8, v26, s[12:13]
	v_alignbit_b32 v45, v4, v29, 30
	v_sub_u32_e32 v50, 0, v49
	v_cndmask_b32_e64 v8, v28, v8, s[14:15]
	v_xor_b32_e32 v45, v45, v50
	v_alignbit_b32 v26, v27, v8, v47
	v_cndmask_b32_e64 v26, v26, v27, s[16:17]
	v_ffbh_u32_e32 v28, v45
	v_alignbit_b32 v27, v29, v26, 30
	v_min_u32_e32 v28, 32, v28
	v_alignbit_b32 v8, v26, v8, 30
	v_xor_b32_e32 v27, v27, v50
	v_sub_u32_e32 v29, 31, v28
	v_xor_b32_e32 v8, v8, v50
	v_alignbit_b32 v45, v45, v27, v29
	v_alignbit_b32 v8, v27, v8, v29
	;; [unrolled: 1-line block ×3, first 2 shown]
	v_ffbh_u32_e32 v27, v26
	v_min_u32_e32 v27, 32, v27
	v_lshrrev_b32_e32 v48, 29, v4
	v_not_b32_e32 v29, v27
	v_alignbit_b32 v8, v26, v8, v29
	v_lshlrev_b32_e32 v26, 31, v48
	v_or_b32_e32 v29, 0x33000000, v26
	v_add_lshl_u32 v27, v27, v28, 23
	v_lshrrev_b32_e32 v8, 9, v8
	v_sub_u32_e32 v27, v29, v27
	v_or_b32_e32 v26, 0.5, v26
	v_lshlrev_b32_e32 v28, 23, v28
	v_or_b32_e32 v8, v27, v8
	v_lshrrev_b32_e32 v27, 9, v45
	v_sub_u32_e32 v26, v26, v28
	v_or_b32_e32 v26, v27, v26
	v_mul_f32_e32 v27, 0x3fc90fda, v26
	v_fma_f32 v28, v26, s57, -v27
	v_fmac_f32_e32 v28, 0x33a22168, v26
	v_fmac_f32_e32 v28, 0x3fc90fda, v8
	v_lshrrev_b32_e32 v4, 30, v4
	v_add_f32_e32 v26, v27, v28
	v_add_u32_e32 v8, v49, v4
.LBB347_80:                             ;   in Loop: Header=BB347_69 Depth=3
	s_or_saveexec_b64 s[8:9], s[40:41]
	v_mul_f32_e64 v4, |v25|, s58
	v_rndne_f32_e32 v27, v4
	s_xor_b64 exec, exec, s[8:9]
; %bb.81:                               ;   in Loop: Header=BB347_69 Depth=3
	v_cvt_i32_f32_e32 v8, v27
	v_fma_f32 v26, v27, s59, |v25|
	v_fmac_f32_e32 v26, 0xb3a22168, v27
	v_fmac_f32_e32 v26, 0xa7c234c4, v27
; %bb.82:                               ;   in Loop: Header=BB347_69 Depth=3
	s_or_b64 exec, exec, s[8:9]
                                        ; implicit-def: $vgpr4
                                        ; implicit-def: $vgpr29
	s_and_saveexec_b64 s[8:9], s[38:39]
	s_xor_b64 s[38:39], exec, s[8:9]
	s_cbranch_execz .LBB347_84
; %bb.83:                               ;   in Loop: Header=BB347_69 Depth=3
	v_cmp_lt_u32_e64 s[8:9], 63, v13
	v_mad_u64_u32 v[28:29], s[16:17], v11, s50, 0
	s_nop 0
	v_cndmask_b32_e64 v4, 0, v37, s[8:9]
	v_add_u32_e32 v4, v4, v13
	v_cmp_lt_u32_e64 s[12:13], 31, v4
	s_nop 1
	v_cndmask_b32_e64 v13, 0, v38, s[12:13]
	v_add_u32_e32 v4, v13, v4
	v_cmp_lt_u32_e64 s[14:15], 31, v4
	s_nop 1
	v_cndmask_b32_e64 v13, 0, v38, s[14:15]
	v_add_u32_e32 v13, v13, v4
	v_mov_b32_e32 v4, v29
	v_mad_u64_u32 v[46:47], s[16:17], v11, s51, v[4:5]
	v_mov_b32_e32 v4, v47
	v_mad_u64_u32 v[48:49], s[16:17], v11, s52, v[4:5]
	;; [unrolled: 2-line block ×6, first 2 shown]
	v_cndmask_b32_e64 v27, v54, v50, s[8:9]
	v_cndmask_b32_e64 v4, v56, v52, s[8:9]
	;; [unrolled: 1-line block ×7, first 2 shown]
	v_sub_u32_e32 v45, 32, v13
	v_cmp_eq_u32_e64 s[16:17], 0, v13
	v_cndmask_b32_e64 v13, v50, v46, s[8:9]
	v_cndmask_b32_e64 v4, v4, v11, s[14:15]
	;; [unrolled: 1-line block ×4, first 2 shown]
	v_alignbit_b32 v47, v4, v11, v45
	v_cndmask_b32_e64 v27, v27, v29, s[14:15]
	v_cndmask_b32_e64 v4, v47, v4, s[16:17]
	v_alignbit_b32 v46, v11, v27, v45
	v_cndmask_b32_e64 v28, v48, v28, s[8:9]
	v_cndmask_b32_e64 v11, v46, v11, s[16:17]
	v_bfe_u32 v49, v4, 29, 1
	v_cndmask_b32_e64 v13, v13, v28, s[12:13]
	v_alignbit_b32 v46, v4, v11, 30
	v_sub_u32_e32 v50, 0, v49
	v_cndmask_b32_e64 v13, v29, v13, s[14:15]
	v_xor_b32_e32 v46, v46, v50
	v_alignbit_b32 v28, v27, v13, v45
	v_cndmask_b32_e64 v27, v28, v27, s[16:17]
	v_ffbh_u32_e32 v28, v46
	v_alignbit_b32 v11, v11, v27, 30
	v_min_u32_e32 v28, 32, v28
	v_alignbit_b32 v13, v27, v13, 30
	v_xor_b32_e32 v11, v11, v50
	v_sub_u32_e32 v29, 31, v28
	v_xor_b32_e32 v13, v13, v50
	v_alignbit_b32 v45, v46, v11, v29
	v_alignbit_b32 v11, v11, v13, v29
	v_alignbit_b32 v13, v45, v11, 9
	v_ffbh_u32_e32 v27, v13
	v_min_u32_e32 v27, 32, v27
	v_lshrrev_b32_e32 v47, 29, v4
	v_not_b32_e32 v29, v27
	v_alignbit_b32 v11, v13, v11, v29
	v_lshlrev_b32_e32 v13, 31, v47
	v_or_b32_e32 v29, 0x33000000, v13
	v_add_lshl_u32 v27, v27, v28, 23
	v_lshrrev_b32_e32 v11, 9, v11
	v_sub_u32_e32 v27, v29, v27
	v_or_b32_e32 v13, 0.5, v13
	v_lshlrev_b32_e32 v28, 23, v28
	v_or_b32_e32 v11, v27, v11
	v_lshrrev_b32_e32 v27, 9, v45
	v_sub_u32_e32 v13, v13, v28
	v_or_b32_e32 v13, v27, v13
	v_mul_f32_e32 v27, 0x3fc90fda, v13
	v_fma_f32 v28, v13, s57, -v27
	v_fmac_f32_e32 v28, 0x33a22168, v13
	v_fmac_f32_e32 v28, 0x3fc90fda, v11
	v_lshrrev_b32_e32 v4, 30, v4
	v_add_f32_e32 v29, v27, v28
	v_add_u32_e32 v4, v49, v4
                                        ; implicit-def: $vgpr27
	s_andn2_saveexec_b64 s[8:9], s[38:39]
	s_cbranch_execnz .LBB347_85
	s_branch .LBB347_86
.LBB347_84:                             ;   in Loop: Header=BB347_69 Depth=3
	s_andn2_saveexec_b64 s[8:9], s[38:39]
.LBB347_85:                             ;   in Loop: Header=BB347_69 Depth=3
	v_cvt_i32_f32_e32 v4, v27
	v_fma_f32 v29, v27, s59, |v25|
	v_fmac_f32_e32 v29, 0xb3a22168, v27
	v_fmac_f32_e32 v29, 0xa7c234c4, v27
.LBB347_86:                             ;   in Loop: Header=BB347_69 Depth=3
	s_or_b64 exec, exec, s[8:9]
	v_mul_f32_e32 v11, 0x3fb8aa3b, v24
	v_rndne_f32_e32 v13, v11
	v_sub_f32_e32 v27, v11, v13
	v_fma_f32 v11, v24, s60, -v11
	v_fmac_f32_e32 v11, 0x32a5705f, v24
	v_add_f32_e32 v11, v27, v11
	v_cvt_i32_f32_e32 v13, v13
	v_exp_f32_e32 v11, v11
	v_mul_f32_e32 v27, v29, v29
	v_fmamk_f32 v28, v27, 0xb94c1982, v33
	v_fmaak_f32 v47, v27, v28, 0xbe2aaa9d
	v_ldexp_f32 v11, v11, v13
	v_and_b32_e32 v13, 1, v4
	v_lshlrev_b32_e32 v4, 30, v4
	v_mov_b32_e32 v46, v26
	v_fmamk_f32 v28, v27, 0x37d75334, v34
	v_and_b32_e32 v4, 0x80000000, v4
	v_xor_b32_e32 v7, v7, v25
	v_pk_mul_f32 v[46:47], v[26:27], v[46:47]
	v_fmaak_f32 v28, v27, v28, 0x3d2aabf7
	v_xor_b32_e32 v4, v7, v4
	v_fmamk_f32 v7, v46, 0x37d75334, v34
	v_fmaak_f32 v28, v27, v28, 0xbf000004
	v_fmaak_f32 v7, v46, v7, 0x3d2aabf7
	v_fma_f32 v45, v27, v28, 1.0
	v_fmaak_f32 v28, v46, v7, 0xbf000004
	v_fmamk_f32 v7, v46, 0xb94c1982, v33
	v_fmaak_f32 v7, v46, v7, 0xbe2aaa9d
	v_cmp_ngt_f32_e64 s[8:9], s61, v24
	v_mul_f32_e32 v7, v46, v7
	v_fmac_f32_e32 v26, v26, v7
	v_cndmask_b32_e64 v11, 0, v11, s[8:9]
	v_cmp_nlt_f32_e64 s[8:9], s62, v24
	v_mov_b32_e32 v7, v29
	v_pk_fma_f32 v[28:29], v[46:47], v[28:29], v[6:7]
	v_cndmask_b32_e64 v24, v39, v11, s[8:9]
	v_lshlrev_b32_e32 v11, 30, v8
	v_and_b32_e32 v8, 1, v8
	v_cmp_eq_u32_e64 s[8:9], 0, v13
	v_and_b32_e32 v11, 0x80000000, v11
	s_nop 0
	v_cndmask_b32_e64 v7, v45, v29, s[8:9]
	v_cmp_eq_u32_e64 s[8:9], 0, v8
	v_xor_b32_e32 v4, v4, v7
	s_nop 0
	v_cndmask_b32_e64 v8, -v26, v28, s[8:9]
	v_xor_b32_e32 v7, v11, v8
	v_cmp_class_f32_e64 s[8:9], v25, s46
	s_nop 1
	v_cndmask_b32_e64 v27, v10, v4, s[8:9]
	v_cndmask_b32_e64 v26, v10, v7, s[8:9]
	v_pk_mul_f32 v[24:25], v[24:25], v[26:27] op_sel_hi:[0,1]
	v_max_f32_e64 v4, |v24|, |v25|
	v_cvt_f64_f32_e32 v[26:27], v4
	v_frexp_exp_i32_f64_e32 v7, v[26:27]
	v_sub_u32_e32 v8, 0, v7
	v_ldexp_f32 v11, |v24|, v8
	v_ldexp_f32 v8, |v25|, v8
	v_mul_f32_e32 v8, v8, v8
	v_fmac_f32_e32 v8, v11, v11
	v_sqrt_f32_e32 v8, v8
	v_cmp_eq_f32_e64 s[8:9], s63, v4
	v_add_f32_e32 v4, 1.0, v24
                                        ; implicit-def: $vgpr26
	v_ldexp_f32 v8, v8, v7
	v_cmp_ngt_f32_e64 s[12:13], 0.5, v8
	v_max_f32_e64 v7, |v4|, |v25|
	s_or_b64 s[8:9], s[8:9], s[12:13]
	s_and_saveexec_b64 s[12:13], s[8:9]
	s_xor_b64 s[14:15], exec, s[12:13]
	s_cbranch_execz .LBB347_88
; %bb.87:                               ;   in Loop: Header=BB347_69 Depth=3
	v_cvt_f64_f32_e32 v[26:27], v7
	v_frexp_exp_i32_f64_e32 v8, v[26:27]
	v_sub_u32_e32 v11, 0, v8
	v_ldexp_f32 v13, |v4|, v11
	v_ldexp_f32 v11, |v25|, v11
	v_mul_f32_e32 v11, v11, v11
	v_fmac_f32_e32 v11, v13, v13
	v_sqrt_f32_e32 v11, v11
	v_cmp_neq_f32_e64 s[8:9], s63, v7
	v_ldexp_f32 v8, v11, v8
	s_nop 0
	v_cndmask_b32_e64 v8, v39, v8, s[8:9]
	v_cmp_gt_f32_e64 s[8:9], s49, v8
	s_nop 1
	v_cndmask_b32_e64 v11, 0, 32, s[8:9]
	v_ldexp_f32 v8, v8, v11
	v_log_f32_e32 v8, v8
	s_nop 0
	v_mul_f32_e32 v11, 0x3f317217, v8
	v_fma_f32 v11, v8, s65, -v11
	v_fmac_f32_e32 v11, 0x3377d1cf, v8
	v_fmac_f32_e32 v11, 0x3f317217, v8
	v_cmp_lt_f32_e64 s[12:13], |v8|, s63
	s_nop 1
	v_cndmask_b32_e64 v8, v8, v11, s[12:13]
	v_cndmask_b32_e64 v11, 0, v40, s[8:9]
	v_sub_f32_e32 v26, v8, v11
.LBB347_88:                             ;   in Loop: Header=BB347_69 Depth=3
	s_andn2_saveexec_b64 s[12:13], s[14:15]
	s_cbranch_execz .LBB347_92
; %bb.89:                               ;   in Loop: Header=BB347_69 Depth=3
	v_add_f32_e32 v26, 2.0, v24
	v_mov_b32_e32 v27, v25
	v_pk_mul_f32 v[26:27], v[24:25], v[26:27]
	s_nop 0
	v_add_f32_e32 v8, v26, v27
	v_cmp_neq_f32_e64 s[8:9], 0, v8
	s_and_saveexec_b64 s[14:15], s[8:9]
	s_cbranch_execz .LBB347_91
; %bb.90:                               ;   in Loop: Header=BB347_69 Depth=3
	v_add_f32_e32 v11, 1.0, v8
	v_add_f32_e32 v13, -1.0, v11
	v_sub_f32_e32 v24, v13, v11
	v_add_f32_e32 v24, 1.0, v24
	v_sub_f32_e32 v13, v8, v13
	v_add_f32_e32 v13, v13, v24
	v_frexp_mant_f32_e32 v24, v11
	v_cvt_f64_f32_e32 v[26:27], v11
	v_frexp_exp_i32_f64_e32 v26, v[26:27]
	v_cmp_gt_f32_e64 s[8:9], s66, v24
	s_nop 1
	v_subbrev_co_u32_e64 v24, s[8:9], 0, v26, s[8:9]
	v_sub_u32_e32 v26, 0, v24
	v_ldexp_f32 v11, v11, v26
	v_ldexp_f32 v13, v13, v26
	v_add_f32_e32 v26, -1.0, v11
	v_add_f32_e32 v27, 1.0, v26
	v_sub_f32_e32 v27, v11, v27
	v_add_f32_e32 v28, v13, v27
	v_add_f32_e32 v27, 1.0, v11
	v_add_f32_e32 v29, -1.0, v27
	v_sub_f32_e32 v11, v11, v29
	v_add_f32_e32 v11, v13, v11
	v_add_f32_e32 v13, v27, v11
	v_rcp_f32_e32 v45, v13
	v_sub_f32_e32 v27, v13, v27
	v_sub_f32_e32 v11, v11, v27
	v_add_f32_e32 v27, v26, v28
	v_sub_f32_e32 v26, v27, v26
	v_mul_f32_e32 v51, v27, v45
	v_sub_f32_e32 v50, v28, v26
	v_mul_f32_e32 v28, v13, v51
	v_fma_f32 v46, v51, v13, -v28
	v_fmac_f32_e32 v46, v51, v11
	v_add_f32_e32 v26, v28, v46
	v_sub_f32_e32 v29, v27, v26
	v_pk_add_f32 v[48:49], v[26:27], v[28:29] neg_lo:[0,1] neg_hi:[0,1]
	v_mov_b32_e32 v47, v26
	v_pk_add_f32 v[26:27], v[48:49], v[46:47] neg_lo:[0,1] neg_hi:[0,1]
	v_cmp_neq_f32_e64 s[8:9], s63, v8
	v_add_f32_e32 v27, v50, v27
	v_add_f32_e32 v26, v26, v27
	;; [unrolled: 1-line block ×3, first 2 shown]
	v_mul_f32_e32 v50, v45, v27
	v_mul_f32_e32 v28, v13, v50
	v_fma_f32 v46, v50, v13, -v28
	v_fmac_f32_e32 v46, v50, v11
	v_sub_f32_e32 v11, v29, v27
	v_add_f32_e32 v11, v26, v11
	v_add_f32_e32 v26, v28, v46
	v_sub_f32_e32 v29, v27, v26
	v_pk_add_f32 v[48:49], v[26:27], v[28:29] neg_lo:[0,1] neg_hi:[0,1]
	v_mov_b32_e32 v47, v26
	v_pk_add_f32 v[26:27], v[48:49], v[46:47] neg_lo:[0,1] neg_hi:[0,1]
	s_nop 0
	v_add_f32_e32 v11, v11, v27
	v_add_f32_e32 v11, v26, v11
	;; [unrolled: 1-line block ×4, first 2 shown]
	v_sub_f32_e32 v13, v27, v51
	v_mul_f32_e32 v11, v45, v11
	v_sub_f32_e32 v13, v50, v13
	v_add_f32_e32 v11, v13, v11
	v_add_f32_e32 v28, v27, v11
	v_cvt_f32_i32_e32 v26, v24
	v_mul_f32_e32 v45, v28, v28
	v_fmamk_f32 v13, v45, 0x3e9b6dac, v35
	v_fmaak_f32 v13, v45, v13, 0x3f2aaada
	v_sub_f32_e32 v24, v28, v27
	v_mul_f32_e32 v27, v28, v45
	v_pk_mul_f32 v[46:47], v[26:27], v[12:13]
	v_ldexp_f32 v29, v28, 1
	v_fma_f32 v28, v26, s67, -v46
	v_fmac_f32_e32 v28, 0xb102e308, v26
	v_pk_add_f32 v[26:27], v[46:47], v[28:29]
	v_sub_f32_e32 v11, v11, v24
	v_sub_f32_e32 v13, v27, v29
	v_ldexp_f32 v11, v11, 1
	v_sub_f32_e32 v13, v47, v13
	v_add_f32_e32 v49, v11, v13
	v_mov_b32_e32 v48, v46
	v_pk_add_f32 v[46:47], v[26:27], v[46:47] neg_lo:[0,1] neg_hi:[0,1]
	v_pk_add_f32 v[50:51], v[26:27], v[48:49]
	v_mov_b32_e32 v29, v26
	v_mov_b32_e32 v47, v51
	v_pk_add_f32 v[52:53], v[28:29], v[46:47] neg_lo:[0,1] neg_hi:[0,1]
	v_pk_add_f32 v[28:29], v[28:29], v[46:47]
	v_mov_b32_e32 v48, v49
	v_pk_add_f32 v[46:47], v[28:29], v[26:27] op_sel:[1,0] op_sel_hi:[0,1] neg_lo:[0,1] neg_hi:[0,1]
	v_pk_add_f32 v[54:55], v[50:51], v[46:47] op_sel_hi:[1,0] neg_lo:[0,1] neg_hi:[0,1]
	v_mov_b32_e32 v50, v51
	v_mov_b32_e32 v51, v29
	v_pk_mov_b32 v[46:47], v[26:27], v[46:47] op_sel:[1,0]
	v_mov_b32_e32 v49, v26
	v_pk_add_f32 v[46:47], v[50:51], v[46:47] neg_lo:[0,1] neg_hi:[0,1]
	v_mov_b32_e32 v54, v52
	v_pk_add_f32 v[26:27], v[48:49], v[46:47] neg_lo:[0,1] neg_hi:[0,1]
	v_mov_b32_e32 v53, v29
	v_pk_add_f32 v[46:47], v[54:55], v[26:27]
	s_nop 0
	v_pk_add_f32 v[48:49], v[46:47], v[46:47] op_sel:[0,1] op_sel_hi:[1,0]
	s_nop 0
	v_pk_add_f32 v[28:29], v[28:29], v[48:49] op_sel:[1,0] op_sel_hi:[0,1]
	v_mov_b32_e32 v47, v28
	v_pk_add_f32 v[50:51], v[46:47], v[52:53] neg_lo:[0,1] neg_hi:[0,1]
	v_mov_b32_e32 v27, v48
	v_sub_f32_e32 v11, v46, v50
	v_pk_add_f32 v[26:27], v[26:27], v[50:51] neg_lo:[0,1] neg_hi:[0,1]
	v_sub_f32_e32 v11, v52, v11
	v_add_f32_e32 v11, v26, v11
	v_add_f32_e32 v11, v11, v27
	;; [unrolled: 1-line block ×3, first 2 shown]
	v_cndmask_b32_e64 v11, v39, v11, s[8:9]
	v_cmp_ngt_f32_e64 s[8:9], -1.0, v8
	s_nop 1
	v_cndmask_b32_e64 v11, v10, v11, s[8:9]
	v_cmp_neq_f32_e64 s[8:9], -1.0, v8
	s_nop 1
	v_cndmask_b32_e64 v11, v41, v11, s[8:9]
	v_cmp_lt_f32_e64 s[8:9], |v8|, s68
	s_nop 1
	v_cndmask_b32_e64 v8, v11, v8, s[8:9]
	v_mul_f32_e32 v24, 0.5, v8
.LBB347_91:                             ;   in Loop: Header=BB347_69 Depth=3
	s_or_b64 exec, exec, s[14:15]
	v_mov_b32_e32 v26, v24
.LBB347_92:                             ;   in Loop: Header=BB347_69 Depth=3
	s_or_b64 exec, exec, s[12:13]
	v_max_f32_e64 v13, |v25|, |v25|
	v_max_f32_e64 v24, |v4|, |v4|
	v_min_f32_e32 v13, v24, v13
	v_frexp_mant_f32_e32 v24, v7
	v_rcp_f32_e32 v24, v24
	v_frexp_exp_i32_f32_e32 v7, v7
	v_frexp_exp_i32_f32_e32 v27, v13
	v_frexp_mant_f32_e32 v13, v13
	v_mul_f32_e32 v13, v13, v24
	v_sub_u32_e32 v7, v27, v7
	v_ldexp_f32 v7, v13, v7
	v_mul_f32_e32 v13, v7, v7
	v_fmamk_f32 v24, v13, 0x3b2d2a58, v36
	v_fmaak_f32 v24, v13, v24, 0x3d29fb3f
	v_fmaak_f32 v24, v13, v24, 0xbd97d4d7
	;; [unrolled: 1-line block ×6, first 2 shown]
	v_mul_f32_e32 v13, v13, v24
	v_cmp_gt_i32_e64 s[12:13], 0, v4
	v_fmac_f32_e32 v7, v7, v13
	v_sub_f32_e32 v13, 0x3fc90fdb, v7
	v_cndmask_b32_e64 v11, 0, v44, s[12:13]
	v_cmp_gt_f32_e64 s[12:13], |v25|, |v4|
	v_cmp_gt_f32_e64 s[8:9], 0, v4
	v_cmp_class_f32_e64 s[14:15], v25, s69
	v_cndmask_b32_e64 v7, v7, v13, s[12:13]
	v_sub_f32_e32 v13, 0x40490fdb, v7
	v_cmp_class_f32_e64 s[16:17], v4, s69
	v_cndmask_b32_e64 v8, v42, v43, s[8:9]
	v_cndmask_b32_e64 v7, v7, v13, s[8:9]
	v_cmp_eq_f32_e64 s[8:9], 0, v25
	s_nop 1
	v_cndmask_b32_e64 v7, v7, v11, s[8:9]
	s_and_b64 s[8:9], s[16:17], s[14:15]
	v_cndmask_b32_e64 v7, v7, v8, s[8:9]
	v_cmp_o_f32_e64 s[8:9], v4, v25
	s_nop 1
	v_cndmask_b32_e64 v4, v10, v7, s[8:9]
	v_bfi_b32 v27, s47, v4, v25
	v_pk_add_f32 v[24:25], v[22:23], v[26:27]
                                        ; implicit-def: $vgpr27
                                        ; implicit-def: $vgpr23
.LBB347_93:                             ;   in Loop: Header=BB347_69 Depth=3
	s_andn2_saveexec_b64 s[36:37], s[36:37]
	s_cbranch_execz .LBB347_66
; %bb.94:                               ;   in Loop: Header=BB347_69 Depth=3
	v_cmp_ngt_f32_e64 s[8:9], 0, v24
	s_and_saveexec_b64 s[38:39], s[8:9]
	s_cbranch_execz .LBB347_65
; %bb.95:                               ;   in Loop: Header=BB347_69 Depth=3
	v_and_b32_e32 v7, 0x7fffffff, v25
	v_lshrrev_b32_e32 v4, 23, v7
	v_and_b32_e32 v8, 0x7fffff, v7
	v_cmp_nlt_f32_e64 s[40:41], |v25|, s48
	v_add_u32_e32 v26, 0xffffff88, v4
	v_or_b32_e32 v24, 0x800000, v8
                                        ; implicit-def: $vgpr11
                                        ; implicit-def: $vgpr8
	s_and_saveexec_b64 s[8:9], s[40:41]
	s_xor_b64 s[42:43], exec, s[8:9]
	s_cbranch_execz .LBB347_97
; %bb.96:                               ;   in Loop: Header=BB347_69 Depth=3
	v_cmp_lt_u32_e64 s[8:9], 63, v26
	v_mad_u64_u32 v[28:29], s[16:17], v24, s50, 0
	s_nop 0
	v_cndmask_b32_e64 v4, 0, v37, s[8:9]
	v_add_u32_e32 v4, v4, v26
	v_cmp_lt_u32_e64 s[12:13], 31, v4
	s_nop 1
	v_cndmask_b32_e64 v8, 0, v38, s[12:13]
	v_add_u32_e32 v4, v8, v4
	v_cmp_lt_u32_e64 s[14:15], 31, v4
	s_nop 1
	v_cndmask_b32_e64 v8, 0, v38, s[14:15]
	v_add_u32_e32 v8, v8, v4
	v_mov_b32_e32 v4, v29
	v_mad_u64_u32 v[46:47], s[16:17], v24, s51, v[4:5]
	v_mov_b32_e32 v4, v47
	v_mad_u64_u32 v[48:49], s[16:17], v24, s52, v[4:5]
	;; [unrolled: 2-line block ×6, first 2 shown]
	v_cndmask_b32_e64 v11, v54, v50, s[8:9]
	v_cndmask_b32_e64 v4, v56, v52, s[8:9]
	;; [unrolled: 1-line block ×7, first 2 shown]
	v_sub_u32_e32 v29, 32, v8
	v_cmp_eq_u32_e64 s[16:17], 0, v8
	v_cndmask_b32_e64 v8, v50, v46, s[8:9]
	v_cndmask_b32_e64 v4, v4, v13, s[14:15]
	;; [unrolled: 1-line block ×4, first 2 shown]
	v_alignbit_b32 v45, v4, v13, v29
	v_cndmask_b32_e64 v11, v11, v22, s[14:15]
	v_cndmask_b32_e64 v4, v45, v4, s[16:17]
	v_alignbit_b32 v45, v13, v11, v29
	v_cndmask_b32_e64 v28, v48, v28, s[8:9]
	v_cndmask_b32_e64 v13, v45, v13, s[16:17]
	v_bfe_u32 v47, v4, 29, 1
	v_cndmask_b32_e64 v8, v8, v28, s[12:13]
	v_alignbit_b32 v45, v4, v13, 30
	v_sub_u32_e32 v49, 0, v47
	v_cndmask_b32_e64 v8, v22, v8, s[14:15]
	v_xor_b32_e32 v45, v45, v49
	v_alignbit_b32 v22, v11, v8, v29
	v_cndmask_b32_e64 v11, v22, v11, s[16:17]
	v_ffbh_u32_e32 v22, v45
	v_alignbit_b32 v13, v13, v11, 30
	v_min_u32_e32 v22, 32, v22
	v_alignbit_b32 v8, v11, v8, 30
	v_xor_b32_e32 v13, v13, v49
	v_sub_u32_e32 v28, 31, v22
	v_xor_b32_e32 v8, v8, v49
	v_alignbit_b32 v29, v45, v13, v28
	v_alignbit_b32 v8, v13, v8, v28
	;; [unrolled: 1-line block ×3, first 2 shown]
	v_ffbh_u32_e32 v13, v11
	v_min_u32_e32 v13, 32, v13
	v_lshrrev_b32_e32 v46, 29, v4
	v_not_b32_e32 v28, v13
	v_alignbit_b32 v8, v11, v8, v28
	v_lshlrev_b32_e32 v11, 31, v46
	v_or_b32_e32 v28, 0x33000000, v11
	v_add_lshl_u32 v13, v13, v22, 23
	v_lshrrev_b32_e32 v8, 9, v8
	v_sub_u32_e32 v13, v28, v13
	v_or_b32_e32 v11, 0.5, v11
	v_lshlrev_b32_e32 v22, 23, v22
	v_or_b32_e32 v8, v13, v8
	v_lshrrev_b32_e32 v13, 9, v29
	v_sub_u32_e32 v11, v11, v22
	v_or_b32_e32 v11, v13, v11
	v_mul_f32_e32 v13, 0x3fc90fda, v11
	v_fma_f32 v22, v11, s57, -v13
	v_fmac_f32_e32 v22, 0x33a22168, v11
	v_fmac_f32_e32 v22, 0x3fc90fda, v8
	v_lshrrev_b32_e32 v4, 30, v4
	v_add_f32_e32 v8, v13, v22
	v_add_u32_e32 v11, v47, v4
.LBB347_97:                             ;   in Loop: Header=BB347_69 Depth=3
	s_or_saveexec_b64 s[8:9], s[42:43]
	v_mul_f32_e64 v4, |v25|, s58
	v_rndne_f32_e32 v4, v4
	s_xor_b64 exec, exec, s[8:9]
; %bb.98:                               ;   in Loop: Header=BB347_69 Depth=3
	v_cvt_i32_f32_e32 v11, v4
	v_fma_f32 v8, v4, s59, |v25|
	v_fmac_f32_e32 v8, 0xb3a22168, v4
	v_fmac_f32_e32 v8, 0xa7c234c4, v4
; %bb.99:                               ;   in Loop: Header=BB347_69 Depth=3
	s_or_b64 exec, exec, s[8:9]
                                        ; implicit-def: $vgpr13
                                        ; implicit-def: $vgpr22
	s_and_saveexec_b64 s[8:9], s[40:41]
	s_xor_b64 s[40:41], exec, s[8:9]
	s_cbranch_execz .LBB347_101
; %bb.100:                              ;   in Loop: Header=BB347_69 Depth=3
	v_cmp_lt_u32_e64 s[8:9], 63, v26
	v_mad_u64_u32 v[28:29], s[16:17], v24, s50, 0
	s_nop 0
	v_cndmask_b32_e64 v4, 0, v37, s[8:9]
	v_add_u32_e32 v4, v4, v26
	v_cmp_lt_u32_e64 s[12:13], 31, v4
	s_nop 1
	v_cndmask_b32_e64 v13, 0, v38, s[12:13]
	v_add_u32_e32 v4, v13, v4
	v_cmp_lt_u32_e64 s[14:15], 31, v4
	s_nop 1
	v_cndmask_b32_e64 v13, 0, v38, s[14:15]
	v_add_u32_e32 v13, v13, v4
	v_mov_b32_e32 v4, v29
	v_mad_u64_u32 v[46:47], s[16:17], v24, s51, v[4:5]
	v_mov_b32_e32 v4, v47
	v_mad_u64_u32 v[48:49], s[16:17], v24, s52, v[4:5]
	;; [unrolled: 2-line block ×6, first 2 shown]
	v_cndmask_b32_e64 v22, v54, v50, s[8:9]
	v_cndmask_b32_e64 v4, v56, v52, s[8:9]
	;; [unrolled: 1-line block ×7, first 2 shown]
	v_sub_u32_e32 v29, 32, v13
	v_cmp_eq_u32_e64 s[16:17], 0, v13
	v_cndmask_b32_e64 v13, v50, v46, s[8:9]
	v_cndmask_b32_e64 v4, v4, v24, s[14:15]
	;; [unrolled: 1-line block ×4, first 2 shown]
	v_alignbit_b32 v45, v4, v24, v29
	v_cndmask_b32_e64 v22, v22, v26, s[14:15]
	v_cndmask_b32_e64 v4, v45, v4, s[16:17]
	v_alignbit_b32 v45, v24, v22, v29
	v_cndmask_b32_e64 v28, v48, v28, s[8:9]
	v_cndmask_b32_e64 v24, v45, v24, s[16:17]
	v_bfe_u32 v47, v4, 29, 1
	v_cndmask_b32_e64 v13, v13, v28, s[12:13]
	v_alignbit_b32 v45, v4, v24, 30
	v_sub_u32_e32 v49, 0, v47
	v_cndmask_b32_e64 v13, v26, v13, s[14:15]
	v_xor_b32_e32 v45, v45, v49
	v_alignbit_b32 v26, v22, v13, v29
	v_cndmask_b32_e64 v22, v26, v22, s[16:17]
	v_ffbh_u32_e32 v26, v45
	v_alignbit_b32 v24, v24, v22, 30
	v_min_u32_e32 v26, 32, v26
	v_alignbit_b32 v13, v22, v13, 30
	v_xor_b32_e32 v24, v24, v49
	v_sub_u32_e32 v28, 31, v26
	v_xor_b32_e32 v13, v13, v49
	v_alignbit_b32 v29, v45, v24, v28
	v_alignbit_b32 v13, v24, v13, v28
	;; [unrolled: 1-line block ×3, first 2 shown]
	v_ffbh_u32_e32 v24, v22
	v_min_u32_e32 v24, 32, v24
	v_lshrrev_b32_e32 v46, 29, v4
	v_not_b32_e32 v28, v24
	v_alignbit_b32 v13, v22, v13, v28
	v_lshlrev_b32_e32 v22, 31, v46
	v_or_b32_e32 v28, 0x33000000, v22
	v_add_lshl_u32 v24, v24, v26, 23
	v_lshrrev_b32_e32 v13, 9, v13
	v_sub_u32_e32 v24, v28, v24
	v_or_b32_e32 v22, 0.5, v22
	v_lshlrev_b32_e32 v26, 23, v26
	v_or_b32_e32 v13, v24, v13
	v_lshrrev_b32_e32 v24, 9, v29
	v_sub_u32_e32 v22, v22, v26
	v_or_b32_e32 v22, v24, v22
	v_mul_f32_e32 v24, 0x3fc90fda, v22
	v_fma_f32 v26, v22, s57, -v24
	v_fmac_f32_e32 v26, 0x33a22168, v22
	v_fmac_f32_e32 v26, 0x3fc90fda, v13
	v_lshrrev_b32_e32 v4, 30, v4
	v_add_f32_e32 v22, v24, v26
	v_add_u32_e32 v13, v47, v4
                                        ; implicit-def: $vgpr4
	s_andn2_saveexec_b64 s[8:9], s[40:41]
	s_cbranch_execnz .LBB347_102
	s_branch .LBB347_103
.LBB347_101:                            ;   in Loop: Header=BB347_69 Depth=3
	s_andn2_saveexec_b64 s[8:9], s[40:41]
.LBB347_102:                            ;   in Loop: Header=BB347_69 Depth=3
	v_cvt_i32_f32_e32 v13, v4
	v_fma_f32 v22, v4, s59, |v25|
	v_fmac_f32_e32 v22, 0xb3a22168, v4
	v_fmac_f32_e32 v22, 0xa7c234c4, v4
.LBB347_103:                            ;   in Loop: Header=BB347_69 Depth=3
	s_or_b64 exec, exec, s[8:9]
	v_and_b32_e32 v24, 0x7fffffff, v23
	v_lshrrev_b32_e32 v4, 23, v24
	v_and_b32_e32 v26, 0x7fffff, v24
	v_cmp_nlt_f32_e64 s[40:41], |v23|, s48
	v_add_u32_e32 v45, 0xffffff88, v4
	v_or_b32_e32 v29, 0x800000, v26
                                        ; implicit-def: $vgpr28
                                        ; implicit-def: $vgpr26
	s_and_saveexec_b64 s[8:9], s[40:41]
	s_xor_b64 s[42:43], exec, s[8:9]
	s_cbranch_execz .LBB347_105
; %bb.104:                              ;   in Loop: Header=BB347_69 Depth=3
	v_cmp_lt_u32_e64 s[8:9], 63, v45
	v_mad_u64_u32 v[46:47], s[16:17], v29, s50, 0
	s_nop 0
	v_cndmask_b32_e64 v4, 0, v37, s[8:9]
	v_add_u32_e32 v4, v4, v45
	v_cmp_lt_u32_e64 s[12:13], 31, v4
	s_nop 1
	v_cndmask_b32_e64 v26, 0, v38, s[12:13]
	v_add_u32_e32 v4, v26, v4
	v_cmp_lt_u32_e64 s[14:15], 31, v4
	s_nop 1
	v_cndmask_b32_e64 v26, 0, v38, s[14:15]
	v_add_u32_e32 v26, v26, v4
	v_mov_b32_e32 v4, v47
	v_mad_u64_u32 v[48:49], s[16:17], v29, s51, v[4:5]
	v_mov_b32_e32 v4, v49
	v_mad_u64_u32 v[50:51], s[16:17], v29, s52, v[4:5]
	;; [unrolled: 2-line block ×6, first 2 shown]
	v_cndmask_b32_e64 v28, v56, v52, s[8:9]
	v_cndmask_b32_e64 v4, v58, v54, s[8:9]
	;; [unrolled: 1-line block ×7, first 2 shown]
	v_sub_u32_e32 v51, 32, v26
	v_cmp_eq_u32_e64 s[16:17], 0, v26
	v_cndmask_b32_e64 v26, v52, v48, s[8:9]
	v_cndmask_b32_e64 v4, v4, v47, s[14:15]
	;; [unrolled: 1-line block ×4, first 2 shown]
	v_alignbit_b32 v53, v4, v47, v51
	v_cndmask_b32_e64 v28, v28, v48, s[14:15]
	v_cndmask_b32_e64 v46, v50, v46, s[8:9]
	;; [unrolled: 1-line block ×3, first 2 shown]
	v_alignbit_b32 v49, v47, v28, v51
	v_cndmask_b32_e64 v26, v26, v46, s[12:13]
	v_cndmask_b32_e64 v47, v49, v47, s[16:17]
	v_bfe_u32 v53, v4, 29, 1
	v_cndmask_b32_e64 v26, v48, v26, s[14:15]
	v_alignbit_b32 v49, v4, v47, 30
	v_sub_u32_e32 v54, 0, v53
	v_alignbit_b32 v46, v28, v26, v51
	v_xor_b32_e32 v49, v49, v54
	v_cndmask_b32_e64 v28, v46, v28, s[16:17]
	v_alignbit_b32 v46, v47, v28, 30
	v_ffbh_u32_e32 v47, v49
	v_min_u32_e32 v47, 32, v47
	v_alignbit_b32 v26, v28, v26, 30
	v_xor_b32_e32 v46, v46, v54
	v_sub_u32_e32 v48, 31, v47
	v_xor_b32_e32 v26, v26, v54
	v_alignbit_b32 v49, v49, v46, v48
	v_alignbit_b32 v26, v46, v26, v48
	v_alignbit_b32 v28, v49, v26, 9
	v_ffbh_u32_e32 v46, v28
	v_min_u32_e32 v46, 32, v46
	v_lshrrev_b32_e32 v52, 29, v4
	v_not_b32_e32 v48, v46
	v_alignbit_b32 v26, v28, v26, v48
	v_lshlrev_b32_e32 v28, 31, v52
	v_or_b32_e32 v48, 0x33000000, v28
	v_add_lshl_u32 v46, v46, v47, 23
	v_lshrrev_b32_e32 v26, 9, v26
	v_sub_u32_e32 v46, v48, v46
	v_or_b32_e32 v28, 0.5, v28
	v_lshlrev_b32_e32 v47, 23, v47
	v_or_b32_e32 v26, v46, v26
	v_lshrrev_b32_e32 v46, 9, v49
	v_sub_u32_e32 v28, v28, v47
	v_or_b32_e32 v28, v46, v28
	v_mul_f32_e32 v46, 0x3fc90fda, v28
	v_fma_f32 v47, v28, s57, -v46
	v_fmac_f32_e32 v47, 0x33a22168, v28
	v_fmac_f32_e32 v47, 0x3fc90fda, v26
	v_lshrrev_b32_e32 v4, 30, v4
	v_add_f32_e32 v26, v46, v47
	v_add_u32_e32 v28, v53, v4
.LBB347_105:                            ;   in Loop: Header=BB347_69 Depth=3
	s_or_saveexec_b64 s[8:9], s[42:43]
	v_mul_f32_e64 v4, |v23|, s58
	v_rndne_f32_e32 v47, v4
	s_xor_b64 exec, exec, s[8:9]
; %bb.106:                              ;   in Loop: Header=BB347_69 Depth=3
	v_cvt_i32_f32_e32 v28, v47
	v_fma_f32 v26, v47, s59, |v23|
	v_fmac_f32_e32 v26, 0xb3a22168, v47
	v_fmac_f32_e32 v26, 0xa7c234c4, v47
; %bb.107:                              ;   in Loop: Header=BB347_69 Depth=3
	s_or_b64 exec, exec, s[8:9]
                                        ; implicit-def: $vgpr4
                                        ; implicit-def: $vgpr46
	s_and_saveexec_b64 s[8:9], s[40:41]
	s_xor_b64 s[40:41], exec, s[8:9]
	s_cbranch_execz .LBB347_109
; %bb.108:                              ;   in Loop: Header=BB347_69 Depth=3
	v_cmp_lt_u32_e64 s[8:9], 63, v45
	v_mad_u64_u32 v[46:47], s[16:17], v29, s50, 0
	s_nop 0
	v_cndmask_b32_e64 v4, 0, v37, s[8:9]
	v_add_u32_e32 v4, v4, v45
	v_cmp_lt_u32_e64 s[12:13], 31, v4
	s_nop 1
	v_cndmask_b32_e64 v45, 0, v38, s[12:13]
	v_add_u32_e32 v4, v45, v4
	v_cmp_lt_u32_e64 s[14:15], 31, v4
	s_nop 1
	v_cndmask_b32_e64 v45, 0, v38, s[14:15]
	v_add_u32_e32 v45, v45, v4
	v_mov_b32_e32 v4, v47
	v_mad_u64_u32 v[48:49], s[16:17], v29, s51, v[4:5]
	v_mov_b32_e32 v4, v49
	v_mad_u64_u32 v[50:51], s[16:17], v29, s52, v[4:5]
	;; [unrolled: 2-line block ×6, first 2 shown]
	v_cndmask_b32_e64 v47, v56, v52, s[8:9]
	v_cndmask_b32_e64 v4, v58, v54, s[8:9]
	;; [unrolled: 1-line block ×7, first 2 shown]
	v_sub_u32_e32 v51, 32, v45
	v_cmp_eq_u32_e64 s[16:17], 0, v45
	v_cndmask_b32_e64 v45, v52, v48, s[8:9]
	v_cndmask_b32_e64 v4, v4, v29, s[14:15]
	;; [unrolled: 1-line block ×4, first 2 shown]
	v_alignbit_b32 v53, v4, v29, v51
	v_cndmask_b32_e64 v47, v47, v48, s[14:15]
	v_cndmask_b32_e64 v4, v53, v4, s[16:17]
	v_alignbit_b32 v49, v29, v47, v51
	v_cndmask_b32_e64 v46, v50, v46, s[8:9]
	v_cndmask_b32_e64 v29, v49, v29, s[16:17]
	v_bfe_u32 v53, v4, 29, 1
	v_cndmask_b32_e64 v45, v45, v46, s[12:13]
	v_alignbit_b32 v49, v4, v29, 30
	v_sub_u32_e32 v54, 0, v53
	v_cndmask_b32_e64 v45, v48, v45, s[14:15]
	v_xor_b32_e32 v49, v49, v54
	v_alignbit_b32 v46, v47, v45, v51
	v_cndmask_b32_e64 v46, v46, v47, s[16:17]
	v_ffbh_u32_e32 v47, v49
	v_alignbit_b32 v29, v29, v46, 30
	v_min_u32_e32 v47, 32, v47
	v_alignbit_b32 v45, v46, v45, 30
	v_xor_b32_e32 v29, v29, v54
	v_sub_u32_e32 v48, 31, v47
	v_xor_b32_e32 v45, v45, v54
	v_alignbit_b32 v49, v49, v29, v48
	v_alignbit_b32 v29, v29, v45, v48
	;; [unrolled: 1-line block ×3, first 2 shown]
	v_ffbh_u32_e32 v46, v45
	v_min_u32_e32 v46, 32, v46
	v_lshrrev_b32_e32 v52, 29, v4
	v_not_b32_e32 v48, v46
	v_alignbit_b32 v29, v45, v29, v48
	v_lshlrev_b32_e32 v45, 31, v52
	v_or_b32_e32 v48, 0x33000000, v45
	v_add_lshl_u32 v46, v46, v47, 23
	v_lshrrev_b32_e32 v29, 9, v29
	v_sub_u32_e32 v46, v48, v46
	v_or_b32_e32 v45, 0.5, v45
	v_lshlrev_b32_e32 v47, 23, v47
	v_or_b32_e32 v29, v46, v29
	v_lshrrev_b32_e32 v46, 9, v49
	v_sub_u32_e32 v45, v45, v47
	v_or_b32_e32 v45, v46, v45
	v_mul_f32_e32 v46, 0x3fc90fda, v45
	v_fma_f32 v47, v45, s57, -v46
	v_fmac_f32_e32 v47, 0x33a22168, v45
	v_fmac_f32_e32 v47, 0x3fc90fda, v29
	v_lshrrev_b32_e32 v4, 30, v4
	v_add_f32_e32 v46, v46, v47
	v_add_u32_e32 v4, v53, v4
                                        ; implicit-def: $vgpr47
	s_andn2_saveexec_b64 s[8:9], s[40:41]
	s_cbranch_execnz .LBB347_110
	s_branch .LBB347_111
.LBB347_109:                            ;   in Loop: Header=BB347_69 Depth=3
	s_andn2_saveexec_b64 s[8:9], s[40:41]
.LBB347_110:                            ;   in Loop: Header=BB347_69 Depth=3
	v_cvt_i32_f32_e32 v4, v47
	v_fma_f32 v46, v47, s59, |v23|
	v_fmac_f32_e32 v46, 0xb3a22168, v47
	v_fmac_f32_e32 v46, 0xa7c234c4, v47
.LBB347_111:                            ;   in Loop: Header=BB347_69 Depth=3
	s_or_b64 exec, exec, s[8:9]
	v_mul_f32_e32 v45, v8, v8
	v_fmamk_f32 v47, v45, 0xb94c1982, v33
	v_fmaak_f32 v47, v45, v47, 0xbe2aaa9d
	v_mul_f32_e32 v47, v45, v47
	v_fmac_f32_e32 v8, v8, v47
	v_fmamk_f32 v47, v45, 0x37d75334, v34
	v_fmaak_f32 v47, v45, v47, 0x3d2aabf7
	v_lshlrev_b32_e32 v29, 30, v11
	v_and_b32_e32 v11, 1, v11
	v_fmaak_f32 v47, v45, v47, 0xbf000004
	v_and_b32_e32 v29, 0x80000000, v29
	v_fma_f32 v45, v45, v47, 1.0
	v_cmp_eq_u32_e64 s[8:9], 0, v11
	v_xor_b32_e32 v7, v7, v27
	v_xor_b32_e32 v7, v7, v29
	v_cndmask_b32_e64 v8, v45, v8, s[8:9]
	v_xor_b32_e32 v7, v7, v8
	v_mul_f32_e32 v8, v22, v22
	v_fmamk_f32 v11, v8, 0xb94c1982, v33
	v_fmaak_f32 v11, v8, v11, 0xbe2aaa9d
	v_mul_f32_e32 v11, v8, v11
	v_fmac_f32_e32 v22, v22, v11
	v_fmamk_f32 v11, v8, 0x37d75334, v34
	v_fmaak_f32 v11, v8, v11, 0x3d2aabf7
	v_fmaak_f32 v11, v8, v11, 0xbf000004
	v_fma_f32 v8, v8, v11, 1.0
	v_and_b32_e32 v11, 1, v13
	v_cmp_eq_u32_e64 s[12:13], 0, v11
	v_lshlrev_b32_e32 v11, 30, v13
	v_mul_f32_e32 v13, v26, v26
	v_cmp_class_f32_e64 s[8:9], v25, s46
	v_cndmask_b32_e64 v8, -v22, v8, s[12:13]
	v_fmamk_f32 v25, v13, 0xb94c1982, v33
	v_bitop3_b32 v8, v11, v8, s64 bitop3:0x6c
	v_fmaak_f32 v25, v13, v25, 0xbe2aaa9d
	v_cndmask_b32_e64 v8, v10, v8, s[8:9]
	v_mul_f32_e32 v25, v13, v25
	v_cndmask_b32_e64 v7, v10, v7, s[8:9]
	v_mul_f32_e32 v11, 0x7f800000, v8
	v_cmp_neq_f32_e64 s[8:9], 0, v8
	v_fmac_f32_e32 v26, v26, v25
	v_fmamk_f32 v25, v13, 0x37d75334, v34
	v_cndmask_b32_e64 v11, 0, v11, s[8:9]
	v_mul_f32_e32 v8, 0x7f800000, v7
	v_cmp_neq_f32_e64 s[8:9], 0, v7
	v_fmaak_f32 v25, v13, v25, 0x3d2aabf7
	v_fmaak_f32 v25, v13, v25, 0xbf000004
	v_cndmask_b32_e64 v22, 0, v8, s[8:9]
	v_and_b32_e32 v8, 1, v28
	v_lshlrev_b32_e32 v7, 30, v28
	v_fma_f32 v13, v13, v25, 1.0
	v_cmp_eq_u32_e64 s[8:9], 0, v8
	v_and_b32_e32 v7, 0x80000000, v7
	s_nop 0
	v_cndmask_b32_e64 v8, v13, v26, s[8:9]
	v_xor_b32_e32 v13, v24, v23
	v_xor_b32_e32 v7, v13, v7
	;; [unrolled: 1-line block ×3, first 2 shown]
	v_mul_f32_e32 v8, v46, v46
	v_fmamk_f32 v13, v8, 0xb94c1982, v33
	v_fmaak_f32 v13, v8, v13, 0xbe2aaa9d
	v_mul_f32_e32 v13, v8, v13
	v_fmac_f32_e32 v46, v46, v13
	v_fmamk_f32 v13, v8, 0x37d75334, v34
	v_fmaak_f32 v13, v8, v13, 0x3d2aabf7
	v_fmaak_f32 v13, v8, v13, 0xbf000004
	v_fma_f32 v8, v8, v13, 1.0
	v_and_b32_e32 v13, 1, v4
	v_cmp_eq_u32_e64 s[12:13], 0, v13
	v_lshlrev_b32_e32 v4, 30, v4
	v_cmp_class_f32_e64 s[8:9], v23, s46
	v_cndmask_b32_e64 v8, -v46, v8, s[12:13]
	v_bitop3_b32 v4, v4, v8, s64 bitop3:0x6c
	v_cndmask_b32_e64 v4, v10, v4, s[8:9]
	v_cndmask_b32_e64 v7, v10, v7, s[8:9]
	v_mul_f32_e32 v8, 0x7f800000, v4
	v_cmp_neq_f32_e64 s[8:9], 0, v4
	s_nop 1
	v_cndmask_b32_e64 v4, 0, v8, s[8:9]
	v_mul_f32_e32 v8, 0x7f800000, v7
	v_cmp_neq_f32_e64 s[8:9], 0, v7
	v_add_f32_e32 v23, v11, v4
	s_nop 0
	v_cndmask_b32_e64 v8, 0, v8, s[8:9]
	v_pk_add_f32 v[22:23], v[22:23], v[8:9]
	s_nop 0
	v_max_f32_e64 v4, |v23|, |v22|
	v_cvt_f64_f32_e32 v[24:25], v4
	v_frexp_exp_i32_f64_e32 v7, v[24:25]
	v_sub_u32_e32 v8, 0, v7
	v_ldexp_f32 v11, |v23|, v8
	v_ldexp_f32 v8, |v22|, v8
	v_mul_f32_e32 v8, v8, v8
	v_fmac_f32_e32 v8, v11, v11
	v_sqrt_f32_e32 v8, v8
	v_cmp_eq_f32_e64 s[8:9], s63, v4
	v_add_f32_e32 v4, 1.0, v23
                                        ; implicit-def: $vgpr24
	v_ldexp_f32 v8, v8, v7
	v_cmp_ngt_f32_e64 s[12:13], 0.5, v8
	v_max_f32_e64 v7, |v4|, |v22|
	s_or_b64 s[8:9], s[8:9], s[12:13]
	s_and_saveexec_b64 s[12:13], s[8:9]
	s_xor_b64 s[14:15], exec, s[12:13]
	s_cbranch_execz .LBB347_113
; %bb.112:                              ;   in Loop: Header=BB347_69 Depth=3
	v_cvt_f64_f32_e32 v[24:25], v7
	v_frexp_exp_i32_f64_e32 v8, v[24:25]
	v_sub_u32_e32 v11, 0, v8
	v_ldexp_f32 v13, |v4|, v11
	v_ldexp_f32 v11, |v22|, v11
	v_mul_f32_e32 v11, v11, v11
	v_fmac_f32_e32 v11, v13, v13
	v_sqrt_f32_e32 v11, v11
	v_cmp_neq_f32_e64 s[8:9], s63, v7
	v_ldexp_f32 v8, v11, v8
	s_nop 0
	v_cndmask_b32_e64 v8, v39, v8, s[8:9]
	v_cmp_gt_f32_e64 s[8:9], s49, v8
	s_nop 1
	v_cndmask_b32_e64 v11, 0, 32, s[8:9]
	v_ldexp_f32 v8, v8, v11
	v_log_f32_e32 v8, v8
	s_nop 0
	v_mul_f32_e32 v11, 0x3f317217, v8
	v_fma_f32 v11, v8, s65, -v11
	v_fmac_f32_e32 v11, 0x3377d1cf, v8
	v_fmac_f32_e32 v11, 0x3f317217, v8
	v_cmp_lt_f32_e64 s[12:13], |v8|, s63
	s_nop 1
	v_cndmask_b32_e64 v8, v8, v11, s[12:13]
	v_cndmask_b32_e64 v11, 0, v40, s[8:9]
	v_sub_f32_e32 v24, v8, v11
.LBB347_113:                            ;   in Loop: Header=BB347_69 Depth=3
	s_andn2_saveexec_b64 s[12:13], s[14:15]
	s_cbranch_execz .LBB347_64
; %bb.114:                              ;   in Loop: Header=BB347_69 Depth=3
	v_add_f32_e32 v25, 2.0, v23
	v_mov_b32_e32 v24, v22
	v_pk_mul_f32 v[24:25], v[22:23], v[24:25]
	s_nop 0
	v_add_f32_e32 v8, v24, v25
	v_cmp_neq_f32_e64 s[8:9], 0, v8
	s_and_saveexec_b64 s[14:15], s[8:9]
	s_cbranch_execz .LBB347_63
; %bb.115:                              ;   in Loop: Header=BB347_69 Depth=3
	v_add_f32_e32 v11, 1.0, v8
	v_add_f32_e32 v13, -1.0, v11
	v_sub_f32_e32 v23, v13, v11
	v_add_f32_e32 v23, 1.0, v23
	v_sub_f32_e32 v13, v8, v13
	v_add_f32_e32 v13, v13, v23
	v_frexp_mant_f32_e32 v23, v11
	v_cvt_f64_f32_e32 v[24:25], v11
	v_frexp_exp_i32_f64_e32 v24, v[24:25]
	v_cmp_gt_f32_e64 s[8:9], s66, v23
	s_nop 1
	v_subbrev_co_u32_e64 v23, s[8:9], 0, v24, s[8:9]
	v_sub_u32_e32 v24, 0, v23
	v_ldexp_f32 v11, v11, v24
	v_ldexp_f32 v13, v13, v24
	v_add_f32_e32 v24, -1.0, v11
	v_add_f32_e32 v25, 1.0, v24
	v_sub_f32_e32 v25, v11, v25
	v_add_f32_e32 v26, v13, v25
	v_add_f32_e32 v25, 1.0, v11
	v_add_f32_e32 v27, -1.0, v25
	v_sub_f32_e32 v11, v11, v27
	v_add_f32_e32 v11, v13, v11
	v_add_f32_e32 v13, v25, v11
	v_rcp_f32_e32 v45, v13
	v_sub_f32_e32 v25, v13, v25
	v_sub_f32_e32 v11, v11, v25
	v_add_f32_e32 v25, v24, v26
	v_sub_f32_e32 v24, v25, v24
	v_mul_f32_e32 v49, v25, v45
	v_sub_f32_e32 v48, v26, v24
	v_mul_f32_e32 v26, v13, v49
	v_fma_f32 v28, v49, v13, -v26
	v_fmac_f32_e32 v28, v49, v11
	v_add_f32_e32 v24, v26, v28
	v_sub_f32_e32 v27, v25, v24
	v_pk_add_f32 v[46:47], v[24:25], v[26:27] neg_lo:[0,1] neg_hi:[0,1]
	v_mov_b32_e32 v29, v24
	v_pk_add_f32 v[24:25], v[46:47], v[28:29] neg_lo:[0,1] neg_hi:[0,1]
	v_cmp_neq_f32_e64 s[8:9], s63, v8
	v_add_f32_e32 v25, v48, v25
	v_add_f32_e32 v24, v24, v25
	;; [unrolled: 1-line block ×3, first 2 shown]
	v_mul_f32_e32 v48, v45, v25
	v_mul_f32_e32 v26, v13, v48
	v_fma_f32 v28, v48, v13, -v26
	v_fmac_f32_e32 v28, v48, v11
	v_sub_f32_e32 v11, v27, v25
	v_add_f32_e32 v11, v24, v11
	v_add_f32_e32 v24, v26, v28
	v_sub_f32_e32 v27, v25, v24
	v_pk_add_f32 v[46:47], v[24:25], v[26:27] neg_lo:[0,1] neg_hi:[0,1]
	v_mov_b32_e32 v29, v24
	v_pk_add_f32 v[24:25], v[46:47], v[28:29] neg_lo:[0,1] neg_hi:[0,1]
	s_nop 0
	v_add_f32_e32 v11, v11, v25
	v_add_f32_e32 v11, v24, v11
	;; [unrolled: 1-line block ×4, first 2 shown]
	v_sub_f32_e32 v13, v25, v49
	v_mul_f32_e32 v11, v45, v11
	v_sub_f32_e32 v13, v48, v13
	v_add_f32_e32 v11, v13, v11
	v_add_f32_e32 v26, v25, v11
	v_cvt_f32_i32_e32 v24, v23
	v_mul_f32_e32 v28, v26, v26
	v_fmamk_f32 v13, v28, 0x3e9b6dac, v35
	v_fmaak_f32 v13, v28, v13, 0x3f2aaada
	v_sub_f32_e32 v23, v26, v25
	v_mul_f32_e32 v25, v26, v28
	v_pk_mul_f32 v[28:29], v[24:25], v[12:13]
	v_ldexp_f32 v27, v26, 1
	v_fma_f32 v26, v24, s67, -v28
	v_fmac_f32_e32 v26, 0xb102e308, v24
	v_pk_add_f32 v[24:25], v[28:29], v[26:27]
	v_sub_f32_e32 v11, v11, v23
	v_sub_f32_e32 v13, v25, v27
	v_ldexp_f32 v11, v11, 1
	v_sub_f32_e32 v13, v29, v13
	v_add_f32_e32 v47, v11, v13
	v_mov_b32_e32 v46, v28
	v_pk_add_f32 v[28:29], v[24:25], v[28:29] neg_lo:[0,1] neg_hi:[0,1]
	v_pk_add_f32 v[48:49], v[24:25], v[46:47]
	v_mov_b32_e32 v27, v24
	v_mov_b32_e32 v29, v49
	v_pk_add_f32 v[50:51], v[26:27], v[28:29] neg_lo:[0,1] neg_hi:[0,1]
	v_pk_add_f32 v[26:27], v[26:27], v[28:29]
	v_mov_b32_e32 v46, v47
	v_pk_add_f32 v[28:29], v[26:27], v[24:25] op_sel:[1,0] op_sel_hi:[0,1] neg_lo:[0,1] neg_hi:[0,1]
	v_pk_add_f32 v[52:53], v[48:49], v[28:29] op_sel_hi:[1,0] neg_lo:[0,1] neg_hi:[0,1]
	v_mov_b32_e32 v48, v49
	v_mov_b32_e32 v49, v27
	v_pk_mov_b32 v[28:29], v[24:25], v[28:29] op_sel:[1,0]
	v_mov_b32_e32 v47, v24
	v_pk_add_f32 v[28:29], v[48:49], v[28:29] neg_lo:[0,1] neg_hi:[0,1]
	v_mov_b32_e32 v52, v50
	v_pk_add_f32 v[24:25], v[46:47], v[28:29] neg_lo:[0,1] neg_hi:[0,1]
	v_mov_b32_e32 v51, v27
	v_pk_add_f32 v[28:29], v[52:53], v[24:25]
	s_nop 0
	v_pk_add_f32 v[46:47], v[28:29], v[28:29] op_sel:[0,1] op_sel_hi:[1,0]
	s_nop 0
	v_pk_add_f32 v[26:27], v[26:27], v[46:47] op_sel:[1,0] op_sel_hi:[0,1]
	v_mov_b32_e32 v29, v26
	v_pk_add_f32 v[48:49], v[28:29], v[50:51] neg_lo:[0,1] neg_hi:[0,1]
	v_mov_b32_e32 v25, v46
	v_sub_f32_e32 v11, v28, v48
	v_pk_add_f32 v[24:25], v[24:25], v[48:49] neg_lo:[0,1] neg_hi:[0,1]
	v_sub_f32_e32 v11, v50, v11
	v_add_f32_e32 v11, v24, v11
	v_add_f32_e32 v11, v11, v25
	;; [unrolled: 1-line block ×3, first 2 shown]
	v_cndmask_b32_e64 v11, v39, v11, s[8:9]
	v_cmp_ngt_f32_e64 s[8:9], -1.0, v8
	s_nop 1
	v_cndmask_b32_e64 v11, v10, v11, s[8:9]
	v_cmp_neq_f32_e64 s[8:9], -1.0, v8
	s_nop 1
	v_cndmask_b32_e64 v11, v41, v11, s[8:9]
	v_cmp_lt_f32_e64 s[8:9], |v8|, s68
	s_nop 1
	v_cndmask_b32_e64 v8, v11, v8, s[8:9]
	v_mul_f32_e32 v23, 0.5, v8
	s_branch .LBB347_63
.LBB347_116:                            ;   in Loop: Header=BB347_7 Depth=2
	s_or_b64 exec, exec, s[28:29]
	s_and_saveexec_b64 s[12:13], vcc
	s_cbranch_execz .LBB347_6
; %bb.117:                              ;   in Loop: Header=BB347_7 Depth=2
	v_cmp_gt_u32_e64 s[8:9], s25, v20
	s_and_saveexec_b64 s[14:15], s[8:9]
	s_cbranch_execz .LBB347_119
; %bb.118:                              ;   in Loop: Header=BB347_7 Depth=2
	ds_read_b64 v[22:23], v3
	v_mov_b32_e32 v21, v5
	v_lshl_add_u64 v[20:21], v[20:21], 3, v[16:17]
	s_waitcnt lgkmcnt(0)
	global_store_dwordx2 v[20:21], v[22:23], off
.LBB347_119:                            ;   in Loop: Header=BB347_7 Depth=2
	s_or_b64 exec, exec, s[14:15]
	v_cmp_gt_u32_e64 s[8:9], s25, v18
	s_and_b64 exec, exec, s[8:9]
	s_cbranch_execz .LBB347_6
; %bb.120:                              ;   in Loop: Header=BB347_7 Depth=2
	ds_read_b64 v[20:21], v31
	v_mov_b32_e32 v19, v5
	v_lshl_add_u64 v[18:19], v[18:19], 3, v[16:17]
	s_waitcnt lgkmcnt(0)
	global_store_dwordx2 v[18:19], v[20:21], off
	s_branch .LBB347_6
.LBB347_121:
	s_mov_b64 s[4:5], 0
.LBB347_122:
	s_andn2_b64 vcc, exec, s[4:5]
	s_cbranch_vccnz .LBB347_245
; %bb.123:
	s_load_dword s3, s[0:1], 0x3c
	s_add_u32 s0, s0, 48
	s_mov_b32 s15, 0
	s_addc_u32 s1, s1, 0
	s_mov_b32 s14, s24
	s_waitcnt lgkmcnt(0)
	s_lshr_b32 s3, s3, 16
	s_mul_hi_u32 s17, s3, s2
	s_mul_i32 s16, s3, s2
	v_mov_b64_e32 v[4:5], s[14:15]
	v_cmp_ge_u64_e32 vcc, s[16:17], v[4:5]
	s_cbranch_vccnz .LBB347_245
; %bb.124:
	s_lshl_b32 s28, 1, s26
	s_load_dword s5, s[0:1], 0x0
	s_and_b32 s4, 0xffff, s3
	s_ashr_i32 s29, s28, 31
	s_cmp_lg_u32 s25, 0
	s_mov_b32 s30, s25
	s_cselect_b64 s[2:3], -1, 0
	v_and_b32_e32 v4, 0x3ff, v0
	s_lshl_b64 s[24:25], s[28:29], 1
	v_mov_b32_e32 v1, 0
	v_lshl_add_u32 v31, v4, 3, v30
	s_lshl_b32 s6, s24, 3
	v_cndmask_b32_e64 v0, 0, 1, s[2:3]
	v_mov_b32_e32 v3, v1
	s_mov_b32 s31, s15
	v_mov_b32_e32 v5, v1
	v_lshl_add_u32 v32, s28, 3, v31
	v_cmp_eq_u32_e64 s[0:1], 0, v4
	v_add3_u32 v33, v30, s6, -8
	s_waitcnt lgkmcnt(0)
	s_mul_i32 s33, s5, s4
	s_add_i32 s48, s26, 1
	v_cmp_ne_u32_e64 s[2:3], 1, v0
	s_movk_i32 s49, 0x1f8
	s_brev_b32 s50, -2
	s_brev_b32 s51, 18
	s_mov_b32 s52, 0x800000
	s_mov_b32 s53, 0xfe5163ab
	;; [unrolled: 1-line block ×15, first 2 shown]
	s_brev_b32 s67, 1
	v_mov_b32_e32 v34, 0x3c0881c4
	v_mov_b32_e32 v35, 0xbab64f3b
	v_mov_b32_e32 v6, 1.0
	s_mov_b32 s68, 0x3f317217
	s_mov_b32 s69, 0x3f2aaaab
	v_mov_b32_e32 v36, 0x3ecc95a3
	s_mov_b32 s70, 0x3f317218
	s_mov_b32 s71, 0x33800000
	s_movk_i32 s72, 0x204
	v_mov_b32_e32 v37, 0xbc7a590c
	v_mov_b32_e32 v9, -1.0
	v_mov_b32_e32 v10, 0x7fc00000
	v_not_b32_e32 v38, 63
	v_not_b32_e32 v39, 31
	v_mov_b32_e32 v40, 0x7f800000
	v_mov_b32_e32 v41, 0x41b17218
	;; [unrolled: 1-line block ×7, first 2 shown]
                                        ; implicit-def: $vgpr0
                                        ; implicit-def: $vgpr0
	;; [unrolled: 1-line block ×10, first 2 shown]
	s_branch .LBB347_126
.LBB347_125:                            ;   in Loop: Header=BB347_126 Depth=1
	s_add_u32 s16, s16, s33
	s_addc_u32 s17, s17, 0
	v_mov_b64_e32 v[14:15], s[14:15]
	v_cmp_ge_u64_e32 vcc, s[16:17], v[14:15]
	s_cbranch_vccnz .LBB347_245
.LBB347_126:                            ; =>This Loop Header: Depth=1
                                        ;     Child Loop BB347_129 Depth 2
                                        ;       Child Loop BB347_191 Depth 3
	s_and_b64 vcc, exec, s[2:3]
	s_cbranch_vccnz .LBB347_125
; %bb.127:                              ;   in Loop: Header=BB347_126 Depth=1
	v_lshl_add_u64 v[18:19], s[16:17], 0, v[2:3]
	v_mad_u64_u32 v[14:15], s[4:5], v18, s30, 0
	v_mov_b32_e32 v0, v15
	v_mad_u64_u32 v[16:17], s[4:5], v19, s30, v[0:1]
	v_mov_b32_e32 v15, v16
	v_lshlrev_b64 v[16:17], 3, v[14:15]
	v_lshl_add_u64 v[14:15], s[22:23], 0, v[16:17]
	v_lshl_add_u64 v[16:17], s[20:21], 0, v[16:17]
	v_cmp_gt_u64_e64 s[4:5], s[14:15], v[18:19]
	v_cmp_le_u64_e64 s[6:7], s[14:15], v[18:19]
	s_mov_b64 s[26:27], 0
	v_mov_b64_e32 v[22:23], s[18:19]
	s_branch .LBB347_129
.LBB347_128:                            ;   in Loop: Header=BB347_129 Depth=2
	s_or_b64 exec, exec, s[8:9]
	ds_read_b64 v[22:23], v33
	s_add_u32 s26, s26, s24
	s_addc_u32 s27, s27, s25
	v_mov_b64_e32 v[18:19], s[30:31]
	v_cmp_ge_u64_e32 vcc, s[26:27], v[18:19]
	s_waitcnt lgkmcnt(0)
	s_barrier
	s_cbranch_vccnz .LBB347_125
.LBB347_129:                            ;   Parent Loop BB347_126 Depth=1
                                        ; =>  This Loop Header: Depth=2
                                        ;       Child Loop BB347_191 Depth 3
	v_lshl_add_u64 v[20:21], s[26:27], 0, v[4:5]
	v_lshl_add_u64 v[18:19], v[20:21], 0, s[28:29]
	s_and_saveexec_b64 s[34:35], s[4:5]
	s_cbranch_execz .LBB347_184
; %bb.130:                              ;   in Loop: Header=BB347_129 Depth=2
	v_cmp_gt_u64_e32 vcc, s[30:31], v[20:21]
	v_mov_b64_e32 v[24:25], s[18:19]
	s_and_saveexec_b64 s[8:9], vcc
	s_cbranch_execz .LBB347_132
; %bb.131:                              ;   in Loop: Header=BB347_129 Depth=2
	v_lshl_add_u64 v[24:25], v[20:21], 3, v[14:15]
	global_load_dwordx2 v[24:25], v[24:25], off
.LBB347_132:                            ;   in Loop: Header=BB347_129 Depth=2
	s_or_b64 exec, exec, s[8:9]
	s_waitcnt vmcnt(0)
	ds_write_b64 v31, v[24:25]
	v_cmp_gt_u64_e32 vcc, s[30:31], v[18:19]
	v_mov_b64_e32 v[24:25], s[18:19]
	s_and_saveexec_b64 s[8:9], vcc
	s_cbranch_execz .LBB347_134
; %bb.133:                              ;   in Loop: Header=BB347_129 Depth=2
	v_lshl_add_u64 v[24:25], v[18:19], 3, v[14:15]
	global_load_dwordx2 v[24:25], v[24:25], off
.LBB347_134:                            ;   in Loop: Header=BB347_129 Depth=2
	s_or_b64 exec, exec, s[8:9]
	s_waitcnt vmcnt(0)
	ds_write_b64 v32, v[24:25]
	s_and_b64 exec, exec, s[0:1]
	s_cbranch_execz .LBB347_184
; %bb.135:                              ;   in Loop: Header=BB347_129 Depth=2
	ds_read_b64 v[28:29], v30
	v_cmp_o_f32_e32 vcc, v22, v23
	v_mov_b32_e32 v27, v23
	v_mov_b64_e32 v[24:25], v[22:23]
	s_and_saveexec_b64 s[12:13], vcc
	s_cbranch_execz .LBB347_137
; %bb.136:                              ;   in Loop: Header=BB347_129 Depth=2
	s_waitcnt lgkmcnt(0)
	v_cmp_u_f32_e64 s[8:9], v28, v29
	v_cmp_lt_f32_e64 s[10:11], v28, v22
	s_or_b64 s[8:9], s[10:11], s[8:9]
	v_cndmask_b32_e64 v27, v23, v29, s[8:9]
	v_cndmask_b32_e64 v26, v22, v28, s[8:9]
	v_mov_b64_e32 v[24:25], v[26:27]
.LBB347_137:                            ;   in Loop: Header=BB347_129 Depth=2
	s_or_b64 exec, exec, s[12:13]
	s_and_saveexec_b64 s[8:9], vcc
	s_xor_b64 s[10:11], exec, s[8:9]
	s_cbranch_execz .LBB347_139
; %bb.138:                              ;   in Loop: Header=BB347_129 Depth=2
	s_waitcnt lgkmcnt(0)
	v_cmp_u_f32_e32 vcc, v28, v29
	v_cmp_ge_f32_e64 s[8:9], v28, v22
	s_or_b64 vcc, s[8:9], vcc
	v_cndmask_b32_e32 v23, v23, v29, vcc
	v_cndmask_b32_e32 v22, v22, v28, vcc
.LBB347_139:                            ;   in Loop: Header=BB347_129 Depth=2
	s_andn2_saveexec_b64 s[8:9], s[10:11]
	s_or_b64 exec, exec, s[8:9]
	v_mov_b32_e32 v11, v10
	v_cmp_o_f32_e32 vcc, v24, v25
	s_waitcnt lgkmcnt(0)
	v_mov_b64_e32 v[28:29], v[10:11]
	s_and_saveexec_b64 s[36:37], vcc
	s_cbranch_execz .LBB347_183
; %bb.140:                              ;   in Loop: Header=BB347_129 Depth=2
	v_cmp_class_f32_e64 s[8:9], v24, s49
	v_cmp_neq_f32_e32 vcc, v22, v24
	s_or_b64 s[8:9], s[8:9], vcc
	s_and_saveexec_b64 s[10:11], s[8:9]
	s_xor_b64 s[38:39], exec, s[10:11]
	s_cbranch_execz .LBB347_156
; %bb.141:                              ;   in Loop: Header=BB347_129 Depth=2
	v_pk_add_f32 v[24:25], v[24:25], v[22:23] neg_lo:[0,1] neg_hi:[0,1]
                                        ; implicit-def: $vgpr26
	s_nop 0
	v_and_b32_e32 v7, 0x7fffffff, v25
	v_lshrrev_b32_e32 v0, 23, v7
	v_and_b32_e32 v8, 0x7fffff, v7
	v_cmp_nlt_f32_e64 s[40:41], |v25|, s51
	v_add_u32_e32 v13, 0xffffff88, v0
	v_or_b32_e32 v11, 0x800000, v8
                                        ; implicit-def: $vgpr8
	s_and_saveexec_b64 s[8:9], s[40:41]
	s_xor_b64 s[42:43], exec, s[8:9]
	s_cbranch_execz .LBB347_143
; %bb.142:                              ;   in Loop: Header=BB347_129 Depth=2
	v_cmp_lt_u32_e32 vcc, 63, v13
	v_mad_u64_u32 v[26:27], s[12:13], v11, s53, 0
	s_nop 0
	v_cndmask_b32_e32 v0, 0, v38, vcc
	v_add_u32_e32 v0, v0, v13
	v_cmp_lt_u32_e64 s[8:9], 31, v0
	s_nop 1
	v_cndmask_b32_e64 v8, 0, v39, s[8:9]
	v_add_u32_e32 v0, v8, v0
	v_cmp_lt_u32_e64 s[10:11], 31, v0
	s_nop 1
	v_cndmask_b32_e64 v8, 0, v39, s[10:11]
	v_add_u32_e32 v8, v8, v0
	v_mov_b32_e32 v0, v27
	v_mad_u64_u32 v[28:29], s[12:13], v11, s54, v[0:1]
	v_mov_b32_e32 v0, v29
	v_mad_u64_u32 v[46:47], s[12:13], v11, s55, v[0:1]
	;; [unrolled: 2-line block ×6, first 2 shown]
	v_cndmask_b32_e32 v27, v52, v48, vcc
	v_cndmask_b32_e32 v0, v54, v50, vcc
	;; [unrolled: 1-line block ×3, first 2 shown]
	v_cndmask_b32_e64 v29, v0, v27, s[8:9]
	v_cndmask_b32_e64 v0, v47, v0, s[8:9]
	v_cndmask_b32_e32 v47, v50, v46, vcc
	v_cndmask_b32_e64 v27, v27, v47, s[8:9]
	v_sub_u32_e32 v49, 32, v8
	v_cmp_eq_u32_e64 s[12:13], 0, v8
	v_cndmask_b32_e32 v8, v48, v28, vcc
	v_cndmask_b32_e64 v0, v0, v29, s[10:11]
	v_cndmask_b32_e64 v29, v29, v27, s[10:11]
	;; [unrolled: 1-line block ×3, first 2 shown]
	v_alignbit_b32 v50, v0, v29, v49
	v_cndmask_b32_e64 v27, v27, v28, s[10:11]
	v_cndmask_b32_e64 v0, v50, v0, s[12:13]
	v_alignbit_b32 v47, v29, v27, v49
	v_cndmask_b32_e32 v26, v46, v26, vcc
	v_cndmask_b32_e64 v29, v47, v29, s[12:13]
	v_bfe_u32 v50, v0, 29, 1
	v_cndmask_b32_e64 v8, v8, v26, s[8:9]
	v_alignbit_b32 v47, v0, v29, 30
	v_sub_u32_e32 v51, 0, v50
	v_cndmask_b32_e64 v8, v28, v8, s[10:11]
	v_xor_b32_e32 v47, v47, v51
	v_alignbit_b32 v26, v27, v8, v49
	v_cndmask_b32_e64 v26, v26, v27, s[12:13]
	v_ffbh_u32_e32 v28, v47
	v_alignbit_b32 v27, v29, v26, 30
	v_min_u32_e32 v28, 32, v28
	v_alignbit_b32 v8, v26, v8, 30
	v_xor_b32_e32 v27, v27, v51
	v_sub_u32_e32 v29, 31, v28
	v_xor_b32_e32 v8, v8, v51
	v_alignbit_b32 v46, v47, v27, v29
	v_alignbit_b32 v8, v27, v8, v29
	;; [unrolled: 1-line block ×3, first 2 shown]
	v_ffbh_u32_e32 v27, v26
	v_min_u32_e32 v27, 32, v27
	v_lshrrev_b32_e32 v48, 29, v0
	v_not_b32_e32 v29, v27
	v_alignbit_b32 v8, v26, v8, v29
	v_lshlrev_b32_e32 v26, 31, v48
	v_or_b32_e32 v29, 0x33000000, v26
	v_add_lshl_u32 v27, v27, v28, 23
	v_lshrrev_b32_e32 v8, 9, v8
	v_sub_u32_e32 v27, v29, v27
	v_or_b32_e32 v26, 0.5, v26
	v_lshlrev_b32_e32 v28, 23, v28
	v_or_b32_e32 v8, v27, v8
	v_lshrrev_b32_e32 v27, 9, v46
	v_sub_u32_e32 v26, v26, v28
	v_or_b32_e32 v26, v27, v26
	v_mul_f32_e32 v27, 0x3fc90fda, v26
	v_fma_f32 v28, v26, s60, -v27
	v_fmac_f32_e32 v28, 0x33a22168, v26
	v_fmac_f32_e32 v28, 0x3fc90fda, v8
	v_lshrrev_b32_e32 v0, 30, v0
	v_add_f32_e32 v26, v27, v28
	v_add_u32_e32 v8, v50, v0
.LBB347_143:                            ;   in Loop: Header=BB347_129 Depth=2
	s_or_saveexec_b64 s[8:9], s[42:43]
	v_mul_f32_e64 v0, |v25|, s61
	v_rndne_f32_e32 v27, v0
	s_xor_b64 exec, exec, s[8:9]
; %bb.144:                              ;   in Loop: Header=BB347_129 Depth=2
	v_cvt_i32_f32_e32 v8, v27
	v_fma_f32 v26, v27, s62, |v25|
	v_fmac_f32_e32 v26, 0xb3a22168, v27
	v_fmac_f32_e32 v26, 0xa7c234c4, v27
; %bb.145:                              ;   in Loop: Header=BB347_129 Depth=2
	s_or_b64 exec, exec, s[8:9]
                                        ; implicit-def: $vgpr0
                                        ; implicit-def: $vgpr29
	s_and_saveexec_b64 s[8:9], s[40:41]
	s_xor_b64 s[40:41], exec, s[8:9]
	s_cbranch_execz .LBB347_147
; %bb.146:                              ;   in Loop: Header=BB347_129 Depth=2
	v_cmp_lt_u32_e32 vcc, 63, v13
	v_mad_u64_u32 v[28:29], s[12:13], v11, s53, 0
	s_nop 0
	v_cndmask_b32_e32 v0, 0, v38, vcc
	v_add_u32_e32 v0, v0, v13
	v_cmp_lt_u32_e64 s[8:9], 31, v0
	s_nop 1
	v_cndmask_b32_e64 v13, 0, v39, s[8:9]
	v_add_u32_e32 v0, v13, v0
	v_cmp_lt_u32_e64 s[10:11], 31, v0
	s_nop 1
	v_cndmask_b32_e64 v13, 0, v39, s[10:11]
	v_add_u32_e32 v13, v13, v0
	v_mov_b32_e32 v0, v29
	v_mad_u64_u32 v[46:47], s[12:13], v11, s54, v[0:1]
	v_mov_b32_e32 v0, v47
	v_mad_u64_u32 v[48:49], s[12:13], v11, s55, v[0:1]
	;; [unrolled: 2-line block ×6, first 2 shown]
	v_cndmask_b32_e32 v27, v54, v50, vcc
	v_cndmask_b32_e32 v0, v56, v52, vcc
	;; [unrolled: 1-line block ×3, first 2 shown]
	v_cndmask_b32_e64 v11, v0, v27, s[8:9]
	v_cndmask_b32_e64 v0, v29, v0, s[8:9]
	v_cndmask_b32_e32 v29, v52, v48, vcc
	v_cndmask_b32_e64 v27, v27, v29, s[8:9]
	v_sub_u32_e32 v47, 32, v13
	v_cmp_eq_u32_e64 s[12:13], 0, v13
	v_cndmask_b32_e32 v13, v50, v46, vcc
	v_cndmask_b32_e64 v0, v0, v11, s[10:11]
	v_cndmask_b32_e64 v11, v11, v27, s[10:11]
	;; [unrolled: 1-line block ×3, first 2 shown]
	v_alignbit_b32 v49, v0, v11, v47
	v_cndmask_b32_e64 v27, v27, v29, s[10:11]
	v_cndmask_b32_e64 v0, v49, v0, s[12:13]
	v_alignbit_b32 v46, v11, v27, v47
	v_cndmask_b32_e32 v28, v48, v28, vcc
	v_cndmask_b32_e64 v11, v46, v11, s[12:13]
	v_bfe_u32 v50, v0, 29, 1
	v_cndmask_b32_e64 v13, v13, v28, s[8:9]
	v_alignbit_b32 v46, v0, v11, 30
	v_sub_u32_e32 v51, 0, v50
	v_cndmask_b32_e64 v13, v29, v13, s[10:11]
	v_xor_b32_e32 v46, v46, v51
	v_alignbit_b32 v28, v27, v13, v47
	v_cndmask_b32_e64 v27, v28, v27, s[12:13]
	v_ffbh_u32_e32 v28, v46
	v_alignbit_b32 v11, v11, v27, 30
	v_min_u32_e32 v28, 32, v28
	v_alignbit_b32 v13, v27, v13, 30
	v_xor_b32_e32 v11, v11, v51
	v_sub_u32_e32 v29, 31, v28
	v_xor_b32_e32 v13, v13, v51
	v_alignbit_b32 v46, v46, v11, v29
	v_alignbit_b32 v11, v11, v13, v29
	;; [unrolled: 1-line block ×3, first 2 shown]
	v_ffbh_u32_e32 v27, v13
	v_min_u32_e32 v27, 32, v27
	v_lshrrev_b32_e32 v49, 29, v0
	v_not_b32_e32 v29, v27
	v_alignbit_b32 v11, v13, v11, v29
	v_lshlrev_b32_e32 v13, 31, v49
	v_or_b32_e32 v29, 0x33000000, v13
	v_add_lshl_u32 v27, v27, v28, 23
	v_lshrrev_b32_e32 v11, 9, v11
	v_sub_u32_e32 v27, v29, v27
	v_or_b32_e32 v13, 0.5, v13
	v_lshlrev_b32_e32 v28, 23, v28
	v_or_b32_e32 v11, v27, v11
	v_lshrrev_b32_e32 v27, 9, v46
	v_sub_u32_e32 v13, v13, v28
	v_or_b32_e32 v13, v27, v13
	v_mul_f32_e32 v27, 0x3fc90fda, v13
	v_fma_f32 v28, v13, s60, -v27
	v_fmac_f32_e32 v28, 0x33a22168, v13
	v_fmac_f32_e32 v28, 0x3fc90fda, v11
	v_lshrrev_b32_e32 v0, 30, v0
	v_add_f32_e32 v29, v27, v28
	v_add_u32_e32 v0, v50, v0
                                        ; implicit-def: $vgpr27
	s_andn2_saveexec_b64 s[8:9], s[40:41]
	s_cbranch_execnz .LBB347_148
	s_branch .LBB347_149
.LBB347_147:                            ;   in Loop: Header=BB347_129 Depth=2
	s_andn2_saveexec_b64 s[8:9], s[40:41]
.LBB347_148:                            ;   in Loop: Header=BB347_129 Depth=2
	v_cvt_i32_f32_e32 v0, v27
	v_fma_f32 v29, v27, s62, |v25|
	v_fmac_f32_e32 v29, 0xb3a22168, v27
	v_fmac_f32_e32 v29, 0xa7c234c4, v27
.LBB347_149:                            ;   in Loop: Header=BB347_129 Depth=2
	s_or_b64 exec, exec, s[8:9]
	v_mul_f32_e32 v11, 0x3fb8aa3b, v24
	v_rndne_f32_e32 v13, v11
	v_sub_f32_e32 v27, v11, v13
	v_fma_f32 v11, v24, s63, -v11
	v_fmac_f32_e32 v11, 0x32a5705f, v24
	v_add_f32_e32 v11, v27, v11
	v_cvt_i32_f32_e32 v13, v13
	v_exp_f32_e32 v11, v11
	v_mul_f32_e32 v27, v29, v29
	v_fmamk_f32 v28, v27, 0xb94c1982, v34
	v_fmaak_f32 v47, v27, v28, 0xbe2aaa9d
	v_ldexp_f32 v11, v11, v13
	v_and_b32_e32 v13, 1, v0
	v_lshlrev_b32_e32 v0, 30, v0
	v_mov_b32_e32 v46, v26
	v_fmamk_f32 v28, v27, 0x37d75334, v35
	v_and_b32_e32 v0, 0x80000000, v0
	v_xor_b32_e32 v7, v7, v25
	v_pk_mul_f32 v[46:47], v[26:27], v[46:47]
	v_fmaak_f32 v28, v27, v28, 0x3d2aabf7
	v_xor_b32_e32 v0, v7, v0
	v_fmamk_f32 v7, v46, 0x37d75334, v35
	v_fmaak_f32 v28, v27, v28, 0xbf000004
	v_fmaak_f32 v7, v46, v7, 0x3d2aabf7
	v_fma_f32 v48, v27, v28, 1.0
	v_fmaak_f32 v28, v46, v7, 0xbf000004
	v_fmamk_f32 v7, v46, 0xb94c1982, v34
	v_fmaak_f32 v7, v46, v7, 0xbe2aaa9d
	v_cmp_ngt_f32_e32 vcc, s64, v24
	v_mul_f32_e32 v7, v46, v7
	v_fmac_f32_e32 v26, v26, v7
	v_cndmask_b32_e32 v11, 0, v11, vcc
	v_cmp_nlt_f32_e32 vcc, s65, v24
	v_mov_b32_e32 v7, v29
	v_pk_fma_f32 v[28:29], v[46:47], v[28:29], v[6:7]
	v_cndmask_b32_e32 v24, v40, v11, vcc
	v_lshlrev_b32_e32 v11, 30, v8
	v_and_b32_e32 v8, 1, v8
	v_cmp_eq_u32_e32 vcc, 0, v13
	v_and_b32_e32 v11, 0x80000000, v11
	s_nop 0
	v_cndmask_b32_e32 v7, v48, v29, vcc
	v_cmp_eq_u32_e32 vcc, 0, v8
	v_xor_b32_e32 v0, v0, v7
	s_nop 0
	v_cndmask_b32_e64 v8, -v26, v28, vcc
	v_xor_b32_e32 v7, v11, v8
	v_cmp_class_f32_e64 vcc, v25, s49
	s_nop 1
	v_cndmask_b32_e32 v27, v10, v0, vcc
	v_cndmask_b32_e32 v26, v10, v7, vcc
	v_pk_mul_f32 v[24:25], v[24:25], v[26:27] op_sel_hi:[0,1]
	v_max_f32_e64 v0, |v24|, |v25|
	v_cvt_f64_f32_e32 v[26:27], v0
	v_frexp_exp_i32_f64_e32 v7, v[26:27]
	v_sub_u32_e32 v8, 0, v7
	v_ldexp_f32 v11, |v24|, v8
	v_ldexp_f32 v8, |v25|, v8
	v_mul_f32_e32 v8, v8, v8
	v_fmac_f32_e32 v8, v11, v11
	v_sqrt_f32_e32 v8, v8
	v_cmp_eq_f32_e32 vcc, s66, v0
	v_add_f32_e32 v0, 1.0, v24
                                        ; implicit-def: $vgpr26
	v_ldexp_f32 v8, v8, v7
	v_cmp_ngt_f32_e64 s[8:9], 0.5, v8
	v_max_f32_e64 v7, |v0|, |v25|
	s_or_b64 s[8:9], vcc, s[8:9]
	s_and_saveexec_b64 s[10:11], s[8:9]
	s_xor_b64 s[10:11], exec, s[10:11]
	s_cbranch_execz .LBB347_151
; %bb.150:                              ;   in Loop: Header=BB347_129 Depth=2
	v_cvt_f64_f32_e32 v[26:27], v7
	v_frexp_exp_i32_f64_e32 v8, v[26:27]
	v_sub_u32_e32 v11, 0, v8
	v_ldexp_f32 v13, |v0|, v11
	v_ldexp_f32 v11, |v25|, v11
	v_mul_f32_e32 v11, v11, v11
	v_fmac_f32_e32 v11, v13, v13
	v_sqrt_f32_e32 v11, v11
	v_cmp_neq_f32_e32 vcc, s66, v7
	v_ldexp_f32 v8, v11, v8
	s_nop 0
	v_cndmask_b32_e32 v8, v40, v8, vcc
	v_cmp_gt_f32_e32 vcc, s52, v8
	s_nop 1
	v_cndmask_b32_e64 v11, 0, 32, vcc
	v_ldexp_f32 v8, v8, v11
	v_log_f32_e32 v8, v8
	s_nop 0
	v_mul_f32_e32 v11, 0x3f317217, v8
	v_fma_f32 v11, v8, s68, -v11
	v_fmac_f32_e32 v11, 0x3377d1cf, v8
	v_fmac_f32_e32 v11, 0x3f317217, v8
	v_cmp_lt_f32_e64 s[8:9], |v8|, s66
	s_nop 1
	v_cndmask_b32_e64 v8, v8, v11, s[8:9]
	v_cndmask_b32_e32 v11, 0, v41, vcc
	v_sub_f32_e32 v26, v8, v11
.LBB347_151:                            ;   in Loop: Header=BB347_129 Depth=2
	s_andn2_saveexec_b64 s[8:9], s[10:11]
	s_cbranch_execz .LBB347_155
; %bb.152:                              ;   in Loop: Header=BB347_129 Depth=2
	v_add_f32_e32 v26, 2.0, v24
	v_mov_b32_e32 v27, v25
	v_pk_mul_f32 v[26:27], v[24:25], v[26:27]
	s_nop 0
	v_add_f32_e32 v8, v26, v27
	v_cmp_neq_f32_e32 vcc, 0, v8
	s_and_saveexec_b64 s[10:11], vcc
	s_cbranch_execz .LBB347_154
; %bb.153:                              ;   in Loop: Header=BB347_129 Depth=2
	v_add_f32_e32 v11, 1.0, v8
	v_add_f32_e32 v13, -1.0, v11
	v_sub_f32_e32 v24, v13, v11
	v_add_f32_e32 v24, 1.0, v24
	v_sub_f32_e32 v13, v8, v13
	v_add_f32_e32 v13, v13, v24
	v_frexp_mant_f32_e32 v24, v11
	v_cvt_f64_f32_e32 v[26:27], v11
	v_frexp_exp_i32_f64_e32 v26, v[26:27]
	v_cmp_gt_f32_e32 vcc, s69, v24
	s_nop 1
	v_subbrev_co_u32_e32 v24, vcc, 0, v26, vcc
	v_sub_u32_e32 v26, 0, v24
	v_ldexp_f32 v11, v11, v26
	v_ldexp_f32 v13, v13, v26
	v_add_f32_e32 v26, -1.0, v11
	v_add_f32_e32 v27, 1.0, v26
	v_sub_f32_e32 v27, v11, v27
	v_add_f32_e32 v28, v13, v27
	v_add_f32_e32 v27, 1.0, v11
	v_add_f32_e32 v29, -1.0, v27
	v_sub_f32_e32 v11, v11, v29
	v_add_f32_e32 v11, v13, v11
	v_add_f32_e32 v13, v27, v11
	v_rcp_f32_e32 v50, v13
	v_sub_f32_e32 v27, v13, v27
	v_sub_f32_e32 v11, v11, v27
	v_add_f32_e32 v27, v26, v28
	v_sub_f32_e32 v26, v27, v26
	v_mul_f32_e32 v52, v27, v50
	v_sub_f32_e32 v51, v28, v26
	v_mul_f32_e32 v28, v13, v52
	v_fma_f32 v46, v52, v13, -v28
	v_fmac_f32_e32 v46, v52, v11
	v_add_f32_e32 v26, v28, v46
	v_sub_f32_e32 v29, v27, v26
	v_pk_add_f32 v[48:49], v[26:27], v[28:29] neg_lo:[0,1] neg_hi:[0,1]
	v_mov_b32_e32 v47, v26
	v_pk_add_f32 v[26:27], v[48:49], v[46:47] neg_lo:[0,1] neg_hi:[0,1]
	v_cmp_neq_f32_e32 vcc, s66, v8
	v_add_f32_e32 v27, v51, v27
	v_add_f32_e32 v26, v26, v27
	;; [unrolled: 1-line block ×3, first 2 shown]
	v_mul_f32_e32 v51, v50, v27
	v_mul_f32_e32 v28, v13, v51
	v_fma_f32 v46, v51, v13, -v28
	v_fmac_f32_e32 v46, v51, v11
	v_sub_f32_e32 v11, v29, v27
	v_add_f32_e32 v11, v26, v11
	v_add_f32_e32 v26, v28, v46
	v_sub_f32_e32 v29, v27, v26
	v_pk_add_f32 v[48:49], v[26:27], v[28:29] neg_lo:[0,1] neg_hi:[0,1]
	v_mov_b32_e32 v47, v26
	v_pk_add_f32 v[26:27], v[48:49], v[46:47] neg_lo:[0,1] neg_hi:[0,1]
	s_nop 0
	v_add_f32_e32 v11, v11, v27
	v_add_f32_e32 v11, v26, v11
	;; [unrolled: 1-line block ×4, first 2 shown]
	v_sub_f32_e32 v13, v27, v52
	v_mul_f32_e32 v11, v50, v11
	v_sub_f32_e32 v13, v51, v13
	v_add_f32_e32 v11, v13, v11
	v_add_f32_e32 v28, v27, v11
	v_cvt_f32_i32_e32 v26, v24
	v_mul_f32_e32 v46, v28, v28
	v_fmamk_f32 v13, v46, 0x3e9b6dac, v36
	v_fmaak_f32 v13, v46, v13, 0x3f2aaada
	v_sub_f32_e32 v24, v28, v27
	v_mul_f32_e32 v27, v28, v46
	v_pk_mul_f32 v[46:47], v[26:27], v[12:13]
	v_ldexp_f32 v29, v28, 1
	v_fma_f32 v28, v26, s70, -v46
	v_fmac_f32_e32 v28, 0xb102e308, v26
	v_pk_add_f32 v[26:27], v[46:47], v[28:29]
	v_sub_f32_e32 v11, v11, v24
	v_sub_f32_e32 v13, v27, v29
	v_ldexp_f32 v11, v11, 1
	v_sub_f32_e32 v13, v47, v13
	v_add_f32_e32 v49, v11, v13
	v_mov_b32_e32 v48, v46
	v_pk_add_f32 v[46:47], v[26:27], v[46:47] neg_lo:[0,1] neg_hi:[0,1]
	v_pk_add_f32 v[50:51], v[26:27], v[48:49]
	v_mov_b32_e32 v29, v26
	v_mov_b32_e32 v47, v51
	v_pk_add_f32 v[52:53], v[28:29], v[46:47] neg_lo:[0,1] neg_hi:[0,1]
	v_pk_add_f32 v[28:29], v[28:29], v[46:47]
	v_mov_b32_e32 v48, v49
	v_pk_add_f32 v[46:47], v[28:29], v[26:27] op_sel:[1,0] op_sel_hi:[0,1] neg_lo:[0,1] neg_hi:[0,1]
	v_pk_add_f32 v[54:55], v[50:51], v[46:47] op_sel_hi:[1,0] neg_lo:[0,1] neg_hi:[0,1]
	v_mov_b32_e32 v50, v51
	v_mov_b32_e32 v51, v29
	v_pk_mov_b32 v[46:47], v[26:27], v[46:47] op_sel:[1,0]
	v_mov_b32_e32 v49, v26
	v_pk_add_f32 v[46:47], v[50:51], v[46:47] neg_lo:[0,1] neg_hi:[0,1]
	v_mov_b32_e32 v54, v52
	v_pk_add_f32 v[26:27], v[48:49], v[46:47] neg_lo:[0,1] neg_hi:[0,1]
	v_mov_b32_e32 v53, v29
	v_pk_add_f32 v[46:47], v[54:55], v[26:27]
	s_nop 0
	v_pk_add_f32 v[48:49], v[46:47], v[46:47] op_sel:[0,1] op_sel_hi:[1,0]
	s_nop 0
	v_pk_add_f32 v[28:29], v[28:29], v[48:49] op_sel:[1,0] op_sel_hi:[0,1]
	v_mov_b32_e32 v47, v28
	v_pk_add_f32 v[50:51], v[46:47], v[52:53] neg_lo:[0,1] neg_hi:[0,1]
	v_mov_b32_e32 v27, v48
	v_sub_f32_e32 v11, v46, v50
	v_pk_add_f32 v[26:27], v[26:27], v[50:51] neg_lo:[0,1] neg_hi:[0,1]
	v_sub_f32_e32 v11, v52, v11
	v_add_f32_e32 v11, v26, v11
	v_add_f32_e32 v11, v11, v27
	;; [unrolled: 1-line block ×3, first 2 shown]
	v_cndmask_b32_e32 v11, v40, v11, vcc
	v_cmp_ngt_f32_e32 vcc, -1.0, v8
	s_nop 1
	v_cndmask_b32_e32 v11, v10, v11, vcc
	v_cmp_neq_f32_e32 vcc, -1.0, v8
	s_nop 1
	v_cndmask_b32_e32 v11, v42, v11, vcc
	v_cmp_lt_f32_e64 vcc, |v8|, s71
	s_nop 1
	v_cndmask_b32_e32 v8, v11, v8, vcc
	v_mul_f32_e32 v24, 0.5, v8
.LBB347_154:                            ;   in Loop: Header=BB347_129 Depth=2
	s_or_b64 exec, exec, s[10:11]
	v_mov_b32_e32 v26, v24
.LBB347_155:                            ;   in Loop: Header=BB347_129 Depth=2
	s_or_b64 exec, exec, s[8:9]
	v_max_f32_e64 v13, |v25|, |v25|
	v_max_f32_e64 v24, |v0|, |v0|
	v_min_f32_e32 v13, v24, v13
	v_frexp_mant_f32_e32 v24, v7
	v_rcp_f32_e32 v24, v24
	v_frexp_exp_i32_f32_e32 v7, v7
	v_frexp_exp_i32_f32_e32 v27, v13
	v_frexp_mant_f32_e32 v13, v13
	v_mul_f32_e32 v13, v13, v24
	v_sub_u32_e32 v7, v27, v7
	v_ldexp_f32 v7, v13, v7
	v_mul_f32_e32 v13, v7, v7
	v_fmamk_f32 v24, v13, 0x3b2d2a58, v37
	v_fmaak_f32 v24, v13, v24, 0x3d29fb3f
	v_fmaak_f32 v24, v13, v24, 0xbd97d4d7
	;; [unrolled: 1-line block ×6, first 2 shown]
	v_mul_f32_e32 v13, v13, v24
	v_cmp_gt_i32_e64 s[8:9], 0, v0
	v_fmac_f32_e32 v7, v7, v13
	v_sub_f32_e32 v13, 0x3fc90fdb, v7
	v_cndmask_b32_e64 v11, 0, v45, s[8:9]
	v_cmp_gt_f32_e64 s[8:9], |v25|, |v0|
	v_cmp_gt_f32_e32 vcc, 0, v0
	v_cmp_class_f32_e64 s[10:11], v25, s72
	v_cndmask_b32_e64 v7, v7, v13, s[8:9]
	v_sub_f32_e32 v13, 0x40490fdb, v7
	v_cmp_class_f32_e64 s[12:13], v0, s72
	v_cndmask_b32_e32 v8, v43, v44, vcc
	v_cndmask_b32_e32 v7, v7, v13, vcc
	v_cmp_eq_f32_e32 vcc, 0, v25
	s_nop 1
	v_cndmask_b32_e32 v7, v7, v11, vcc
	s_and_b64 vcc, s[12:13], s[10:11]
	v_cndmask_b32_e32 v7, v7, v8, vcc
	v_cmp_o_f32_e32 vcc, v0, v25
	s_nop 1
	v_cndmask_b32_e32 v0, v10, v7, vcc
	v_bfi_b32 v27, s50, v0, v25
	v_pk_add_f32 v[24:25], v[22:23], v[26:27]
                                        ; implicit-def: $vgpr27
                                        ; implicit-def: $vgpr23
.LBB347_156:                            ;   in Loop: Header=BB347_129 Depth=2
	s_andn2_saveexec_b64 s[38:39], s[38:39]
	s_cbranch_execz .LBB347_182
; %bb.157:                              ;   in Loop: Header=BB347_129 Depth=2
	v_cmp_ngt_f32_e32 vcc, 0, v24
	s_and_saveexec_b64 s[40:41], vcc
	s_cbranch_execz .LBB347_181
; %bb.158:                              ;   in Loop: Header=BB347_129 Depth=2
	v_and_b32_e32 v7, 0x7fffffff, v25
	v_lshrrev_b32_e32 v0, 23, v7
	v_and_b32_e32 v8, 0x7fffff, v7
	v_cmp_nlt_f32_e64 s[42:43], |v25|, s51
	v_add_u32_e32 v26, 0xffffff88, v0
	v_or_b32_e32 v24, 0x800000, v8
                                        ; implicit-def: $vgpr11
                                        ; implicit-def: $vgpr8
	s_and_saveexec_b64 s[8:9], s[42:43]
	s_xor_b64 s[44:45], exec, s[8:9]
	s_cbranch_execz .LBB347_160
; %bb.159:                              ;   in Loop: Header=BB347_129 Depth=2
	v_cmp_lt_u32_e32 vcc, 63, v26
	v_mad_u64_u32 v[28:29], s[12:13], v24, s53, 0
	s_nop 0
	v_cndmask_b32_e32 v0, 0, v38, vcc
	v_add_u32_e32 v0, v0, v26
	v_cmp_lt_u32_e64 s[8:9], 31, v0
	s_nop 1
	v_cndmask_b32_e64 v8, 0, v39, s[8:9]
	v_add_u32_e32 v0, v8, v0
	v_cmp_lt_u32_e64 s[10:11], 31, v0
	s_nop 1
	v_cndmask_b32_e64 v8, 0, v39, s[10:11]
	v_add_u32_e32 v8, v8, v0
	v_mov_b32_e32 v0, v29
	v_mad_u64_u32 v[46:47], s[12:13], v24, s54, v[0:1]
	v_mov_b32_e32 v0, v47
	v_mad_u64_u32 v[48:49], s[12:13], v24, s55, v[0:1]
	;; [unrolled: 2-line block ×6, first 2 shown]
	v_cndmask_b32_e32 v11, v54, v50, vcc
	v_cndmask_b32_e32 v0, v56, v52, vcc
	;; [unrolled: 1-line block ×3, first 2 shown]
	v_cndmask_b32_e64 v13, v0, v11, s[8:9]
	v_cndmask_b32_e64 v0, v22, v0, s[8:9]
	v_cndmask_b32_e32 v22, v52, v48, vcc
	v_cndmask_b32_e64 v11, v11, v22, s[8:9]
	v_sub_u32_e32 v29, 32, v8
	v_cmp_eq_u32_e64 s[12:13], 0, v8
	v_cndmask_b32_e32 v8, v50, v46, vcc
	v_cndmask_b32_e64 v0, v0, v13, s[10:11]
	v_cndmask_b32_e64 v13, v13, v11, s[10:11]
	;; [unrolled: 1-line block ×3, first 2 shown]
	v_alignbit_b32 v47, v0, v13, v29
	v_cndmask_b32_e64 v11, v11, v22, s[10:11]
	v_cndmask_b32_e64 v0, v47, v0, s[12:13]
	v_alignbit_b32 v46, v13, v11, v29
	v_cndmask_b32_e32 v28, v48, v28, vcc
	v_cndmask_b32_e64 v13, v46, v13, s[12:13]
	v_bfe_u32 v49, v0, 29, 1
	v_cndmask_b32_e64 v8, v8, v28, s[8:9]
	v_alignbit_b32 v46, v0, v13, 30
	v_sub_u32_e32 v50, 0, v49
	v_cndmask_b32_e64 v8, v22, v8, s[10:11]
	v_xor_b32_e32 v46, v46, v50
	v_alignbit_b32 v22, v11, v8, v29
	v_cndmask_b32_e64 v11, v22, v11, s[12:13]
	v_ffbh_u32_e32 v22, v46
	v_alignbit_b32 v13, v13, v11, 30
	v_min_u32_e32 v22, 32, v22
	v_alignbit_b32 v8, v11, v8, 30
	v_xor_b32_e32 v13, v13, v50
	v_sub_u32_e32 v28, 31, v22
	v_xor_b32_e32 v8, v8, v50
	v_alignbit_b32 v29, v46, v13, v28
	v_alignbit_b32 v8, v13, v8, v28
	;; [unrolled: 1-line block ×3, first 2 shown]
	v_ffbh_u32_e32 v13, v11
	v_min_u32_e32 v13, 32, v13
	v_lshrrev_b32_e32 v47, 29, v0
	v_not_b32_e32 v28, v13
	v_alignbit_b32 v8, v11, v8, v28
	v_lshlrev_b32_e32 v11, 31, v47
	v_or_b32_e32 v28, 0x33000000, v11
	v_add_lshl_u32 v13, v13, v22, 23
	v_lshrrev_b32_e32 v8, 9, v8
	v_sub_u32_e32 v13, v28, v13
	v_or_b32_e32 v11, 0.5, v11
	v_lshlrev_b32_e32 v22, 23, v22
	v_or_b32_e32 v8, v13, v8
	v_lshrrev_b32_e32 v13, 9, v29
	v_sub_u32_e32 v11, v11, v22
	v_or_b32_e32 v11, v13, v11
	v_mul_f32_e32 v13, 0x3fc90fda, v11
	v_fma_f32 v22, v11, s60, -v13
	v_fmac_f32_e32 v22, 0x33a22168, v11
	v_fmac_f32_e32 v22, 0x3fc90fda, v8
	v_lshrrev_b32_e32 v0, 30, v0
	v_add_f32_e32 v8, v13, v22
	v_add_u32_e32 v11, v49, v0
.LBB347_160:                            ;   in Loop: Header=BB347_129 Depth=2
	s_or_saveexec_b64 s[8:9], s[44:45]
	v_mul_f32_e64 v0, |v25|, s61
	v_rndne_f32_e32 v0, v0
	s_xor_b64 exec, exec, s[8:9]
; %bb.161:                              ;   in Loop: Header=BB347_129 Depth=2
	v_cvt_i32_f32_e32 v11, v0
	v_fma_f32 v8, v0, s62, |v25|
	v_fmac_f32_e32 v8, 0xb3a22168, v0
	v_fmac_f32_e32 v8, 0xa7c234c4, v0
; %bb.162:                              ;   in Loop: Header=BB347_129 Depth=2
	s_or_b64 exec, exec, s[8:9]
                                        ; implicit-def: $vgpr13
                                        ; implicit-def: $vgpr22
	s_and_saveexec_b64 s[8:9], s[42:43]
	s_xor_b64 s[42:43], exec, s[8:9]
	s_cbranch_execz .LBB347_164
; %bb.163:                              ;   in Loop: Header=BB347_129 Depth=2
	v_cmp_lt_u32_e32 vcc, 63, v26
	v_mad_u64_u32 v[28:29], s[12:13], v24, s53, 0
	s_nop 0
	v_cndmask_b32_e32 v0, 0, v38, vcc
	v_add_u32_e32 v0, v0, v26
	v_cmp_lt_u32_e64 s[8:9], 31, v0
	s_nop 1
	v_cndmask_b32_e64 v13, 0, v39, s[8:9]
	v_add_u32_e32 v0, v13, v0
	v_cmp_lt_u32_e64 s[10:11], 31, v0
	s_nop 1
	v_cndmask_b32_e64 v13, 0, v39, s[10:11]
	v_add_u32_e32 v13, v13, v0
	v_mov_b32_e32 v0, v29
	v_mad_u64_u32 v[46:47], s[12:13], v24, s54, v[0:1]
	v_mov_b32_e32 v0, v47
	v_mad_u64_u32 v[48:49], s[12:13], v24, s55, v[0:1]
	;; [unrolled: 2-line block ×6, first 2 shown]
	v_cndmask_b32_e32 v22, v54, v50, vcc
	v_cndmask_b32_e32 v0, v56, v52, vcc
	;; [unrolled: 1-line block ×3, first 2 shown]
	v_cndmask_b32_e64 v24, v0, v22, s[8:9]
	v_cndmask_b32_e64 v0, v26, v0, s[8:9]
	v_cndmask_b32_e32 v26, v52, v48, vcc
	v_cndmask_b32_e64 v22, v22, v26, s[8:9]
	v_sub_u32_e32 v29, 32, v13
	v_cmp_eq_u32_e64 s[12:13], 0, v13
	v_cndmask_b32_e32 v13, v50, v46, vcc
	v_cndmask_b32_e64 v0, v0, v24, s[10:11]
	v_cndmask_b32_e64 v24, v24, v22, s[10:11]
	;; [unrolled: 1-line block ×3, first 2 shown]
	v_alignbit_b32 v47, v0, v24, v29
	v_cndmask_b32_e64 v22, v22, v26, s[10:11]
	v_cndmask_b32_e64 v0, v47, v0, s[12:13]
	v_alignbit_b32 v46, v24, v22, v29
	v_cndmask_b32_e32 v28, v48, v28, vcc
	v_cndmask_b32_e64 v24, v46, v24, s[12:13]
	v_bfe_u32 v49, v0, 29, 1
	v_cndmask_b32_e64 v13, v13, v28, s[8:9]
	v_alignbit_b32 v46, v0, v24, 30
	v_sub_u32_e32 v50, 0, v49
	v_cndmask_b32_e64 v13, v26, v13, s[10:11]
	v_xor_b32_e32 v46, v46, v50
	v_alignbit_b32 v26, v22, v13, v29
	v_cndmask_b32_e64 v22, v26, v22, s[12:13]
	v_ffbh_u32_e32 v26, v46
	v_alignbit_b32 v24, v24, v22, 30
	v_min_u32_e32 v26, 32, v26
	v_alignbit_b32 v13, v22, v13, 30
	v_xor_b32_e32 v24, v24, v50
	v_sub_u32_e32 v28, 31, v26
	v_xor_b32_e32 v13, v13, v50
	v_alignbit_b32 v29, v46, v24, v28
	v_alignbit_b32 v13, v24, v13, v28
	;; [unrolled: 1-line block ×3, first 2 shown]
	v_ffbh_u32_e32 v24, v22
	v_min_u32_e32 v24, 32, v24
	v_lshrrev_b32_e32 v47, 29, v0
	v_not_b32_e32 v28, v24
	v_alignbit_b32 v13, v22, v13, v28
	v_lshlrev_b32_e32 v22, 31, v47
	v_or_b32_e32 v28, 0x33000000, v22
	v_add_lshl_u32 v24, v24, v26, 23
	v_lshrrev_b32_e32 v13, 9, v13
	v_sub_u32_e32 v24, v28, v24
	v_or_b32_e32 v22, 0.5, v22
	v_lshlrev_b32_e32 v26, 23, v26
	v_or_b32_e32 v13, v24, v13
	v_lshrrev_b32_e32 v24, 9, v29
	v_sub_u32_e32 v22, v22, v26
	v_or_b32_e32 v22, v24, v22
	v_mul_f32_e32 v24, 0x3fc90fda, v22
	v_fma_f32 v26, v22, s60, -v24
	v_fmac_f32_e32 v26, 0x33a22168, v22
	v_fmac_f32_e32 v26, 0x3fc90fda, v13
	v_lshrrev_b32_e32 v0, 30, v0
	v_add_f32_e32 v22, v24, v26
	v_add_u32_e32 v13, v49, v0
                                        ; implicit-def: $vgpr0
	s_andn2_saveexec_b64 s[8:9], s[42:43]
	s_cbranch_execnz .LBB347_165
	s_branch .LBB347_166
.LBB347_164:                            ;   in Loop: Header=BB347_129 Depth=2
	s_andn2_saveexec_b64 s[8:9], s[42:43]
.LBB347_165:                            ;   in Loop: Header=BB347_129 Depth=2
	v_cvt_i32_f32_e32 v13, v0
	v_fma_f32 v22, v0, s62, |v25|
	v_fmac_f32_e32 v22, 0xb3a22168, v0
	v_fmac_f32_e32 v22, 0xa7c234c4, v0
.LBB347_166:                            ;   in Loop: Header=BB347_129 Depth=2
	s_or_b64 exec, exec, s[8:9]
	v_and_b32_e32 v24, 0x7fffffff, v23
	v_lshrrev_b32_e32 v0, 23, v24
	v_and_b32_e32 v26, 0x7fffff, v24
	v_cmp_nlt_f32_e64 s[42:43], |v23|, s51
	v_add_u32_e32 v46, 0xffffff88, v0
	v_or_b32_e32 v29, 0x800000, v26
                                        ; implicit-def: $vgpr28
                                        ; implicit-def: $vgpr26
	s_and_saveexec_b64 s[8:9], s[42:43]
	s_xor_b64 s[44:45], exec, s[8:9]
	s_cbranch_execz .LBB347_168
; %bb.167:                              ;   in Loop: Header=BB347_129 Depth=2
	v_cmp_lt_u32_e32 vcc, 63, v46
	v_mad_u64_u32 v[48:49], s[12:13], v29, s53, 0
	s_nop 0
	v_cndmask_b32_e32 v0, 0, v38, vcc
	v_add_u32_e32 v0, v0, v46
	v_cmp_lt_u32_e64 s[8:9], 31, v0
	s_nop 1
	v_cndmask_b32_e64 v26, 0, v39, s[8:9]
	v_add_u32_e32 v0, v26, v0
	v_cmp_lt_u32_e64 s[10:11], 31, v0
	s_nop 1
	v_cndmask_b32_e64 v26, 0, v39, s[10:11]
	v_add_u32_e32 v26, v26, v0
	v_mov_b32_e32 v0, v49
	v_mad_u64_u32 v[50:51], s[12:13], v29, s54, v[0:1]
	v_mov_b32_e32 v0, v51
	v_mad_u64_u32 v[52:53], s[12:13], v29, s55, v[0:1]
	;; [unrolled: 2-line block ×6, first 2 shown]
	v_cndmask_b32_e32 v28, v58, v54, vcc
	v_cndmask_b32_e32 v0, v60, v56, vcc
	;; [unrolled: 1-line block ×3, first 2 shown]
	v_cndmask_b32_e64 v47, v0, v28, s[8:9]
	v_cndmask_b32_e64 v0, v49, v0, s[8:9]
	v_cndmask_b32_e32 v49, v56, v52, vcc
	v_cndmask_b32_e64 v28, v28, v49, s[8:9]
	v_sub_u32_e32 v51, 32, v26
	v_cmp_eq_u32_e64 s[12:13], 0, v26
	v_cndmask_b32_e32 v26, v54, v50, vcc
	v_cndmask_b32_e64 v0, v0, v47, s[10:11]
	v_cndmask_b32_e64 v47, v47, v28, s[10:11]
	;; [unrolled: 1-line block ×3, first 2 shown]
	v_alignbit_b32 v53, v0, v47, v51
	v_cndmask_b32_e64 v28, v28, v49, s[10:11]
	v_cndmask_b32_e64 v0, v53, v0, s[12:13]
	v_alignbit_b32 v50, v47, v28, v51
	v_cndmask_b32_e32 v48, v52, v48, vcc
	v_cndmask_b32_e64 v47, v50, v47, s[12:13]
	v_bfe_u32 v54, v0, 29, 1
	v_cndmask_b32_e64 v26, v26, v48, s[8:9]
	v_alignbit_b32 v50, v0, v47, 30
	v_sub_u32_e32 v55, 0, v54
	v_cndmask_b32_e64 v26, v49, v26, s[10:11]
	v_xor_b32_e32 v50, v50, v55
	v_alignbit_b32 v48, v28, v26, v51
	v_cndmask_b32_e64 v28, v48, v28, s[12:13]
	v_ffbh_u32_e32 v48, v50
	v_alignbit_b32 v47, v47, v28, 30
	v_min_u32_e32 v48, 32, v48
	v_alignbit_b32 v26, v28, v26, 30
	v_xor_b32_e32 v47, v47, v55
	v_sub_u32_e32 v49, 31, v48
	v_xor_b32_e32 v26, v26, v55
	v_alignbit_b32 v50, v50, v47, v49
	v_alignbit_b32 v26, v47, v26, v49
	;; [unrolled: 1-line block ×3, first 2 shown]
	v_ffbh_u32_e32 v47, v28
	v_min_u32_e32 v47, 32, v47
	v_lshrrev_b32_e32 v53, 29, v0
	v_not_b32_e32 v49, v47
	v_alignbit_b32 v26, v28, v26, v49
	v_lshlrev_b32_e32 v28, 31, v53
	v_or_b32_e32 v49, 0x33000000, v28
	v_add_lshl_u32 v47, v47, v48, 23
	v_lshrrev_b32_e32 v26, 9, v26
	v_sub_u32_e32 v47, v49, v47
	v_or_b32_e32 v28, 0.5, v28
	v_lshlrev_b32_e32 v48, 23, v48
	v_or_b32_e32 v26, v47, v26
	v_lshrrev_b32_e32 v47, 9, v50
	v_sub_u32_e32 v28, v28, v48
	v_or_b32_e32 v28, v47, v28
	v_mul_f32_e32 v47, 0x3fc90fda, v28
	v_fma_f32 v48, v28, s60, -v47
	v_fmac_f32_e32 v48, 0x33a22168, v28
	v_fmac_f32_e32 v48, 0x3fc90fda, v26
	v_lshrrev_b32_e32 v0, 30, v0
	v_add_f32_e32 v26, v47, v48
	v_add_u32_e32 v28, v54, v0
.LBB347_168:                            ;   in Loop: Header=BB347_129 Depth=2
	s_or_saveexec_b64 s[8:9], s[44:45]
	v_mul_f32_e64 v0, |v23|, s61
	v_rndne_f32_e32 v48, v0
	s_xor_b64 exec, exec, s[8:9]
; %bb.169:                              ;   in Loop: Header=BB347_129 Depth=2
	v_cvt_i32_f32_e32 v28, v48
	v_fma_f32 v26, v48, s62, |v23|
	v_fmac_f32_e32 v26, 0xb3a22168, v48
	v_fmac_f32_e32 v26, 0xa7c234c4, v48
; %bb.170:                              ;   in Loop: Header=BB347_129 Depth=2
	s_or_b64 exec, exec, s[8:9]
                                        ; implicit-def: $vgpr0
                                        ; implicit-def: $vgpr47
	s_and_saveexec_b64 s[8:9], s[42:43]
	s_xor_b64 s[42:43], exec, s[8:9]
	s_cbranch_execz .LBB347_172
; %bb.171:                              ;   in Loop: Header=BB347_129 Depth=2
	v_cmp_lt_u32_e32 vcc, 63, v46
	s_nop 1
	v_cndmask_b32_e32 v0, 0, v38, vcc
	v_add_u32_e32 v0, v0, v46
	v_cmp_lt_u32_e64 s[8:9], 31, v0
	s_nop 1
	v_cndmask_b32_e64 v46, 0, v39, s[8:9]
	v_add_u32_e32 v0, v46, v0
	v_cmp_lt_u32_e64 s[10:11], 31, v0
	s_nop 1
	v_cndmask_b32_e64 v46, 0, v39, s[10:11]
	v_add_u32_e32 v60, v46, v0
	v_mad_u64_u32 v[46:47], s[12:13], v29, s53, 0
	v_mov_b32_e32 v0, v47
	v_mad_u64_u32 v[48:49], s[12:13], v29, s54, v[0:1]
	v_mov_b32_e32 v0, v49
	;; [unrolled: 2-line block ×6, first 2 shown]
	v_mad_u64_u32 v[58:59], s[12:13], v29, s59, v[0:1]
	v_cndmask_b32_e32 v47, v56, v52, vcc
	v_cndmask_b32_e32 v0, v58, v54, vcc
	;; [unrolled: 1-line block ×3, first 2 shown]
	v_cndmask_b32_e64 v29, v0, v47, s[8:9]
	v_cndmask_b32_e64 v0, v49, v0, s[8:9]
	v_cndmask_b32_e32 v49, v54, v50, vcc
	v_cndmask_b32_e64 v47, v47, v49, s[8:9]
	v_cndmask_b32_e32 v48, v52, v48, vcc
	v_cndmask_b32_e64 v0, v0, v29, s[10:11]
	v_cndmask_b32_e64 v29, v29, v47, s[10:11]
	v_sub_u32_e32 v51, 32, v60
	v_cndmask_b32_e64 v49, v49, v48, s[8:9]
	v_alignbit_b32 v53, v0, v29, v51
	v_cmp_eq_u32_e64 s[12:13], 0, v60
	v_cndmask_b32_e64 v47, v47, v49, s[10:11]
	v_alignbit_b32 v52, v29, v47, v51
	v_cndmask_b32_e64 v0, v53, v0, s[12:13]
	v_cndmask_b32_e32 v46, v50, v46, vcc
	v_cndmask_b32_e64 v29, v52, v29, s[12:13]
	v_bfe_u32 v54, v0, 29, 1
	v_cndmask_b32_e64 v46, v48, v46, s[8:9]
	v_alignbit_b32 v52, v0, v29, 30
	v_sub_u32_e32 v55, 0, v54
	v_cndmask_b32_e64 v46, v49, v46, s[10:11]
	v_xor_b32_e32 v52, v52, v55
	v_alignbit_b32 v48, v47, v46, v51
	v_cndmask_b32_e64 v47, v48, v47, s[12:13]
	v_ffbh_u32_e32 v48, v52
	v_alignbit_b32 v29, v29, v47, 30
	v_min_u32_e32 v48, 32, v48
	v_alignbit_b32 v46, v47, v46, 30
	v_xor_b32_e32 v29, v29, v55
	v_sub_u32_e32 v49, 31, v48
	v_xor_b32_e32 v46, v46, v55
	v_alignbit_b32 v50, v52, v29, v49
	v_alignbit_b32 v29, v29, v46, v49
	;; [unrolled: 1-line block ×3, first 2 shown]
	v_ffbh_u32_e32 v47, v46
	v_min_u32_e32 v47, 32, v47
	v_lshrrev_b32_e32 v53, 29, v0
	v_not_b32_e32 v49, v47
	v_alignbit_b32 v29, v46, v29, v49
	v_lshlrev_b32_e32 v46, 31, v53
	v_or_b32_e32 v49, 0x33000000, v46
	v_add_lshl_u32 v47, v47, v48, 23
	v_lshrrev_b32_e32 v29, 9, v29
	v_sub_u32_e32 v47, v49, v47
	v_or_b32_e32 v46, 0.5, v46
	v_lshlrev_b32_e32 v48, 23, v48
	v_or_b32_e32 v29, v47, v29
	v_lshrrev_b32_e32 v47, 9, v50
	v_sub_u32_e32 v46, v46, v48
	v_or_b32_e32 v46, v47, v46
	v_mul_f32_e32 v47, 0x3fc90fda, v46
	v_fma_f32 v48, v46, s60, -v47
	v_fmac_f32_e32 v48, 0x33a22168, v46
	v_fmac_f32_e32 v48, 0x3fc90fda, v29
	v_lshrrev_b32_e32 v0, 30, v0
	v_add_f32_e32 v47, v47, v48
	v_add_u32_e32 v0, v54, v0
                                        ; implicit-def: $vgpr48
	s_andn2_saveexec_b64 s[8:9], s[42:43]
	s_cbranch_execnz .LBB347_173
	s_branch .LBB347_174
.LBB347_172:                            ;   in Loop: Header=BB347_129 Depth=2
	s_andn2_saveexec_b64 s[8:9], s[42:43]
.LBB347_173:                            ;   in Loop: Header=BB347_129 Depth=2
	v_cvt_i32_f32_e32 v0, v48
	v_fma_f32 v47, v48, s62, |v23|
	v_fmac_f32_e32 v47, 0xb3a22168, v48
	v_fmac_f32_e32 v47, 0xa7c234c4, v48
.LBB347_174:                            ;   in Loop: Header=BB347_129 Depth=2
	s_or_b64 exec, exec, s[8:9]
	v_mul_f32_e32 v46, v8, v8
	v_fmamk_f32 v48, v46, 0xb94c1982, v34
	v_fmaak_f32 v48, v46, v48, 0xbe2aaa9d
	v_mul_f32_e32 v48, v46, v48
	v_fmac_f32_e32 v8, v8, v48
	v_fmamk_f32 v48, v46, 0x37d75334, v35
	v_fmaak_f32 v48, v46, v48, 0x3d2aabf7
	v_lshlrev_b32_e32 v29, 30, v11
	v_and_b32_e32 v11, 1, v11
	v_fmaak_f32 v48, v46, v48, 0xbf000004
	v_and_b32_e32 v29, 0x80000000, v29
	v_fma_f32 v46, v46, v48, 1.0
	v_cmp_eq_u32_e32 vcc, 0, v11
	v_xor_b32_e32 v7, v7, v27
	v_xor_b32_e32 v7, v7, v29
	v_cndmask_b32_e32 v8, v46, v8, vcc
	v_xor_b32_e32 v7, v7, v8
	v_mul_f32_e32 v8, v22, v22
	v_fmamk_f32 v11, v8, 0xb94c1982, v34
	v_fmaak_f32 v11, v8, v11, 0xbe2aaa9d
	v_mul_f32_e32 v11, v8, v11
	v_fmac_f32_e32 v22, v22, v11
	v_fmamk_f32 v11, v8, 0x37d75334, v35
	v_fmaak_f32 v11, v8, v11, 0x3d2aabf7
	v_fmaak_f32 v11, v8, v11, 0xbf000004
	v_fma_f32 v8, v8, v11, 1.0
	v_and_b32_e32 v11, 1, v13
	v_cmp_eq_u32_e64 s[8:9], 0, v11
	v_lshlrev_b32_e32 v11, 30, v13
	v_mul_f32_e32 v13, v26, v26
	v_cmp_class_f32_e64 vcc, v25, s49
	v_cndmask_b32_e64 v8, -v22, v8, s[8:9]
	v_fmamk_f32 v25, v13, 0xb94c1982, v34
	v_bitop3_b32 v8, v11, v8, s67 bitop3:0x6c
	v_fmaak_f32 v25, v13, v25, 0xbe2aaa9d
	v_cndmask_b32_e32 v8, v10, v8, vcc
	v_mul_f32_e32 v25, v13, v25
	v_cndmask_b32_e32 v7, v10, v7, vcc
	v_mul_f32_e32 v11, 0x7f800000, v8
	v_cmp_neq_f32_e32 vcc, 0, v8
	v_fmac_f32_e32 v26, v26, v25
	v_fmamk_f32 v25, v13, 0x37d75334, v35
	v_cndmask_b32_e32 v11, 0, v11, vcc
	v_mul_f32_e32 v8, 0x7f800000, v7
	v_cmp_neq_f32_e32 vcc, 0, v7
	v_fmaak_f32 v25, v13, v25, 0x3d2aabf7
	v_fmaak_f32 v25, v13, v25, 0xbf000004
	v_cndmask_b32_e32 v22, 0, v8, vcc
	v_and_b32_e32 v8, 1, v28
	v_lshlrev_b32_e32 v7, 30, v28
	v_fma_f32 v13, v13, v25, 1.0
	v_cmp_eq_u32_e32 vcc, 0, v8
	v_and_b32_e32 v7, 0x80000000, v7
	s_nop 0
	v_cndmask_b32_e32 v8, v13, v26, vcc
	v_xor_b32_e32 v13, v24, v23
	v_xor_b32_e32 v7, v13, v7
	;; [unrolled: 1-line block ×3, first 2 shown]
	v_mul_f32_e32 v8, v47, v47
	v_fmamk_f32 v13, v8, 0xb94c1982, v34
	v_fmaak_f32 v13, v8, v13, 0xbe2aaa9d
	v_mul_f32_e32 v13, v8, v13
	v_fmac_f32_e32 v47, v47, v13
	v_fmamk_f32 v13, v8, 0x37d75334, v35
	v_fmaak_f32 v13, v8, v13, 0x3d2aabf7
	v_fmaak_f32 v13, v8, v13, 0xbf000004
	v_fma_f32 v8, v8, v13, 1.0
	v_and_b32_e32 v13, 1, v0
	v_cmp_eq_u32_e64 s[8:9], 0, v13
	v_lshlrev_b32_e32 v0, 30, v0
	v_cmp_class_f32_e64 vcc, v23, s49
	v_cndmask_b32_e64 v8, -v47, v8, s[8:9]
	v_bitop3_b32 v0, v0, v8, s67 bitop3:0x6c
	v_cndmask_b32_e32 v0, v10, v0, vcc
	v_cndmask_b32_e32 v7, v10, v7, vcc
	v_mul_f32_e32 v8, 0x7f800000, v0
	v_cmp_neq_f32_e32 vcc, 0, v0
	s_nop 1
	v_cndmask_b32_e32 v0, 0, v8, vcc
	v_mul_f32_e32 v8, 0x7f800000, v7
	v_cmp_neq_f32_e32 vcc, 0, v7
	v_add_f32_e32 v23, v11, v0
	s_nop 0
	v_cndmask_b32_e32 v8, 0, v8, vcc
	v_pk_add_f32 v[22:23], v[22:23], v[8:9]
	s_nop 0
	v_max_f32_e64 v0, |v23|, |v22|
	v_cvt_f64_f32_e32 v[24:25], v0
	v_frexp_exp_i32_f64_e32 v7, v[24:25]
	v_sub_u32_e32 v8, 0, v7
	v_ldexp_f32 v11, |v23|, v8
	v_ldexp_f32 v8, |v22|, v8
	v_mul_f32_e32 v8, v8, v8
	v_fmac_f32_e32 v8, v11, v11
	v_sqrt_f32_e32 v8, v8
	v_cmp_eq_f32_e32 vcc, s66, v0
	v_add_f32_e32 v0, 1.0, v23
                                        ; implicit-def: $vgpr24
	v_ldexp_f32 v8, v8, v7
	v_cmp_ngt_f32_e64 s[8:9], 0.5, v8
	v_max_f32_e64 v7, |v0|, |v22|
	s_or_b64 s[8:9], vcc, s[8:9]
	s_and_saveexec_b64 s[10:11], s[8:9]
	s_xor_b64 s[10:11], exec, s[10:11]
	s_cbranch_execz .LBB347_176
; %bb.175:                              ;   in Loop: Header=BB347_129 Depth=2
	v_cvt_f64_f32_e32 v[24:25], v7
	v_frexp_exp_i32_f64_e32 v8, v[24:25]
	v_sub_u32_e32 v11, 0, v8
	v_ldexp_f32 v13, |v0|, v11
	v_ldexp_f32 v11, |v22|, v11
	v_mul_f32_e32 v11, v11, v11
	v_fmac_f32_e32 v11, v13, v13
	v_sqrt_f32_e32 v11, v11
	v_cmp_neq_f32_e32 vcc, s66, v7
	v_ldexp_f32 v8, v11, v8
	s_nop 0
	v_cndmask_b32_e32 v8, v40, v8, vcc
	v_cmp_gt_f32_e32 vcc, s52, v8
	s_nop 1
	v_cndmask_b32_e64 v11, 0, 32, vcc
	v_ldexp_f32 v8, v8, v11
	v_log_f32_e32 v8, v8
	s_nop 0
	v_mul_f32_e32 v11, 0x3f317217, v8
	v_fma_f32 v11, v8, s68, -v11
	v_fmac_f32_e32 v11, 0x3377d1cf, v8
	v_fmac_f32_e32 v11, 0x3f317217, v8
	v_cmp_lt_f32_e64 s[8:9], |v8|, s66
	s_nop 1
	v_cndmask_b32_e64 v8, v8, v11, s[8:9]
	v_cndmask_b32_e32 v11, 0, v41, vcc
	v_sub_f32_e32 v24, v8, v11
.LBB347_176:                            ;   in Loop: Header=BB347_129 Depth=2
	s_andn2_saveexec_b64 s[8:9], s[10:11]
	s_cbranch_execz .LBB347_180
; %bb.177:                              ;   in Loop: Header=BB347_129 Depth=2
	v_add_f32_e32 v25, 2.0, v23
	v_mov_b32_e32 v24, v22
	v_pk_mul_f32 v[24:25], v[22:23], v[24:25]
	s_nop 0
	v_add_f32_e32 v8, v24, v25
	v_cmp_neq_f32_e32 vcc, 0, v8
	s_and_saveexec_b64 s[10:11], vcc
	s_cbranch_execz .LBB347_179
; %bb.178:                              ;   in Loop: Header=BB347_129 Depth=2
	v_add_f32_e32 v11, 1.0, v8
	v_add_f32_e32 v13, -1.0, v11
	v_sub_f32_e32 v23, v13, v11
	v_add_f32_e32 v23, 1.0, v23
	v_sub_f32_e32 v13, v8, v13
	v_add_f32_e32 v13, v13, v23
	v_frexp_mant_f32_e32 v23, v11
	v_cvt_f64_f32_e32 v[24:25], v11
	v_frexp_exp_i32_f64_e32 v24, v[24:25]
	v_cmp_gt_f32_e32 vcc, s69, v23
	s_nop 1
	v_subbrev_co_u32_e32 v23, vcc, 0, v24, vcc
	v_sub_u32_e32 v24, 0, v23
	v_ldexp_f32 v11, v11, v24
	v_ldexp_f32 v13, v13, v24
	v_add_f32_e32 v24, -1.0, v11
	v_add_f32_e32 v25, 1.0, v24
	v_sub_f32_e32 v25, v11, v25
	v_add_f32_e32 v26, v13, v25
	v_add_f32_e32 v25, 1.0, v11
	v_add_f32_e32 v27, -1.0, v25
	v_sub_f32_e32 v11, v11, v27
	v_add_f32_e32 v11, v13, v11
	v_add_f32_e32 v13, v25, v11
	v_rcp_f32_e32 v48, v13
	v_sub_f32_e32 v25, v13, v25
	v_sub_f32_e32 v11, v11, v25
	v_add_f32_e32 v25, v24, v26
	v_sub_f32_e32 v24, v25, v24
	v_mul_f32_e32 v50, v25, v48
	v_sub_f32_e32 v49, v26, v24
	v_mul_f32_e32 v26, v13, v50
	v_fma_f32 v28, v50, v13, -v26
	v_fmac_f32_e32 v28, v50, v11
	v_add_f32_e32 v24, v26, v28
	v_sub_f32_e32 v27, v25, v24
	v_pk_add_f32 v[46:47], v[24:25], v[26:27] neg_lo:[0,1] neg_hi:[0,1]
	v_mov_b32_e32 v29, v24
	v_pk_add_f32 v[24:25], v[46:47], v[28:29] neg_lo:[0,1] neg_hi:[0,1]
	v_cmp_neq_f32_e32 vcc, s66, v8
	v_add_f32_e32 v25, v49, v25
	v_add_f32_e32 v24, v24, v25
	;; [unrolled: 1-line block ×3, first 2 shown]
	v_mul_f32_e32 v49, v48, v25
	v_mul_f32_e32 v26, v13, v49
	v_fma_f32 v28, v49, v13, -v26
	v_fmac_f32_e32 v28, v49, v11
	v_sub_f32_e32 v11, v27, v25
	v_add_f32_e32 v11, v24, v11
	v_add_f32_e32 v24, v26, v28
	v_sub_f32_e32 v27, v25, v24
	v_pk_add_f32 v[46:47], v[24:25], v[26:27] neg_lo:[0,1] neg_hi:[0,1]
	v_mov_b32_e32 v29, v24
	v_pk_add_f32 v[24:25], v[46:47], v[28:29] neg_lo:[0,1] neg_hi:[0,1]
	s_nop 0
	v_add_f32_e32 v11, v11, v25
	v_add_f32_e32 v11, v24, v11
	;; [unrolled: 1-line block ×4, first 2 shown]
	v_sub_f32_e32 v13, v25, v50
	v_mul_f32_e32 v11, v48, v11
	v_sub_f32_e32 v13, v49, v13
	v_add_f32_e32 v11, v13, v11
	v_add_f32_e32 v26, v25, v11
	v_cvt_f32_i32_e32 v24, v23
	v_mul_f32_e32 v28, v26, v26
	v_fmamk_f32 v13, v28, 0x3e9b6dac, v36
	v_fmaak_f32 v13, v28, v13, 0x3f2aaada
	v_sub_f32_e32 v23, v26, v25
	v_mul_f32_e32 v25, v26, v28
	v_pk_mul_f32 v[28:29], v[24:25], v[12:13]
	v_ldexp_f32 v27, v26, 1
	v_fma_f32 v26, v24, s70, -v28
	v_fmac_f32_e32 v26, 0xb102e308, v24
	v_pk_add_f32 v[24:25], v[28:29], v[26:27]
	v_sub_f32_e32 v11, v11, v23
	v_sub_f32_e32 v13, v25, v27
	v_ldexp_f32 v11, v11, 1
	v_sub_f32_e32 v13, v29, v13
	v_add_f32_e32 v47, v11, v13
	v_mov_b32_e32 v46, v28
	v_pk_add_f32 v[28:29], v[24:25], v[28:29] neg_lo:[0,1] neg_hi:[0,1]
	v_pk_add_f32 v[48:49], v[24:25], v[46:47]
	v_mov_b32_e32 v27, v24
	v_mov_b32_e32 v29, v49
	v_pk_add_f32 v[50:51], v[26:27], v[28:29] neg_lo:[0,1] neg_hi:[0,1]
	v_pk_add_f32 v[26:27], v[26:27], v[28:29]
	v_mov_b32_e32 v46, v47
	v_pk_add_f32 v[28:29], v[26:27], v[24:25] op_sel:[1,0] op_sel_hi:[0,1] neg_lo:[0,1] neg_hi:[0,1]
	v_pk_add_f32 v[52:53], v[48:49], v[28:29] op_sel_hi:[1,0] neg_lo:[0,1] neg_hi:[0,1]
	v_mov_b32_e32 v48, v49
	v_mov_b32_e32 v49, v27
	v_pk_mov_b32 v[28:29], v[24:25], v[28:29] op_sel:[1,0]
	v_mov_b32_e32 v47, v24
	v_pk_add_f32 v[28:29], v[48:49], v[28:29] neg_lo:[0,1] neg_hi:[0,1]
	v_mov_b32_e32 v52, v50
	v_pk_add_f32 v[24:25], v[46:47], v[28:29] neg_lo:[0,1] neg_hi:[0,1]
	v_mov_b32_e32 v51, v27
	v_pk_add_f32 v[28:29], v[52:53], v[24:25]
	s_nop 0
	v_pk_add_f32 v[46:47], v[28:29], v[28:29] op_sel:[0,1] op_sel_hi:[1,0]
	s_nop 0
	v_pk_add_f32 v[26:27], v[26:27], v[46:47] op_sel:[1,0] op_sel_hi:[0,1]
	v_mov_b32_e32 v29, v26
	v_pk_add_f32 v[48:49], v[28:29], v[50:51] neg_lo:[0,1] neg_hi:[0,1]
	v_mov_b32_e32 v25, v46
	v_sub_f32_e32 v11, v28, v48
	v_pk_add_f32 v[24:25], v[24:25], v[48:49] neg_lo:[0,1] neg_hi:[0,1]
	v_sub_f32_e32 v11, v50, v11
	v_add_f32_e32 v11, v24, v11
	v_add_f32_e32 v11, v11, v25
	;; [unrolled: 1-line block ×3, first 2 shown]
	v_cndmask_b32_e32 v11, v40, v11, vcc
	v_cmp_ngt_f32_e32 vcc, -1.0, v8
	s_nop 1
	v_cndmask_b32_e32 v11, v10, v11, vcc
	v_cmp_neq_f32_e32 vcc, -1.0, v8
	s_nop 1
	v_cndmask_b32_e32 v11, v42, v11, vcc
	v_cmp_lt_f32_e64 vcc, |v8|, s71
	s_nop 1
	v_cndmask_b32_e32 v8, v11, v8, vcc
	v_mul_f32_e32 v23, 0.5, v8
.LBB347_179:                            ;   in Loop: Header=BB347_129 Depth=2
	s_or_b64 exec, exec, s[10:11]
	v_mov_b32_e32 v24, v23
.LBB347_180:                            ;   in Loop: Header=BB347_129 Depth=2
	s_or_b64 exec, exec, s[8:9]
	v_max_f32_e64 v13, |v22|, |v22|
	v_max_f32_e64 v23, |v0|, |v0|
	v_min_f32_e32 v13, v23, v13
	v_frexp_mant_f32_e32 v23, v7
	v_rcp_f32_e32 v23, v23
	v_frexp_exp_i32_f32_e32 v7, v7
	v_frexp_exp_i32_f32_e32 v25, v13
	v_frexp_mant_f32_e32 v13, v13
	v_mul_f32_e32 v13, v13, v23
	v_sub_u32_e32 v7, v25, v7
	v_ldexp_f32 v7, v13, v7
	v_mul_f32_e32 v13, v7, v7
	v_fmamk_f32 v23, v13, 0x3b2d2a58, v37
	v_fmaak_f32 v23, v13, v23, 0x3d29fb3f
	v_fmaak_f32 v23, v13, v23, 0xbd97d4d7
	;; [unrolled: 1-line block ×6, first 2 shown]
	v_mul_f32_e32 v13, v13, v23
	v_cmp_gt_i32_e64 s[8:9], 0, v0
	v_fmac_f32_e32 v7, v7, v13
	v_sub_f32_e32 v13, 0x3fc90fdb, v7
	v_cndmask_b32_e64 v11, 0, v45, s[8:9]
	v_cmp_gt_f32_e64 s[8:9], |v22|, |v0|
	v_cmp_gt_f32_e32 vcc, 0, v0
	v_cmp_class_f32_e64 s[10:11], v22, s72
	v_cndmask_b32_e64 v7, v7, v13, s[8:9]
	v_sub_f32_e32 v13, 0x40490fdb, v7
	v_cmp_class_f32_e64 s[12:13], v0, s72
	v_cndmask_b32_e32 v8, v43, v44, vcc
	v_cndmask_b32_e32 v7, v7, v13, vcc
	v_cmp_eq_f32_e32 vcc, 0, v22
	s_nop 1
	v_cndmask_b32_e32 v7, v7, v11, vcc
	s_and_b64 vcc, s[10:11], s[12:13]
	v_cndmask_b32_e32 v7, v7, v8, vcc
	v_cmp_o_f32_e32 vcc, v0, v22
	s_nop 1
	v_cndmask_b32_e32 v0, v10, v7, vcc
	v_bfi_b32 v25, s50, v0, v22
.LBB347_181:                            ;   in Loop: Header=BB347_129 Depth=2
	s_or_b64 exec, exec, s[40:41]
.LBB347_182:                            ;   in Loop: Header=BB347_129 Depth=2
	s_or_b64 exec, exec, s[38:39]
	v_mov_b64_e32 v[28:29], v[24:25]
.LBB347_183:                            ;   in Loop: Header=BB347_129 Depth=2
	s_or_b64 exec, exec, s[36:37]
	ds_write_b64 v30, v[28:29]
.LBB347_184:                            ;   in Loop: Header=BB347_129 Depth=2
	s_or_b64 exec, exec, s[34:35]
	v_mov_b32_e32 v0, 0
	s_mov_b64 s[34:35], 0
	s_waitcnt lgkmcnt(0)
	s_barrier
	s_branch .LBB347_191
.LBB347_185:                            ;   in Loop: Header=BB347_191 Depth=3
	s_or_b64 exec, exec, s[10:11]
	v_mov_b32_e32 v24, v23
.LBB347_186:                            ;   in Loop: Header=BB347_191 Depth=3
	s_or_b64 exec, exec, s[8:9]
	v_max_f32_e64 v13, |v22|, |v22|
	v_max_f32_e64 v23, |v0|, |v0|
	v_min_f32_e32 v13, v23, v13
	v_frexp_mant_f32_e32 v23, v7
	v_rcp_f32_e32 v23, v23
	v_frexp_exp_i32_f32_e32 v7, v7
	v_frexp_exp_i32_f32_e32 v25, v13
	v_frexp_mant_f32_e32 v13, v13
	v_mul_f32_e32 v13, v13, v23
	v_sub_u32_e32 v7, v25, v7
	v_ldexp_f32 v7, v13, v7
	v_mul_f32_e32 v13, v7, v7
	v_fmamk_f32 v23, v13, 0x3b2d2a58, v37
	v_fmaak_f32 v23, v13, v23, 0x3d29fb3f
	v_fmaak_f32 v23, v13, v23, 0xbd97d4d7
	;; [unrolled: 1-line block ×6, first 2 shown]
	v_mul_f32_e32 v13, v13, v23
	v_cmp_gt_i32_e64 s[8:9], 0, v0
	v_fmac_f32_e32 v7, v7, v13
	v_sub_f32_e32 v13, 0x3fc90fdb, v7
	v_cndmask_b32_e64 v11, 0, v45, s[8:9]
	v_cmp_gt_f32_e64 s[8:9], |v22|, |v0|
	v_cmp_gt_f32_e32 vcc, 0, v0
	v_cmp_class_f32_e64 s[10:11], v22, s72
	v_cndmask_b32_e64 v7, v7, v13, s[8:9]
	v_sub_f32_e32 v13, 0x40490fdb, v7
	v_cmp_class_f32_e64 s[12:13], v0, s72
	v_cndmask_b32_e32 v8, v43, v44, vcc
	v_cndmask_b32_e32 v7, v7, v13, vcc
	v_cmp_eq_f32_e32 vcc, 0, v22
	s_nop 1
	v_cndmask_b32_e32 v7, v7, v11, vcc
	s_and_b64 vcc, s[10:11], s[12:13]
	v_cndmask_b32_e32 v7, v7, v8, vcc
	v_cmp_o_f32_e32 vcc, v0, v22
	s_nop 1
	v_cndmask_b32_e32 v0, v10, v7, vcc
	v_bfi_b32 v25, s50, v0, v22
.LBB347_187:                            ;   in Loop: Header=BB347_191 Depth=3
	s_or_b64 exec, exec, s[42:43]
.LBB347_188:                            ;   in Loop: Header=BB347_191 Depth=3
	s_or_b64 exec, exec, s[40:41]
	v_mov_b64_e32 v[28:29], v[24:25]
.LBB347_189:                            ;   in Loop: Header=BB347_191 Depth=3
	s_or_b64 exec, exec, s[38:39]
	ds_write_b64 v47, v[28:29]
.LBB347_190:                            ;   in Loop: Header=BB347_191 Depth=3
	s_or_b64 exec, exec, s[36:37]
	v_cmp_eq_u32_e32 vcc, s48, v46
	s_or_b64 s[34:35], vcc, s[34:35]
	v_mov_b32_e32 v0, v46
	s_waitcnt lgkmcnt(0)
	s_barrier
	s_andn2_b64 exec, exec, s[34:35]
	s_cbranch_execz .LBB347_240
.LBB347_191:                            ;   Parent Loop BB347_126 Depth=1
                                        ;     Parent Loop BB347_129 Depth=2
                                        ; =>    This Inner Loop Header: Depth=3
	v_add_u32_e32 v46, 1, v0
	s_and_saveexec_b64 s[8:9], s[6:7]
	s_xor_b64 s[8:9], exec, s[8:9]
; %bb.192:                              ;   in Loop: Header=BB347_191 Depth=3
	v_add_u32_e32 v46, 1, v0
                                        ; implicit-def: $vgpr0
; %bb.193:                              ;   in Loop: Header=BB347_191 Depth=3
	s_andn2_saveexec_b64 s[36:37], s[8:9]
	s_cbranch_execz .LBB347_190
; %bb.194:                              ;   in Loop: Header=BB347_191 Depth=3
	v_lshlrev_b32_e64 v22, v0, 1
	v_ashrrev_i32_e32 v23, 31, v22
	v_cmp_ge_u64_e32 vcc, v[4:5], v[22:23]
	v_mov_b64_e32 v[24:25], v[4:5]
	s_and_saveexec_b64 s[8:9], vcc
	s_cbranch_execz .LBB347_196
; %bb.195:                              ;   in Loop: Header=BB347_191 Depth=3
	v_cvt_f32_u32_e32 v7, v22
	v_sub_u32_e32 v8, 0, v22
	v_rcp_iflag_f32_e32 v7, v7
	s_nop 0
	v_mul_f32_e32 v7, 0x4f7ffffe, v7
	v_cvt_u32_f32_e32 v7, v7
	v_mul_lo_u32 v8, v8, v7
	v_mul_hi_u32 v8, v7, v8
	v_add_u32_e32 v7, v7, v8
	v_mul_hi_u32 v7, v4, v7
	v_mul_lo_u32 v7, v7, v22
	v_sub_u32_e32 v7, v4, v7
	v_sub_u32_e32 v8, v7, v22
	v_cmp_ge_u32_e32 vcc, v7, v22
	s_nop 1
	v_cndmask_b32_e32 v7, v7, v8, vcc
	v_sub_u32_e32 v8, v7, v22
	v_cmp_ge_u32_e32 vcc, v7, v22
	s_nop 1
	v_cndmask_b32_e32 v24, v7, v8, vcc
.LBB347_196:                            ;   in Loop: Header=BB347_191 Depth=3
	s_or_b64 exec, exec, s[8:9]
	v_lshrrev_b32_e32 v0, v0, v4
	v_lshl_or_b32 v0, v0, v46, v22
	v_lshl_add_u32 v0, v0, 3, v30
	v_add_u32_e32 v7, -8, v0
	ds_read_b64 v[22:23], v7
	v_lshl_add_u32 v47, v24, 3, v0
	ds_read_b64 v[28:29], v47
	s_waitcnt lgkmcnt(1)
	v_cmp_o_f32_e32 vcc, v22, v23
	v_mov_b32_e32 v27, v23
	v_mov_b64_e32 v[24:25], v[22:23]
	s_and_saveexec_b64 s[12:13], vcc
	s_cbranch_execz .LBB347_198
; %bb.197:                              ;   in Loop: Header=BB347_191 Depth=3
	s_waitcnt lgkmcnt(0)
	v_cmp_u_f32_e64 s[8:9], v28, v29
	v_cmp_lt_f32_e64 s[10:11], v28, v22
	s_or_b64 s[8:9], s[8:9], s[10:11]
	v_cndmask_b32_e64 v27, v23, v29, s[8:9]
	v_cndmask_b32_e64 v26, v22, v28, s[8:9]
	v_mov_b64_e32 v[24:25], v[26:27]
.LBB347_198:                            ;   in Loop: Header=BB347_191 Depth=3
	s_or_b64 exec, exec, s[12:13]
	s_and_saveexec_b64 s[8:9], vcc
	s_xor_b64 s[10:11], exec, s[8:9]
	s_cbranch_execz .LBB347_200
; %bb.199:                              ;   in Loop: Header=BB347_191 Depth=3
	s_waitcnt lgkmcnt(0)
	v_cmp_u_f32_e32 vcc, v28, v29
	v_cmp_ge_f32_e64 s[8:9], v28, v22
	s_or_b64 vcc, vcc, s[8:9]
	v_cndmask_b32_e32 v23, v23, v29, vcc
	v_cndmask_b32_e32 v22, v22, v28, vcc
.LBB347_200:                            ;   in Loop: Header=BB347_191 Depth=3
	s_andn2_saveexec_b64 s[8:9], s[10:11]
	s_or_b64 exec, exec, s[8:9]
	v_mov_b32_e32 v11, v10
	v_cmp_o_f32_e32 vcc, v24, v25
	s_waitcnt lgkmcnt(0)
	v_mov_b64_e32 v[28:29], v[10:11]
	s_and_saveexec_b64 s[38:39], vcc
	s_cbranch_execz .LBB347_189
; %bb.201:                              ;   in Loop: Header=BB347_191 Depth=3
	v_cmp_class_f32_e64 s[8:9], v24, s49
	v_cmp_neq_f32_e32 vcc, v22, v24
	s_or_b64 s[8:9], s[8:9], vcc
	s_and_saveexec_b64 s[10:11], s[8:9]
	s_xor_b64 s[40:41], exec, s[10:11]
	s_cbranch_execz .LBB347_217
; %bb.202:                              ;   in Loop: Header=BB347_191 Depth=3
	v_pk_add_f32 v[24:25], v[24:25], v[22:23] neg_lo:[0,1] neg_hi:[0,1]
                                        ; implicit-def: $vgpr26
	s_nop 0
	v_and_b32_e32 v7, 0x7fffffff, v25
	v_lshrrev_b32_e32 v0, 23, v7
	v_and_b32_e32 v8, 0x7fffff, v7
	v_cmp_nlt_f32_e64 s[42:43], |v25|, s51
	v_add_u32_e32 v13, 0xffffff88, v0
	v_or_b32_e32 v11, 0x800000, v8
                                        ; implicit-def: $vgpr8
	s_and_saveexec_b64 s[8:9], s[42:43]
	s_xor_b64 s[44:45], exec, s[8:9]
	s_cbranch_execz .LBB347_204
; %bb.203:                              ;   in Loop: Header=BB347_191 Depth=3
	v_cmp_lt_u32_e32 vcc, 63, v13
	v_mad_u64_u32 v[26:27], s[12:13], v11, s53, 0
	s_nop 0
	v_cndmask_b32_e32 v0, 0, v38, vcc
	v_add_u32_e32 v0, v0, v13
	v_cmp_lt_u32_e64 s[8:9], 31, v0
	s_nop 1
	v_cndmask_b32_e64 v8, 0, v39, s[8:9]
	v_add_u32_e32 v0, v8, v0
	v_cmp_lt_u32_e64 s[10:11], 31, v0
	s_nop 1
	v_cndmask_b32_e64 v8, 0, v39, s[10:11]
	v_add_u32_e32 v8, v8, v0
	v_mov_b32_e32 v0, v27
	v_mad_u64_u32 v[28:29], s[12:13], v11, s54, v[0:1]
	v_mov_b32_e32 v0, v29
	v_mad_u64_u32 v[48:49], s[12:13], v11, s55, v[0:1]
	;; [unrolled: 2-line block ×6, first 2 shown]
	v_cndmask_b32_e32 v27, v54, v50, vcc
	v_cndmask_b32_e32 v0, v56, v52, vcc
	;; [unrolled: 1-line block ×3, first 2 shown]
	v_cndmask_b32_e64 v29, v0, v27, s[8:9]
	v_cndmask_b32_e64 v0, v49, v0, s[8:9]
	v_cndmask_b32_e32 v49, v52, v48, vcc
	v_cndmask_b32_e64 v27, v27, v49, s[8:9]
	v_sub_u32_e32 v51, 32, v8
	v_cmp_eq_u32_e64 s[12:13], 0, v8
	v_cndmask_b32_e32 v8, v50, v28, vcc
	v_cndmask_b32_e64 v0, v0, v29, s[10:11]
	v_cndmask_b32_e64 v29, v29, v27, s[10:11]
	;; [unrolled: 1-line block ×3, first 2 shown]
	v_alignbit_b32 v52, v0, v29, v51
	v_cndmask_b32_e64 v27, v27, v28, s[10:11]
	v_cndmask_b32_e64 v0, v52, v0, s[12:13]
	v_alignbit_b32 v49, v29, v27, v51
	v_cndmask_b32_e32 v26, v48, v26, vcc
	v_cndmask_b32_e64 v29, v49, v29, s[12:13]
	v_bfe_u32 v52, v0, 29, 1
	v_cndmask_b32_e64 v8, v8, v26, s[8:9]
	v_alignbit_b32 v49, v0, v29, 30
	v_sub_u32_e32 v53, 0, v52
	v_cndmask_b32_e64 v8, v28, v8, s[10:11]
	v_xor_b32_e32 v49, v49, v53
	v_alignbit_b32 v26, v27, v8, v51
	v_cndmask_b32_e64 v26, v26, v27, s[12:13]
	v_ffbh_u32_e32 v28, v49
	v_alignbit_b32 v27, v29, v26, 30
	v_min_u32_e32 v28, 32, v28
	v_alignbit_b32 v8, v26, v8, 30
	v_xor_b32_e32 v27, v27, v53
	v_sub_u32_e32 v29, 31, v28
	v_xor_b32_e32 v8, v8, v53
	v_alignbit_b32 v48, v49, v27, v29
	v_alignbit_b32 v8, v27, v8, v29
	;; [unrolled: 1-line block ×3, first 2 shown]
	v_ffbh_u32_e32 v27, v26
	v_min_u32_e32 v27, 32, v27
	v_lshrrev_b32_e32 v50, 29, v0
	v_not_b32_e32 v29, v27
	v_alignbit_b32 v8, v26, v8, v29
	v_lshlrev_b32_e32 v26, 31, v50
	v_or_b32_e32 v29, 0x33000000, v26
	v_add_lshl_u32 v27, v27, v28, 23
	v_lshrrev_b32_e32 v8, 9, v8
	v_sub_u32_e32 v27, v29, v27
	v_or_b32_e32 v26, 0.5, v26
	v_lshlrev_b32_e32 v28, 23, v28
	v_or_b32_e32 v8, v27, v8
	v_lshrrev_b32_e32 v27, 9, v48
	v_sub_u32_e32 v26, v26, v28
	v_or_b32_e32 v26, v27, v26
	v_mul_f32_e32 v27, 0x3fc90fda, v26
	v_fma_f32 v28, v26, s60, -v27
	v_fmac_f32_e32 v28, 0x33a22168, v26
	v_fmac_f32_e32 v28, 0x3fc90fda, v8
	v_lshrrev_b32_e32 v0, 30, v0
	v_add_f32_e32 v26, v27, v28
	v_add_u32_e32 v8, v52, v0
.LBB347_204:                            ;   in Loop: Header=BB347_191 Depth=3
	s_or_saveexec_b64 s[8:9], s[44:45]
	v_mul_f32_e64 v0, |v25|, s61
	v_rndne_f32_e32 v27, v0
	s_xor_b64 exec, exec, s[8:9]
; %bb.205:                              ;   in Loop: Header=BB347_191 Depth=3
	v_cvt_i32_f32_e32 v8, v27
	v_fma_f32 v26, v27, s62, |v25|
	v_fmac_f32_e32 v26, 0xb3a22168, v27
	v_fmac_f32_e32 v26, 0xa7c234c4, v27
; %bb.206:                              ;   in Loop: Header=BB347_191 Depth=3
	s_or_b64 exec, exec, s[8:9]
                                        ; implicit-def: $vgpr0
                                        ; implicit-def: $vgpr29
	s_and_saveexec_b64 s[8:9], s[42:43]
	s_xor_b64 s[42:43], exec, s[8:9]
	s_cbranch_execz .LBB347_208
; %bb.207:                              ;   in Loop: Header=BB347_191 Depth=3
	v_cmp_lt_u32_e32 vcc, 63, v13
	v_mad_u64_u32 v[28:29], s[12:13], v11, s53, 0
	s_nop 0
	v_cndmask_b32_e32 v0, 0, v38, vcc
	v_add_u32_e32 v0, v0, v13
	v_cmp_lt_u32_e64 s[8:9], 31, v0
	s_nop 1
	v_cndmask_b32_e64 v13, 0, v39, s[8:9]
	v_add_u32_e32 v0, v13, v0
	v_cmp_lt_u32_e64 s[10:11], 31, v0
	s_nop 1
	v_cndmask_b32_e64 v13, 0, v39, s[10:11]
	v_add_u32_e32 v13, v13, v0
	v_mov_b32_e32 v0, v29
	v_mad_u64_u32 v[48:49], s[12:13], v11, s54, v[0:1]
	v_mov_b32_e32 v0, v49
	v_mad_u64_u32 v[50:51], s[12:13], v11, s55, v[0:1]
	;; [unrolled: 2-line block ×6, first 2 shown]
	v_cndmask_b32_e32 v27, v56, v52, vcc
	v_cndmask_b32_e32 v0, v58, v54, vcc
	;; [unrolled: 1-line block ×3, first 2 shown]
	v_cndmask_b32_e64 v11, v0, v27, s[8:9]
	v_cndmask_b32_e64 v0, v29, v0, s[8:9]
	v_cndmask_b32_e32 v29, v54, v50, vcc
	v_cndmask_b32_e64 v27, v27, v29, s[8:9]
	v_sub_u32_e32 v49, 32, v13
	v_cmp_eq_u32_e64 s[12:13], 0, v13
	v_cndmask_b32_e32 v13, v52, v48, vcc
	v_cndmask_b32_e64 v0, v0, v11, s[10:11]
	v_cndmask_b32_e64 v11, v11, v27, s[10:11]
	;; [unrolled: 1-line block ×3, first 2 shown]
	v_alignbit_b32 v51, v0, v11, v49
	v_cndmask_b32_e64 v27, v27, v29, s[10:11]
	v_cndmask_b32_e64 v0, v51, v0, s[12:13]
	v_alignbit_b32 v48, v11, v27, v49
	v_cndmask_b32_e32 v28, v50, v28, vcc
	v_cndmask_b32_e64 v11, v48, v11, s[12:13]
	v_bfe_u32 v52, v0, 29, 1
	v_cndmask_b32_e64 v13, v13, v28, s[8:9]
	v_alignbit_b32 v48, v0, v11, 30
	v_sub_u32_e32 v53, 0, v52
	v_cndmask_b32_e64 v13, v29, v13, s[10:11]
	v_xor_b32_e32 v48, v48, v53
	v_alignbit_b32 v28, v27, v13, v49
	v_cndmask_b32_e64 v27, v28, v27, s[12:13]
	v_ffbh_u32_e32 v28, v48
	v_alignbit_b32 v11, v11, v27, 30
	v_min_u32_e32 v28, 32, v28
	v_alignbit_b32 v13, v27, v13, 30
	v_xor_b32_e32 v11, v11, v53
	v_sub_u32_e32 v29, 31, v28
	v_xor_b32_e32 v13, v13, v53
	v_alignbit_b32 v48, v48, v11, v29
	v_alignbit_b32 v11, v11, v13, v29
	;; [unrolled: 1-line block ×3, first 2 shown]
	v_ffbh_u32_e32 v27, v13
	v_min_u32_e32 v27, 32, v27
	v_lshrrev_b32_e32 v51, 29, v0
	v_not_b32_e32 v29, v27
	v_alignbit_b32 v11, v13, v11, v29
	v_lshlrev_b32_e32 v13, 31, v51
	v_or_b32_e32 v29, 0x33000000, v13
	v_add_lshl_u32 v27, v27, v28, 23
	v_lshrrev_b32_e32 v11, 9, v11
	v_sub_u32_e32 v27, v29, v27
	v_or_b32_e32 v13, 0.5, v13
	v_lshlrev_b32_e32 v28, 23, v28
	v_or_b32_e32 v11, v27, v11
	v_lshrrev_b32_e32 v27, 9, v48
	v_sub_u32_e32 v13, v13, v28
	v_or_b32_e32 v13, v27, v13
	v_mul_f32_e32 v27, 0x3fc90fda, v13
	v_fma_f32 v28, v13, s60, -v27
	v_fmac_f32_e32 v28, 0x33a22168, v13
	v_fmac_f32_e32 v28, 0x3fc90fda, v11
	v_lshrrev_b32_e32 v0, 30, v0
	v_add_f32_e32 v29, v27, v28
	v_add_u32_e32 v0, v52, v0
                                        ; implicit-def: $vgpr27
	s_andn2_saveexec_b64 s[8:9], s[42:43]
	s_cbranch_execnz .LBB347_209
	s_branch .LBB347_210
.LBB347_208:                            ;   in Loop: Header=BB347_191 Depth=3
	s_andn2_saveexec_b64 s[8:9], s[42:43]
.LBB347_209:                            ;   in Loop: Header=BB347_191 Depth=3
	v_cvt_i32_f32_e32 v0, v27
	v_fma_f32 v29, v27, s62, |v25|
	v_fmac_f32_e32 v29, 0xb3a22168, v27
	v_fmac_f32_e32 v29, 0xa7c234c4, v27
.LBB347_210:                            ;   in Loop: Header=BB347_191 Depth=3
	s_or_b64 exec, exec, s[8:9]
	v_mul_f32_e32 v11, 0x3fb8aa3b, v24
	v_rndne_f32_e32 v13, v11
	v_sub_f32_e32 v27, v11, v13
	v_fma_f32 v11, v24, s63, -v11
	v_fmac_f32_e32 v11, 0x32a5705f, v24
	v_add_f32_e32 v11, v27, v11
	v_cvt_i32_f32_e32 v13, v13
	v_exp_f32_e32 v11, v11
	v_mul_f32_e32 v27, v29, v29
	v_fmamk_f32 v28, v27, 0xb94c1982, v34
	v_fmaak_f32 v49, v27, v28, 0xbe2aaa9d
	v_ldexp_f32 v11, v11, v13
	v_and_b32_e32 v13, 1, v0
	v_lshlrev_b32_e32 v0, 30, v0
	v_mov_b32_e32 v48, v26
	v_fmamk_f32 v28, v27, 0x37d75334, v35
	v_and_b32_e32 v0, 0x80000000, v0
	v_xor_b32_e32 v7, v7, v25
	v_pk_mul_f32 v[48:49], v[26:27], v[48:49]
	v_fmaak_f32 v28, v27, v28, 0x3d2aabf7
	v_xor_b32_e32 v0, v7, v0
	v_fmamk_f32 v7, v48, 0x37d75334, v35
	v_fmaak_f32 v28, v27, v28, 0xbf000004
	v_fmaak_f32 v7, v48, v7, 0x3d2aabf7
	v_fma_f32 v50, v27, v28, 1.0
	v_fmaak_f32 v28, v48, v7, 0xbf000004
	v_fmamk_f32 v7, v48, 0xb94c1982, v34
	v_fmaak_f32 v7, v48, v7, 0xbe2aaa9d
	v_cmp_ngt_f32_e32 vcc, s64, v24
	v_mul_f32_e32 v7, v48, v7
	v_fmac_f32_e32 v26, v26, v7
	v_cndmask_b32_e32 v11, 0, v11, vcc
	v_cmp_nlt_f32_e32 vcc, s65, v24
	v_mov_b32_e32 v7, v29
	v_pk_fma_f32 v[28:29], v[48:49], v[28:29], v[6:7]
	v_cndmask_b32_e32 v24, v40, v11, vcc
	v_lshlrev_b32_e32 v11, 30, v8
	v_and_b32_e32 v8, 1, v8
	v_cmp_eq_u32_e32 vcc, 0, v13
	v_and_b32_e32 v11, 0x80000000, v11
	s_nop 0
	v_cndmask_b32_e32 v7, v50, v29, vcc
	v_cmp_eq_u32_e32 vcc, 0, v8
	v_xor_b32_e32 v0, v0, v7
	s_nop 0
	v_cndmask_b32_e64 v8, -v26, v28, vcc
	v_xor_b32_e32 v7, v11, v8
	v_cmp_class_f32_e64 vcc, v25, s49
	s_nop 1
	v_cndmask_b32_e32 v27, v10, v0, vcc
	v_cndmask_b32_e32 v26, v10, v7, vcc
	v_pk_mul_f32 v[24:25], v[24:25], v[26:27] op_sel_hi:[0,1]
	v_max_f32_e64 v0, |v24|, |v25|
	v_cvt_f64_f32_e32 v[26:27], v0
	v_frexp_exp_i32_f64_e32 v7, v[26:27]
	v_sub_u32_e32 v8, 0, v7
	v_ldexp_f32 v11, |v24|, v8
	v_ldexp_f32 v8, |v25|, v8
	v_mul_f32_e32 v8, v8, v8
	v_fmac_f32_e32 v8, v11, v11
	v_sqrt_f32_e32 v8, v8
	v_cmp_eq_f32_e32 vcc, s66, v0
	v_add_f32_e32 v0, 1.0, v24
                                        ; implicit-def: $vgpr26
	v_ldexp_f32 v8, v8, v7
	v_cmp_ngt_f32_e64 s[8:9], 0.5, v8
	v_max_f32_e64 v7, |v0|, |v25|
	s_or_b64 s[8:9], vcc, s[8:9]
	s_and_saveexec_b64 s[10:11], s[8:9]
	s_xor_b64 s[10:11], exec, s[10:11]
	s_cbranch_execz .LBB347_212
; %bb.211:                              ;   in Loop: Header=BB347_191 Depth=3
	v_cvt_f64_f32_e32 v[26:27], v7
	v_frexp_exp_i32_f64_e32 v8, v[26:27]
	v_sub_u32_e32 v11, 0, v8
	v_ldexp_f32 v13, |v0|, v11
	v_ldexp_f32 v11, |v25|, v11
	v_mul_f32_e32 v11, v11, v11
	v_fmac_f32_e32 v11, v13, v13
	v_sqrt_f32_e32 v11, v11
	v_cmp_neq_f32_e32 vcc, s66, v7
	v_ldexp_f32 v8, v11, v8
	s_nop 0
	v_cndmask_b32_e32 v8, v40, v8, vcc
	v_cmp_gt_f32_e32 vcc, s52, v8
	s_nop 1
	v_cndmask_b32_e64 v11, 0, 32, vcc
	v_ldexp_f32 v8, v8, v11
	v_log_f32_e32 v8, v8
	s_nop 0
	v_mul_f32_e32 v11, 0x3f317217, v8
	v_fma_f32 v11, v8, s68, -v11
	v_fmac_f32_e32 v11, 0x3377d1cf, v8
	v_fmac_f32_e32 v11, 0x3f317217, v8
	v_cmp_lt_f32_e64 s[8:9], |v8|, s66
	s_nop 1
	v_cndmask_b32_e64 v8, v8, v11, s[8:9]
	v_cndmask_b32_e32 v11, 0, v41, vcc
	v_sub_f32_e32 v26, v8, v11
.LBB347_212:                            ;   in Loop: Header=BB347_191 Depth=3
	s_andn2_saveexec_b64 s[8:9], s[10:11]
	s_cbranch_execz .LBB347_216
; %bb.213:                              ;   in Loop: Header=BB347_191 Depth=3
	v_add_f32_e32 v26, 2.0, v24
	v_mov_b32_e32 v27, v25
	v_pk_mul_f32 v[26:27], v[24:25], v[26:27]
	s_nop 0
	v_add_f32_e32 v8, v26, v27
	v_cmp_neq_f32_e32 vcc, 0, v8
	s_and_saveexec_b64 s[10:11], vcc
	s_cbranch_execz .LBB347_215
; %bb.214:                              ;   in Loop: Header=BB347_191 Depth=3
	v_add_f32_e32 v11, 1.0, v8
	v_add_f32_e32 v13, -1.0, v11
	v_sub_f32_e32 v24, v13, v11
	v_add_f32_e32 v24, 1.0, v24
	v_sub_f32_e32 v13, v8, v13
	v_add_f32_e32 v13, v13, v24
	v_frexp_mant_f32_e32 v24, v11
	v_cvt_f64_f32_e32 v[26:27], v11
	v_frexp_exp_i32_f64_e32 v26, v[26:27]
	v_cmp_gt_f32_e32 vcc, s69, v24
	s_nop 1
	v_subbrev_co_u32_e32 v24, vcc, 0, v26, vcc
	v_sub_u32_e32 v26, 0, v24
	v_ldexp_f32 v11, v11, v26
	v_ldexp_f32 v13, v13, v26
	v_add_f32_e32 v26, -1.0, v11
	v_add_f32_e32 v27, 1.0, v26
	v_sub_f32_e32 v27, v11, v27
	v_add_f32_e32 v28, v13, v27
	v_add_f32_e32 v27, 1.0, v11
	v_add_f32_e32 v29, -1.0, v27
	v_sub_f32_e32 v11, v11, v29
	v_add_f32_e32 v11, v13, v11
	v_add_f32_e32 v13, v27, v11
	v_rcp_f32_e32 v52, v13
	v_sub_f32_e32 v27, v13, v27
	v_sub_f32_e32 v11, v11, v27
	v_add_f32_e32 v27, v26, v28
	v_sub_f32_e32 v26, v27, v26
	v_mul_f32_e32 v54, v27, v52
	v_sub_f32_e32 v53, v28, v26
	v_mul_f32_e32 v28, v13, v54
	v_fma_f32 v48, v54, v13, -v28
	v_fmac_f32_e32 v48, v54, v11
	v_add_f32_e32 v26, v28, v48
	v_sub_f32_e32 v29, v27, v26
	v_pk_add_f32 v[50:51], v[26:27], v[28:29] neg_lo:[0,1] neg_hi:[0,1]
	v_mov_b32_e32 v49, v26
	v_pk_add_f32 v[26:27], v[50:51], v[48:49] neg_lo:[0,1] neg_hi:[0,1]
	v_cmp_neq_f32_e32 vcc, s66, v8
	v_add_f32_e32 v27, v53, v27
	v_add_f32_e32 v26, v26, v27
	;; [unrolled: 1-line block ×3, first 2 shown]
	v_mul_f32_e32 v53, v52, v27
	v_mul_f32_e32 v28, v13, v53
	v_fma_f32 v48, v53, v13, -v28
	v_fmac_f32_e32 v48, v53, v11
	v_sub_f32_e32 v11, v29, v27
	v_add_f32_e32 v11, v26, v11
	v_add_f32_e32 v26, v28, v48
	v_sub_f32_e32 v29, v27, v26
	v_pk_add_f32 v[50:51], v[26:27], v[28:29] neg_lo:[0,1] neg_hi:[0,1]
	v_mov_b32_e32 v49, v26
	v_pk_add_f32 v[26:27], v[50:51], v[48:49] neg_lo:[0,1] neg_hi:[0,1]
	s_nop 0
	v_add_f32_e32 v11, v11, v27
	v_add_f32_e32 v11, v26, v11
	;; [unrolled: 1-line block ×4, first 2 shown]
	v_sub_f32_e32 v13, v27, v54
	v_mul_f32_e32 v11, v52, v11
	v_sub_f32_e32 v13, v53, v13
	v_add_f32_e32 v11, v13, v11
	v_add_f32_e32 v28, v27, v11
	v_cvt_f32_i32_e32 v26, v24
	v_mul_f32_e32 v48, v28, v28
	v_fmamk_f32 v13, v48, 0x3e9b6dac, v36
	v_fmaak_f32 v13, v48, v13, 0x3f2aaada
	v_sub_f32_e32 v24, v28, v27
	v_mul_f32_e32 v27, v28, v48
	v_pk_mul_f32 v[48:49], v[26:27], v[12:13]
	v_ldexp_f32 v29, v28, 1
	v_fma_f32 v28, v26, s70, -v48
	v_fmac_f32_e32 v28, 0xb102e308, v26
	v_pk_add_f32 v[26:27], v[48:49], v[28:29]
	v_sub_f32_e32 v11, v11, v24
	v_sub_f32_e32 v13, v27, v29
	v_ldexp_f32 v11, v11, 1
	v_sub_f32_e32 v13, v49, v13
	v_add_f32_e32 v51, v11, v13
	v_mov_b32_e32 v50, v48
	v_pk_add_f32 v[48:49], v[26:27], v[48:49] neg_lo:[0,1] neg_hi:[0,1]
	v_pk_add_f32 v[52:53], v[26:27], v[50:51]
	v_mov_b32_e32 v29, v26
	v_mov_b32_e32 v49, v53
	v_pk_add_f32 v[54:55], v[28:29], v[48:49] neg_lo:[0,1] neg_hi:[0,1]
	v_pk_add_f32 v[28:29], v[28:29], v[48:49]
	v_mov_b32_e32 v50, v51
	v_pk_add_f32 v[48:49], v[28:29], v[26:27] op_sel:[1,0] op_sel_hi:[0,1] neg_lo:[0,1] neg_hi:[0,1]
	v_pk_add_f32 v[56:57], v[52:53], v[48:49] op_sel_hi:[1,0] neg_lo:[0,1] neg_hi:[0,1]
	v_mov_b32_e32 v52, v53
	v_mov_b32_e32 v53, v29
	v_pk_mov_b32 v[48:49], v[26:27], v[48:49] op_sel:[1,0]
	v_mov_b32_e32 v51, v26
	v_pk_add_f32 v[48:49], v[52:53], v[48:49] neg_lo:[0,1] neg_hi:[0,1]
	v_mov_b32_e32 v56, v54
	v_pk_add_f32 v[26:27], v[50:51], v[48:49] neg_lo:[0,1] neg_hi:[0,1]
	v_mov_b32_e32 v55, v29
	v_pk_add_f32 v[48:49], v[56:57], v[26:27]
	s_nop 0
	v_pk_add_f32 v[50:51], v[48:49], v[48:49] op_sel:[0,1] op_sel_hi:[1,0]
	s_nop 0
	v_pk_add_f32 v[28:29], v[28:29], v[50:51] op_sel:[1,0] op_sel_hi:[0,1]
	v_mov_b32_e32 v49, v28
	v_pk_add_f32 v[52:53], v[48:49], v[54:55] neg_lo:[0,1] neg_hi:[0,1]
	v_mov_b32_e32 v27, v50
	v_sub_f32_e32 v11, v48, v52
	v_pk_add_f32 v[26:27], v[26:27], v[52:53] neg_lo:[0,1] neg_hi:[0,1]
	v_sub_f32_e32 v11, v54, v11
	v_add_f32_e32 v11, v26, v11
	v_add_f32_e32 v11, v11, v27
	;; [unrolled: 1-line block ×3, first 2 shown]
	v_cndmask_b32_e32 v11, v40, v11, vcc
	v_cmp_ngt_f32_e32 vcc, -1.0, v8
	s_nop 1
	v_cndmask_b32_e32 v11, v10, v11, vcc
	v_cmp_neq_f32_e32 vcc, -1.0, v8
	s_nop 1
	v_cndmask_b32_e32 v11, v42, v11, vcc
	v_cmp_lt_f32_e64 vcc, |v8|, s71
	s_nop 1
	v_cndmask_b32_e32 v8, v11, v8, vcc
	v_mul_f32_e32 v24, 0.5, v8
.LBB347_215:                            ;   in Loop: Header=BB347_191 Depth=3
	s_or_b64 exec, exec, s[10:11]
	v_mov_b32_e32 v26, v24
.LBB347_216:                            ;   in Loop: Header=BB347_191 Depth=3
	s_or_b64 exec, exec, s[8:9]
	v_max_f32_e64 v13, |v25|, |v25|
	v_max_f32_e64 v24, |v0|, |v0|
	v_min_f32_e32 v13, v24, v13
	v_frexp_mant_f32_e32 v24, v7
	v_rcp_f32_e32 v24, v24
	v_frexp_exp_i32_f32_e32 v7, v7
	v_frexp_exp_i32_f32_e32 v27, v13
	v_frexp_mant_f32_e32 v13, v13
	v_mul_f32_e32 v13, v13, v24
	v_sub_u32_e32 v7, v27, v7
	v_ldexp_f32 v7, v13, v7
	v_mul_f32_e32 v13, v7, v7
	v_fmamk_f32 v24, v13, 0x3b2d2a58, v37
	v_fmaak_f32 v24, v13, v24, 0x3d29fb3f
	v_fmaak_f32 v24, v13, v24, 0xbd97d4d7
	;; [unrolled: 1-line block ×6, first 2 shown]
	v_mul_f32_e32 v13, v13, v24
	v_cmp_gt_i32_e64 s[8:9], 0, v0
	v_fmac_f32_e32 v7, v7, v13
	v_sub_f32_e32 v13, 0x3fc90fdb, v7
	v_cndmask_b32_e64 v11, 0, v45, s[8:9]
	v_cmp_gt_f32_e64 s[8:9], |v25|, |v0|
	v_cmp_gt_f32_e32 vcc, 0, v0
	v_cmp_class_f32_e64 s[10:11], v25, s72
	v_cndmask_b32_e64 v7, v7, v13, s[8:9]
	v_sub_f32_e32 v13, 0x40490fdb, v7
	v_cmp_class_f32_e64 s[12:13], v0, s72
	v_cndmask_b32_e32 v8, v43, v44, vcc
	v_cndmask_b32_e32 v7, v7, v13, vcc
	v_cmp_eq_f32_e32 vcc, 0, v25
	s_nop 1
	v_cndmask_b32_e32 v7, v7, v11, vcc
	s_and_b64 vcc, s[12:13], s[10:11]
	v_cndmask_b32_e32 v7, v7, v8, vcc
	v_cmp_o_f32_e32 vcc, v0, v25
	s_nop 1
	v_cndmask_b32_e32 v0, v10, v7, vcc
	v_bfi_b32 v27, s50, v0, v25
	v_pk_add_f32 v[24:25], v[22:23], v[26:27]
                                        ; implicit-def: $vgpr27
                                        ; implicit-def: $vgpr23
.LBB347_217:                            ;   in Loop: Header=BB347_191 Depth=3
	s_andn2_saveexec_b64 s[40:41], s[40:41]
	s_cbranch_execz .LBB347_188
; %bb.218:                              ;   in Loop: Header=BB347_191 Depth=3
	v_cmp_ngt_f32_e32 vcc, 0, v24
	s_and_saveexec_b64 s[42:43], vcc
	s_cbranch_execz .LBB347_187
; %bb.219:                              ;   in Loop: Header=BB347_191 Depth=3
	v_and_b32_e32 v7, 0x7fffffff, v25
	v_lshrrev_b32_e32 v0, 23, v7
	v_and_b32_e32 v8, 0x7fffff, v7
	v_cmp_nlt_f32_e64 s[44:45], |v25|, s51
	v_add_u32_e32 v26, 0xffffff88, v0
	v_or_b32_e32 v24, 0x800000, v8
                                        ; implicit-def: $vgpr11
                                        ; implicit-def: $vgpr8
	s_and_saveexec_b64 s[8:9], s[44:45]
	s_xor_b64 s[46:47], exec, s[8:9]
	s_cbranch_execz .LBB347_221
; %bb.220:                              ;   in Loop: Header=BB347_191 Depth=3
	v_cmp_lt_u32_e32 vcc, 63, v26
	v_mad_u64_u32 v[28:29], s[12:13], v24, s53, 0
	s_nop 0
	v_cndmask_b32_e32 v0, 0, v38, vcc
	v_add_u32_e32 v0, v0, v26
	v_cmp_lt_u32_e64 s[8:9], 31, v0
	s_nop 1
	v_cndmask_b32_e64 v8, 0, v39, s[8:9]
	v_add_u32_e32 v0, v8, v0
	v_cmp_lt_u32_e64 s[10:11], 31, v0
	s_nop 1
	v_cndmask_b32_e64 v8, 0, v39, s[10:11]
	v_add_u32_e32 v8, v8, v0
	v_mov_b32_e32 v0, v29
	v_mad_u64_u32 v[48:49], s[12:13], v24, s54, v[0:1]
	v_mov_b32_e32 v0, v49
	v_mad_u64_u32 v[50:51], s[12:13], v24, s55, v[0:1]
	;; [unrolled: 2-line block ×6, first 2 shown]
	v_cndmask_b32_e32 v11, v56, v52, vcc
	v_cndmask_b32_e32 v0, v58, v54, vcc
	;; [unrolled: 1-line block ×3, first 2 shown]
	v_cndmask_b32_e64 v13, v0, v11, s[8:9]
	v_cndmask_b32_e64 v0, v22, v0, s[8:9]
	v_cndmask_b32_e32 v22, v54, v50, vcc
	v_cndmask_b32_e64 v11, v11, v22, s[8:9]
	v_sub_u32_e32 v29, 32, v8
	v_cmp_eq_u32_e64 s[12:13], 0, v8
	v_cndmask_b32_e32 v8, v52, v48, vcc
	v_cndmask_b32_e64 v0, v0, v13, s[10:11]
	v_cndmask_b32_e64 v13, v13, v11, s[10:11]
	;; [unrolled: 1-line block ×3, first 2 shown]
	v_alignbit_b32 v49, v0, v13, v29
	v_cndmask_b32_e64 v11, v11, v22, s[10:11]
	v_cndmask_b32_e64 v0, v49, v0, s[12:13]
	v_alignbit_b32 v48, v13, v11, v29
	v_cndmask_b32_e32 v28, v50, v28, vcc
	v_cndmask_b32_e64 v13, v48, v13, s[12:13]
	v_bfe_u32 v51, v0, 29, 1
	v_cndmask_b32_e64 v8, v8, v28, s[8:9]
	v_alignbit_b32 v48, v0, v13, 30
	v_sub_u32_e32 v52, 0, v51
	v_cndmask_b32_e64 v8, v22, v8, s[10:11]
	v_xor_b32_e32 v48, v48, v52
	v_alignbit_b32 v22, v11, v8, v29
	v_cndmask_b32_e64 v11, v22, v11, s[12:13]
	v_ffbh_u32_e32 v22, v48
	v_alignbit_b32 v13, v13, v11, 30
	v_min_u32_e32 v22, 32, v22
	v_alignbit_b32 v8, v11, v8, 30
	v_xor_b32_e32 v13, v13, v52
	v_sub_u32_e32 v28, 31, v22
	v_xor_b32_e32 v8, v8, v52
	v_alignbit_b32 v29, v48, v13, v28
	v_alignbit_b32 v8, v13, v8, v28
	v_alignbit_b32 v11, v29, v8, 9
	v_ffbh_u32_e32 v13, v11
	v_min_u32_e32 v13, 32, v13
	v_lshrrev_b32_e32 v49, 29, v0
	v_not_b32_e32 v28, v13
	v_alignbit_b32 v8, v11, v8, v28
	v_lshlrev_b32_e32 v11, 31, v49
	v_or_b32_e32 v28, 0x33000000, v11
	v_add_lshl_u32 v13, v13, v22, 23
	v_lshrrev_b32_e32 v8, 9, v8
	v_sub_u32_e32 v13, v28, v13
	v_or_b32_e32 v11, 0.5, v11
	v_lshlrev_b32_e32 v22, 23, v22
	v_or_b32_e32 v8, v13, v8
	v_lshrrev_b32_e32 v13, 9, v29
	v_sub_u32_e32 v11, v11, v22
	v_or_b32_e32 v11, v13, v11
	v_mul_f32_e32 v13, 0x3fc90fda, v11
	v_fma_f32 v22, v11, s60, -v13
	v_fmac_f32_e32 v22, 0x33a22168, v11
	v_fmac_f32_e32 v22, 0x3fc90fda, v8
	v_lshrrev_b32_e32 v0, 30, v0
	v_add_f32_e32 v8, v13, v22
	v_add_u32_e32 v11, v51, v0
.LBB347_221:                            ;   in Loop: Header=BB347_191 Depth=3
	s_or_saveexec_b64 s[8:9], s[46:47]
	v_mul_f32_e64 v0, |v25|, s61
	v_rndne_f32_e32 v0, v0
	s_xor_b64 exec, exec, s[8:9]
; %bb.222:                              ;   in Loop: Header=BB347_191 Depth=3
	v_cvt_i32_f32_e32 v11, v0
	v_fma_f32 v8, v0, s62, |v25|
	v_fmac_f32_e32 v8, 0xb3a22168, v0
	v_fmac_f32_e32 v8, 0xa7c234c4, v0
; %bb.223:                              ;   in Loop: Header=BB347_191 Depth=3
	s_or_b64 exec, exec, s[8:9]
                                        ; implicit-def: $vgpr13
                                        ; implicit-def: $vgpr22
	s_and_saveexec_b64 s[8:9], s[44:45]
	s_xor_b64 s[44:45], exec, s[8:9]
	s_cbranch_execz .LBB347_225
; %bb.224:                              ;   in Loop: Header=BB347_191 Depth=3
	v_cmp_lt_u32_e32 vcc, 63, v26
	v_mad_u64_u32 v[28:29], s[12:13], v24, s53, 0
	s_nop 0
	v_cndmask_b32_e32 v0, 0, v38, vcc
	v_add_u32_e32 v0, v0, v26
	v_cmp_lt_u32_e64 s[8:9], 31, v0
	s_nop 1
	v_cndmask_b32_e64 v13, 0, v39, s[8:9]
	v_add_u32_e32 v0, v13, v0
	v_cmp_lt_u32_e64 s[10:11], 31, v0
	s_nop 1
	v_cndmask_b32_e64 v13, 0, v39, s[10:11]
	v_add_u32_e32 v13, v13, v0
	v_mov_b32_e32 v0, v29
	v_mad_u64_u32 v[48:49], s[12:13], v24, s54, v[0:1]
	v_mov_b32_e32 v0, v49
	v_mad_u64_u32 v[50:51], s[12:13], v24, s55, v[0:1]
	v_mov_b32_e32 v0, v51
	v_mad_u64_u32 v[52:53], s[12:13], v24, s56, v[0:1]
	v_mov_b32_e32 v0, v53
	v_mad_u64_u32 v[54:55], s[12:13], v24, s57, v[0:1]
	v_mov_b32_e32 v0, v55
	v_mad_u64_u32 v[56:57], s[12:13], v24, s58, v[0:1]
	v_mov_b32_e32 v0, v57
	v_mad_u64_u32 v[58:59], s[12:13], v24, s59, v[0:1]
	v_cndmask_b32_e32 v22, v56, v52, vcc
	v_cndmask_b32_e32 v0, v58, v54, vcc
	;; [unrolled: 1-line block ×3, first 2 shown]
	v_cndmask_b32_e64 v24, v0, v22, s[8:9]
	v_cndmask_b32_e64 v0, v26, v0, s[8:9]
	v_cndmask_b32_e32 v26, v54, v50, vcc
	v_cndmask_b32_e64 v22, v22, v26, s[8:9]
	v_sub_u32_e32 v29, 32, v13
	v_cmp_eq_u32_e64 s[12:13], 0, v13
	v_cndmask_b32_e32 v13, v52, v48, vcc
	v_cndmask_b32_e64 v0, v0, v24, s[10:11]
	v_cndmask_b32_e64 v24, v24, v22, s[10:11]
	;; [unrolled: 1-line block ×3, first 2 shown]
	v_alignbit_b32 v49, v0, v24, v29
	v_cndmask_b32_e64 v22, v22, v26, s[10:11]
	v_cndmask_b32_e64 v0, v49, v0, s[12:13]
	v_alignbit_b32 v48, v24, v22, v29
	v_cndmask_b32_e32 v28, v50, v28, vcc
	v_cndmask_b32_e64 v24, v48, v24, s[12:13]
	v_bfe_u32 v51, v0, 29, 1
	v_cndmask_b32_e64 v13, v13, v28, s[8:9]
	v_alignbit_b32 v48, v0, v24, 30
	v_sub_u32_e32 v52, 0, v51
	v_cndmask_b32_e64 v13, v26, v13, s[10:11]
	v_xor_b32_e32 v48, v48, v52
	v_alignbit_b32 v26, v22, v13, v29
	v_cndmask_b32_e64 v22, v26, v22, s[12:13]
	v_ffbh_u32_e32 v26, v48
	v_alignbit_b32 v24, v24, v22, 30
	v_min_u32_e32 v26, 32, v26
	v_alignbit_b32 v13, v22, v13, 30
	v_xor_b32_e32 v24, v24, v52
	v_sub_u32_e32 v28, 31, v26
	v_xor_b32_e32 v13, v13, v52
	v_alignbit_b32 v29, v48, v24, v28
	v_alignbit_b32 v13, v24, v13, v28
	;; [unrolled: 1-line block ×3, first 2 shown]
	v_ffbh_u32_e32 v24, v22
	v_min_u32_e32 v24, 32, v24
	v_lshrrev_b32_e32 v49, 29, v0
	v_not_b32_e32 v28, v24
	v_alignbit_b32 v13, v22, v13, v28
	v_lshlrev_b32_e32 v22, 31, v49
	v_or_b32_e32 v28, 0x33000000, v22
	v_add_lshl_u32 v24, v24, v26, 23
	v_lshrrev_b32_e32 v13, 9, v13
	v_sub_u32_e32 v24, v28, v24
	v_or_b32_e32 v22, 0.5, v22
	v_lshlrev_b32_e32 v26, 23, v26
	v_or_b32_e32 v13, v24, v13
	v_lshrrev_b32_e32 v24, 9, v29
	v_sub_u32_e32 v22, v22, v26
	v_or_b32_e32 v22, v24, v22
	v_mul_f32_e32 v24, 0x3fc90fda, v22
	v_fma_f32 v26, v22, s60, -v24
	v_fmac_f32_e32 v26, 0x33a22168, v22
	v_fmac_f32_e32 v26, 0x3fc90fda, v13
	v_lshrrev_b32_e32 v0, 30, v0
	v_add_f32_e32 v22, v24, v26
	v_add_u32_e32 v13, v51, v0
                                        ; implicit-def: $vgpr0
	s_andn2_saveexec_b64 s[8:9], s[44:45]
	s_cbranch_execnz .LBB347_226
	s_branch .LBB347_227
.LBB347_225:                            ;   in Loop: Header=BB347_191 Depth=3
	s_andn2_saveexec_b64 s[8:9], s[44:45]
.LBB347_226:                            ;   in Loop: Header=BB347_191 Depth=3
	v_cvt_i32_f32_e32 v13, v0
	v_fma_f32 v22, v0, s62, |v25|
	v_fmac_f32_e32 v22, 0xb3a22168, v0
	v_fmac_f32_e32 v22, 0xa7c234c4, v0
.LBB347_227:                            ;   in Loop: Header=BB347_191 Depth=3
	s_or_b64 exec, exec, s[8:9]
	v_and_b32_e32 v24, 0x7fffffff, v23
	v_lshrrev_b32_e32 v0, 23, v24
	v_and_b32_e32 v26, 0x7fffff, v24
	v_cmp_nlt_f32_e64 s[44:45], |v23|, s51
	v_add_u32_e32 v48, 0xffffff88, v0
	v_or_b32_e32 v29, 0x800000, v26
                                        ; implicit-def: $vgpr28
                                        ; implicit-def: $vgpr26
	s_and_saveexec_b64 s[8:9], s[44:45]
	s_xor_b64 s[46:47], exec, s[8:9]
	s_cbranch_execz .LBB347_229
; %bb.228:                              ;   in Loop: Header=BB347_191 Depth=3
	v_cmp_lt_u32_e32 vcc, 63, v48
	v_mad_u64_u32 v[50:51], s[12:13], v29, s53, 0
	s_nop 0
	v_cndmask_b32_e32 v0, 0, v38, vcc
	v_add_u32_e32 v0, v0, v48
	v_cmp_lt_u32_e64 s[8:9], 31, v0
	s_nop 1
	v_cndmask_b32_e64 v26, 0, v39, s[8:9]
	v_add_u32_e32 v0, v26, v0
	v_cmp_lt_u32_e64 s[10:11], 31, v0
	s_nop 1
	v_cndmask_b32_e64 v26, 0, v39, s[10:11]
	v_add_u32_e32 v26, v26, v0
	v_mov_b32_e32 v0, v51
	v_mad_u64_u32 v[52:53], s[12:13], v29, s54, v[0:1]
	v_mov_b32_e32 v0, v53
	v_mad_u64_u32 v[54:55], s[12:13], v29, s55, v[0:1]
	;; [unrolled: 2-line block ×6, first 2 shown]
	v_cndmask_b32_e32 v28, v60, v56, vcc
	v_cndmask_b32_e32 v0, v62, v58, vcc
	;; [unrolled: 1-line block ×3, first 2 shown]
	v_cndmask_b32_e64 v49, v0, v28, s[8:9]
	v_cndmask_b32_e64 v0, v51, v0, s[8:9]
	v_cndmask_b32_e32 v51, v58, v54, vcc
	v_cndmask_b32_e64 v28, v28, v51, s[8:9]
	v_sub_u32_e32 v53, 32, v26
	v_cmp_eq_u32_e64 s[12:13], 0, v26
	v_cndmask_b32_e32 v26, v56, v52, vcc
	v_cndmask_b32_e64 v0, v0, v49, s[10:11]
	v_cndmask_b32_e64 v49, v49, v28, s[10:11]
	;; [unrolled: 1-line block ×3, first 2 shown]
	v_alignbit_b32 v55, v0, v49, v53
	v_cndmask_b32_e64 v28, v28, v51, s[10:11]
	v_cndmask_b32_e64 v0, v55, v0, s[12:13]
	v_alignbit_b32 v52, v49, v28, v53
	v_cndmask_b32_e32 v50, v54, v50, vcc
	v_cndmask_b32_e64 v49, v52, v49, s[12:13]
	v_bfe_u32 v56, v0, 29, 1
	v_cndmask_b32_e64 v26, v26, v50, s[8:9]
	v_alignbit_b32 v52, v0, v49, 30
	v_sub_u32_e32 v57, 0, v56
	v_cndmask_b32_e64 v26, v51, v26, s[10:11]
	v_xor_b32_e32 v52, v52, v57
	v_alignbit_b32 v50, v28, v26, v53
	v_cndmask_b32_e64 v28, v50, v28, s[12:13]
	v_ffbh_u32_e32 v50, v52
	v_alignbit_b32 v49, v49, v28, 30
	v_min_u32_e32 v50, 32, v50
	v_alignbit_b32 v26, v28, v26, 30
	v_xor_b32_e32 v49, v49, v57
	v_sub_u32_e32 v51, 31, v50
	v_xor_b32_e32 v26, v26, v57
	v_alignbit_b32 v52, v52, v49, v51
	v_alignbit_b32 v26, v49, v26, v51
	;; [unrolled: 1-line block ×3, first 2 shown]
	v_ffbh_u32_e32 v49, v28
	v_min_u32_e32 v49, 32, v49
	v_lshrrev_b32_e32 v55, 29, v0
	v_not_b32_e32 v51, v49
	v_alignbit_b32 v26, v28, v26, v51
	v_lshlrev_b32_e32 v28, 31, v55
	v_or_b32_e32 v51, 0x33000000, v28
	v_add_lshl_u32 v49, v49, v50, 23
	v_lshrrev_b32_e32 v26, 9, v26
	v_sub_u32_e32 v49, v51, v49
	v_or_b32_e32 v28, 0.5, v28
	v_lshlrev_b32_e32 v50, 23, v50
	v_or_b32_e32 v26, v49, v26
	v_lshrrev_b32_e32 v49, 9, v52
	v_sub_u32_e32 v28, v28, v50
	v_or_b32_e32 v28, v49, v28
	v_mul_f32_e32 v49, 0x3fc90fda, v28
	v_fma_f32 v50, v28, s60, -v49
	v_fmac_f32_e32 v50, 0x33a22168, v28
	v_fmac_f32_e32 v50, 0x3fc90fda, v26
	v_lshrrev_b32_e32 v0, 30, v0
	v_add_f32_e32 v26, v49, v50
	v_add_u32_e32 v28, v56, v0
.LBB347_229:                            ;   in Loop: Header=BB347_191 Depth=3
	s_or_saveexec_b64 s[8:9], s[46:47]
	v_mul_f32_e64 v0, |v23|, s61
	v_rndne_f32_e32 v50, v0
	s_xor_b64 exec, exec, s[8:9]
; %bb.230:                              ;   in Loop: Header=BB347_191 Depth=3
	v_cvt_i32_f32_e32 v28, v50
	v_fma_f32 v26, v50, s62, |v23|
	v_fmac_f32_e32 v26, 0xb3a22168, v50
	v_fmac_f32_e32 v26, 0xa7c234c4, v50
; %bb.231:                              ;   in Loop: Header=BB347_191 Depth=3
	s_or_b64 exec, exec, s[8:9]
                                        ; implicit-def: $vgpr0
                                        ; implicit-def: $vgpr49
	s_and_saveexec_b64 s[8:9], s[44:45]
	s_xor_b64 s[44:45], exec, s[8:9]
	s_cbranch_execz .LBB347_233
; %bb.232:                              ;   in Loop: Header=BB347_191 Depth=3
	v_cmp_lt_u32_e32 vcc, 63, v48
	s_nop 1
	v_cndmask_b32_e32 v0, 0, v38, vcc
	v_add_u32_e32 v0, v0, v48
	v_cmp_lt_u32_e64 s[8:9], 31, v0
	s_nop 1
	v_cndmask_b32_e64 v48, 0, v39, s[8:9]
	v_add_u32_e32 v0, v48, v0
	v_cmp_lt_u32_e64 s[10:11], 31, v0
	s_nop 1
	v_cndmask_b32_e64 v48, 0, v39, s[10:11]
	v_add_u32_e32 v62, v48, v0
	v_mad_u64_u32 v[48:49], s[12:13], v29, s53, 0
	v_mov_b32_e32 v0, v49
	v_mad_u64_u32 v[50:51], s[12:13], v29, s54, v[0:1]
	v_mov_b32_e32 v0, v51
	v_mad_u64_u32 v[52:53], s[12:13], v29, s55, v[0:1]
	v_mov_b32_e32 v0, v53
	v_mad_u64_u32 v[54:55], s[12:13], v29, s56, v[0:1]
	v_mov_b32_e32 v0, v55
	v_mad_u64_u32 v[56:57], s[12:13], v29, s57, v[0:1]
	v_mov_b32_e32 v0, v57
	v_mad_u64_u32 v[58:59], s[12:13], v29, s58, v[0:1]
	v_mov_b32_e32 v0, v59
	v_mad_u64_u32 v[60:61], s[12:13], v29, s59, v[0:1]
	v_cndmask_b32_e32 v49, v58, v54, vcc
	v_cndmask_b32_e32 v0, v60, v56, vcc
	;; [unrolled: 1-line block ×3, first 2 shown]
	v_cndmask_b32_e64 v29, v0, v49, s[8:9]
	v_cndmask_b32_e64 v0, v51, v0, s[8:9]
	v_cndmask_b32_e32 v51, v56, v52, vcc
	v_cndmask_b32_e64 v49, v49, v51, s[8:9]
	v_cndmask_b32_e32 v50, v54, v50, vcc
	v_cndmask_b32_e64 v0, v0, v29, s[10:11]
	v_cndmask_b32_e64 v29, v29, v49, s[10:11]
	v_sub_u32_e32 v53, 32, v62
	v_cndmask_b32_e64 v51, v51, v50, s[8:9]
	v_alignbit_b32 v55, v0, v29, v53
	v_cmp_eq_u32_e64 s[12:13], 0, v62
	v_cndmask_b32_e64 v49, v49, v51, s[10:11]
	v_alignbit_b32 v54, v29, v49, v53
	v_cndmask_b32_e64 v0, v55, v0, s[12:13]
	v_cndmask_b32_e32 v48, v52, v48, vcc
	v_cndmask_b32_e64 v29, v54, v29, s[12:13]
	v_bfe_u32 v56, v0, 29, 1
	v_cndmask_b32_e64 v48, v50, v48, s[8:9]
	v_alignbit_b32 v54, v0, v29, 30
	v_sub_u32_e32 v57, 0, v56
	v_cndmask_b32_e64 v48, v51, v48, s[10:11]
	v_xor_b32_e32 v54, v54, v57
	v_alignbit_b32 v50, v49, v48, v53
	v_cndmask_b32_e64 v49, v50, v49, s[12:13]
	v_ffbh_u32_e32 v50, v54
	v_alignbit_b32 v29, v29, v49, 30
	v_min_u32_e32 v50, 32, v50
	v_alignbit_b32 v48, v49, v48, 30
	v_xor_b32_e32 v29, v29, v57
	v_sub_u32_e32 v51, 31, v50
	v_xor_b32_e32 v48, v48, v57
	v_alignbit_b32 v52, v54, v29, v51
	v_alignbit_b32 v29, v29, v48, v51
	;; [unrolled: 1-line block ×3, first 2 shown]
	v_ffbh_u32_e32 v49, v48
	v_min_u32_e32 v49, 32, v49
	v_lshrrev_b32_e32 v55, 29, v0
	v_not_b32_e32 v51, v49
	v_alignbit_b32 v29, v48, v29, v51
	v_lshlrev_b32_e32 v48, 31, v55
	v_or_b32_e32 v51, 0x33000000, v48
	v_add_lshl_u32 v49, v49, v50, 23
	v_lshrrev_b32_e32 v29, 9, v29
	v_sub_u32_e32 v49, v51, v49
	v_or_b32_e32 v48, 0.5, v48
	v_lshlrev_b32_e32 v50, 23, v50
	v_or_b32_e32 v29, v49, v29
	v_lshrrev_b32_e32 v49, 9, v52
	v_sub_u32_e32 v48, v48, v50
	v_or_b32_e32 v48, v49, v48
	v_mul_f32_e32 v49, 0x3fc90fda, v48
	v_fma_f32 v50, v48, s60, -v49
	v_fmac_f32_e32 v50, 0x33a22168, v48
	v_fmac_f32_e32 v50, 0x3fc90fda, v29
	v_lshrrev_b32_e32 v0, 30, v0
	v_add_f32_e32 v49, v49, v50
	v_add_u32_e32 v0, v56, v0
                                        ; implicit-def: $vgpr50
	s_andn2_saveexec_b64 s[8:9], s[44:45]
	s_cbranch_execnz .LBB347_234
	s_branch .LBB347_235
.LBB347_233:                            ;   in Loop: Header=BB347_191 Depth=3
	s_andn2_saveexec_b64 s[8:9], s[44:45]
.LBB347_234:                            ;   in Loop: Header=BB347_191 Depth=3
	v_cvt_i32_f32_e32 v0, v50
	v_fma_f32 v49, v50, s62, |v23|
	v_fmac_f32_e32 v49, 0xb3a22168, v50
	v_fmac_f32_e32 v49, 0xa7c234c4, v50
.LBB347_235:                            ;   in Loop: Header=BB347_191 Depth=3
	s_or_b64 exec, exec, s[8:9]
	v_mul_f32_e32 v48, v8, v8
	v_fmamk_f32 v50, v48, 0xb94c1982, v34
	v_fmaak_f32 v50, v48, v50, 0xbe2aaa9d
	v_mul_f32_e32 v50, v48, v50
	v_fmac_f32_e32 v8, v8, v50
	v_fmamk_f32 v50, v48, 0x37d75334, v35
	v_fmaak_f32 v50, v48, v50, 0x3d2aabf7
	v_lshlrev_b32_e32 v29, 30, v11
	v_and_b32_e32 v11, 1, v11
	v_fmaak_f32 v50, v48, v50, 0xbf000004
	v_and_b32_e32 v29, 0x80000000, v29
	v_fma_f32 v48, v48, v50, 1.0
	v_cmp_eq_u32_e32 vcc, 0, v11
	v_xor_b32_e32 v7, v7, v27
	v_xor_b32_e32 v7, v7, v29
	v_cndmask_b32_e32 v8, v48, v8, vcc
	v_xor_b32_e32 v7, v7, v8
	v_mul_f32_e32 v8, v22, v22
	v_fmamk_f32 v11, v8, 0xb94c1982, v34
	v_fmaak_f32 v11, v8, v11, 0xbe2aaa9d
	v_mul_f32_e32 v11, v8, v11
	v_fmac_f32_e32 v22, v22, v11
	v_fmamk_f32 v11, v8, 0x37d75334, v35
	v_fmaak_f32 v11, v8, v11, 0x3d2aabf7
	v_fmaak_f32 v11, v8, v11, 0xbf000004
	v_fma_f32 v8, v8, v11, 1.0
	v_and_b32_e32 v11, 1, v13
	v_cmp_eq_u32_e64 s[8:9], 0, v11
	v_lshlrev_b32_e32 v11, 30, v13
	v_mul_f32_e32 v13, v26, v26
	v_cmp_class_f32_e64 vcc, v25, s49
	v_cndmask_b32_e64 v8, -v22, v8, s[8:9]
	v_fmamk_f32 v25, v13, 0xb94c1982, v34
	v_bitop3_b32 v8, v11, v8, s67 bitop3:0x6c
	v_fmaak_f32 v25, v13, v25, 0xbe2aaa9d
	v_cndmask_b32_e32 v8, v10, v8, vcc
	v_mul_f32_e32 v25, v13, v25
	v_cndmask_b32_e32 v7, v10, v7, vcc
	v_mul_f32_e32 v11, 0x7f800000, v8
	v_cmp_neq_f32_e32 vcc, 0, v8
	v_fmac_f32_e32 v26, v26, v25
	v_fmamk_f32 v25, v13, 0x37d75334, v35
	v_cndmask_b32_e32 v11, 0, v11, vcc
	v_mul_f32_e32 v8, 0x7f800000, v7
	v_cmp_neq_f32_e32 vcc, 0, v7
	v_fmaak_f32 v25, v13, v25, 0x3d2aabf7
	v_fmaak_f32 v25, v13, v25, 0xbf000004
	v_cndmask_b32_e32 v22, 0, v8, vcc
	v_and_b32_e32 v8, 1, v28
	v_lshlrev_b32_e32 v7, 30, v28
	v_fma_f32 v13, v13, v25, 1.0
	v_cmp_eq_u32_e32 vcc, 0, v8
	v_and_b32_e32 v7, 0x80000000, v7
	s_nop 0
	v_cndmask_b32_e32 v8, v13, v26, vcc
	v_xor_b32_e32 v13, v24, v23
	v_xor_b32_e32 v7, v13, v7
	;; [unrolled: 1-line block ×3, first 2 shown]
	v_mul_f32_e32 v8, v49, v49
	v_fmamk_f32 v13, v8, 0xb94c1982, v34
	v_fmaak_f32 v13, v8, v13, 0xbe2aaa9d
	v_mul_f32_e32 v13, v8, v13
	v_fmac_f32_e32 v49, v49, v13
	v_fmamk_f32 v13, v8, 0x37d75334, v35
	v_fmaak_f32 v13, v8, v13, 0x3d2aabf7
	v_fmaak_f32 v13, v8, v13, 0xbf000004
	v_fma_f32 v8, v8, v13, 1.0
	v_and_b32_e32 v13, 1, v0
	v_cmp_eq_u32_e64 s[8:9], 0, v13
	v_lshlrev_b32_e32 v0, 30, v0
	v_cmp_class_f32_e64 vcc, v23, s49
	v_cndmask_b32_e64 v8, -v49, v8, s[8:9]
	v_bitop3_b32 v0, v0, v8, s67 bitop3:0x6c
	v_cndmask_b32_e32 v0, v10, v0, vcc
	v_cndmask_b32_e32 v7, v10, v7, vcc
	v_mul_f32_e32 v8, 0x7f800000, v0
	v_cmp_neq_f32_e32 vcc, 0, v0
	s_nop 1
	v_cndmask_b32_e32 v0, 0, v8, vcc
	v_mul_f32_e32 v8, 0x7f800000, v7
	v_cmp_neq_f32_e32 vcc, 0, v7
	v_add_f32_e32 v23, v11, v0
	s_nop 0
	v_cndmask_b32_e32 v8, 0, v8, vcc
	v_pk_add_f32 v[22:23], v[22:23], v[8:9]
	s_nop 0
	v_max_f32_e64 v0, |v23|, |v22|
	v_cvt_f64_f32_e32 v[24:25], v0
	v_frexp_exp_i32_f64_e32 v7, v[24:25]
	v_sub_u32_e32 v8, 0, v7
	v_ldexp_f32 v11, |v23|, v8
	v_ldexp_f32 v8, |v22|, v8
	v_mul_f32_e32 v8, v8, v8
	v_fmac_f32_e32 v8, v11, v11
	v_sqrt_f32_e32 v8, v8
	v_cmp_eq_f32_e32 vcc, s66, v0
	v_add_f32_e32 v0, 1.0, v23
                                        ; implicit-def: $vgpr24
	v_ldexp_f32 v8, v8, v7
	v_cmp_ngt_f32_e64 s[8:9], 0.5, v8
	v_max_f32_e64 v7, |v0|, |v22|
	s_or_b64 s[8:9], vcc, s[8:9]
	s_and_saveexec_b64 s[10:11], s[8:9]
	s_xor_b64 s[10:11], exec, s[10:11]
	s_cbranch_execz .LBB347_237
; %bb.236:                              ;   in Loop: Header=BB347_191 Depth=3
	v_cvt_f64_f32_e32 v[24:25], v7
	v_frexp_exp_i32_f64_e32 v8, v[24:25]
	v_sub_u32_e32 v11, 0, v8
	v_ldexp_f32 v13, |v0|, v11
	v_ldexp_f32 v11, |v22|, v11
	v_mul_f32_e32 v11, v11, v11
	v_fmac_f32_e32 v11, v13, v13
	v_sqrt_f32_e32 v11, v11
	v_cmp_neq_f32_e32 vcc, s66, v7
	v_ldexp_f32 v8, v11, v8
	s_nop 0
	v_cndmask_b32_e32 v8, v40, v8, vcc
	v_cmp_gt_f32_e32 vcc, s52, v8
	s_nop 1
	v_cndmask_b32_e64 v11, 0, 32, vcc
	v_ldexp_f32 v8, v8, v11
	v_log_f32_e32 v8, v8
	s_nop 0
	v_mul_f32_e32 v11, 0x3f317217, v8
	v_fma_f32 v11, v8, s68, -v11
	v_fmac_f32_e32 v11, 0x3377d1cf, v8
	v_fmac_f32_e32 v11, 0x3f317217, v8
	v_cmp_lt_f32_e64 s[8:9], |v8|, s66
	s_nop 1
	v_cndmask_b32_e64 v8, v8, v11, s[8:9]
	v_cndmask_b32_e32 v11, 0, v41, vcc
	v_sub_f32_e32 v24, v8, v11
.LBB347_237:                            ;   in Loop: Header=BB347_191 Depth=3
	s_andn2_saveexec_b64 s[8:9], s[10:11]
	s_cbranch_execz .LBB347_186
; %bb.238:                              ;   in Loop: Header=BB347_191 Depth=3
	v_add_f32_e32 v25, 2.0, v23
	v_mov_b32_e32 v24, v22
	v_pk_mul_f32 v[24:25], v[22:23], v[24:25]
	s_nop 0
	v_add_f32_e32 v8, v24, v25
	v_cmp_neq_f32_e32 vcc, 0, v8
	s_and_saveexec_b64 s[10:11], vcc
	s_cbranch_execz .LBB347_185
; %bb.239:                              ;   in Loop: Header=BB347_191 Depth=3
	v_add_f32_e32 v11, 1.0, v8
	v_add_f32_e32 v13, -1.0, v11
	v_sub_f32_e32 v23, v13, v11
	v_add_f32_e32 v23, 1.0, v23
	v_sub_f32_e32 v13, v8, v13
	v_add_f32_e32 v13, v13, v23
	v_frexp_mant_f32_e32 v23, v11
	v_cvt_f64_f32_e32 v[24:25], v11
	v_frexp_exp_i32_f64_e32 v24, v[24:25]
	v_cmp_gt_f32_e32 vcc, s69, v23
	s_nop 1
	v_subbrev_co_u32_e32 v23, vcc, 0, v24, vcc
	v_sub_u32_e32 v24, 0, v23
	v_ldexp_f32 v11, v11, v24
	v_ldexp_f32 v13, v13, v24
	v_add_f32_e32 v24, -1.0, v11
	v_add_f32_e32 v25, 1.0, v24
	v_sub_f32_e32 v25, v11, v25
	v_add_f32_e32 v26, v13, v25
	v_add_f32_e32 v25, 1.0, v11
	v_add_f32_e32 v27, -1.0, v25
	v_sub_f32_e32 v11, v11, v27
	v_add_f32_e32 v11, v13, v11
	v_add_f32_e32 v13, v25, v11
	v_rcp_f32_e32 v50, v13
	v_sub_f32_e32 v25, v13, v25
	v_sub_f32_e32 v11, v11, v25
	v_add_f32_e32 v25, v24, v26
	v_sub_f32_e32 v24, v25, v24
	v_mul_f32_e32 v52, v25, v50
	v_sub_f32_e32 v51, v26, v24
	v_mul_f32_e32 v26, v13, v52
	v_fma_f32 v28, v52, v13, -v26
	v_fmac_f32_e32 v28, v52, v11
	v_add_f32_e32 v24, v26, v28
	v_sub_f32_e32 v27, v25, v24
	v_pk_add_f32 v[48:49], v[24:25], v[26:27] neg_lo:[0,1] neg_hi:[0,1]
	v_mov_b32_e32 v29, v24
	v_pk_add_f32 v[24:25], v[48:49], v[28:29] neg_lo:[0,1] neg_hi:[0,1]
	v_cmp_neq_f32_e32 vcc, s66, v8
	v_add_f32_e32 v25, v51, v25
	v_add_f32_e32 v24, v24, v25
	;; [unrolled: 1-line block ×3, first 2 shown]
	v_mul_f32_e32 v51, v50, v25
	v_mul_f32_e32 v26, v13, v51
	v_fma_f32 v28, v51, v13, -v26
	v_fmac_f32_e32 v28, v51, v11
	v_sub_f32_e32 v11, v27, v25
	v_add_f32_e32 v11, v24, v11
	v_add_f32_e32 v24, v26, v28
	v_sub_f32_e32 v27, v25, v24
	v_pk_add_f32 v[48:49], v[24:25], v[26:27] neg_lo:[0,1] neg_hi:[0,1]
	v_mov_b32_e32 v29, v24
	v_pk_add_f32 v[24:25], v[48:49], v[28:29] neg_lo:[0,1] neg_hi:[0,1]
	s_nop 0
	v_add_f32_e32 v11, v11, v25
	v_add_f32_e32 v11, v24, v11
	;; [unrolled: 1-line block ×4, first 2 shown]
	v_sub_f32_e32 v13, v25, v52
	v_mul_f32_e32 v11, v50, v11
	v_sub_f32_e32 v13, v51, v13
	v_add_f32_e32 v11, v13, v11
	v_add_f32_e32 v26, v25, v11
	v_cvt_f32_i32_e32 v24, v23
	v_mul_f32_e32 v28, v26, v26
	v_fmamk_f32 v13, v28, 0x3e9b6dac, v36
	v_fmaak_f32 v13, v28, v13, 0x3f2aaada
	v_sub_f32_e32 v23, v26, v25
	v_mul_f32_e32 v25, v26, v28
	v_pk_mul_f32 v[28:29], v[24:25], v[12:13]
	v_ldexp_f32 v27, v26, 1
	v_fma_f32 v26, v24, s70, -v28
	v_fmac_f32_e32 v26, 0xb102e308, v24
	v_pk_add_f32 v[24:25], v[28:29], v[26:27]
	v_sub_f32_e32 v11, v11, v23
	v_sub_f32_e32 v13, v25, v27
	v_ldexp_f32 v11, v11, 1
	v_sub_f32_e32 v13, v29, v13
	v_add_f32_e32 v49, v11, v13
	v_mov_b32_e32 v48, v28
	v_pk_add_f32 v[28:29], v[24:25], v[28:29] neg_lo:[0,1] neg_hi:[0,1]
	v_pk_add_f32 v[50:51], v[24:25], v[48:49]
	v_mov_b32_e32 v27, v24
	v_mov_b32_e32 v29, v51
	v_pk_add_f32 v[52:53], v[26:27], v[28:29] neg_lo:[0,1] neg_hi:[0,1]
	v_pk_add_f32 v[26:27], v[26:27], v[28:29]
	v_mov_b32_e32 v48, v49
	v_pk_add_f32 v[28:29], v[26:27], v[24:25] op_sel:[1,0] op_sel_hi:[0,1] neg_lo:[0,1] neg_hi:[0,1]
	v_pk_add_f32 v[54:55], v[50:51], v[28:29] op_sel_hi:[1,0] neg_lo:[0,1] neg_hi:[0,1]
	v_mov_b32_e32 v50, v51
	v_mov_b32_e32 v51, v27
	v_pk_mov_b32 v[28:29], v[24:25], v[28:29] op_sel:[1,0]
	v_mov_b32_e32 v49, v24
	v_pk_add_f32 v[28:29], v[50:51], v[28:29] neg_lo:[0,1] neg_hi:[0,1]
	v_mov_b32_e32 v54, v52
	v_pk_add_f32 v[24:25], v[48:49], v[28:29] neg_lo:[0,1] neg_hi:[0,1]
	v_mov_b32_e32 v53, v27
	v_pk_add_f32 v[28:29], v[54:55], v[24:25]
	s_nop 0
	v_pk_add_f32 v[48:49], v[28:29], v[28:29] op_sel:[0,1] op_sel_hi:[1,0]
	s_nop 0
	v_pk_add_f32 v[26:27], v[26:27], v[48:49] op_sel:[1,0] op_sel_hi:[0,1]
	v_mov_b32_e32 v29, v26
	v_pk_add_f32 v[50:51], v[28:29], v[52:53] neg_lo:[0,1] neg_hi:[0,1]
	v_mov_b32_e32 v25, v48
	v_sub_f32_e32 v11, v28, v50
	v_pk_add_f32 v[24:25], v[24:25], v[50:51] neg_lo:[0,1] neg_hi:[0,1]
	v_sub_f32_e32 v11, v52, v11
	v_add_f32_e32 v11, v24, v11
	v_add_f32_e32 v11, v11, v25
	;; [unrolled: 1-line block ×3, first 2 shown]
	v_cndmask_b32_e32 v11, v40, v11, vcc
	v_cmp_ngt_f32_e32 vcc, -1.0, v8
	s_nop 1
	v_cndmask_b32_e32 v11, v10, v11, vcc
	v_cmp_neq_f32_e32 vcc, -1.0, v8
	s_nop 1
	v_cndmask_b32_e32 v11, v42, v11, vcc
	v_cmp_lt_f32_e64 vcc, |v8|, s71
	s_nop 1
	v_cndmask_b32_e32 v8, v11, v8, vcc
	v_mul_f32_e32 v23, 0.5, v8
	s_branch .LBB347_185
.LBB347_240:                            ;   in Loop: Header=BB347_129 Depth=2
	s_or_b64 exec, exec, s[34:35]
	s_and_saveexec_b64 s[8:9], s[4:5]
	s_cbranch_execz .LBB347_128
; %bb.241:                              ;   in Loop: Header=BB347_129 Depth=2
	v_cmp_gt_u64_e32 vcc, s[30:31], v[20:21]
	s_and_saveexec_b64 s[10:11], vcc
	s_cbranch_execz .LBB347_243
; %bb.242:                              ;   in Loop: Header=BB347_129 Depth=2
	ds_read_b64 v[22:23], v31
	v_lshl_add_u64 v[20:21], v[20:21], 3, v[16:17]
	s_waitcnt lgkmcnt(0)
	global_store_dwordx2 v[20:21], v[22:23], off
.LBB347_243:                            ;   in Loop: Header=BB347_129 Depth=2
	s_or_b64 exec, exec, s[10:11]
	v_cmp_gt_u64_e32 vcc, s[30:31], v[18:19]
	s_and_b64 exec, exec, vcc
	s_cbranch_execz .LBB347_128
; %bb.244:                              ;   in Loop: Header=BB347_129 Depth=2
	ds_read_b64 v[20:21], v32
	v_lshl_add_u64 v[18:19], v[18:19], 3, v[16:17]
	s_waitcnt lgkmcnt(0)
	global_store_dwordx2 v[18:19], v[20:21], off
	s_branch .LBB347_128
.LBB347_245:
	s_endpgm
	.section	.rodata,"a",@progbits
	.p2align	6, 0x0
	.amdhsa_kernel _ZN2at6native32tensor_kernel_scan_innermost_dimIN3c107complexIfEEZZZNS0_31launch_logcumsumexp_cuda_kernelERKNS_10TensorBaseES7_lENKUlvE_clEvENKUlvE2_clEvEUlS4_S4_E_EEvPT_PKSB_jjjSB_T0_
		.amdhsa_group_segment_fixed_size 0
		.amdhsa_private_segment_fixed_size 0
		.amdhsa_kernarg_size 304
		.amdhsa_user_sgpr_count 2
		.amdhsa_user_sgpr_dispatch_ptr 0
		.amdhsa_user_sgpr_queue_ptr 0
		.amdhsa_user_sgpr_kernarg_segment_ptr 1
		.amdhsa_user_sgpr_dispatch_id 0
		.amdhsa_user_sgpr_kernarg_preload_length 0
		.amdhsa_user_sgpr_kernarg_preload_offset 0
		.amdhsa_user_sgpr_private_segment_size 0
		.amdhsa_uses_dynamic_stack 0
		.amdhsa_enable_private_segment 0
		.amdhsa_system_sgpr_workgroup_id_x 1
		.amdhsa_system_sgpr_workgroup_id_y 0
		.amdhsa_system_sgpr_workgroup_id_z 0
		.amdhsa_system_sgpr_workgroup_info 0
		.amdhsa_system_vgpr_workitem_id 1
		.amdhsa_next_free_vgpr 64
		.amdhsa_next_free_sgpr 73
		.amdhsa_accum_offset 64
		.amdhsa_reserve_vcc 1
		.amdhsa_float_round_mode_32 0
		.amdhsa_float_round_mode_16_64 0
		.amdhsa_float_denorm_mode_32 3
		.amdhsa_float_denorm_mode_16_64 3
		.amdhsa_dx10_clamp 1
		.amdhsa_ieee_mode 1
		.amdhsa_fp16_overflow 0
		.amdhsa_tg_split 0
		.amdhsa_exception_fp_ieee_invalid_op 0
		.amdhsa_exception_fp_denorm_src 0
		.amdhsa_exception_fp_ieee_div_zero 0
		.amdhsa_exception_fp_ieee_overflow 0
		.amdhsa_exception_fp_ieee_underflow 0
		.amdhsa_exception_fp_ieee_inexact 0
		.amdhsa_exception_int_div_zero 0
	.end_amdhsa_kernel
	.section	.text._ZN2at6native32tensor_kernel_scan_innermost_dimIN3c107complexIfEEZZZNS0_31launch_logcumsumexp_cuda_kernelERKNS_10TensorBaseES7_lENKUlvE_clEvENKUlvE2_clEvEUlS4_S4_E_EEvPT_PKSB_jjjSB_T0_,"axG",@progbits,_ZN2at6native32tensor_kernel_scan_innermost_dimIN3c107complexIfEEZZZNS0_31launch_logcumsumexp_cuda_kernelERKNS_10TensorBaseES7_lENKUlvE_clEvENKUlvE2_clEvEUlS4_S4_E_EEvPT_PKSB_jjjSB_T0_,comdat
.Lfunc_end347:
	.size	_ZN2at6native32tensor_kernel_scan_innermost_dimIN3c107complexIfEEZZZNS0_31launch_logcumsumexp_cuda_kernelERKNS_10TensorBaseES7_lENKUlvE_clEvENKUlvE2_clEvEUlS4_S4_E_EEvPT_PKSB_jjjSB_T0_, .Lfunc_end347-_ZN2at6native32tensor_kernel_scan_innermost_dimIN3c107complexIfEEZZZNS0_31launch_logcumsumexp_cuda_kernelERKNS_10TensorBaseES7_lENKUlvE_clEvENKUlvE2_clEvEUlS4_S4_E_EEvPT_PKSB_jjjSB_T0_
                                        ; -- End function
	.set _ZN2at6native32tensor_kernel_scan_innermost_dimIN3c107complexIfEEZZZNS0_31launch_logcumsumexp_cuda_kernelERKNS_10TensorBaseES7_lENKUlvE_clEvENKUlvE2_clEvEUlS4_S4_E_EEvPT_PKSB_jjjSB_T0_.num_vgpr, 64
	.set _ZN2at6native32tensor_kernel_scan_innermost_dimIN3c107complexIfEEZZZNS0_31launch_logcumsumexp_cuda_kernelERKNS_10TensorBaseES7_lENKUlvE_clEvENKUlvE2_clEvEUlS4_S4_E_EEvPT_PKSB_jjjSB_T0_.num_agpr, 0
	.set _ZN2at6native32tensor_kernel_scan_innermost_dimIN3c107complexIfEEZZZNS0_31launch_logcumsumexp_cuda_kernelERKNS_10TensorBaseES7_lENKUlvE_clEvENKUlvE2_clEvEUlS4_S4_E_EEvPT_PKSB_jjjSB_T0_.numbered_sgpr, 73
	.set _ZN2at6native32tensor_kernel_scan_innermost_dimIN3c107complexIfEEZZZNS0_31launch_logcumsumexp_cuda_kernelERKNS_10TensorBaseES7_lENKUlvE_clEvENKUlvE2_clEvEUlS4_S4_E_EEvPT_PKSB_jjjSB_T0_.num_named_barrier, 0
	.set _ZN2at6native32tensor_kernel_scan_innermost_dimIN3c107complexIfEEZZZNS0_31launch_logcumsumexp_cuda_kernelERKNS_10TensorBaseES7_lENKUlvE_clEvENKUlvE2_clEvEUlS4_S4_E_EEvPT_PKSB_jjjSB_T0_.private_seg_size, 0
	.set _ZN2at6native32tensor_kernel_scan_innermost_dimIN3c107complexIfEEZZZNS0_31launch_logcumsumexp_cuda_kernelERKNS_10TensorBaseES7_lENKUlvE_clEvENKUlvE2_clEvEUlS4_S4_E_EEvPT_PKSB_jjjSB_T0_.uses_vcc, 1
	.set _ZN2at6native32tensor_kernel_scan_innermost_dimIN3c107complexIfEEZZZNS0_31launch_logcumsumexp_cuda_kernelERKNS_10TensorBaseES7_lENKUlvE_clEvENKUlvE2_clEvEUlS4_S4_E_EEvPT_PKSB_jjjSB_T0_.uses_flat_scratch, 0
	.set _ZN2at6native32tensor_kernel_scan_innermost_dimIN3c107complexIfEEZZZNS0_31launch_logcumsumexp_cuda_kernelERKNS_10TensorBaseES7_lENKUlvE_clEvENKUlvE2_clEvEUlS4_S4_E_EEvPT_PKSB_jjjSB_T0_.has_dyn_sized_stack, 0
	.set _ZN2at6native32tensor_kernel_scan_innermost_dimIN3c107complexIfEEZZZNS0_31launch_logcumsumexp_cuda_kernelERKNS_10TensorBaseES7_lENKUlvE_clEvENKUlvE2_clEvEUlS4_S4_E_EEvPT_PKSB_jjjSB_T0_.has_recursion, 0
	.set _ZN2at6native32tensor_kernel_scan_innermost_dimIN3c107complexIfEEZZZNS0_31launch_logcumsumexp_cuda_kernelERKNS_10TensorBaseES7_lENKUlvE_clEvENKUlvE2_clEvEUlS4_S4_E_EEvPT_PKSB_jjjSB_T0_.has_indirect_call, 0
	.section	.AMDGPU.csdata,"",@progbits
; Kernel info:
; codeLenInByte = 30660
; TotalNumSgprs: 79
; NumVgprs: 64
; NumAgprs: 0
; TotalNumVgprs: 64
; ScratchSize: 0
; MemoryBound: 0
; FloatMode: 240
; IeeeMode: 1
; LDSByteSize: 0 bytes/workgroup (compile time only)
; SGPRBlocks: 9
; VGPRBlocks: 7
; NumSGPRsForWavesPerEU: 79
; NumVGPRsForWavesPerEU: 64
; AccumOffset: 64
; Occupancy: 8
; WaveLimiterHint : 0
; COMPUTE_PGM_RSRC2:SCRATCH_EN: 0
; COMPUTE_PGM_RSRC2:USER_SGPR: 2
; COMPUTE_PGM_RSRC2:TRAP_HANDLER: 0
; COMPUTE_PGM_RSRC2:TGID_X_EN: 1
; COMPUTE_PGM_RSRC2:TGID_Y_EN: 0
; COMPUTE_PGM_RSRC2:TGID_Z_EN: 0
; COMPUTE_PGM_RSRC2:TIDIG_COMP_CNT: 1
; COMPUTE_PGM_RSRC3_GFX90A:ACCUM_OFFSET: 15
; COMPUTE_PGM_RSRC3_GFX90A:TG_SPLIT: 0
	.section	.text._ZN2at6native28tensor_kernel_scan_outer_dimIN3c107complexIfEEjZZZNS0_31launch_logcumsumexp_cuda_kernelERKNS_10TensorBaseES7_lENKUlvE_clEvENKUlvE2_clEvEUlS4_S4_E_EEvPT_PKSB_jjjSB_T1_,"axG",@progbits,_ZN2at6native28tensor_kernel_scan_outer_dimIN3c107complexIfEEjZZZNS0_31launch_logcumsumexp_cuda_kernelERKNS_10TensorBaseES7_lENKUlvE_clEvENKUlvE2_clEvEUlS4_S4_E_EEvPT_PKSB_jjjSB_T1_,comdat
	.globl	_ZN2at6native28tensor_kernel_scan_outer_dimIN3c107complexIfEEjZZZNS0_31launch_logcumsumexp_cuda_kernelERKNS_10TensorBaseES7_lENKUlvE_clEvENKUlvE2_clEvEUlS4_S4_E_EEvPT_PKSB_jjjSB_T1_ ; -- Begin function _ZN2at6native28tensor_kernel_scan_outer_dimIN3c107complexIfEEjZZZNS0_31launch_logcumsumexp_cuda_kernelERKNS_10TensorBaseES7_lENKUlvE_clEvENKUlvE2_clEvEUlS4_S4_E_EEvPT_PKSB_jjjSB_T1_
	.p2align	8
	.type	_ZN2at6native28tensor_kernel_scan_outer_dimIN3c107complexIfEEjZZZNS0_31launch_logcumsumexp_cuda_kernelERKNS_10TensorBaseES7_lENKUlvE_clEvENKUlvE2_clEvEUlS4_S4_E_EEvPT_PKSB_jjjSB_T1_,@function
_ZN2at6native28tensor_kernel_scan_outer_dimIN3c107complexIfEEjZZZNS0_31launch_logcumsumexp_cuda_kernelERKNS_10TensorBaseES7_lENKUlvE_clEvENKUlvE2_clEvEUlS4_S4_E_EEvPT_PKSB_jjjSB_T1_: ; @_ZN2at6native28tensor_kernel_scan_outer_dimIN3c107complexIfEEjZZZNS0_31launch_logcumsumexp_cuda_kernelERKNS_10TensorBaseES7_lENKUlvE_clEvENKUlvE2_clEvEUlS4_S4_E_EEvPT_PKSB_jjjSB_T1_
; %bb.0:
	s_load_dwordx4 s[12:15], s[0:1], 0x10
	s_waitcnt lgkmcnt(0)
	s_cmp_ge_u32 s2, s12
	s_cbranch_scc1 .LBB348_57
; %bb.1:
	s_load_dword s15, s[0:1], 0x30
	s_load_dword s4, s[0:1], 0x3c
	s_load_dwordx4 s[16:19], s[0:1], 0x0
	s_load_dwordx2 s[20:21], s[0:1], 0x20
	s_add_u32 s22, s0, 48
	s_addc_u32 s23, s1, 0
	s_waitcnt lgkmcnt(0)
	s_and_b32 s33, s4, 0xffff
	s_mul_i32 s3, s3, s33
	s_cmp_lg_u32 s14, 0
	v_add_u32_e32 v22, s3, v0
	s_cselect_b64 s[4:5], -1, 0
	s_mul_i32 s3, s2, s14
	s_mov_b32 s25, 0
	s_mov_b32 s24, s13
	s_mul_i32 s6, s3, s13
	s_mul_i32 s3, s15, s14
	v_cndmask_b32_e64 v0, 0, 1, s[4:5]
	v_cmp_gt_u32_e64 s[0:1], s13, v22
	s_mul_i32 s3, s3, s13
	s_lshl_b64 s[26:27], s[24:25], 3
	v_cmp_ne_u32_e64 s[4:5], 1, v0
	v_mov_b32_e32 v1, 0
	s_movk_i32 s46, 0x1f8
	s_brev_b32 s47, -2
	s_brev_b32 s48, 18
	s_mov_b32 s49, 0x800000
	s_mov_b32 s50, 0xfe5163ab
	;; [unrolled: 1-line block ×15, first 2 shown]
	s_brev_b32 s64, 1
	v_mov_b32_e32 v23, 0x3c0881c4
	v_mov_b32_e32 v24, 0xbab64f3b
	v_mov_b32_e32 v2, 1.0
	s_mov_b32 s65, 0x3f317217
	s_mov_b32 s66, 0x3f2aaaab
	v_mov_b32_e32 v25, 0x3ecc95a3
	s_mov_b32 s67, 0x3f317218
	s_mov_b32 s68, 0x33800000
	s_movk_i32 s69, 0x204
	v_mov_b32_e32 v26, 0xbc7a590c
	v_mov_b32_e32 v5, -1.0
	v_mov_b32_e32 v6, 0x7fc00000
	v_not_b32_e32 v27, 63
	v_not_b32_e32 v28, 31
	v_mov_b32_e32 v29, 0x7f800000
	v_mov_b32_e32 v30, 0x41b17218
	;; [unrolled: 1-line block ×7, first 2 shown]
	s_mov_b32 s24, s6
                                        ; implicit-def: $vgpr0
                                        ; implicit-def: $vgpr0
	;; [unrolled: 1-line block ×10, first 2 shown]
	s_branch .LBB348_3
.LBB348_2:                              ;   in Loop: Header=BB348_3 Depth=1
	s_or_b64 exec, exec, s[28:29]
	s_add_i32 s2, s15, s2
	s_add_i32 s24, s24, s3
	s_cmp_ge_u32 s2, s12
	s_cbranch_scc1 .LBB348_57
.LBB348_3:                              ; =>This Loop Header: Depth=1
                                        ;     Child Loop BB348_6 Depth 2
                                        ;       Child Loop BB348_13 Depth 3
	s_and_saveexec_b64 s[28:29], s[0:1]
	s_cbranch_execz .LBB348_2
; %bb.4:                                ;   in Loop: Header=BB348_3 Depth=1
	s_load_dword s70, s[22:23], 0x4
	s_lshl_b64 s[30:31], s[24:25], 3
	s_mov_b64 s[34:35], 0
	v_mov_b32_e32 v10, v22
	s_waitcnt lgkmcnt(0)
	s_mul_i32 s70, s70, s33
	s_branch .LBB348_6
.LBB348_5:                              ;   in Loop: Header=BB348_6 Depth=2
	v_add_u32_e32 v10, s70, v10
	v_cmp_le_u32_e32 vcc, s13, v10
	s_or_b64 s[34:35], vcc, s[34:35]
	s_andn2_b64 exec, exec, s[34:35]
	s_cbranch_execz .LBB348_2
.LBB348_6:                              ;   Parent Loop BB348_3 Depth=1
                                        ; =>  This Loop Header: Depth=2
                                        ;       Child Loop BB348_13 Depth 3
	s_and_b64 vcc, exec, s[4:5]
	s_cbranch_vccnz .LBB348_5
; %bb.7:                                ;   in Loop: Header=BB348_6 Depth=2
	v_mov_b32_e32 v11, v1
	v_lshl_add_u64 v[12:13], v[10:11], 3, s[30:31]
	v_mov_b64_e32 v[20:21], s[20:21]
	s_mov_b32 s71, s14
	s_branch .LBB348_13
.LBB348_8:                              ;   in Loop: Header=BB348_13 Depth=3
	s_or_b64 exec, exec, s[8:9]
	v_mov_b32_e32 v16, v15
.LBB348_9:                              ;   in Loop: Header=BB348_13 Depth=3
	s_or_b64 exec, exec, s[6:7]
	v_max_f32_e64 v9, |v14|, |v14|
	v_max_f32_e64 v11, |v0|, |v0|
	v_min_f32_e32 v9, v11, v9
	v_frexp_mant_f32_e32 v11, v3
	v_rcp_f32_e32 v11, v11
	v_frexp_exp_i32_f32_e32 v3, v3
	v_frexp_exp_i32_f32_e32 v15, v9
	v_frexp_mant_f32_e32 v9, v9
	v_mul_f32_e32 v9, v9, v11
	v_sub_u32_e32 v3, v15, v3
	v_ldexp_f32 v3, v9, v3
	v_mul_f32_e32 v9, v3, v3
	v_fmamk_f32 v11, v9, 0x3b2d2a58, v26
	v_fmaak_f32 v11, v9, v11, 0x3d29fb3f
	v_fmaak_f32 v11, v9, v11, 0xbd97d4d7
	;; [unrolled: 1-line block ×6, first 2 shown]
	v_mul_f32_e32 v9, v9, v11
	v_cmp_gt_i32_e64 s[6:7], 0, v0
	v_fmac_f32_e32 v3, v3, v9
	v_sub_f32_e32 v9, 0x3fc90fdb, v3
	v_cndmask_b32_e64 v7, 0, v34, s[6:7]
	v_cmp_gt_f32_e64 s[6:7], |v14|, |v0|
	v_cmp_gt_f32_e32 vcc, 0, v0
	v_cmp_class_f32_e64 s[8:9], v14, s69
	v_cndmask_b32_e64 v3, v3, v9, s[6:7]
	v_sub_f32_e32 v9, 0x40490fdb, v3
	v_cmp_class_f32_e64 s[10:11], v0, s69
	v_cndmask_b32_e32 v4, v32, v33, vcc
	v_cndmask_b32_e32 v3, v3, v9, vcc
	v_cmp_eq_f32_e32 vcc, 0, v14
	s_nop 1
	v_cndmask_b32_e32 v3, v3, v7, vcc
	s_and_b64 vcc, s[8:9], s[10:11]
	v_cndmask_b32_e32 v3, v3, v4, vcc
	v_cmp_o_f32_e32 vcc, v0, v14
	s_nop 1
	v_cndmask_b32_e32 v0, v6, v3, vcc
	v_bfi_b32 v17, s47, v0, v14
.LBB348_10:                             ;   in Loop: Header=BB348_13 Depth=3
	s_or_b64 exec, exec, s[40:41]
.LBB348_11:                             ;   in Loop: Header=BB348_13 Depth=3
	s_or_b64 exec, exec, s[38:39]
	v_mov_b64_e32 v[20:21], v[16:17]
.LBB348_12:                             ;   in Loop: Header=BB348_13 Depth=3
	s_or_b64 exec, exec, s[36:37]
	s_add_i32 s71, s71, -1
	v_lshl_add_u64 v[14:15], s[16:17], 0, v[12:13]
	s_cmp_eq_u32 s71, 0
	v_lshl_add_u64 v[12:13], v[12:13], 0, s[26:27]
	global_store_dwordx2 v[14:15], v[20:21], off
	s_cbranch_scc1 .LBB348_5
.LBB348_13:                             ;   Parent Loop BB348_3 Depth=1
                                        ;     Parent Loop BB348_6 Depth=2
                                        ; =>    This Inner Loop Header: Depth=3
	v_lshl_add_u64 v[14:15], s[18:19], 0, v[12:13]
	global_load_dwordx2 v[14:15], v[14:15], off
	s_waitcnt vmcnt(0)
	v_cmp_o_f32_e32 vcc, v14, v15
	v_mov_b32_e32 v19, v15
	v_mov_b64_e32 v[16:17], v[14:15]
	s_and_saveexec_b64 s[10:11], vcc
; %bb.14:                               ;   in Loop: Header=BB348_13 Depth=3
	v_cmp_u_f32_e64 s[6:7], v20, v21
	v_cmp_lt_f32_e64 s[8:9], v20, v14
	s_or_b64 s[6:7], s[6:7], s[8:9]
	v_cndmask_b32_e64 v19, v15, v21, s[6:7]
	v_cndmask_b32_e64 v18, v14, v20, s[6:7]
	v_mov_b64_e32 v[16:17], v[18:19]
; %bb.15:                               ;   in Loop: Header=BB348_13 Depth=3
	s_or_b64 exec, exec, s[10:11]
	s_and_saveexec_b64 s[6:7], vcc
	s_xor_b64 s[8:9], exec, s[6:7]
; %bb.16:                               ;   in Loop: Header=BB348_13 Depth=3
	v_cmp_u_f32_e32 vcc, v20, v21
	v_cmp_ge_f32_e64 s[6:7], v20, v14
	s_or_b64 vcc, vcc, s[6:7]
	v_cndmask_b32_e32 v15, v15, v21, vcc
	v_cndmask_b32_e32 v14, v14, v20, vcc
; %bb.17:                               ;   in Loop: Header=BB348_13 Depth=3
	s_andn2_saveexec_b64 s[6:7], s[8:9]
	s_or_b64 exec, exec, s[6:7]
	v_mov_b32_e32 v7, v6
	v_cmp_o_f32_e32 vcc, v16, v17
	v_mov_b64_e32 v[20:21], v[6:7]
	s_and_saveexec_b64 s[36:37], vcc
	s_cbranch_execz .LBB348_12
; %bb.18:                               ;   in Loop: Header=BB348_13 Depth=3
	v_cmp_class_f32_e64 s[6:7], v16, s46
	v_cmp_neq_f32_e32 vcc, v14, v16
	s_or_b64 s[6:7], s[6:7], vcc
	s_and_saveexec_b64 s[8:9], s[6:7]
	s_xor_b64 s[38:39], exec, s[8:9]
	s_cbranch_execz .LBB348_34
; %bb.19:                               ;   in Loop: Header=BB348_13 Depth=3
	v_pk_add_f32 v[16:17], v[16:17], v[14:15] neg_lo:[0,1] neg_hi:[0,1]
                                        ; implicit-def: $vgpr18
	s_nop 0
	v_and_b32_e32 v3, 0x7fffffff, v17
	v_lshrrev_b32_e32 v0, 23, v3
	v_and_b32_e32 v4, 0x7fffff, v3
	v_cmp_nlt_f32_e64 s[40:41], |v17|, s48
	v_add_u32_e32 v9, 0xffffff88, v0
	v_or_b32_e32 v7, 0x800000, v4
                                        ; implicit-def: $vgpr4
	s_and_saveexec_b64 s[6:7], s[40:41]
	s_xor_b64 s[42:43], exec, s[6:7]
	s_cbranch_execz .LBB348_21
; %bb.20:                               ;   in Loop: Header=BB348_13 Depth=3
	v_cmp_lt_u32_e32 vcc, 63, v9
	v_mad_u64_u32 v[18:19], s[10:11], v7, s50, 0
	s_nop 0
	v_cndmask_b32_e32 v0, 0, v27, vcc
	v_add_u32_e32 v0, v0, v9
	v_cmp_lt_u32_e64 s[6:7], 31, v0
	s_nop 1
	v_cndmask_b32_e64 v4, 0, v28, s[6:7]
	v_add_u32_e32 v0, v4, v0
	v_cmp_lt_u32_e64 s[8:9], 31, v0
	s_nop 1
	v_cndmask_b32_e64 v4, 0, v28, s[8:9]
	v_add_u32_e32 v4, v4, v0
	v_mov_b32_e32 v0, v19
	v_mad_u64_u32 v[20:21], s[10:11], v7, s51, v[0:1]
	v_mov_b32_e32 v0, v21
	v_mad_u64_u32 v[36:37], s[10:11], v7, s52, v[0:1]
	;; [unrolled: 2-line block ×6, first 2 shown]
	v_cndmask_b32_e32 v11, v42, v38, vcc
	v_cndmask_b32_e32 v0, v44, v40, vcc
	;; [unrolled: 1-line block ×3, first 2 shown]
	v_cndmask_b32_e64 v19, v0, v11, s[6:7]
	v_cndmask_b32_e64 v0, v21, v0, s[6:7]
	v_cndmask_b32_e32 v21, v40, v36, vcc
	v_cndmask_b32_e64 v11, v11, v21, s[6:7]
	v_sub_u32_e32 v35, 32, v4
	v_cmp_eq_u32_e64 s[10:11], 0, v4
	v_cndmask_b32_e32 v4, v38, v20, vcc
	v_cndmask_b32_e64 v0, v0, v19, s[8:9]
	v_cndmask_b32_e64 v19, v19, v11, s[8:9]
	;; [unrolled: 1-line block ×3, first 2 shown]
	v_alignbit_b32 v37, v0, v19, v35
	v_cndmask_b32_e64 v11, v11, v20, s[8:9]
	v_cndmask_b32_e32 v18, v36, v18, vcc
	v_cndmask_b32_e64 v0, v37, v0, s[10:11]
	v_alignbit_b32 v21, v19, v11, v35
	v_cndmask_b32_e64 v4, v4, v18, s[6:7]
	v_cndmask_b32_e64 v19, v21, v19, s[10:11]
	v_bfe_u32 v38, v0, 29, 1
	v_cndmask_b32_e64 v4, v20, v4, s[8:9]
	v_alignbit_b32 v21, v0, v19, 30
	v_sub_u32_e32 v39, 0, v38
	v_alignbit_b32 v18, v11, v4, v35
	v_xor_b32_e32 v21, v21, v39
	v_cndmask_b32_e64 v11, v18, v11, s[10:11]
	v_alignbit_b32 v18, v19, v11, 30
	v_ffbh_u32_e32 v19, v21
	v_min_u32_e32 v19, 32, v19
	v_alignbit_b32 v4, v11, v4, 30
	v_xor_b32_e32 v18, v18, v39
	v_sub_u32_e32 v20, 31, v19
	v_xor_b32_e32 v4, v4, v39
	v_alignbit_b32 v21, v21, v18, v20
	v_alignbit_b32 v4, v18, v4, v20
	;; [unrolled: 1-line block ×3, first 2 shown]
	v_ffbh_u32_e32 v18, v11
	v_min_u32_e32 v18, 32, v18
	v_lshrrev_b32_e32 v37, 29, v0
	v_not_b32_e32 v20, v18
	v_alignbit_b32 v4, v11, v4, v20
	v_lshlrev_b32_e32 v11, 31, v37
	v_or_b32_e32 v20, 0x33000000, v11
	v_add_lshl_u32 v18, v18, v19, 23
	v_lshrrev_b32_e32 v4, 9, v4
	v_sub_u32_e32 v18, v20, v18
	v_or_b32_e32 v11, 0.5, v11
	v_lshlrev_b32_e32 v19, 23, v19
	v_or_b32_e32 v4, v18, v4
	v_lshrrev_b32_e32 v18, 9, v21
	v_sub_u32_e32 v11, v11, v19
	v_or_b32_e32 v11, v18, v11
	v_mul_f32_e32 v18, 0x3fc90fda, v11
	v_fma_f32 v19, v11, s57, -v18
	v_fmac_f32_e32 v19, 0x33a22168, v11
	v_fmac_f32_e32 v19, 0x3fc90fda, v4
	v_lshrrev_b32_e32 v0, 30, v0
	v_add_f32_e32 v18, v18, v19
	v_add_u32_e32 v4, v38, v0
.LBB348_21:                             ;   in Loop: Header=BB348_13 Depth=3
	s_or_saveexec_b64 s[6:7], s[42:43]
	v_mul_f32_e64 v0, |v17|, s58
	v_rndne_f32_e32 v11, v0
	s_xor_b64 exec, exec, s[6:7]
; %bb.22:                               ;   in Loop: Header=BB348_13 Depth=3
	v_cvt_i32_f32_e32 v4, v11
	v_fma_f32 v18, v11, s59, |v17|
	v_fmac_f32_e32 v18, 0xb3a22168, v11
	v_fmac_f32_e32 v18, 0xa7c234c4, v11
; %bb.23:                               ;   in Loop: Header=BB348_13 Depth=3
	s_or_b64 exec, exec, s[6:7]
                                        ; implicit-def: $vgpr0
                                        ; implicit-def: $vgpr21
	s_and_saveexec_b64 s[6:7], s[40:41]
	s_xor_b64 s[40:41], exec, s[6:7]
	s_cbranch_execz .LBB348_25
; %bb.24:                               ;   in Loop: Header=BB348_13 Depth=3
	v_cmp_lt_u32_e32 vcc, 63, v9
	v_mad_u64_u32 v[20:21], s[10:11], v7, s50, 0
	s_nop 0
	v_cndmask_b32_e32 v0, 0, v27, vcc
	v_add_u32_e32 v0, v0, v9
	v_cmp_lt_u32_e64 s[6:7], 31, v0
	s_nop 1
	v_cndmask_b32_e64 v9, 0, v28, s[6:7]
	v_add_u32_e32 v0, v9, v0
	v_cmp_lt_u32_e64 s[8:9], 31, v0
	s_nop 1
	v_cndmask_b32_e64 v9, 0, v28, s[8:9]
	v_add_u32_e32 v9, v9, v0
	v_mov_b32_e32 v0, v21
	v_mad_u64_u32 v[36:37], s[10:11], v7, s51, v[0:1]
	v_mov_b32_e32 v0, v37
	v_mad_u64_u32 v[38:39], s[10:11], v7, s52, v[0:1]
	;; [unrolled: 2-line block ×6, first 2 shown]
	v_cndmask_b32_e32 v11, v44, v40, vcc
	v_cndmask_b32_e32 v0, v46, v42, vcc
	;; [unrolled: 1-line block ×3, first 2 shown]
	v_cndmask_b32_e64 v7, v0, v11, s[6:7]
	v_cndmask_b32_e64 v0, v19, v0, s[6:7]
	v_cndmask_b32_e32 v19, v42, v38, vcc
	v_cndmask_b32_e64 v11, v11, v19, s[6:7]
	v_sub_u32_e32 v21, 32, v9
	v_cmp_eq_u32_e64 s[10:11], 0, v9
	v_cndmask_b32_e32 v9, v40, v36, vcc
	v_cndmask_b32_e64 v0, v0, v7, s[8:9]
	v_cndmask_b32_e64 v7, v7, v11, s[8:9]
	v_cndmask_b32_e64 v19, v19, v9, s[6:7]
	v_alignbit_b32 v35, v0, v7, v21
	v_cndmask_b32_e64 v11, v11, v19, s[8:9]
	v_cndmask_b32_e64 v0, v35, v0, s[10:11]
	v_alignbit_b32 v35, v7, v11, v21
	v_cndmask_b32_e32 v20, v38, v20, vcc
	v_cndmask_b32_e64 v7, v35, v7, s[10:11]
	v_bfe_u32 v37, v0, 29, 1
	v_cndmask_b32_e64 v9, v9, v20, s[6:7]
	v_alignbit_b32 v35, v0, v7, 30
	v_sub_u32_e32 v39, 0, v37
	v_cndmask_b32_e64 v9, v19, v9, s[8:9]
	v_xor_b32_e32 v35, v35, v39
	v_alignbit_b32 v19, v11, v9, v21
	v_cndmask_b32_e64 v11, v19, v11, s[10:11]
	v_ffbh_u32_e32 v19, v35
	v_alignbit_b32 v7, v7, v11, 30
	v_min_u32_e32 v19, 32, v19
	v_alignbit_b32 v9, v11, v9, 30
	v_xor_b32_e32 v7, v7, v39
	v_sub_u32_e32 v20, 31, v19
	v_xor_b32_e32 v9, v9, v39
	v_alignbit_b32 v21, v35, v7, v20
	v_alignbit_b32 v7, v7, v9, v20
	;; [unrolled: 1-line block ×3, first 2 shown]
	v_ffbh_u32_e32 v11, v9
	v_min_u32_e32 v11, 32, v11
	v_lshrrev_b32_e32 v36, 29, v0
	v_not_b32_e32 v20, v11
	v_alignbit_b32 v7, v9, v7, v20
	v_lshlrev_b32_e32 v9, 31, v36
	v_or_b32_e32 v20, 0x33000000, v9
	v_add_lshl_u32 v11, v11, v19, 23
	v_lshrrev_b32_e32 v7, 9, v7
	v_sub_u32_e32 v11, v20, v11
	v_or_b32_e32 v9, 0.5, v9
	v_lshlrev_b32_e32 v19, 23, v19
	v_or_b32_e32 v7, v11, v7
	v_lshrrev_b32_e32 v11, 9, v21
	v_sub_u32_e32 v9, v9, v19
	v_or_b32_e32 v9, v11, v9
	v_mul_f32_e32 v11, 0x3fc90fda, v9
	v_fma_f32 v19, v9, s57, -v11
	v_fmac_f32_e32 v19, 0x33a22168, v9
	v_fmac_f32_e32 v19, 0x3fc90fda, v7
	v_lshrrev_b32_e32 v0, 30, v0
	v_add_f32_e32 v21, v11, v19
	v_add_u32_e32 v0, v37, v0
                                        ; implicit-def: $vgpr11
	s_andn2_saveexec_b64 s[6:7], s[40:41]
	s_cbranch_execnz .LBB348_26
	s_branch .LBB348_27
.LBB348_25:                             ;   in Loop: Header=BB348_13 Depth=3
	s_andn2_saveexec_b64 s[6:7], s[40:41]
.LBB348_26:                             ;   in Loop: Header=BB348_13 Depth=3
	v_cvt_i32_f32_e32 v0, v11
	v_fma_f32 v21, v11, s59, |v17|
	v_fmac_f32_e32 v21, 0xb3a22168, v11
	v_fmac_f32_e32 v21, 0xa7c234c4, v11
.LBB348_27:                             ;   in Loop: Header=BB348_13 Depth=3
	s_or_b64 exec, exec, s[6:7]
	v_mul_f32_e32 v7, 0x3fb8aa3b, v16
	v_rndne_f32_e32 v9, v7
	v_sub_f32_e32 v11, v7, v9
	v_fma_f32 v7, v16, s60, -v7
	v_fmac_f32_e32 v7, 0x32a5705f, v16
	v_add_f32_e32 v7, v11, v7
	v_cvt_i32_f32_e32 v9, v9
	v_exp_f32_e32 v7, v7
	v_mul_f32_e32 v19, v21, v21
	v_fmamk_f32 v11, v19, 0xb94c1982, v23
	v_fmaak_f32 v37, v19, v11, 0xbe2aaa9d
	v_ldexp_f32 v7, v7, v9
	v_and_b32_e32 v9, 1, v0
	v_lshlrev_b32_e32 v0, 30, v0
	v_mov_b32_e32 v36, v18
	v_and_b32_e32 v0, 0x80000000, v0
	v_xor_b32_e32 v3, v3, v17
	v_pk_mul_f32 v[36:37], v[18:19], v[36:37]
	v_xor_b32_e32 v0, v3, v0
	v_fmamk_f32 v3, v36, 0x37d75334, v24
	v_fmaak_f32 v3, v36, v3, 0x3d2aabf7
	v_fmaak_f32 v20, v36, v3, 0xbf000004
	v_fmamk_f32 v3, v36, 0xb94c1982, v23
	v_fmamk_f32 v11, v19, 0x37d75334, v24
	v_fmaak_f32 v3, v36, v3, 0xbe2aaa9d
	v_cmp_ngt_f32_e32 vcc, s61, v16
	v_fmaak_f32 v11, v19, v11, 0x3d2aabf7
	v_mul_f32_e32 v3, v36, v3
	v_cndmask_b32_e32 v7, 0, v7, vcc
	v_cmp_nlt_f32_e32 vcc, s62, v16
	v_fmaak_f32 v11, v19, v11, 0xbf000004
	v_fmac_f32_e32 v18, v18, v3
	v_mov_b32_e32 v3, v21
	v_cndmask_b32_e32 v16, v29, v7, vcc
	v_lshlrev_b32_e32 v7, 30, v4
	v_and_b32_e32 v4, 1, v4
	v_fma_f32 v11, v19, v11, 1.0
	v_pk_fma_f32 v[20:21], v[36:37], v[20:21], v[2:3]
	v_cmp_eq_u32_e32 vcc, 0, v9
	v_and_b32_e32 v7, 0x80000000, v7
	s_nop 0
	v_cndmask_b32_e32 v3, v11, v21, vcc
	v_cmp_eq_u32_e32 vcc, 0, v4
	v_xor_b32_e32 v0, v0, v3
	s_nop 0
	v_cndmask_b32_e64 v4, -v18, v20, vcc
	v_xor_b32_e32 v3, v7, v4
	v_cmp_class_f32_e64 vcc, v17, s46
	s_nop 1
	v_cndmask_b32_e32 v19, v6, v0, vcc
	v_cndmask_b32_e32 v18, v6, v3, vcc
	v_pk_mul_f32 v[16:17], v[16:17], v[18:19] op_sel_hi:[0,1]
	v_max_f32_e64 v0, |v16|, |v17|
	v_cvt_f64_f32_e32 v[18:19], v0
	v_frexp_exp_i32_f64_e32 v3, v[18:19]
	v_sub_u32_e32 v4, 0, v3
	v_ldexp_f32 v7, |v16|, v4
	v_ldexp_f32 v4, |v17|, v4
	v_mul_f32_e32 v4, v4, v4
	v_fmac_f32_e32 v4, v7, v7
	v_sqrt_f32_e32 v4, v4
	v_cmp_eq_f32_e32 vcc, s63, v0
	v_add_f32_e32 v0, 1.0, v16
                                        ; implicit-def: $vgpr18
	v_ldexp_f32 v4, v4, v3
	v_cmp_ngt_f32_e64 s[6:7], 0.5, v4
	v_max_f32_e64 v3, |v0|, |v17|
	s_or_b64 s[6:7], vcc, s[6:7]
	s_and_saveexec_b64 s[8:9], s[6:7]
	s_xor_b64 s[8:9], exec, s[8:9]
	s_cbranch_execz .LBB348_29
; %bb.28:                               ;   in Loop: Header=BB348_13 Depth=3
	v_cvt_f64_f32_e32 v[18:19], v3
	v_frexp_exp_i32_f64_e32 v4, v[18:19]
	v_sub_u32_e32 v7, 0, v4
	v_ldexp_f32 v9, |v0|, v7
	v_ldexp_f32 v7, |v17|, v7
	v_mul_f32_e32 v7, v7, v7
	v_fmac_f32_e32 v7, v9, v9
	v_sqrt_f32_e32 v7, v7
	v_cmp_neq_f32_e32 vcc, s63, v3
	v_ldexp_f32 v4, v7, v4
	s_nop 0
	v_cndmask_b32_e32 v4, v29, v4, vcc
	v_cmp_gt_f32_e32 vcc, s49, v4
	s_nop 1
	v_cndmask_b32_e64 v7, 0, 32, vcc
	v_ldexp_f32 v4, v4, v7
	v_log_f32_e32 v4, v4
	s_nop 0
	v_mul_f32_e32 v7, 0x3f317217, v4
	v_fma_f32 v7, v4, s65, -v7
	v_fmac_f32_e32 v7, 0x3377d1cf, v4
	v_fmac_f32_e32 v7, 0x3f317217, v4
	v_cmp_lt_f32_e64 s[6:7], |v4|, s63
	s_nop 1
	v_cndmask_b32_e64 v4, v4, v7, s[6:7]
	v_cndmask_b32_e32 v7, 0, v30, vcc
	v_sub_f32_e32 v18, v4, v7
.LBB348_29:                             ;   in Loop: Header=BB348_13 Depth=3
	s_andn2_saveexec_b64 s[6:7], s[8:9]
	s_cbranch_execz .LBB348_33
; %bb.30:                               ;   in Loop: Header=BB348_13 Depth=3
	v_add_f32_e32 v18, 2.0, v16
	v_mov_b32_e32 v19, v17
	v_pk_mul_f32 v[18:19], v[16:17], v[18:19]
	s_nop 0
	v_add_f32_e32 v4, v18, v19
	v_cmp_neq_f32_e32 vcc, 0, v4
	s_and_saveexec_b64 s[8:9], vcc
	s_cbranch_execz .LBB348_32
; %bb.31:                               ;   in Loop: Header=BB348_13 Depth=3
	v_add_f32_e32 v7, 1.0, v4
	v_add_f32_e32 v9, -1.0, v7
	v_sub_f32_e32 v11, v9, v7
	v_add_f32_e32 v11, 1.0, v11
	v_sub_f32_e32 v9, v4, v9
	v_add_f32_e32 v9, v9, v11
	v_frexp_mant_f32_e32 v11, v7
	v_cvt_f64_f32_e32 v[18:19], v7
	v_frexp_exp_i32_f64_e32 v16, v[18:19]
	v_cmp_gt_f32_e32 vcc, s66, v11
	s_nop 1
	v_subbrev_co_u32_e32 v11, vcc, 0, v16, vcc
	v_sub_u32_e32 v16, 0, v11
	v_ldexp_f32 v7, v7, v16
	v_ldexp_f32 v9, v9, v16
	v_add_f32_e32 v16, -1.0, v7
	v_add_f32_e32 v19, 1.0, v7
	v_add_f32_e32 v18, 1.0, v16
	v_add_f32_e32 v20, -1.0, v19
	v_sub_f32_e32 v18, v7, v18
	v_sub_f32_e32 v7, v7, v20
	v_add_f32_e32 v7, v9, v7
	v_add_f32_e32 v18, v9, v18
	v_add_f32_e32 v9, v19, v7
	v_rcp_f32_e32 v35, v9
	v_sub_f32_e32 v19, v9, v19
	v_sub_f32_e32 v7, v7, v19
	v_add_f32_e32 v19, v16, v18
	v_mul_f32_e32 v40, v19, v35
	v_mul_f32_e32 v20, v9, v40
	v_fma_f32 v36, v40, v9, -v20
	v_sub_f32_e32 v16, v19, v16
	v_fmac_f32_e32 v36, v40, v7
	v_sub_f32_e32 v16, v18, v16
	v_add_f32_e32 v18, v20, v36
	v_sub_f32_e32 v21, v19, v18
	v_pk_add_f32 v[38:39], v[18:19], v[20:21] neg_lo:[0,1] neg_hi:[0,1]
	v_mov_b32_e32 v37, v18
	v_pk_add_f32 v[18:19], v[38:39], v[36:37] neg_lo:[0,1] neg_hi:[0,1]
	v_cmp_neq_f32_e32 vcc, s63, v4
	v_add_f32_e32 v16, v16, v19
	v_add_f32_e32 v16, v18, v16
	;; [unrolled: 1-line block ×3, first 2 shown]
	v_mul_f32_e32 v41, v35, v19
	v_mul_f32_e32 v20, v9, v41
	v_fma_f32 v36, v41, v9, -v20
	v_fmac_f32_e32 v36, v41, v7
	v_add_f32_e32 v18, v20, v36
	v_sub_f32_e32 v7, v21, v19
	v_sub_f32_e32 v21, v19, v18
	v_pk_add_f32 v[38:39], v[18:19], v[20:21] neg_lo:[0,1] neg_hi:[0,1]
	v_mov_b32_e32 v37, v18
	v_add_f32_e32 v7, v16, v7
	v_pk_add_f32 v[18:19], v[38:39], v[36:37] neg_lo:[0,1] neg_hi:[0,1]
	v_add_f32_e32 v16, v40, v41
	v_add_f32_e32 v7, v7, v19
	;; [unrolled: 1-line block ×4, first 2 shown]
	v_sub_f32_e32 v9, v16, v40
	v_mul_f32_e32 v7, v35, v7
	v_sub_f32_e32 v9, v41, v9
	v_add_f32_e32 v7, v9, v7
	v_add_f32_e32 v19, v16, v7
	v_cvt_f32_i32_e32 v18, v11
	v_mul_f32_e32 v20, v19, v19
	v_fmamk_f32 v9, v20, 0x3e9b6dac, v25
	v_fmaak_f32 v9, v20, v9, 0x3f2aaada
	v_sub_f32_e32 v11, v19, v16
	v_ldexp_f32 v21, v19, 1
	v_mul_f32_e32 v19, v19, v20
	v_pk_mul_f32 v[36:37], v[18:19], v[8:9]
	v_sub_f32_e32 v7, v7, v11
	v_fma_f32 v20, v18, s67, -v36
	v_fmac_f32_e32 v20, 0xb102e308, v18
	v_pk_add_f32 v[18:19], v[36:37], v[20:21]
	v_ldexp_f32 v7, v7, 1
	v_sub_f32_e32 v9, v19, v21
	v_sub_f32_e32 v9, v37, v9
	v_add_f32_e32 v39, v7, v9
	v_mov_b32_e32 v38, v36
	v_pk_add_f32 v[36:37], v[18:19], v[36:37] neg_lo:[0,1] neg_hi:[0,1]
	v_pk_add_f32 v[40:41], v[18:19], v[38:39]
	v_mov_b32_e32 v21, v18
	v_mov_b32_e32 v37, v41
	v_pk_add_f32 v[42:43], v[20:21], v[36:37] neg_lo:[0,1] neg_hi:[0,1]
	v_pk_add_f32 v[20:21], v[20:21], v[36:37]
	v_mov_b32_e32 v38, v39
	v_pk_add_f32 v[36:37], v[20:21], v[18:19] op_sel:[1,0] op_sel_hi:[0,1] neg_lo:[0,1] neg_hi:[0,1]
	v_pk_add_f32 v[44:45], v[40:41], v[36:37] op_sel_hi:[1,0] neg_lo:[0,1] neg_hi:[0,1]
	v_mov_b32_e32 v40, v41
	v_mov_b32_e32 v41, v21
	v_pk_mov_b32 v[36:37], v[18:19], v[36:37] op_sel:[1,0]
	v_mov_b32_e32 v39, v18
	v_pk_add_f32 v[36:37], v[40:41], v[36:37] neg_lo:[0,1] neg_hi:[0,1]
	v_mov_b32_e32 v44, v42
	v_pk_add_f32 v[18:19], v[38:39], v[36:37] neg_lo:[0,1] neg_hi:[0,1]
	v_mov_b32_e32 v43, v21
	v_pk_add_f32 v[36:37], v[44:45], v[18:19]
	s_nop 0
	v_pk_add_f32 v[38:39], v[36:37], v[36:37] op_sel:[0,1] op_sel_hi:[1,0]
	s_nop 0
	v_pk_add_f32 v[20:21], v[20:21], v[38:39] op_sel:[1,0] op_sel_hi:[0,1]
	v_mov_b32_e32 v37, v20
	v_pk_add_f32 v[40:41], v[36:37], v[42:43] neg_lo:[0,1] neg_hi:[0,1]
	v_mov_b32_e32 v19, v38
	v_sub_f32_e32 v7, v36, v40
	v_pk_add_f32 v[18:19], v[18:19], v[40:41] neg_lo:[0,1] neg_hi:[0,1]
	v_sub_f32_e32 v7, v42, v7
	v_add_f32_e32 v7, v18, v7
	v_add_f32_e32 v7, v7, v19
	;; [unrolled: 1-line block ×3, first 2 shown]
	v_cndmask_b32_e32 v7, v29, v7, vcc
	v_cmp_ngt_f32_e32 vcc, -1.0, v4
	s_nop 1
	v_cndmask_b32_e32 v7, v6, v7, vcc
	v_cmp_neq_f32_e32 vcc, -1.0, v4
	s_nop 1
	v_cndmask_b32_e32 v7, v31, v7, vcc
	v_cmp_lt_f32_e64 vcc, |v4|, s68
	s_nop 1
	v_cndmask_b32_e32 v4, v7, v4, vcc
	v_mul_f32_e32 v16, 0.5, v4
.LBB348_32:                             ;   in Loop: Header=BB348_13 Depth=3
	s_or_b64 exec, exec, s[8:9]
	v_mov_b32_e32 v18, v16
.LBB348_33:                             ;   in Loop: Header=BB348_13 Depth=3
	s_or_b64 exec, exec, s[6:7]
	v_max_f32_e64 v9, |v17|, |v17|
	v_max_f32_e64 v11, |v0|, |v0|
	v_min_f32_e32 v9, v11, v9
	v_frexp_mant_f32_e32 v11, v3
	v_rcp_f32_e32 v11, v11
	v_frexp_exp_i32_f32_e32 v3, v3
	v_frexp_exp_i32_f32_e32 v16, v9
	v_frexp_mant_f32_e32 v9, v9
	v_mul_f32_e32 v9, v9, v11
	v_sub_u32_e32 v3, v16, v3
	v_ldexp_f32 v3, v9, v3
	v_mul_f32_e32 v9, v3, v3
	v_fmamk_f32 v11, v9, 0x3b2d2a58, v26
	v_fmaak_f32 v11, v9, v11, 0x3d29fb3f
	v_fmaak_f32 v11, v9, v11, 0xbd97d4d7
	v_fmaak_f32 v11, v9, v11, 0x3dd931b2
	v_fmaak_f32 v11, v9, v11, 0xbe1160e6
	v_fmaak_f32 v11, v9, v11, 0x3e4cb8bf
	v_fmaak_f32 v11, v9, v11, 0xbeaaaa62
	v_mul_f32_e32 v9, v9, v11
	v_cmp_gt_i32_e64 s[6:7], 0, v0
	v_fmac_f32_e32 v3, v3, v9
	v_sub_f32_e32 v9, 0x3fc90fdb, v3
	v_cndmask_b32_e64 v7, 0, v34, s[6:7]
	v_cmp_gt_f32_e64 s[6:7], |v17|, |v0|
	v_cmp_gt_f32_e32 vcc, 0, v0
	v_cmp_class_f32_e64 s[8:9], v17, s69
	v_cndmask_b32_e64 v3, v3, v9, s[6:7]
	v_sub_f32_e32 v9, 0x40490fdb, v3
	v_cmp_class_f32_e64 s[10:11], v0, s69
	v_cndmask_b32_e32 v4, v32, v33, vcc
	v_cndmask_b32_e32 v3, v3, v9, vcc
	v_cmp_eq_f32_e32 vcc, 0, v17
	s_nop 1
	v_cndmask_b32_e32 v3, v3, v7, vcc
	s_and_b64 vcc, s[10:11], s[8:9]
	v_cndmask_b32_e32 v3, v3, v4, vcc
	v_cmp_o_f32_e32 vcc, v0, v17
	s_nop 1
	v_cndmask_b32_e32 v0, v6, v3, vcc
	v_bfi_b32 v19, s47, v0, v17
	v_pk_add_f32 v[16:17], v[14:15], v[18:19]
                                        ; implicit-def: $vgpr19
                                        ; implicit-def: $vgpr15
.LBB348_34:                             ;   in Loop: Header=BB348_13 Depth=3
	s_andn2_saveexec_b64 s[38:39], s[38:39]
	s_cbranch_execz .LBB348_11
; %bb.35:                               ;   in Loop: Header=BB348_13 Depth=3
	v_cmp_ngt_f32_e32 vcc, 0, v16
	s_and_saveexec_b64 s[40:41], vcc
	s_cbranch_execz .LBB348_10
; %bb.36:                               ;   in Loop: Header=BB348_13 Depth=3
	v_and_b32_e32 v3, 0x7fffffff, v17
	v_lshrrev_b32_e32 v0, 23, v3
	v_and_b32_e32 v4, 0x7fffff, v3
	v_cmp_nlt_f32_e64 s[42:43], |v17|, s48
	v_add_u32_e32 v16, 0xffffff88, v0
	v_or_b32_e32 v14, 0x800000, v4
                                        ; implicit-def: $vgpr7
                                        ; implicit-def: $vgpr4
	s_and_saveexec_b64 s[6:7], s[42:43]
	s_xor_b64 s[44:45], exec, s[6:7]
	s_cbranch_execz .LBB348_38
; %bb.37:                               ;   in Loop: Header=BB348_13 Depth=3
	v_cmp_lt_u32_e32 vcc, 63, v16
	v_mad_u64_u32 v[20:21], s[10:11], v14, s50, 0
	s_nop 0
	v_cndmask_b32_e32 v0, 0, v27, vcc
	v_add_u32_e32 v0, v0, v16
	v_cmp_lt_u32_e64 s[6:7], 31, v0
	s_nop 1
	v_cndmask_b32_e64 v4, 0, v28, s[6:7]
	v_add_u32_e32 v0, v4, v0
	v_cmp_lt_u32_e64 s[8:9], 31, v0
	s_nop 1
	v_cndmask_b32_e64 v4, 0, v28, s[8:9]
	v_add_u32_e32 v4, v4, v0
	v_mov_b32_e32 v0, v21
	v_mad_u64_u32 v[36:37], s[10:11], v14, s51, v[0:1]
	v_mov_b32_e32 v0, v37
	v_mad_u64_u32 v[38:39], s[10:11], v14, s52, v[0:1]
	;; [unrolled: 2-line block ×6, first 2 shown]
	v_cndmask_b32_e32 v7, v44, v40, vcc
	v_cndmask_b32_e32 v0, v46, v42, vcc
	;; [unrolled: 1-line block ×3, first 2 shown]
	v_cndmask_b32_e64 v9, v0, v7, s[6:7]
	v_cndmask_b32_e64 v0, v11, v0, s[6:7]
	v_cndmask_b32_e32 v11, v42, v38, vcc
	v_cndmask_b32_e64 v7, v7, v11, s[6:7]
	v_sub_u32_e32 v18, 32, v4
	v_cmp_eq_u32_e64 s[10:11], 0, v4
	v_cndmask_b32_e32 v4, v40, v36, vcc
	v_cndmask_b32_e64 v0, v0, v9, s[8:9]
	v_cndmask_b32_e64 v9, v9, v7, s[8:9]
	;; [unrolled: 1-line block ×3, first 2 shown]
	v_alignbit_b32 v21, v0, v9, v18
	v_cndmask_b32_e64 v7, v7, v11, s[8:9]
	v_cndmask_b32_e64 v0, v21, v0, s[10:11]
	v_alignbit_b32 v21, v9, v7, v18
	v_cndmask_b32_e32 v20, v38, v20, vcc
	v_cndmask_b32_e64 v9, v21, v9, s[10:11]
	v_bfe_u32 v36, v0, 29, 1
	v_cndmask_b32_e64 v4, v4, v20, s[6:7]
	v_alignbit_b32 v21, v0, v9, 30
	v_sub_u32_e32 v37, 0, v36
	v_cndmask_b32_e64 v4, v11, v4, s[8:9]
	v_xor_b32_e32 v21, v21, v37
	v_alignbit_b32 v11, v7, v4, v18
	v_cndmask_b32_e64 v7, v11, v7, s[10:11]
	v_ffbh_u32_e32 v11, v21
	v_alignbit_b32 v9, v9, v7, 30
	v_min_u32_e32 v11, 32, v11
	v_alignbit_b32 v4, v7, v4, 30
	v_xor_b32_e32 v9, v9, v37
	v_sub_u32_e32 v18, 31, v11
	v_xor_b32_e32 v4, v4, v37
	v_alignbit_b32 v20, v21, v9, v18
	v_alignbit_b32 v4, v9, v4, v18
	;; [unrolled: 1-line block ×3, first 2 shown]
	v_ffbh_u32_e32 v9, v7
	v_min_u32_e32 v9, 32, v9
	v_lshrrev_b32_e32 v35, 29, v0
	v_not_b32_e32 v18, v9
	v_alignbit_b32 v4, v7, v4, v18
	v_lshlrev_b32_e32 v7, 31, v35
	v_or_b32_e32 v18, 0x33000000, v7
	v_add_lshl_u32 v9, v9, v11, 23
	v_lshrrev_b32_e32 v4, 9, v4
	v_sub_u32_e32 v9, v18, v9
	v_or_b32_e32 v7, 0.5, v7
	v_lshlrev_b32_e32 v11, 23, v11
	v_or_b32_e32 v4, v9, v4
	v_lshrrev_b32_e32 v9, 9, v20
	v_sub_u32_e32 v7, v7, v11
	v_or_b32_e32 v7, v9, v7
	v_mul_f32_e32 v9, 0x3fc90fda, v7
	v_fma_f32 v11, v7, s57, -v9
	v_fmac_f32_e32 v11, 0x33a22168, v7
	v_fmac_f32_e32 v11, 0x3fc90fda, v4
	v_lshrrev_b32_e32 v0, 30, v0
	v_add_f32_e32 v4, v9, v11
	v_add_u32_e32 v7, v36, v0
.LBB348_38:                             ;   in Loop: Header=BB348_13 Depth=3
	s_or_saveexec_b64 s[6:7], s[44:45]
	v_mul_f32_e64 v0, |v17|, s58
	v_rndne_f32_e32 v0, v0
	s_xor_b64 exec, exec, s[6:7]
; %bb.39:                               ;   in Loop: Header=BB348_13 Depth=3
	v_cvt_i32_f32_e32 v7, v0
	v_fma_f32 v4, v0, s59, |v17|
	v_fmac_f32_e32 v4, 0xb3a22168, v0
	v_fmac_f32_e32 v4, 0xa7c234c4, v0
; %bb.40:                               ;   in Loop: Header=BB348_13 Depth=3
	s_or_b64 exec, exec, s[6:7]
                                        ; implicit-def: $vgpr9
                                        ; implicit-def: $vgpr11
	s_and_saveexec_b64 s[6:7], s[42:43]
	s_xor_b64 s[42:43], exec, s[6:7]
	s_cbranch_execz .LBB348_42
; %bb.41:                               ;   in Loop: Header=BB348_13 Depth=3
	v_cmp_lt_u32_e32 vcc, 63, v16
	v_mad_u64_u32 v[20:21], s[10:11], v14, s50, 0
	s_nop 0
	v_cndmask_b32_e32 v0, 0, v27, vcc
	v_add_u32_e32 v0, v0, v16
	v_cmp_lt_u32_e64 s[6:7], 31, v0
	s_nop 1
	v_cndmask_b32_e64 v9, 0, v28, s[6:7]
	v_add_u32_e32 v0, v9, v0
	v_cmp_lt_u32_e64 s[8:9], 31, v0
	s_nop 1
	v_cndmask_b32_e64 v9, 0, v28, s[8:9]
	v_add_u32_e32 v9, v9, v0
	v_mov_b32_e32 v0, v21
	v_mad_u64_u32 v[36:37], s[10:11], v14, s51, v[0:1]
	v_mov_b32_e32 v0, v37
	v_mad_u64_u32 v[38:39], s[10:11], v14, s52, v[0:1]
	;; [unrolled: 2-line block ×6, first 2 shown]
	v_cndmask_b32_e32 v11, v44, v40, vcc
	v_cndmask_b32_e32 v0, v46, v42, vcc
	;; [unrolled: 1-line block ×3, first 2 shown]
	v_cndmask_b32_e64 v14, v0, v11, s[6:7]
	v_cndmask_b32_e64 v0, v16, v0, s[6:7]
	v_cndmask_b32_e32 v16, v42, v38, vcc
	v_cndmask_b32_e64 v11, v11, v16, s[6:7]
	v_sub_u32_e32 v18, 32, v9
	v_cmp_eq_u32_e64 s[10:11], 0, v9
	v_cndmask_b32_e32 v9, v40, v36, vcc
	v_cndmask_b32_e64 v0, v0, v14, s[8:9]
	v_cndmask_b32_e64 v14, v14, v11, s[8:9]
	;; [unrolled: 1-line block ×3, first 2 shown]
	v_alignbit_b32 v21, v0, v14, v18
	v_cndmask_b32_e64 v11, v11, v16, s[8:9]
	v_cndmask_b32_e64 v0, v21, v0, s[10:11]
	v_alignbit_b32 v21, v14, v11, v18
	v_cndmask_b32_e32 v20, v38, v20, vcc
	v_cndmask_b32_e64 v14, v21, v14, s[10:11]
	v_bfe_u32 v36, v0, 29, 1
	v_cndmask_b32_e64 v9, v9, v20, s[6:7]
	v_alignbit_b32 v21, v0, v14, 30
	v_sub_u32_e32 v37, 0, v36
	v_cndmask_b32_e64 v9, v16, v9, s[8:9]
	v_xor_b32_e32 v21, v21, v37
	v_alignbit_b32 v16, v11, v9, v18
	v_cndmask_b32_e64 v11, v16, v11, s[10:11]
	v_ffbh_u32_e32 v16, v21
	v_alignbit_b32 v14, v14, v11, 30
	v_min_u32_e32 v16, 32, v16
	v_alignbit_b32 v9, v11, v9, 30
	v_xor_b32_e32 v14, v14, v37
	v_sub_u32_e32 v18, 31, v16
	v_xor_b32_e32 v9, v9, v37
	v_alignbit_b32 v20, v21, v14, v18
	v_alignbit_b32 v9, v14, v9, v18
	;; [unrolled: 1-line block ×3, first 2 shown]
	v_ffbh_u32_e32 v14, v11
	v_min_u32_e32 v14, 32, v14
	v_lshrrev_b32_e32 v35, 29, v0
	v_not_b32_e32 v18, v14
	v_alignbit_b32 v9, v11, v9, v18
	v_lshlrev_b32_e32 v11, 31, v35
	v_or_b32_e32 v18, 0x33000000, v11
	v_add_lshl_u32 v14, v14, v16, 23
	v_lshrrev_b32_e32 v9, 9, v9
	v_sub_u32_e32 v14, v18, v14
	v_or_b32_e32 v11, 0.5, v11
	v_lshlrev_b32_e32 v16, 23, v16
	v_or_b32_e32 v9, v14, v9
	v_lshrrev_b32_e32 v14, 9, v20
	v_sub_u32_e32 v11, v11, v16
	v_or_b32_e32 v11, v14, v11
	v_mul_f32_e32 v14, 0x3fc90fda, v11
	v_fma_f32 v16, v11, s57, -v14
	v_fmac_f32_e32 v16, 0x33a22168, v11
	v_fmac_f32_e32 v16, 0x3fc90fda, v9
	v_lshrrev_b32_e32 v0, 30, v0
	v_add_f32_e32 v11, v14, v16
	v_add_u32_e32 v9, v36, v0
                                        ; implicit-def: $vgpr0
	s_andn2_saveexec_b64 s[6:7], s[42:43]
	s_cbranch_execnz .LBB348_43
	s_branch .LBB348_44
.LBB348_42:                             ;   in Loop: Header=BB348_13 Depth=3
	s_andn2_saveexec_b64 s[6:7], s[42:43]
.LBB348_43:                             ;   in Loop: Header=BB348_13 Depth=3
	v_cvt_i32_f32_e32 v9, v0
	v_fma_f32 v11, v0, s59, |v17|
	v_fmac_f32_e32 v11, 0xb3a22168, v0
	v_fmac_f32_e32 v11, 0xa7c234c4, v0
.LBB348_44:                             ;   in Loop: Header=BB348_13 Depth=3
	s_or_b64 exec, exec, s[6:7]
	v_and_b32_e32 v14, 0x7fffffff, v15
	v_lshrrev_b32_e32 v0, 23, v14
	v_and_b32_e32 v16, 0x7fffff, v14
	v_cmp_nlt_f32_e64 s[42:43], |v15|, s48
	v_add_u32_e32 v21, 0xffffff88, v0
	v_or_b32_e32 v20, 0x800000, v16
                                        ; implicit-def: $vgpr18
                                        ; implicit-def: $vgpr16
	s_and_saveexec_b64 s[6:7], s[42:43]
	s_xor_b64 s[44:45], exec, s[6:7]
	s_cbranch_execz .LBB348_46
; %bb.45:                               ;   in Loop: Header=BB348_13 Depth=3
	v_cmp_lt_u32_e32 vcc, 63, v21
	v_mad_u64_u32 v[36:37], s[10:11], v20, s50, 0
	s_nop 0
	v_cndmask_b32_e32 v0, 0, v27, vcc
	v_add_u32_e32 v0, v0, v21
	v_cmp_lt_u32_e64 s[6:7], 31, v0
	s_nop 1
	v_cndmask_b32_e64 v16, 0, v28, s[6:7]
	v_add_u32_e32 v0, v16, v0
	v_cmp_lt_u32_e64 s[8:9], 31, v0
	s_nop 1
	v_cndmask_b32_e64 v16, 0, v28, s[8:9]
	v_add_u32_e32 v16, v16, v0
	v_mov_b32_e32 v0, v37
	v_mad_u64_u32 v[38:39], s[10:11], v20, s51, v[0:1]
	v_mov_b32_e32 v0, v39
	v_mad_u64_u32 v[40:41], s[10:11], v20, s52, v[0:1]
	;; [unrolled: 2-line block ×6, first 2 shown]
	v_cndmask_b32_e32 v18, v46, v42, vcc
	v_cndmask_b32_e32 v0, v48, v44, vcc
	;; [unrolled: 1-line block ×3, first 2 shown]
	v_cndmask_b32_e64 v35, v0, v18, s[6:7]
	v_cndmask_b32_e64 v0, v37, v0, s[6:7]
	v_cndmask_b32_e32 v37, v44, v40, vcc
	v_cndmask_b32_e64 v18, v18, v37, s[6:7]
	v_sub_u32_e32 v39, 32, v16
	v_cmp_eq_u32_e64 s[10:11], 0, v16
	v_cndmask_b32_e32 v16, v42, v38, vcc
	v_cndmask_b32_e64 v0, v0, v35, s[8:9]
	v_cndmask_b32_e64 v35, v35, v18, s[8:9]
	;; [unrolled: 1-line block ×3, first 2 shown]
	v_alignbit_b32 v41, v0, v35, v39
	v_cndmask_b32_e64 v18, v18, v37, s[8:9]
	v_cndmask_b32_e64 v0, v41, v0, s[10:11]
	v_alignbit_b32 v38, v35, v18, v39
	v_cndmask_b32_e32 v36, v40, v36, vcc
	v_cndmask_b32_e64 v35, v38, v35, s[10:11]
	v_bfe_u32 v42, v0, 29, 1
	v_cndmask_b32_e64 v16, v16, v36, s[6:7]
	v_alignbit_b32 v38, v0, v35, 30
	v_sub_u32_e32 v43, 0, v42
	v_cndmask_b32_e64 v16, v37, v16, s[8:9]
	v_xor_b32_e32 v38, v38, v43
	v_alignbit_b32 v36, v18, v16, v39
	v_cndmask_b32_e64 v18, v36, v18, s[10:11]
	v_ffbh_u32_e32 v36, v38
	v_alignbit_b32 v35, v35, v18, 30
	v_min_u32_e32 v36, 32, v36
	v_alignbit_b32 v16, v18, v16, 30
	v_xor_b32_e32 v35, v35, v43
	v_sub_u32_e32 v37, 31, v36
	v_xor_b32_e32 v16, v16, v43
	v_alignbit_b32 v38, v38, v35, v37
	v_alignbit_b32 v16, v35, v16, v37
	;; [unrolled: 1-line block ×3, first 2 shown]
	v_ffbh_u32_e32 v35, v18
	v_min_u32_e32 v35, 32, v35
	v_lshrrev_b32_e32 v41, 29, v0
	v_not_b32_e32 v37, v35
	v_alignbit_b32 v16, v18, v16, v37
	v_lshlrev_b32_e32 v18, 31, v41
	v_or_b32_e32 v37, 0x33000000, v18
	v_add_lshl_u32 v35, v35, v36, 23
	v_lshrrev_b32_e32 v16, 9, v16
	v_sub_u32_e32 v35, v37, v35
	v_or_b32_e32 v18, 0.5, v18
	v_lshlrev_b32_e32 v36, 23, v36
	v_or_b32_e32 v16, v35, v16
	v_lshrrev_b32_e32 v35, 9, v38
	v_sub_u32_e32 v18, v18, v36
	v_or_b32_e32 v18, v35, v18
	v_mul_f32_e32 v35, 0x3fc90fda, v18
	v_fma_f32 v36, v18, s57, -v35
	v_fmac_f32_e32 v36, 0x33a22168, v18
	v_fmac_f32_e32 v36, 0x3fc90fda, v16
	v_lshrrev_b32_e32 v0, 30, v0
	v_add_f32_e32 v16, v35, v36
	v_add_u32_e32 v18, v42, v0
.LBB348_46:                             ;   in Loop: Header=BB348_13 Depth=3
	s_or_saveexec_b64 s[6:7], s[44:45]
	v_mul_f32_e64 v0, |v15|, s58
	v_rndne_f32_e32 v36, v0
	s_xor_b64 exec, exec, s[6:7]
; %bb.47:                               ;   in Loop: Header=BB348_13 Depth=3
	v_cvt_i32_f32_e32 v18, v36
	v_fma_f32 v16, v36, s59, |v15|
	v_fmac_f32_e32 v16, 0xb3a22168, v36
	v_fmac_f32_e32 v16, 0xa7c234c4, v36
; %bb.48:                               ;   in Loop: Header=BB348_13 Depth=3
	s_or_b64 exec, exec, s[6:7]
                                        ; implicit-def: $vgpr0
                                        ; implicit-def: $vgpr35
	s_and_saveexec_b64 s[6:7], s[42:43]
	s_xor_b64 s[42:43], exec, s[6:7]
	s_cbranch_execz .LBB348_50
; %bb.49:                               ;   in Loop: Header=BB348_13 Depth=3
	v_cmp_lt_u32_e32 vcc, 63, v21
	v_mad_u64_u32 v[36:37], s[10:11], v20, s50, 0
	s_nop 0
	v_cndmask_b32_e32 v0, 0, v27, vcc
	v_add_u32_e32 v0, v0, v21
	v_cmp_lt_u32_e64 s[6:7], 31, v0
	s_nop 1
	v_cndmask_b32_e64 v21, 0, v28, s[6:7]
	v_add_u32_e32 v0, v21, v0
	v_cmp_lt_u32_e64 s[8:9], 31, v0
	s_nop 1
	v_cndmask_b32_e64 v21, 0, v28, s[8:9]
	v_add_u32_e32 v35, v21, v0
	v_mov_b32_e32 v0, v37
	v_mad_u64_u32 v[38:39], s[10:11], v20, s51, v[0:1]
	v_mov_b32_e32 v0, v39
	v_mad_u64_u32 v[40:41], s[10:11], v20, s52, v[0:1]
	;; [unrolled: 2-line block ×6, first 2 shown]
	v_cndmask_b32_e32 v37, v46, v42, vcc
	v_cndmask_b32_e32 v0, v20, v44, vcc
	;; [unrolled: 1-line block ×3, first 2 shown]
	v_cndmask_b32_e64 v20, v0, v37, s[6:7]
	v_cndmask_b32_e64 v0, v21, v0, s[6:7]
	v_cndmask_b32_e32 v21, v44, v40, vcc
	v_cndmask_b32_e64 v37, v37, v21, s[6:7]
	v_sub_u32_e32 v39, 32, v35
	v_cmp_eq_u32_e64 s[10:11], 0, v35
	v_cndmask_b32_e32 v35, v42, v38, vcc
	v_cndmask_b32_e64 v0, v0, v20, s[8:9]
	v_cndmask_b32_e64 v20, v20, v37, s[8:9]
	;; [unrolled: 1-line block ×3, first 2 shown]
	v_alignbit_b32 v41, v0, v20, v39
	v_cndmask_b32_e64 v37, v37, v21, s[8:9]
	v_cndmask_b32_e64 v0, v41, v0, s[10:11]
	v_alignbit_b32 v38, v20, v37, v39
	v_cndmask_b32_e32 v36, v40, v36, vcc
	v_cndmask_b32_e64 v20, v38, v20, s[10:11]
	v_bfe_u32 v42, v0, 29, 1
	v_cndmask_b32_e64 v35, v35, v36, s[6:7]
	v_alignbit_b32 v38, v0, v20, 30
	v_sub_u32_e32 v43, 0, v42
	v_cndmask_b32_e64 v21, v21, v35, s[8:9]
	v_xor_b32_e32 v38, v38, v43
	v_alignbit_b32 v35, v37, v21, v39
	v_cndmask_b32_e64 v35, v35, v37, s[10:11]
	v_ffbh_u32_e32 v36, v38
	v_alignbit_b32 v20, v20, v35, 30
	v_min_u32_e32 v36, 32, v36
	v_alignbit_b32 v21, v35, v21, 30
	v_xor_b32_e32 v20, v20, v43
	v_sub_u32_e32 v37, 31, v36
	v_xor_b32_e32 v21, v21, v43
	v_alignbit_b32 v38, v38, v20, v37
	v_alignbit_b32 v20, v20, v21, v37
	;; [unrolled: 1-line block ×3, first 2 shown]
	v_ffbh_u32_e32 v35, v21
	v_min_u32_e32 v35, 32, v35
	v_lshrrev_b32_e32 v41, 29, v0
	v_not_b32_e32 v37, v35
	v_alignbit_b32 v20, v21, v20, v37
	v_lshlrev_b32_e32 v21, 31, v41
	v_or_b32_e32 v37, 0x33000000, v21
	v_add_lshl_u32 v35, v35, v36, 23
	v_lshrrev_b32_e32 v20, 9, v20
	v_sub_u32_e32 v35, v37, v35
	v_or_b32_e32 v21, 0.5, v21
	v_lshlrev_b32_e32 v36, 23, v36
	v_or_b32_e32 v20, v35, v20
	v_lshrrev_b32_e32 v35, 9, v38
	v_sub_u32_e32 v21, v21, v36
	v_or_b32_e32 v21, v35, v21
	v_mul_f32_e32 v35, 0x3fc90fda, v21
	v_fma_f32 v36, v21, s57, -v35
	v_fmac_f32_e32 v36, 0x33a22168, v21
	v_fmac_f32_e32 v36, 0x3fc90fda, v20
	v_lshrrev_b32_e32 v0, 30, v0
	v_add_f32_e32 v35, v35, v36
	v_add_u32_e32 v0, v42, v0
                                        ; implicit-def: $vgpr36
	s_andn2_saveexec_b64 s[6:7], s[42:43]
	s_cbranch_execnz .LBB348_51
	s_branch .LBB348_52
.LBB348_50:                             ;   in Loop: Header=BB348_13 Depth=3
	s_andn2_saveexec_b64 s[6:7], s[42:43]
.LBB348_51:                             ;   in Loop: Header=BB348_13 Depth=3
	v_cvt_i32_f32_e32 v0, v36
	v_fma_f32 v35, v36, s59, |v15|
	v_fmac_f32_e32 v35, 0xb3a22168, v36
	v_fmac_f32_e32 v35, 0xa7c234c4, v36
.LBB348_52:                             ;   in Loop: Header=BB348_13 Depth=3
	s_or_b64 exec, exec, s[6:7]
	v_mul_f32_e32 v21, v4, v4
	v_fmamk_f32 v36, v21, 0xb94c1982, v23
	v_fmaak_f32 v36, v21, v36, 0xbe2aaa9d
	v_mul_f32_e32 v36, v21, v36
	v_fmac_f32_e32 v4, v4, v36
	v_fmamk_f32 v36, v21, 0x37d75334, v24
	v_fmaak_f32 v36, v21, v36, 0x3d2aabf7
	v_lshlrev_b32_e32 v20, 30, v7
	v_and_b32_e32 v7, 1, v7
	v_fmaak_f32 v36, v21, v36, 0xbf000004
	v_and_b32_e32 v20, 0x80000000, v20
	v_fma_f32 v21, v21, v36, 1.0
	v_cmp_eq_u32_e32 vcc, 0, v7
	v_xor_b32_e32 v3, v3, v19
	v_xor_b32_e32 v3, v3, v20
	v_cndmask_b32_e32 v4, v21, v4, vcc
	v_xor_b32_e32 v3, v3, v4
	v_mul_f32_e32 v4, v11, v11
	v_fmamk_f32 v7, v4, 0xb94c1982, v23
	v_fmaak_f32 v7, v4, v7, 0xbe2aaa9d
	v_mul_f32_e32 v7, v4, v7
	v_fmac_f32_e32 v11, v11, v7
	v_fmamk_f32 v7, v4, 0x37d75334, v24
	v_fmaak_f32 v7, v4, v7, 0x3d2aabf7
	v_fmaak_f32 v7, v4, v7, 0xbf000004
	v_fma_f32 v4, v4, v7, 1.0
	v_and_b32_e32 v7, 1, v9
	v_cmp_eq_u32_e64 s[6:7], 0, v7
	v_lshlrev_b32_e32 v7, 30, v9
	v_mul_f32_e32 v9, v16, v16
	v_cndmask_b32_e64 v4, -v11, v4, s[6:7]
	v_fmamk_f32 v11, v9, 0xb94c1982, v23
	v_cmp_class_f32_e64 vcc, v17, s46
	v_bitop3_b32 v4, v7, v4, s64 bitop3:0x6c
	v_fmaak_f32 v11, v9, v11, 0xbe2aaa9d
	v_cndmask_b32_e32 v4, v6, v4, vcc
	v_mul_f32_e32 v11, v9, v11
	v_cndmask_b32_e32 v3, v6, v3, vcc
	v_mul_f32_e32 v7, 0x7f800000, v4
	v_cmp_neq_f32_e32 vcc, 0, v4
	v_fmac_f32_e32 v16, v16, v11
	v_fmamk_f32 v11, v9, 0x37d75334, v24
	v_cndmask_b32_e32 v7, 0, v7, vcc
	v_mul_f32_e32 v4, 0x7f800000, v3
	v_cmp_neq_f32_e32 vcc, 0, v3
	v_fmaak_f32 v11, v9, v11, 0x3d2aabf7
	v_fmaak_f32 v11, v9, v11, 0xbf000004
	v_cndmask_b32_e32 v20, 0, v4, vcc
	v_and_b32_e32 v4, 1, v18
	v_lshlrev_b32_e32 v3, 30, v18
	v_fma_f32 v9, v9, v11, 1.0
	v_cmp_eq_u32_e32 vcc, 0, v4
	v_and_b32_e32 v3, 0x80000000, v3
	s_nop 0
	v_cndmask_b32_e32 v4, v9, v16, vcc
	v_xor_b32_e32 v9, v14, v15
	v_xor_b32_e32 v3, v9, v3
	;; [unrolled: 1-line block ×3, first 2 shown]
	v_mul_f32_e32 v4, v35, v35
	v_fmamk_f32 v9, v4, 0xb94c1982, v23
	v_fmaak_f32 v9, v4, v9, 0xbe2aaa9d
	v_mul_f32_e32 v9, v4, v9
	v_fmac_f32_e32 v35, v35, v9
	v_fmamk_f32 v9, v4, 0x37d75334, v24
	v_fmaak_f32 v9, v4, v9, 0x3d2aabf7
	v_fmaak_f32 v9, v4, v9, 0xbf000004
	v_fma_f32 v4, v4, v9, 1.0
	v_and_b32_e32 v9, 1, v0
	v_cmp_eq_u32_e64 s[6:7], 0, v9
	v_lshlrev_b32_e32 v0, 30, v0
	v_cmp_class_f32_e64 vcc, v15, s46
	v_cndmask_b32_e64 v4, -v35, v4, s[6:7]
	v_bitop3_b32 v0, v0, v4, s64 bitop3:0x6c
	v_cndmask_b32_e32 v0, v6, v0, vcc
	v_cndmask_b32_e32 v3, v6, v3, vcc
	v_mul_f32_e32 v4, 0x7f800000, v0
	v_cmp_neq_f32_e32 vcc, 0, v0
	s_nop 1
	v_cndmask_b32_e32 v0, 0, v4, vcc
	v_mul_f32_e32 v4, 0x7f800000, v3
	v_cmp_neq_f32_e32 vcc, 0, v3
	v_add_f32_e32 v21, v7, v0
	s_nop 0
	v_cndmask_b32_e32 v4, 0, v4, vcc
	v_pk_add_f32 v[14:15], v[20:21], v[4:5]
	s_nop 0
	v_max_f32_e64 v0, |v15|, |v14|
	v_cvt_f64_f32_e32 v[16:17], v0
	v_frexp_exp_i32_f64_e32 v3, v[16:17]
	v_sub_u32_e32 v4, 0, v3
	v_ldexp_f32 v7, |v15|, v4
	v_ldexp_f32 v4, |v14|, v4
	v_mul_f32_e32 v4, v4, v4
	v_fmac_f32_e32 v4, v7, v7
	v_sqrt_f32_e32 v4, v4
	v_cmp_eq_f32_e32 vcc, s63, v0
	v_add_f32_e32 v0, 1.0, v15
                                        ; implicit-def: $vgpr16
	v_ldexp_f32 v4, v4, v3
	v_cmp_ngt_f32_e64 s[6:7], 0.5, v4
	v_max_f32_e64 v3, |v0|, |v14|
	s_or_b64 s[6:7], vcc, s[6:7]
	s_and_saveexec_b64 s[8:9], s[6:7]
	s_xor_b64 s[8:9], exec, s[8:9]
	s_cbranch_execz .LBB348_54
; %bb.53:                               ;   in Loop: Header=BB348_13 Depth=3
	v_cvt_f64_f32_e32 v[16:17], v3
	v_frexp_exp_i32_f64_e32 v4, v[16:17]
	v_sub_u32_e32 v7, 0, v4
	v_ldexp_f32 v9, |v0|, v7
	v_ldexp_f32 v7, |v14|, v7
	v_mul_f32_e32 v7, v7, v7
	v_fmac_f32_e32 v7, v9, v9
	v_sqrt_f32_e32 v7, v7
	v_cmp_neq_f32_e32 vcc, s63, v3
	v_ldexp_f32 v4, v7, v4
	s_nop 0
	v_cndmask_b32_e32 v4, v29, v4, vcc
	v_cmp_gt_f32_e32 vcc, s49, v4
	s_nop 1
	v_cndmask_b32_e64 v7, 0, 32, vcc
	v_ldexp_f32 v4, v4, v7
	v_log_f32_e32 v4, v4
	s_nop 0
	v_mul_f32_e32 v7, 0x3f317217, v4
	v_fma_f32 v7, v4, s65, -v7
	v_fmac_f32_e32 v7, 0x3377d1cf, v4
	v_fmac_f32_e32 v7, 0x3f317217, v4
	v_cmp_lt_f32_e64 s[6:7], |v4|, s63
	s_nop 1
	v_cndmask_b32_e64 v4, v4, v7, s[6:7]
	v_cndmask_b32_e32 v7, 0, v30, vcc
	v_sub_f32_e32 v16, v4, v7
.LBB348_54:                             ;   in Loop: Header=BB348_13 Depth=3
	s_andn2_saveexec_b64 s[6:7], s[8:9]
	s_cbranch_execz .LBB348_9
; %bb.55:                               ;   in Loop: Header=BB348_13 Depth=3
	v_add_f32_e32 v17, 2.0, v15
	v_mov_b32_e32 v16, v14
	v_pk_mul_f32 v[16:17], v[14:15], v[16:17]
	s_nop 0
	v_add_f32_e32 v4, v16, v17
	v_cmp_neq_f32_e32 vcc, 0, v4
	s_and_saveexec_b64 s[8:9], vcc
	s_cbranch_execz .LBB348_8
; %bb.56:                               ;   in Loop: Header=BB348_13 Depth=3
	v_add_f32_e32 v7, 1.0, v4
	v_add_f32_e32 v9, -1.0, v7
	v_sub_f32_e32 v11, v9, v7
	v_add_f32_e32 v11, 1.0, v11
	v_sub_f32_e32 v9, v4, v9
	v_add_f32_e32 v9, v9, v11
	v_frexp_mant_f32_e32 v11, v7
	v_cvt_f64_f32_e32 v[16:17], v7
	v_frexp_exp_i32_f64_e32 v15, v[16:17]
	v_cmp_gt_f32_e32 vcc, s66, v11
	s_nop 1
	v_subbrev_co_u32_e32 v11, vcc, 0, v15, vcc
	v_sub_u32_e32 v15, 0, v11
	v_ldexp_f32 v7, v7, v15
	v_ldexp_f32 v9, v9, v15
	v_add_f32_e32 v15, -1.0, v7
	v_add_f32_e32 v17, 1.0, v7
	v_add_f32_e32 v16, 1.0, v15
	v_add_f32_e32 v18, -1.0, v17
	v_sub_f32_e32 v16, v7, v16
	v_sub_f32_e32 v7, v7, v18
	v_add_f32_e32 v7, v9, v7
	v_add_f32_e32 v16, v9, v16
	;; [unrolled: 1-line block ×3, first 2 shown]
	v_rcp_f32_e32 v35, v9
	v_sub_f32_e32 v17, v9, v17
	v_sub_f32_e32 v7, v7, v17
	v_add_f32_e32 v17, v15, v16
	v_mul_f32_e32 v38, v17, v35
	v_mul_f32_e32 v18, v9, v38
	v_fma_f32 v20, v38, v9, -v18
	v_sub_f32_e32 v15, v17, v15
	v_fmac_f32_e32 v20, v38, v7
	v_sub_f32_e32 v15, v16, v15
	v_add_f32_e32 v16, v18, v20
	v_sub_f32_e32 v19, v17, v16
	v_pk_add_f32 v[36:37], v[16:17], v[18:19] neg_lo:[0,1] neg_hi:[0,1]
	v_mov_b32_e32 v21, v16
	v_pk_add_f32 v[16:17], v[36:37], v[20:21] neg_lo:[0,1] neg_hi:[0,1]
	v_cmp_neq_f32_e32 vcc, s63, v4
	v_add_f32_e32 v15, v15, v17
	v_add_f32_e32 v15, v16, v15
	v_add_f32_e32 v17, v19, v15
	v_mul_f32_e32 v39, v35, v17
	v_mul_f32_e32 v18, v9, v39
	v_fma_f32 v20, v39, v9, -v18
	v_fmac_f32_e32 v20, v39, v7
	v_add_f32_e32 v16, v18, v20
	v_sub_f32_e32 v7, v19, v17
	v_sub_f32_e32 v19, v17, v16
	v_pk_add_f32 v[36:37], v[16:17], v[18:19] neg_lo:[0,1] neg_hi:[0,1]
	v_mov_b32_e32 v21, v16
	v_add_f32_e32 v7, v15, v7
	v_pk_add_f32 v[16:17], v[36:37], v[20:21] neg_lo:[0,1] neg_hi:[0,1]
	v_add_f32_e32 v15, v38, v39
	v_add_f32_e32 v7, v7, v17
	;; [unrolled: 1-line block ×4, first 2 shown]
	v_sub_f32_e32 v9, v15, v38
	v_mul_f32_e32 v7, v35, v7
	v_sub_f32_e32 v9, v39, v9
	v_add_f32_e32 v7, v9, v7
	v_add_f32_e32 v17, v15, v7
	v_cvt_f32_i32_e32 v16, v11
	v_mul_f32_e32 v18, v17, v17
	v_fmamk_f32 v9, v18, 0x3e9b6dac, v25
	v_fmaak_f32 v9, v18, v9, 0x3f2aaada
	v_sub_f32_e32 v11, v17, v15
	v_ldexp_f32 v19, v17, 1
	v_mul_f32_e32 v17, v17, v18
	v_pk_mul_f32 v[20:21], v[16:17], v[8:9]
	v_sub_f32_e32 v7, v7, v11
	v_fma_f32 v18, v16, s67, -v20
	v_fmac_f32_e32 v18, 0xb102e308, v16
	v_pk_add_f32 v[16:17], v[20:21], v[18:19]
	v_ldexp_f32 v7, v7, 1
	v_sub_f32_e32 v9, v17, v19
	v_sub_f32_e32 v9, v21, v9
	v_add_f32_e32 v37, v7, v9
	v_mov_b32_e32 v36, v20
	v_pk_add_f32 v[20:21], v[16:17], v[20:21] neg_lo:[0,1] neg_hi:[0,1]
	v_pk_add_f32 v[38:39], v[16:17], v[36:37]
	v_mov_b32_e32 v19, v16
	v_mov_b32_e32 v21, v39
	v_pk_add_f32 v[40:41], v[18:19], v[20:21] neg_lo:[0,1] neg_hi:[0,1]
	v_pk_add_f32 v[18:19], v[18:19], v[20:21]
	v_mov_b32_e32 v36, v37
	v_pk_add_f32 v[20:21], v[18:19], v[16:17] op_sel:[1,0] op_sel_hi:[0,1] neg_lo:[0,1] neg_hi:[0,1]
	v_pk_add_f32 v[42:43], v[38:39], v[20:21] op_sel_hi:[1,0] neg_lo:[0,1] neg_hi:[0,1]
	v_mov_b32_e32 v38, v39
	v_mov_b32_e32 v39, v19
	v_pk_mov_b32 v[20:21], v[16:17], v[20:21] op_sel:[1,0]
	v_mov_b32_e32 v37, v16
	v_pk_add_f32 v[20:21], v[38:39], v[20:21] neg_lo:[0,1] neg_hi:[0,1]
	v_mov_b32_e32 v42, v40
	v_pk_add_f32 v[16:17], v[36:37], v[20:21] neg_lo:[0,1] neg_hi:[0,1]
	v_mov_b32_e32 v41, v19
	v_pk_add_f32 v[20:21], v[42:43], v[16:17]
	s_nop 0
	v_pk_add_f32 v[36:37], v[20:21], v[20:21] op_sel:[0,1] op_sel_hi:[1,0]
	s_nop 0
	v_pk_add_f32 v[18:19], v[18:19], v[36:37] op_sel:[1,0] op_sel_hi:[0,1]
	v_mov_b32_e32 v21, v18
	v_pk_add_f32 v[38:39], v[20:21], v[40:41] neg_lo:[0,1] neg_hi:[0,1]
	v_mov_b32_e32 v17, v36
	v_sub_f32_e32 v7, v20, v38
	v_pk_add_f32 v[16:17], v[16:17], v[38:39] neg_lo:[0,1] neg_hi:[0,1]
	v_sub_f32_e32 v7, v40, v7
	v_add_f32_e32 v7, v16, v7
	v_add_f32_e32 v7, v7, v17
	;; [unrolled: 1-line block ×3, first 2 shown]
	v_cndmask_b32_e32 v7, v29, v7, vcc
	v_cmp_ngt_f32_e32 vcc, -1.0, v4
	s_nop 1
	v_cndmask_b32_e32 v7, v6, v7, vcc
	v_cmp_neq_f32_e32 vcc, -1.0, v4
	s_nop 1
	v_cndmask_b32_e32 v7, v31, v7, vcc
	v_cmp_lt_f32_e64 vcc, |v4|, s68
	s_nop 1
	v_cndmask_b32_e32 v4, v7, v4, vcc
	v_mul_f32_e32 v15, 0.5, v4
	s_branch .LBB348_8
.LBB348_57:
	s_endpgm
	.section	.rodata,"a",@progbits
	.p2align	6, 0x0
	.amdhsa_kernel _ZN2at6native28tensor_kernel_scan_outer_dimIN3c107complexIfEEjZZZNS0_31launch_logcumsumexp_cuda_kernelERKNS_10TensorBaseES7_lENKUlvE_clEvENKUlvE2_clEvEUlS4_S4_E_EEvPT_PKSB_jjjSB_T1_
		.amdhsa_group_segment_fixed_size 0
		.amdhsa_private_segment_fixed_size 0
		.amdhsa_kernarg_size 304
		.amdhsa_user_sgpr_count 2
		.amdhsa_user_sgpr_dispatch_ptr 0
		.amdhsa_user_sgpr_queue_ptr 0
		.amdhsa_user_sgpr_kernarg_segment_ptr 1
		.amdhsa_user_sgpr_dispatch_id 0
		.amdhsa_user_sgpr_kernarg_preload_length 0
		.amdhsa_user_sgpr_kernarg_preload_offset 0
		.amdhsa_user_sgpr_private_segment_size 0
		.amdhsa_uses_dynamic_stack 0
		.amdhsa_enable_private_segment 0
		.amdhsa_system_sgpr_workgroup_id_x 1
		.amdhsa_system_sgpr_workgroup_id_y 1
		.amdhsa_system_sgpr_workgroup_id_z 0
		.amdhsa_system_sgpr_workgroup_info 0
		.amdhsa_system_vgpr_workitem_id 0
		.amdhsa_next_free_vgpr 50
		.amdhsa_next_free_sgpr 72
		.amdhsa_accum_offset 52
		.amdhsa_reserve_vcc 1
		.amdhsa_float_round_mode_32 0
		.amdhsa_float_round_mode_16_64 0
		.amdhsa_float_denorm_mode_32 3
		.amdhsa_float_denorm_mode_16_64 3
		.amdhsa_dx10_clamp 1
		.amdhsa_ieee_mode 1
		.amdhsa_fp16_overflow 0
		.amdhsa_tg_split 0
		.amdhsa_exception_fp_ieee_invalid_op 0
		.amdhsa_exception_fp_denorm_src 0
		.amdhsa_exception_fp_ieee_div_zero 0
		.amdhsa_exception_fp_ieee_overflow 0
		.amdhsa_exception_fp_ieee_underflow 0
		.amdhsa_exception_fp_ieee_inexact 0
		.amdhsa_exception_int_div_zero 0
	.end_amdhsa_kernel
	.section	.text._ZN2at6native28tensor_kernel_scan_outer_dimIN3c107complexIfEEjZZZNS0_31launch_logcumsumexp_cuda_kernelERKNS_10TensorBaseES7_lENKUlvE_clEvENKUlvE2_clEvEUlS4_S4_E_EEvPT_PKSB_jjjSB_T1_,"axG",@progbits,_ZN2at6native28tensor_kernel_scan_outer_dimIN3c107complexIfEEjZZZNS0_31launch_logcumsumexp_cuda_kernelERKNS_10TensorBaseES7_lENKUlvE_clEvENKUlvE2_clEvEUlS4_S4_E_EEvPT_PKSB_jjjSB_T1_,comdat
.Lfunc_end348:
	.size	_ZN2at6native28tensor_kernel_scan_outer_dimIN3c107complexIfEEjZZZNS0_31launch_logcumsumexp_cuda_kernelERKNS_10TensorBaseES7_lENKUlvE_clEvENKUlvE2_clEvEUlS4_S4_E_EEvPT_PKSB_jjjSB_T1_, .Lfunc_end348-_ZN2at6native28tensor_kernel_scan_outer_dimIN3c107complexIfEEjZZZNS0_31launch_logcumsumexp_cuda_kernelERKNS_10TensorBaseES7_lENKUlvE_clEvENKUlvE2_clEvEUlS4_S4_E_EEvPT_PKSB_jjjSB_T1_
                                        ; -- End function
	.set _ZN2at6native28tensor_kernel_scan_outer_dimIN3c107complexIfEEjZZZNS0_31launch_logcumsumexp_cuda_kernelERKNS_10TensorBaseES7_lENKUlvE_clEvENKUlvE2_clEvEUlS4_S4_E_EEvPT_PKSB_jjjSB_T1_.num_vgpr, 50
	.set _ZN2at6native28tensor_kernel_scan_outer_dimIN3c107complexIfEEjZZZNS0_31launch_logcumsumexp_cuda_kernelERKNS_10TensorBaseES7_lENKUlvE_clEvENKUlvE2_clEvEUlS4_S4_E_EEvPT_PKSB_jjjSB_T1_.num_agpr, 0
	.set _ZN2at6native28tensor_kernel_scan_outer_dimIN3c107complexIfEEjZZZNS0_31launch_logcumsumexp_cuda_kernelERKNS_10TensorBaseES7_lENKUlvE_clEvENKUlvE2_clEvEUlS4_S4_E_EEvPT_PKSB_jjjSB_T1_.numbered_sgpr, 72
	.set _ZN2at6native28tensor_kernel_scan_outer_dimIN3c107complexIfEEjZZZNS0_31launch_logcumsumexp_cuda_kernelERKNS_10TensorBaseES7_lENKUlvE_clEvENKUlvE2_clEvEUlS4_S4_E_EEvPT_PKSB_jjjSB_T1_.num_named_barrier, 0
	.set _ZN2at6native28tensor_kernel_scan_outer_dimIN3c107complexIfEEjZZZNS0_31launch_logcumsumexp_cuda_kernelERKNS_10TensorBaseES7_lENKUlvE_clEvENKUlvE2_clEvEUlS4_S4_E_EEvPT_PKSB_jjjSB_T1_.private_seg_size, 0
	.set _ZN2at6native28tensor_kernel_scan_outer_dimIN3c107complexIfEEjZZZNS0_31launch_logcumsumexp_cuda_kernelERKNS_10TensorBaseES7_lENKUlvE_clEvENKUlvE2_clEvEUlS4_S4_E_EEvPT_PKSB_jjjSB_T1_.uses_vcc, 1
	.set _ZN2at6native28tensor_kernel_scan_outer_dimIN3c107complexIfEEjZZZNS0_31launch_logcumsumexp_cuda_kernelERKNS_10TensorBaseES7_lENKUlvE_clEvENKUlvE2_clEvEUlS4_S4_E_EEvPT_PKSB_jjjSB_T1_.uses_flat_scratch, 0
	.set _ZN2at6native28tensor_kernel_scan_outer_dimIN3c107complexIfEEjZZZNS0_31launch_logcumsumexp_cuda_kernelERKNS_10TensorBaseES7_lENKUlvE_clEvENKUlvE2_clEvEUlS4_S4_E_EEvPT_PKSB_jjjSB_T1_.has_dyn_sized_stack, 0
	.set _ZN2at6native28tensor_kernel_scan_outer_dimIN3c107complexIfEEjZZZNS0_31launch_logcumsumexp_cuda_kernelERKNS_10TensorBaseES7_lENKUlvE_clEvENKUlvE2_clEvEUlS4_S4_E_EEvPT_PKSB_jjjSB_T1_.has_recursion, 0
	.set _ZN2at6native28tensor_kernel_scan_outer_dimIN3c107complexIfEEjZZZNS0_31launch_logcumsumexp_cuda_kernelERKNS_10TensorBaseES7_lENKUlvE_clEvENKUlvE2_clEvEUlS4_S4_E_EEvPT_PKSB_jjjSB_T1_.has_indirect_call, 0
	.section	.AMDGPU.csdata,"",@progbits
; Kernel info:
; codeLenInByte = 7452
; TotalNumSgprs: 78
; NumVgprs: 50
; NumAgprs: 0
; TotalNumVgprs: 50
; ScratchSize: 0
; MemoryBound: 0
; FloatMode: 240
; IeeeMode: 1
; LDSByteSize: 0 bytes/workgroup (compile time only)
; SGPRBlocks: 9
; VGPRBlocks: 6
; NumSGPRsForWavesPerEU: 78
; NumVGPRsForWavesPerEU: 50
; AccumOffset: 52
; Occupancy: 8
; WaveLimiterHint : 0
; COMPUTE_PGM_RSRC2:SCRATCH_EN: 0
; COMPUTE_PGM_RSRC2:USER_SGPR: 2
; COMPUTE_PGM_RSRC2:TRAP_HANDLER: 0
; COMPUTE_PGM_RSRC2:TGID_X_EN: 1
; COMPUTE_PGM_RSRC2:TGID_Y_EN: 1
; COMPUTE_PGM_RSRC2:TGID_Z_EN: 0
; COMPUTE_PGM_RSRC2:TIDIG_COMP_CNT: 0
; COMPUTE_PGM_RSRC3_GFX90A:ACCUM_OFFSET: 12
; COMPUTE_PGM_RSRC3_GFX90A:TG_SPLIT: 0
	.section	.text._ZN2at6native28tensor_kernel_scan_outer_dimIN3c107complexIfEEmZZZNS0_31launch_logcumsumexp_cuda_kernelERKNS_10TensorBaseES7_lENKUlvE_clEvENKUlvE2_clEvEUlS4_S4_E_EEvPT_PKSB_jjjSB_T1_,"axG",@progbits,_ZN2at6native28tensor_kernel_scan_outer_dimIN3c107complexIfEEmZZZNS0_31launch_logcumsumexp_cuda_kernelERKNS_10TensorBaseES7_lENKUlvE_clEvENKUlvE2_clEvEUlS4_S4_E_EEvPT_PKSB_jjjSB_T1_,comdat
	.globl	_ZN2at6native28tensor_kernel_scan_outer_dimIN3c107complexIfEEmZZZNS0_31launch_logcumsumexp_cuda_kernelERKNS_10TensorBaseES7_lENKUlvE_clEvENKUlvE2_clEvEUlS4_S4_E_EEvPT_PKSB_jjjSB_T1_ ; -- Begin function _ZN2at6native28tensor_kernel_scan_outer_dimIN3c107complexIfEEmZZZNS0_31launch_logcumsumexp_cuda_kernelERKNS_10TensorBaseES7_lENKUlvE_clEvENKUlvE2_clEvEUlS4_S4_E_EEvPT_PKSB_jjjSB_T1_
	.p2align	8
	.type	_ZN2at6native28tensor_kernel_scan_outer_dimIN3c107complexIfEEmZZZNS0_31launch_logcumsumexp_cuda_kernelERKNS_10TensorBaseES7_lENKUlvE_clEvENKUlvE2_clEvEUlS4_S4_E_EEvPT_PKSB_jjjSB_T1_,@function
_ZN2at6native28tensor_kernel_scan_outer_dimIN3c107complexIfEEmZZZNS0_31launch_logcumsumexp_cuda_kernelERKNS_10TensorBaseES7_lENKUlvE_clEvENKUlvE2_clEvEUlS4_S4_E_EEvPT_PKSB_jjjSB_T1_: ; @_ZN2at6native28tensor_kernel_scan_outer_dimIN3c107complexIfEEmZZZNS0_31launch_logcumsumexp_cuda_kernelERKNS_10TensorBaseES7_lENKUlvE_clEvENKUlvE2_clEvEUlS4_S4_E_EEvPT_PKSB_jjjSB_T1_
; %bb.0:
	s_load_dwordx4 s[12:15], s[0:1], 0x10
	s_waitcnt lgkmcnt(0)
	s_cmp_ge_u32 s2, s12
	s_cbranch_scc1 .LBB349_57
; %bb.1:
	s_load_dword s15, s[0:1], 0x30
	s_load_dword s4, s[0:1], 0x3c
	s_load_dwordx4 s[16:19], s[0:1], 0x0
	s_load_dwordx2 s[20:21], s[0:1], 0x20
	s_add_u32 s22, s0, 48
	s_addc_u32 s23, s1, 0
	s_waitcnt lgkmcnt(0)
	s_and_b32 s33, s4, 0xffff
	s_cmp_lg_u32 s14, 0
	s_mul_i32 s3, s3, s33
	s_cselect_b64 s[6:7], -1, 0
	v_add_u32_e32 v22, s3, v0
	s_mov_b32 s5, 0
	s_mov_b32 s4, s13
	s_mul_hi_u32 s9, s14, s13
	s_mul_i32 s8, s14, s13
	v_cndmask_b32_e64 v0, 0, 1, s[6:7]
	v_cmp_gt_u32_e64 s[0:1], s13, v22
	s_lshl_b64 s[24:25], s[8:9], 3
	s_lshl_b64 s[26:27], s[4:5], 3
	v_cmp_ne_u32_e64 s[4:5], 1, v0
	v_mov_b32_e32 v1, 0
	s_movk_i32 s3, 0x1f8
	s_brev_b32 s46, -2
	s_brev_b32 s47, 18
	s_mov_b32 s48, 0x800000
	s_mov_b32 s49, 0xfe5163ab
	;; [unrolled: 1-line block ×15, first 2 shown]
	s_brev_b32 s63, 1
	v_mov_b32_e32 v23, 0x3c0881c4
	v_mov_b32_e32 v24, 0xbab64f3b
	v_mov_b32_e32 v2, 1.0
	s_mov_b32 s64, 0x3f317217
	s_mov_b32 s65, 0x3f2aaaab
	v_mov_b32_e32 v25, 0x3ecc95a3
	s_mov_b32 s66, 0x3f317218
	s_mov_b32 s67, 0x33800000
	s_movk_i32 s68, 0x204
	v_mov_b32_e32 v26, 0xbc7a590c
	v_mov_b32_e32 v5, -1.0
	v_mov_b32_e32 v6, 0x7fc00000
	v_not_b32_e32 v27, 63
	v_not_b32_e32 v28, 31
	v_mov_b32_e32 v29, 0x7f800000
	v_mov_b32_e32 v30, 0x41b17218
	;; [unrolled: 1-line block ×7, first 2 shown]
                                        ; implicit-def: $vgpr0
                                        ; implicit-def: $vgpr0
	;; [unrolled: 1-line block ×10, first 2 shown]
	s_branch .LBB349_3
.LBB349_2:                              ;   in Loop: Header=BB349_3 Depth=1
	s_or_b64 exec, exec, s[28:29]
	s_add_i32 s2, s2, s15
	s_cmp_ge_u32 s2, s12
	s_cbranch_scc1 .LBB349_57
.LBB349_3:                              ; =>This Loop Header: Depth=1
                                        ;     Child Loop BB349_6 Depth 2
                                        ;       Child Loop BB349_13 Depth 3
	s_and_saveexec_b64 s[28:29], s[0:1]
	s_cbranch_execz .LBB349_2
; %bb.4:                                ;   in Loop: Header=BB349_3 Depth=1
	s_load_dword s69, s[22:23], 0x4
	s_mul_i32 s6, s25, s2
	s_mul_hi_u32 s7, s24, s2
	s_mul_i32 s30, s24, s2
	s_add_i32 s31, s7, s6
	s_waitcnt lgkmcnt(0)
	s_mul_i32 s69, s69, s33
	s_mov_b64 s[34:35], 0
	v_mov_b32_e32 v10, v22
	s_branch .LBB349_6
.LBB349_5:                              ;   in Loop: Header=BB349_6 Depth=2
	v_add_u32_e32 v10, s69, v10
	v_cmp_le_u32_e32 vcc, s13, v10
	s_or_b64 s[34:35], vcc, s[34:35]
	s_andn2_b64 exec, exec, s[34:35]
	s_cbranch_execz .LBB349_2
.LBB349_6:                              ;   Parent Loop BB349_3 Depth=1
                                        ; =>  This Loop Header: Depth=2
                                        ;       Child Loop BB349_13 Depth 3
	s_and_b64 vcc, exec, s[4:5]
	s_cbranch_vccnz .LBB349_5
; %bb.7:                                ;   in Loop: Header=BB349_6 Depth=2
	v_mov_b32_e32 v11, v1
	v_lshl_add_u64 v[12:13], v[10:11], 3, s[30:31]
	v_mov_b64_e32 v[20:21], s[20:21]
	s_mov_b32 s70, s14
	s_branch .LBB349_13
.LBB349_8:                              ;   in Loop: Header=BB349_13 Depth=3
	s_or_b64 exec, exec, s[8:9]
	v_mov_b32_e32 v16, v15
.LBB349_9:                              ;   in Loop: Header=BB349_13 Depth=3
	s_or_b64 exec, exec, s[6:7]
	v_max_f32_e64 v9, |v14|, |v14|
	v_max_f32_e64 v11, |v0|, |v0|
	v_min_f32_e32 v9, v11, v9
	v_frexp_mant_f32_e32 v11, v3
	v_rcp_f32_e32 v11, v11
	v_frexp_exp_i32_f32_e32 v3, v3
	v_frexp_exp_i32_f32_e32 v15, v9
	v_frexp_mant_f32_e32 v9, v9
	v_mul_f32_e32 v9, v9, v11
	v_sub_u32_e32 v3, v15, v3
	v_ldexp_f32 v3, v9, v3
	v_mul_f32_e32 v9, v3, v3
	v_fmamk_f32 v11, v9, 0x3b2d2a58, v26
	v_fmaak_f32 v11, v9, v11, 0x3d29fb3f
	v_fmaak_f32 v11, v9, v11, 0xbd97d4d7
	;; [unrolled: 1-line block ×6, first 2 shown]
	v_mul_f32_e32 v9, v9, v11
	v_cmp_gt_i32_e64 s[6:7], 0, v0
	v_fmac_f32_e32 v3, v3, v9
	v_sub_f32_e32 v9, 0x3fc90fdb, v3
	v_cndmask_b32_e64 v7, 0, v34, s[6:7]
	v_cmp_gt_f32_e64 s[6:7], |v14|, |v0|
	v_cmp_gt_f32_e32 vcc, 0, v0
	v_cmp_class_f32_e64 s[8:9], v14, s68
	v_cndmask_b32_e64 v3, v3, v9, s[6:7]
	v_sub_f32_e32 v9, 0x40490fdb, v3
	v_cmp_class_f32_e64 s[10:11], v0, s68
	v_cndmask_b32_e32 v4, v32, v33, vcc
	v_cndmask_b32_e32 v3, v3, v9, vcc
	v_cmp_eq_f32_e32 vcc, 0, v14
	s_nop 1
	v_cndmask_b32_e32 v3, v3, v7, vcc
	s_and_b64 vcc, s[8:9], s[10:11]
	v_cndmask_b32_e32 v3, v3, v4, vcc
	v_cmp_o_f32_e32 vcc, v0, v14
	s_nop 1
	v_cndmask_b32_e32 v0, v6, v3, vcc
	v_bfi_b32 v17, s46, v0, v14
.LBB349_10:                             ;   in Loop: Header=BB349_13 Depth=3
	s_or_b64 exec, exec, s[40:41]
.LBB349_11:                             ;   in Loop: Header=BB349_13 Depth=3
	s_or_b64 exec, exec, s[38:39]
	v_mov_b64_e32 v[20:21], v[16:17]
.LBB349_12:                             ;   in Loop: Header=BB349_13 Depth=3
	s_or_b64 exec, exec, s[36:37]
	s_add_i32 s70, s70, -1
	v_lshl_add_u64 v[14:15], s[16:17], 0, v[12:13]
	s_cmp_eq_u32 s70, 0
	v_lshl_add_u64 v[12:13], v[12:13], 0, s[26:27]
	global_store_dwordx2 v[14:15], v[20:21], off
	s_cbranch_scc1 .LBB349_5
.LBB349_13:                             ;   Parent Loop BB349_3 Depth=1
                                        ;     Parent Loop BB349_6 Depth=2
                                        ; =>    This Inner Loop Header: Depth=3
	v_lshl_add_u64 v[14:15], s[18:19], 0, v[12:13]
	global_load_dwordx2 v[14:15], v[14:15], off
	s_waitcnt vmcnt(0)
	v_cmp_o_f32_e32 vcc, v14, v15
	v_mov_b32_e32 v19, v15
	v_mov_b64_e32 v[16:17], v[14:15]
	s_and_saveexec_b64 s[10:11], vcc
; %bb.14:                               ;   in Loop: Header=BB349_13 Depth=3
	v_cmp_u_f32_e64 s[6:7], v20, v21
	v_cmp_lt_f32_e64 s[8:9], v20, v14
	s_or_b64 s[6:7], s[6:7], s[8:9]
	v_cndmask_b32_e64 v19, v15, v21, s[6:7]
	v_cndmask_b32_e64 v18, v14, v20, s[6:7]
	v_mov_b64_e32 v[16:17], v[18:19]
; %bb.15:                               ;   in Loop: Header=BB349_13 Depth=3
	s_or_b64 exec, exec, s[10:11]
	s_and_saveexec_b64 s[6:7], vcc
	s_xor_b64 s[8:9], exec, s[6:7]
; %bb.16:                               ;   in Loop: Header=BB349_13 Depth=3
	v_cmp_u_f32_e32 vcc, v20, v21
	v_cmp_ge_f32_e64 s[6:7], v20, v14
	s_or_b64 vcc, vcc, s[6:7]
	v_cndmask_b32_e32 v15, v15, v21, vcc
	v_cndmask_b32_e32 v14, v14, v20, vcc
; %bb.17:                               ;   in Loop: Header=BB349_13 Depth=3
	s_andn2_saveexec_b64 s[6:7], s[8:9]
	s_or_b64 exec, exec, s[6:7]
	v_mov_b32_e32 v7, v6
	v_cmp_o_f32_e32 vcc, v16, v17
	v_mov_b64_e32 v[20:21], v[6:7]
	s_and_saveexec_b64 s[36:37], vcc
	s_cbranch_execz .LBB349_12
; %bb.18:                               ;   in Loop: Header=BB349_13 Depth=3
	v_cmp_class_f32_e64 s[6:7], v16, s3
	v_cmp_neq_f32_e32 vcc, v14, v16
	s_or_b64 s[6:7], s[6:7], vcc
	s_and_saveexec_b64 s[8:9], s[6:7]
	s_xor_b64 s[38:39], exec, s[8:9]
	s_cbranch_execz .LBB349_34
; %bb.19:                               ;   in Loop: Header=BB349_13 Depth=3
	v_pk_add_f32 v[16:17], v[16:17], v[14:15] neg_lo:[0,1] neg_hi:[0,1]
                                        ; implicit-def: $vgpr18
	s_nop 0
	v_and_b32_e32 v3, 0x7fffffff, v17
	v_lshrrev_b32_e32 v0, 23, v3
	v_and_b32_e32 v4, 0x7fffff, v3
	v_cmp_nlt_f32_e64 s[40:41], |v17|, s47
	v_add_u32_e32 v9, 0xffffff88, v0
	v_or_b32_e32 v7, 0x800000, v4
                                        ; implicit-def: $vgpr4
	s_and_saveexec_b64 s[6:7], s[40:41]
	s_xor_b64 s[42:43], exec, s[6:7]
	s_cbranch_execz .LBB349_21
; %bb.20:                               ;   in Loop: Header=BB349_13 Depth=3
	v_cmp_lt_u32_e32 vcc, 63, v9
	v_mad_u64_u32 v[18:19], s[10:11], v7, s49, 0
	s_nop 0
	v_cndmask_b32_e32 v0, 0, v27, vcc
	v_add_u32_e32 v0, v0, v9
	v_cmp_lt_u32_e64 s[6:7], 31, v0
	s_nop 1
	v_cndmask_b32_e64 v4, 0, v28, s[6:7]
	v_add_u32_e32 v0, v4, v0
	v_cmp_lt_u32_e64 s[8:9], 31, v0
	s_nop 1
	v_cndmask_b32_e64 v4, 0, v28, s[8:9]
	v_add_u32_e32 v4, v4, v0
	v_mov_b32_e32 v0, v19
	v_mad_u64_u32 v[20:21], s[10:11], v7, s50, v[0:1]
	v_mov_b32_e32 v0, v21
	v_mad_u64_u32 v[36:37], s[10:11], v7, s51, v[0:1]
	;; [unrolled: 2-line block ×6, first 2 shown]
	v_cndmask_b32_e32 v11, v42, v38, vcc
	v_cndmask_b32_e32 v0, v44, v40, vcc
	;; [unrolled: 1-line block ×3, first 2 shown]
	v_cndmask_b32_e64 v19, v0, v11, s[6:7]
	v_cndmask_b32_e64 v0, v21, v0, s[6:7]
	v_cndmask_b32_e32 v21, v40, v36, vcc
	v_cndmask_b32_e64 v11, v11, v21, s[6:7]
	v_sub_u32_e32 v35, 32, v4
	v_cmp_eq_u32_e64 s[10:11], 0, v4
	v_cndmask_b32_e32 v4, v38, v20, vcc
	v_cndmask_b32_e64 v0, v0, v19, s[8:9]
	v_cndmask_b32_e64 v19, v19, v11, s[8:9]
	;; [unrolled: 1-line block ×3, first 2 shown]
	v_alignbit_b32 v37, v0, v19, v35
	v_cndmask_b32_e64 v11, v11, v20, s[8:9]
	v_cndmask_b32_e32 v18, v36, v18, vcc
	v_cndmask_b32_e64 v0, v37, v0, s[10:11]
	v_alignbit_b32 v21, v19, v11, v35
	v_cndmask_b32_e64 v4, v4, v18, s[6:7]
	v_cndmask_b32_e64 v19, v21, v19, s[10:11]
	v_bfe_u32 v38, v0, 29, 1
	v_cndmask_b32_e64 v4, v20, v4, s[8:9]
	v_alignbit_b32 v21, v0, v19, 30
	v_sub_u32_e32 v39, 0, v38
	v_alignbit_b32 v18, v11, v4, v35
	v_xor_b32_e32 v21, v21, v39
	v_cndmask_b32_e64 v11, v18, v11, s[10:11]
	v_alignbit_b32 v18, v19, v11, 30
	v_ffbh_u32_e32 v19, v21
	v_min_u32_e32 v19, 32, v19
	v_alignbit_b32 v4, v11, v4, 30
	v_xor_b32_e32 v18, v18, v39
	v_sub_u32_e32 v20, 31, v19
	v_xor_b32_e32 v4, v4, v39
	v_alignbit_b32 v21, v21, v18, v20
	v_alignbit_b32 v4, v18, v4, v20
	;; [unrolled: 1-line block ×3, first 2 shown]
	v_ffbh_u32_e32 v18, v11
	v_min_u32_e32 v18, 32, v18
	v_lshrrev_b32_e32 v37, 29, v0
	v_not_b32_e32 v20, v18
	v_alignbit_b32 v4, v11, v4, v20
	v_lshlrev_b32_e32 v11, 31, v37
	v_or_b32_e32 v20, 0x33000000, v11
	v_add_lshl_u32 v18, v18, v19, 23
	v_lshrrev_b32_e32 v4, 9, v4
	v_sub_u32_e32 v18, v20, v18
	v_or_b32_e32 v11, 0.5, v11
	v_lshlrev_b32_e32 v19, 23, v19
	v_or_b32_e32 v4, v18, v4
	v_lshrrev_b32_e32 v18, 9, v21
	v_sub_u32_e32 v11, v11, v19
	v_or_b32_e32 v11, v18, v11
	v_mul_f32_e32 v18, 0x3fc90fda, v11
	v_fma_f32 v19, v11, s56, -v18
	v_fmac_f32_e32 v19, 0x33a22168, v11
	v_fmac_f32_e32 v19, 0x3fc90fda, v4
	v_lshrrev_b32_e32 v0, 30, v0
	v_add_f32_e32 v18, v18, v19
	v_add_u32_e32 v4, v38, v0
.LBB349_21:                             ;   in Loop: Header=BB349_13 Depth=3
	s_or_saveexec_b64 s[6:7], s[42:43]
	v_mul_f32_e64 v0, |v17|, s57
	v_rndne_f32_e32 v11, v0
	s_xor_b64 exec, exec, s[6:7]
; %bb.22:                               ;   in Loop: Header=BB349_13 Depth=3
	v_cvt_i32_f32_e32 v4, v11
	v_fma_f32 v18, v11, s58, |v17|
	v_fmac_f32_e32 v18, 0xb3a22168, v11
	v_fmac_f32_e32 v18, 0xa7c234c4, v11
; %bb.23:                               ;   in Loop: Header=BB349_13 Depth=3
	s_or_b64 exec, exec, s[6:7]
                                        ; implicit-def: $vgpr0
                                        ; implicit-def: $vgpr21
	s_and_saveexec_b64 s[6:7], s[40:41]
	s_xor_b64 s[40:41], exec, s[6:7]
	s_cbranch_execz .LBB349_25
; %bb.24:                               ;   in Loop: Header=BB349_13 Depth=3
	v_cmp_lt_u32_e32 vcc, 63, v9
	v_mad_u64_u32 v[20:21], s[10:11], v7, s49, 0
	s_nop 0
	v_cndmask_b32_e32 v0, 0, v27, vcc
	v_add_u32_e32 v0, v0, v9
	v_cmp_lt_u32_e64 s[6:7], 31, v0
	s_nop 1
	v_cndmask_b32_e64 v9, 0, v28, s[6:7]
	v_add_u32_e32 v0, v9, v0
	v_cmp_lt_u32_e64 s[8:9], 31, v0
	s_nop 1
	v_cndmask_b32_e64 v9, 0, v28, s[8:9]
	v_add_u32_e32 v9, v9, v0
	v_mov_b32_e32 v0, v21
	v_mad_u64_u32 v[36:37], s[10:11], v7, s50, v[0:1]
	v_mov_b32_e32 v0, v37
	v_mad_u64_u32 v[38:39], s[10:11], v7, s51, v[0:1]
	;; [unrolled: 2-line block ×6, first 2 shown]
	v_cndmask_b32_e32 v11, v44, v40, vcc
	v_cndmask_b32_e32 v0, v46, v42, vcc
	;; [unrolled: 1-line block ×3, first 2 shown]
	v_cndmask_b32_e64 v7, v0, v11, s[6:7]
	v_cndmask_b32_e64 v0, v19, v0, s[6:7]
	v_cndmask_b32_e32 v19, v42, v38, vcc
	v_cndmask_b32_e64 v11, v11, v19, s[6:7]
	v_sub_u32_e32 v21, 32, v9
	v_cmp_eq_u32_e64 s[10:11], 0, v9
	v_cndmask_b32_e32 v9, v40, v36, vcc
	v_cndmask_b32_e64 v0, v0, v7, s[8:9]
	v_cndmask_b32_e64 v7, v7, v11, s[8:9]
	;; [unrolled: 1-line block ×3, first 2 shown]
	v_alignbit_b32 v35, v0, v7, v21
	v_cndmask_b32_e64 v11, v11, v19, s[8:9]
	v_cndmask_b32_e64 v0, v35, v0, s[10:11]
	v_alignbit_b32 v35, v7, v11, v21
	v_cndmask_b32_e32 v20, v38, v20, vcc
	v_cndmask_b32_e64 v7, v35, v7, s[10:11]
	v_bfe_u32 v37, v0, 29, 1
	v_cndmask_b32_e64 v9, v9, v20, s[6:7]
	v_alignbit_b32 v35, v0, v7, 30
	v_sub_u32_e32 v39, 0, v37
	v_cndmask_b32_e64 v9, v19, v9, s[8:9]
	v_xor_b32_e32 v35, v35, v39
	v_alignbit_b32 v19, v11, v9, v21
	v_cndmask_b32_e64 v11, v19, v11, s[10:11]
	v_ffbh_u32_e32 v19, v35
	v_alignbit_b32 v7, v7, v11, 30
	v_min_u32_e32 v19, 32, v19
	v_alignbit_b32 v9, v11, v9, 30
	v_xor_b32_e32 v7, v7, v39
	v_sub_u32_e32 v20, 31, v19
	v_xor_b32_e32 v9, v9, v39
	v_alignbit_b32 v21, v35, v7, v20
	v_alignbit_b32 v7, v7, v9, v20
	;; [unrolled: 1-line block ×3, first 2 shown]
	v_ffbh_u32_e32 v11, v9
	v_min_u32_e32 v11, 32, v11
	v_lshrrev_b32_e32 v36, 29, v0
	v_not_b32_e32 v20, v11
	v_alignbit_b32 v7, v9, v7, v20
	v_lshlrev_b32_e32 v9, 31, v36
	v_or_b32_e32 v20, 0x33000000, v9
	v_add_lshl_u32 v11, v11, v19, 23
	v_lshrrev_b32_e32 v7, 9, v7
	v_sub_u32_e32 v11, v20, v11
	v_or_b32_e32 v9, 0.5, v9
	v_lshlrev_b32_e32 v19, 23, v19
	v_or_b32_e32 v7, v11, v7
	v_lshrrev_b32_e32 v11, 9, v21
	v_sub_u32_e32 v9, v9, v19
	v_or_b32_e32 v9, v11, v9
	v_mul_f32_e32 v11, 0x3fc90fda, v9
	v_fma_f32 v19, v9, s56, -v11
	v_fmac_f32_e32 v19, 0x33a22168, v9
	v_fmac_f32_e32 v19, 0x3fc90fda, v7
	v_lshrrev_b32_e32 v0, 30, v0
	v_add_f32_e32 v21, v11, v19
	v_add_u32_e32 v0, v37, v0
                                        ; implicit-def: $vgpr11
	s_andn2_saveexec_b64 s[6:7], s[40:41]
	s_cbranch_execnz .LBB349_26
	s_branch .LBB349_27
.LBB349_25:                             ;   in Loop: Header=BB349_13 Depth=3
	s_andn2_saveexec_b64 s[6:7], s[40:41]
.LBB349_26:                             ;   in Loop: Header=BB349_13 Depth=3
	v_cvt_i32_f32_e32 v0, v11
	v_fma_f32 v21, v11, s58, |v17|
	v_fmac_f32_e32 v21, 0xb3a22168, v11
	v_fmac_f32_e32 v21, 0xa7c234c4, v11
.LBB349_27:                             ;   in Loop: Header=BB349_13 Depth=3
	s_or_b64 exec, exec, s[6:7]
	v_mul_f32_e32 v7, 0x3fb8aa3b, v16
	v_rndne_f32_e32 v9, v7
	v_sub_f32_e32 v11, v7, v9
	v_fma_f32 v7, v16, s59, -v7
	v_fmac_f32_e32 v7, 0x32a5705f, v16
	v_add_f32_e32 v7, v11, v7
	v_cvt_i32_f32_e32 v9, v9
	v_exp_f32_e32 v7, v7
	v_mul_f32_e32 v19, v21, v21
	v_fmamk_f32 v11, v19, 0xb94c1982, v23
	v_fmaak_f32 v37, v19, v11, 0xbe2aaa9d
	v_ldexp_f32 v7, v7, v9
	v_and_b32_e32 v9, 1, v0
	v_lshlrev_b32_e32 v0, 30, v0
	v_mov_b32_e32 v36, v18
	v_and_b32_e32 v0, 0x80000000, v0
	v_xor_b32_e32 v3, v3, v17
	v_pk_mul_f32 v[36:37], v[18:19], v[36:37]
	v_xor_b32_e32 v0, v3, v0
	v_fmamk_f32 v3, v36, 0x37d75334, v24
	v_fmaak_f32 v3, v36, v3, 0x3d2aabf7
	v_fmaak_f32 v20, v36, v3, 0xbf000004
	v_fmamk_f32 v3, v36, 0xb94c1982, v23
	v_fmamk_f32 v11, v19, 0x37d75334, v24
	v_fmaak_f32 v3, v36, v3, 0xbe2aaa9d
	v_cmp_ngt_f32_e32 vcc, s60, v16
	v_fmaak_f32 v11, v19, v11, 0x3d2aabf7
	v_mul_f32_e32 v3, v36, v3
	v_cndmask_b32_e32 v7, 0, v7, vcc
	v_cmp_nlt_f32_e32 vcc, s61, v16
	v_fmaak_f32 v11, v19, v11, 0xbf000004
	v_fmac_f32_e32 v18, v18, v3
	v_mov_b32_e32 v3, v21
	v_cndmask_b32_e32 v16, v29, v7, vcc
	v_lshlrev_b32_e32 v7, 30, v4
	v_and_b32_e32 v4, 1, v4
	v_fma_f32 v11, v19, v11, 1.0
	v_pk_fma_f32 v[20:21], v[36:37], v[20:21], v[2:3]
	v_cmp_eq_u32_e32 vcc, 0, v9
	v_and_b32_e32 v7, 0x80000000, v7
	s_nop 0
	v_cndmask_b32_e32 v3, v11, v21, vcc
	v_cmp_eq_u32_e32 vcc, 0, v4
	v_xor_b32_e32 v0, v0, v3
	s_nop 0
	v_cndmask_b32_e64 v4, -v18, v20, vcc
	v_xor_b32_e32 v3, v7, v4
	v_cmp_class_f32_e64 vcc, v17, s3
	s_nop 1
	v_cndmask_b32_e32 v19, v6, v0, vcc
	v_cndmask_b32_e32 v18, v6, v3, vcc
	v_pk_mul_f32 v[16:17], v[16:17], v[18:19] op_sel_hi:[0,1]
	v_max_f32_e64 v0, |v16|, |v17|
	v_cvt_f64_f32_e32 v[18:19], v0
	v_frexp_exp_i32_f64_e32 v3, v[18:19]
	v_sub_u32_e32 v4, 0, v3
	v_ldexp_f32 v7, |v16|, v4
	v_ldexp_f32 v4, |v17|, v4
	v_mul_f32_e32 v4, v4, v4
	v_fmac_f32_e32 v4, v7, v7
	v_sqrt_f32_e32 v4, v4
	v_cmp_eq_f32_e32 vcc, s62, v0
	v_add_f32_e32 v0, 1.0, v16
                                        ; implicit-def: $vgpr18
	v_ldexp_f32 v4, v4, v3
	v_cmp_ngt_f32_e64 s[6:7], 0.5, v4
	v_max_f32_e64 v3, |v0|, |v17|
	s_or_b64 s[6:7], vcc, s[6:7]
	s_and_saveexec_b64 s[8:9], s[6:7]
	s_xor_b64 s[8:9], exec, s[8:9]
	s_cbranch_execz .LBB349_29
; %bb.28:                               ;   in Loop: Header=BB349_13 Depth=3
	v_cvt_f64_f32_e32 v[18:19], v3
	v_frexp_exp_i32_f64_e32 v4, v[18:19]
	v_sub_u32_e32 v7, 0, v4
	v_ldexp_f32 v9, |v0|, v7
	v_ldexp_f32 v7, |v17|, v7
	v_mul_f32_e32 v7, v7, v7
	v_fmac_f32_e32 v7, v9, v9
	v_sqrt_f32_e32 v7, v7
	v_cmp_neq_f32_e32 vcc, s62, v3
	v_ldexp_f32 v4, v7, v4
	s_nop 0
	v_cndmask_b32_e32 v4, v29, v4, vcc
	v_cmp_gt_f32_e32 vcc, s48, v4
	s_nop 1
	v_cndmask_b32_e64 v7, 0, 32, vcc
	v_ldexp_f32 v4, v4, v7
	v_log_f32_e32 v4, v4
	s_nop 0
	v_mul_f32_e32 v7, 0x3f317217, v4
	v_fma_f32 v7, v4, s64, -v7
	v_fmac_f32_e32 v7, 0x3377d1cf, v4
	v_fmac_f32_e32 v7, 0x3f317217, v4
	v_cmp_lt_f32_e64 s[6:7], |v4|, s62
	s_nop 1
	v_cndmask_b32_e64 v4, v4, v7, s[6:7]
	v_cndmask_b32_e32 v7, 0, v30, vcc
	v_sub_f32_e32 v18, v4, v7
.LBB349_29:                             ;   in Loop: Header=BB349_13 Depth=3
	s_andn2_saveexec_b64 s[6:7], s[8:9]
	s_cbranch_execz .LBB349_33
; %bb.30:                               ;   in Loop: Header=BB349_13 Depth=3
	v_add_f32_e32 v18, 2.0, v16
	v_mov_b32_e32 v19, v17
	v_pk_mul_f32 v[18:19], v[16:17], v[18:19]
	s_nop 0
	v_add_f32_e32 v4, v18, v19
	v_cmp_neq_f32_e32 vcc, 0, v4
	s_and_saveexec_b64 s[8:9], vcc
	s_cbranch_execz .LBB349_32
; %bb.31:                               ;   in Loop: Header=BB349_13 Depth=3
	v_add_f32_e32 v7, 1.0, v4
	v_add_f32_e32 v9, -1.0, v7
	v_sub_f32_e32 v11, v9, v7
	v_add_f32_e32 v11, 1.0, v11
	v_sub_f32_e32 v9, v4, v9
	v_add_f32_e32 v9, v9, v11
	v_frexp_mant_f32_e32 v11, v7
	v_cvt_f64_f32_e32 v[18:19], v7
	v_frexp_exp_i32_f64_e32 v16, v[18:19]
	v_cmp_gt_f32_e32 vcc, s65, v11
	s_nop 1
	v_subbrev_co_u32_e32 v11, vcc, 0, v16, vcc
	v_sub_u32_e32 v16, 0, v11
	v_ldexp_f32 v7, v7, v16
	v_ldexp_f32 v9, v9, v16
	v_add_f32_e32 v16, -1.0, v7
	v_add_f32_e32 v19, 1.0, v7
	v_add_f32_e32 v18, 1.0, v16
	v_add_f32_e32 v20, -1.0, v19
	v_sub_f32_e32 v18, v7, v18
	v_sub_f32_e32 v7, v7, v20
	v_add_f32_e32 v7, v9, v7
	v_add_f32_e32 v18, v9, v18
	;; [unrolled: 1-line block ×3, first 2 shown]
	v_rcp_f32_e32 v35, v9
	v_sub_f32_e32 v19, v9, v19
	v_sub_f32_e32 v7, v7, v19
	v_add_f32_e32 v19, v16, v18
	v_mul_f32_e32 v40, v19, v35
	v_mul_f32_e32 v20, v9, v40
	v_fma_f32 v36, v40, v9, -v20
	v_sub_f32_e32 v16, v19, v16
	v_fmac_f32_e32 v36, v40, v7
	v_sub_f32_e32 v16, v18, v16
	v_add_f32_e32 v18, v20, v36
	v_sub_f32_e32 v21, v19, v18
	v_pk_add_f32 v[38:39], v[18:19], v[20:21] neg_lo:[0,1] neg_hi:[0,1]
	v_mov_b32_e32 v37, v18
	v_pk_add_f32 v[18:19], v[38:39], v[36:37] neg_lo:[0,1] neg_hi:[0,1]
	v_cmp_neq_f32_e32 vcc, s62, v4
	v_add_f32_e32 v16, v16, v19
	v_add_f32_e32 v16, v18, v16
	;; [unrolled: 1-line block ×3, first 2 shown]
	v_mul_f32_e32 v41, v35, v19
	v_mul_f32_e32 v20, v9, v41
	v_fma_f32 v36, v41, v9, -v20
	v_fmac_f32_e32 v36, v41, v7
	v_add_f32_e32 v18, v20, v36
	v_sub_f32_e32 v7, v21, v19
	v_sub_f32_e32 v21, v19, v18
	v_pk_add_f32 v[38:39], v[18:19], v[20:21] neg_lo:[0,1] neg_hi:[0,1]
	v_mov_b32_e32 v37, v18
	v_add_f32_e32 v7, v16, v7
	v_pk_add_f32 v[18:19], v[38:39], v[36:37] neg_lo:[0,1] neg_hi:[0,1]
	v_add_f32_e32 v16, v40, v41
	v_add_f32_e32 v7, v7, v19
	v_add_f32_e32 v7, v18, v7
	v_add_f32_e32 v7, v21, v7
	v_sub_f32_e32 v9, v16, v40
	v_mul_f32_e32 v7, v35, v7
	v_sub_f32_e32 v9, v41, v9
	v_add_f32_e32 v7, v9, v7
	v_add_f32_e32 v19, v16, v7
	v_cvt_f32_i32_e32 v18, v11
	v_mul_f32_e32 v20, v19, v19
	v_fmamk_f32 v9, v20, 0x3e9b6dac, v25
	v_fmaak_f32 v9, v20, v9, 0x3f2aaada
	v_sub_f32_e32 v11, v19, v16
	v_ldexp_f32 v21, v19, 1
	v_mul_f32_e32 v19, v19, v20
	v_pk_mul_f32 v[36:37], v[18:19], v[8:9]
	v_sub_f32_e32 v7, v7, v11
	v_fma_f32 v20, v18, s66, -v36
	v_fmac_f32_e32 v20, 0xb102e308, v18
	v_pk_add_f32 v[18:19], v[36:37], v[20:21]
	v_ldexp_f32 v7, v7, 1
	v_sub_f32_e32 v9, v19, v21
	v_sub_f32_e32 v9, v37, v9
	v_add_f32_e32 v39, v7, v9
	v_mov_b32_e32 v38, v36
	v_pk_add_f32 v[36:37], v[18:19], v[36:37] neg_lo:[0,1] neg_hi:[0,1]
	v_pk_add_f32 v[40:41], v[18:19], v[38:39]
	v_mov_b32_e32 v21, v18
	v_mov_b32_e32 v37, v41
	v_pk_add_f32 v[42:43], v[20:21], v[36:37] neg_lo:[0,1] neg_hi:[0,1]
	v_pk_add_f32 v[20:21], v[20:21], v[36:37]
	v_mov_b32_e32 v38, v39
	v_pk_add_f32 v[36:37], v[20:21], v[18:19] op_sel:[1,0] op_sel_hi:[0,1] neg_lo:[0,1] neg_hi:[0,1]
	v_pk_add_f32 v[44:45], v[40:41], v[36:37] op_sel_hi:[1,0] neg_lo:[0,1] neg_hi:[0,1]
	v_mov_b32_e32 v40, v41
	v_mov_b32_e32 v41, v21
	v_pk_mov_b32 v[36:37], v[18:19], v[36:37] op_sel:[1,0]
	v_mov_b32_e32 v39, v18
	v_pk_add_f32 v[36:37], v[40:41], v[36:37] neg_lo:[0,1] neg_hi:[0,1]
	v_mov_b32_e32 v44, v42
	v_pk_add_f32 v[18:19], v[38:39], v[36:37] neg_lo:[0,1] neg_hi:[0,1]
	v_mov_b32_e32 v43, v21
	v_pk_add_f32 v[36:37], v[44:45], v[18:19]
	s_nop 0
	v_pk_add_f32 v[38:39], v[36:37], v[36:37] op_sel:[0,1] op_sel_hi:[1,0]
	s_nop 0
	v_pk_add_f32 v[20:21], v[20:21], v[38:39] op_sel:[1,0] op_sel_hi:[0,1]
	v_mov_b32_e32 v37, v20
	v_pk_add_f32 v[40:41], v[36:37], v[42:43] neg_lo:[0,1] neg_hi:[0,1]
	v_mov_b32_e32 v19, v38
	v_sub_f32_e32 v7, v36, v40
	v_pk_add_f32 v[18:19], v[18:19], v[40:41] neg_lo:[0,1] neg_hi:[0,1]
	v_sub_f32_e32 v7, v42, v7
	v_add_f32_e32 v7, v18, v7
	v_add_f32_e32 v7, v7, v19
	;; [unrolled: 1-line block ×3, first 2 shown]
	v_cndmask_b32_e32 v7, v29, v7, vcc
	v_cmp_ngt_f32_e32 vcc, -1.0, v4
	s_nop 1
	v_cndmask_b32_e32 v7, v6, v7, vcc
	v_cmp_neq_f32_e32 vcc, -1.0, v4
	s_nop 1
	v_cndmask_b32_e32 v7, v31, v7, vcc
	v_cmp_lt_f32_e64 vcc, |v4|, s67
	s_nop 1
	v_cndmask_b32_e32 v4, v7, v4, vcc
	v_mul_f32_e32 v16, 0.5, v4
.LBB349_32:                             ;   in Loop: Header=BB349_13 Depth=3
	s_or_b64 exec, exec, s[8:9]
	v_mov_b32_e32 v18, v16
.LBB349_33:                             ;   in Loop: Header=BB349_13 Depth=3
	s_or_b64 exec, exec, s[6:7]
	v_max_f32_e64 v9, |v17|, |v17|
	v_max_f32_e64 v11, |v0|, |v0|
	v_min_f32_e32 v9, v11, v9
	v_frexp_mant_f32_e32 v11, v3
	v_rcp_f32_e32 v11, v11
	v_frexp_exp_i32_f32_e32 v3, v3
	v_frexp_exp_i32_f32_e32 v16, v9
	v_frexp_mant_f32_e32 v9, v9
	v_mul_f32_e32 v9, v9, v11
	v_sub_u32_e32 v3, v16, v3
	v_ldexp_f32 v3, v9, v3
	v_mul_f32_e32 v9, v3, v3
	v_fmamk_f32 v11, v9, 0x3b2d2a58, v26
	v_fmaak_f32 v11, v9, v11, 0x3d29fb3f
	v_fmaak_f32 v11, v9, v11, 0xbd97d4d7
	;; [unrolled: 1-line block ×6, first 2 shown]
	v_mul_f32_e32 v9, v9, v11
	v_cmp_gt_i32_e64 s[6:7], 0, v0
	v_fmac_f32_e32 v3, v3, v9
	v_sub_f32_e32 v9, 0x3fc90fdb, v3
	v_cndmask_b32_e64 v7, 0, v34, s[6:7]
	v_cmp_gt_f32_e64 s[6:7], |v17|, |v0|
	v_cmp_gt_f32_e32 vcc, 0, v0
	v_cmp_class_f32_e64 s[8:9], v17, s68
	v_cndmask_b32_e64 v3, v3, v9, s[6:7]
	v_sub_f32_e32 v9, 0x40490fdb, v3
	v_cmp_class_f32_e64 s[10:11], v0, s68
	v_cndmask_b32_e32 v4, v32, v33, vcc
	v_cndmask_b32_e32 v3, v3, v9, vcc
	v_cmp_eq_f32_e32 vcc, 0, v17
	s_nop 1
	v_cndmask_b32_e32 v3, v3, v7, vcc
	s_and_b64 vcc, s[10:11], s[8:9]
	v_cndmask_b32_e32 v3, v3, v4, vcc
	v_cmp_o_f32_e32 vcc, v0, v17
	s_nop 1
	v_cndmask_b32_e32 v0, v6, v3, vcc
	v_bfi_b32 v19, s46, v0, v17
	v_pk_add_f32 v[16:17], v[14:15], v[18:19]
                                        ; implicit-def: $vgpr19
                                        ; implicit-def: $vgpr15
.LBB349_34:                             ;   in Loop: Header=BB349_13 Depth=3
	s_andn2_saveexec_b64 s[38:39], s[38:39]
	s_cbranch_execz .LBB349_11
; %bb.35:                               ;   in Loop: Header=BB349_13 Depth=3
	v_cmp_ngt_f32_e32 vcc, 0, v16
	s_and_saveexec_b64 s[40:41], vcc
	s_cbranch_execz .LBB349_10
; %bb.36:                               ;   in Loop: Header=BB349_13 Depth=3
	v_and_b32_e32 v3, 0x7fffffff, v17
	v_lshrrev_b32_e32 v0, 23, v3
	v_and_b32_e32 v4, 0x7fffff, v3
	v_cmp_nlt_f32_e64 s[42:43], |v17|, s47
	v_add_u32_e32 v16, 0xffffff88, v0
	v_or_b32_e32 v14, 0x800000, v4
                                        ; implicit-def: $vgpr7
                                        ; implicit-def: $vgpr4
	s_and_saveexec_b64 s[6:7], s[42:43]
	s_xor_b64 s[44:45], exec, s[6:7]
	s_cbranch_execz .LBB349_38
; %bb.37:                               ;   in Loop: Header=BB349_13 Depth=3
	v_cmp_lt_u32_e32 vcc, 63, v16
	v_mad_u64_u32 v[20:21], s[10:11], v14, s49, 0
	s_nop 0
	v_cndmask_b32_e32 v0, 0, v27, vcc
	v_add_u32_e32 v0, v0, v16
	v_cmp_lt_u32_e64 s[6:7], 31, v0
	s_nop 1
	v_cndmask_b32_e64 v4, 0, v28, s[6:7]
	v_add_u32_e32 v0, v4, v0
	v_cmp_lt_u32_e64 s[8:9], 31, v0
	s_nop 1
	v_cndmask_b32_e64 v4, 0, v28, s[8:9]
	v_add_u32_e32 v4, v4, v0
	v_mov_b32_e32 v0, v21
	v_mad_u64_u32 v[36:37], s[10:11], v14, s50, v[0:1]
	v_mov_b32_e32 v0, v37
	v_mad_u64_u32 v[38:39], s[10:11], v14, s51, v[0:1]
	;; [unrolled: 2-line block ×6, first 2 shown]
	v_cndmask_b32_e32 v7, v44, v40, vcc
	v_cndmask_b32_e32 v0, v46, v42, vcc
	;; [unrolled: 1-line block ×3, first 2 shown]
	v_cndmask_b32_e64 v9, v0, v7, s[6:7]
	v_cndmask_b32_e64 v0, v11, v0, s[6:7]
	v_cndmask_b32_e32 v11, v42, v38, vcc
	v_cndmask_b32_e64 v7, v7, v11, s[6:7]
	v_sub_u32_e32 v18, 32, v4
	v_cmp_eq_u32_e64 s[10:11], 0, v4
	v_cndmask_b32_e32 v4, v40, v36, vcc
	v_cndmask_b32_e64 v0, v0, v9, s[8:9]
	v_cndmask_b32_e64 v9, v9, v7, s[8:9]
	;; [unrolled: 1-line block ×3, first 2 shown]
	v_alignbit_b32 v21, v0, v9, v18
	v_cndmask_b32_e64 v7, v7, v11, s[8:9]
	v_cndmask_b32_e64 v0, v21, v0, s[10:11]
	v_alignbit_b32 v21, v9, v7, v18
	v_cndmask_b32_e32 v20, v38, v20, vcc
	v_cndmask_b32_e64 v9, v21, v9, s[10:11]
	v_bfe_u32 v36, v0, 29, 1
	v_cndmask_b32_e64 v4, v4, v20, s[6:7]
	v_alignbit_b32 v21, v0, v9, 30
	v_sub_u32_e32 v37, 0, v36
	v_cndmask_b32_e64 v4, v11, v4, s[8:9]
	v_xor_b32_e32 v21, v21, v37
	v_alignbit_b32 v11, v7, v4, v18
	v_cndmask_b32_e64 v7, v11, v7, s[10:11]
	v_ffbh_u32_e32 v11, v21
	v_alignbit_b32 v9, v9, v7, 30
	v_min_u32_e32 v11, 32, v11
	v_alignbit_b32 v4, v7, v4, 30
	v_xor_b32_e32 v9, v9, v37
	v_sub_u32_e32 v18, 31, v11
	v_xor_b32_e32 v4, v4, v37
	v_alignbit_b32 v20, v21, v9, v18
	v_alignbit_b32 v4, v9, v4, v18
	;; [unrolled: 1-line block ×3, first 2 shown]
	v_ffbh_u32_e32 v9, v7
	v_min_u32_e32 v9, 32, v9
	v_lshrrev_b32_e32 v35, 29, v0
	v_not_b32_e32 v18, v9
	v_alignbit_b32 v4, v7, v4, v18
	v_lshlrev_b32_e32 v7, 31, v35
	v_or_b32_e32 v18, 0x33000000, v7
	v_add_lshl_u32 v9, v9, v11, 23
	v_lshrrev_b32_e32 v4, 9, v4
	v_sub_u32_e32 v9, v18, v9
	v_or_b32_e32 v7, 0.5, v7
	v_lshlrev_b32_e32 v11, 23, v11
	v_or_b32_e32 v4, v9, v4
	v_lshrrev_b32_e32 v9, 9, v20
	v_sub_u32_e32 v7, v7, v11
	v_or_b32_e32 v7, v9, v7
	v_mul_f32_e32 v9, 0x3fc90fda, v7
	v_fma_f32 v11, v7, s56, -v9
	v_fmac_f32_e32 v11, 0x33a22168, v7
	v_fmac_f32_e32 v11, 0x3fc90fda, v4
	v_lshrrev_b32_e32 v0, 30, v0
	v_add_f32_e32 v4, v9, v11
	v_add_u32_e32 v7, v36, v0
.LBB349_38:                             ;   in Loop: Header=BB349_13 Depth=3
	s_or_saveexec_b64 s[6:7], s[44:45]
	v_mul_f32_e64 v0, |v17|, s57
	v_rndne_f32_e32 v0, v0
	s_xor_b64 exec, exec, s[6:7]
; %bb.39:                               ;   in Loop: Header=BB349_13 Depth=3
	v_cvt_i32_f32_e32 v7, v0
	v_fma_f32 v4, v0, s58, |v17|
	v_fmac_f32_e32 v4, 0xb3a22168, v0
	v_fmac_f32_e32 v4, 0xa7c234c4, v0
; %bb.40:                               ;   in Loop: Header=BB349_13 Depth=3
	s_or_b64 exec, exec, s[6:7]
                                        ; implicit-def: $vgpr9
                                        ; implicit-def: $vgpr11
	s_and_saveexec_b64 s[6:7], s[42:43]
	s_xor_b64 s[42:43], exec, s[6:7]
	s_cbranch_execz .LBB349_42
; %bb.41:                               ;   in Loop: Header=BB349_13 Depth=3
	v_cmp_lt_u32_e32 vcc, 63, v16
	v_mad_u64_u32 v[20:21], s[10:11], v14, s49, 0
	s_nop 0
	v_cndmask_b32_e32 v0, 0, v27, vcc
	v_add_u32_e32 v0, v0, v16
	v_cmp_lt_u32_e64 s[6:7], 31, v0
	s_nop 1
	v_cndmask_b32_e64 v9, 0, v28, s[6:7]
	v_add_u32_e32 v0, v9, v0
	v_cmp_lt_u32_e64 s[8:9], 31, v0
	s_nop 1
	v_cndmask_b32_e64 v9, 0, v28, s[8:9]
	v_add_u32_e32 v9, v9, v0
	v_mov_b32_e32 v0, v21
	v_mad_u64_u32 v[36:37], s[10:11], v14, s50, v[0:1]
	v_mov_b32_e32 v0, v37
	v_mad_u64_u32 v[38:39], s[10:11], v14, s51, v[0:1]
	;; [unrolled: 2-line block ×6, first 2 shown]
	v_cndmask_b32_e32 v11, v44, v40, vcc
	v_cndmask_b32_e32 v0, v46, v42, vcc
	;; [unrolled: 1-line block ×3, first 2 shown]
	v_cndmask_b32_e64 v14, v0, v11, s[6:7]
	v_cndmask_b32_e64 v0, v16, v0, s[6:7]
	v_cndmask_b32_e32 v16, v42, v38, vcc
	v_cndmask_b32_e64 v11, v11, v16, s[6:7]
	v_sub_u32_e32 v18, 32, v9
	v_cmp_eq_u32_e64 s[10:11], 0, v9
	v_cndmask_b32_e32 v9, v40, v36, vcc
	v_cndmask_b32_e64 v0, v0, v14, s[8:9]
	v_cndmask_b32_e64 v14, v14, v11, s[8:9]
	;; [unrolled: 1-line block ×3, first 2 shown]
	v_alignbit_b32 v21, v0, v14, v18
	v_cndmask_b32_e64 v11, v11, v16, s[8:9]
	v_cndmask_b32_e64 v0, v21, v0, s[10:11]
	v_alignbit_b32 v21, v14, v11, v18
	v_cndmask_b32_e32 v20, v38, v20, vcc
	v_cndmask_b32_e64 v14, v21, v14, s[10:11]
	v_bfe_u32 v36, v0, 29, 1
	v_cndmask_b32_e64 v9, v9, v20, s[6:7]
	v_alignbit_b32 v21, v0, v14, 30
	v_sub_u32_e32 v37, 0, v36
	v_cndmask_b32_e64 v9, v16, v9, s[8:9]
	v_xor_b32_e32 v21, v21, v37
	v_alignbit_b32 v16, v11, v9, v18
	v_cndmask_b32_e64 v11, v16, v11, s[10:11]
	v_ffbh_u32_e32 v16, v21
	v_alignbit_b32 v14, v14, v11, 30
	v_min_u32_e32 v16, 32, v16
	v_alignbit_b32 v9, v11, v9, 30
	v_xor_b32_e32 v14, v14, v37
	v_sub_u32_e32 v18, 31, v16
	v_xor_b32_e32 v9, v9, v37
	v_alignbit_b32 v20, v21, v14, v18
	v_alignbit_b32 v9, v14, v9, v18
	;; [unrolled: 1-line block ×3, first 2 shown]
	v_ffbh_u32_e32 v14, v11
	v_min_u32_e32 v14, 32, v14
	v_lshrrev_b32_e32 v35, 29, v0
	v_not_b32_e32 v18, v14
	v_alignbit_b32 v9, v11, v9, v18
	v_lshlrev_b32_e32 v11, 31, v35
	v_or_b32_e32 v18, 0x33000000, v11
	v_add_lshl_u32 v14, v14, v16, 23
	v_lshrrev_b32_e32 v9, 9, v9
	v_sub_u32_e32 v14, v18, v14
	v_or_b32_e32 v11, 0.5, v11
	v_lshlrev_b32_e32 v16, 23, v16
	v_or_b32_e32 v9, v14, v9
	v_lshrrev_b32_e32 v14, 9, v20
	v_sub_u32_e32 v11, v11, v16
	v_or_b32_e32 v11, v14, v11
	v_mul_f32_e32 v14, 0x3fc90fda, v11
	v_fma_f32 v16, v11, s56, -v14
	v_fmac_f32_e32 v16, 0x33a22168, v11
	v_fmac_f32_e32 v16, 0x3fc90fda, v9
	v_lshrrev_b32_e32 v0, 30, v0
	v_add_f32_e32 v11, v14, v16
	v_add_u32_e32 v9, v36, v0
                                        ; implicit-def: $vgpr0
	s_andn2_saveexec_b64 s[6:7], s[42:43]
	s_cbranch_execnz .LBB349_43
	s_branch .LBB349_44
.LBB349_42:                             ;   in Loop: Header=BB349_13 Depth=3
	s_andn2_saveexec_b64 s[6:7], s[42:43]
.LBB349_43:                             ;   in Loop: Header=BB349_13 Depth=3
	v_cvt_i32_f32_e32 v9, v0
	v_fma_f32 v11, v0, s58, |v17|
	v_fmac_f32_e32 v11, 0xb3a22168, v0
	v_fmac_f32_e32 v11, 0xa7c234c4, v0
.LBB349_44:                             ;   in Loop: Header=BB349_13 Depth=3
	s_or_b64 exec, exec, s[6:7]
	v_and_b32_e32 v14, 0x7fffffff, v15
	v_lshrrev_b32_e32 v0, 23, v14
	v_and_b32_e32 v16, 0x7fffff, v14
	v_cmp_nlt_f32_e64 s[42:43], |v15|, s47
	v_add_u32_e32 v21, 0xffffff88, v0
	v_or_b32_e32 v20, 0x800000, v16
                                        ; implicit-def: $vgpr18
                                        ; implicit-def: $vgpr16
	s_and_saveexec_b64 s[6:7], s[42:43]
	s_xor_b64 s[44:45], exec, s[6:7]
	s_cbranch_execz .LBB349_46
; %bb.45:                               ;   in Loop: Header=BB349_13 Depth=3
	v_cmp_lt_u32_e32 vcc, 63, v21
	v_mad_u64_u32 v[36:37], s[10:11], v20, s49, 0
	s_nop 0
	v_cndmask_b32_e32 v0, 0, v27, vcc
	v_add_u32_e32 v0, v0, v21
	v_cmp_lt_u32_e64 s[6:7], 31, v0
	s_nop 1
	v_cndmask_b32_e64 v16, 0, v28, s[6:7]
	v_add_u32_e32 v0, v16, v0
	v_cmp_lt_u32_e64 s[8:9], 31, v0
	s_nop 1
	v_cndmask_b32_e64 v16, 0, v28, s[8:9]
	v_add_u32_e32 v16, v16, v0
	v_mov_b32_e32 v0, v37
	v_mad_u64_u32 v[38:39], s[10:11], v20, s50, v[0:1]
	v_mov_b32_e32 v0, v39
	v_mad_u64_u32 v[40:41], s[10:11], v20, s51, v[0:1]
	v_mov_b32_e32 v0, v41
	v_mad_u64_u32 v[42:43], s[10:11], v20, s52, v[0:1]
	v_mov_b32_e32 v0, v43
	v_mad_u64_u32 v[44:45], s[10:11], v20, s53, v[0:1]
	v_mov_b32_e32 v0, v45
	v_mad_u64_u32 v[46:47], s[10:11], v20, s54, v[0:1]
	v_mov_b32_e32 v0, v47
	v_mad_u64_u32 v[48:49], s[10:11], v20, s55, v[0:1]
	v_cndmask_b32_e32 v18, v46, v42, vcc
	v_cndmask_b32_e32 v0, v48, v44, vcc
	;; [unrolled: 1-line block ×3, first 2 shown]
	v_cndmask_b32_e64 v35, v0, v18, s[6:7]
	v_cndmask_b32_e64 v0, v37, v0, s[6:7]
	v_cndmask_b32_e32 v37, v44, v40, vcc
	v_cndmask_b32_e64 v18, v18, v37, s[6:7]
	v_sub_u32_e32 v39, 32, v16
	v_cmp_eq_u32_e64 s[10:11], 0, v16
	v_cndmask_b32_e32 v16, v42, v38, vcc
	v_cndmask_b32_e64 v0, v0, v35, s[8:9]
	v_cndmask_b32_e64 v35, v35, v18, s[8:9]
	;; [unrolled: 1-line block ×3, first 2 shown]
	v_alignbit_b32 v41, v0, v35, v39
	v_cndmask_b32_e64 v18, v18, v37, s[8:9]
	v_cndmask_b32_e64 v0, v41, v0, s[10:11]
	v_alignbit_b32 v38, v35, v18, v39
	v_cndmask_b32_e32 v36, v40, v36, vcc
	v_cndmask_b32_e64 v35, v38, v35, s[10:11]
	v_bfe_u32 v42, v0, 29, 1
	v_cndmask_b32_e64 v16, v16, v36, s[6:7]
	v_alignbit_b32 v38, v0, v35, 30
	v_sub_u32_e32 v43, 0, v42
	v_cndmask_b32_e64 v16, v37, v16, s[8:9]
	v_xor_b32_e32 v38, v38, v43
	v_alignbit_b32 v36, v18, v16, v39
	v_cndmask_b32_e64 v18, v36, v18, s[10:11]
	v_ffbh_u32_e32 v36, v38
	v_alignbit_b32 v35, v35, v18, 30
	v_min_u32_e32 v36, 32, v36
	v_alignbit_b32 v16, v18, v16, 30
	v_xor_b32_e32 v35, v35, v43
	v_sub_u32_e32 v37, 31, v36
	v_xor_b32_e32 v16, v16, v43
	v_alignbit_b32 v38, v38, v35, v37
	v_alignbit_b32 v16, v35, v16, v37
	;; [unrolled: 1-line block ×3, first 2 shown]
	v_ffbh_u32_e32 v35, v18
	v_min_u32_e32 v35, 32, v35
	v_lshrrev_b32_e32 v41, 29, v0
	v_not_b32_e32 v37, v35
	v_alignbit_b32 v16, v18, v16, v37
	v_lshlrev_b32_e32 v18, 31, v41
	v_or_b32_e32 v37, 0x33000000, v18
	v_add_lshl_u32 v35, v35, v36, 23
	v_lshrrev_b32_e32 v16, 9, v16
	v_sub_u32_e32 v35, v37, v35
	v_or_b32_e32 v18, 0.5, v18
	v_lshlrev_b32_e32 v36, 23, v36
	v_or_b32_e32 v16, v35, v16
	v_lshrrev_b32_e32 v35, 9, v38
	v_sub_u32_e32 v18, v18, v36
	v_or_b32_e32 v18, v35, v18
	v_mul_f32_e32 v35, 0x3fc90fda, v18
	v_fma_f32 v36, v18, s56, -v35
	v_fmac_f32_e32 v36, 0x33a22168, v18
	v_fmac_f32_e32 v36, 0x3fc90fda, v16
	v_lshrrev_b32_e32 v0, 30, v0
	v_add_f32_e32 v16, v35, v36
	v_add_u32_e32 v18, v42, v0
.LBB349_46:                             ;   in Loop: Header=BB349_13 Depth=3
	s_or_saveexec_b64 s[6:7], s[44:45]
	v_mul_f32_e64 v0, |v15|, s57
	v_rndne_f32_e32 v36, v0
	s_xor_b64 exec, exec, s[6:7]
; %bb.47:                               ;   in Loop: Header=BB349_13 Depth=3
	v_cvt_i32_f32_e32 v18, v36
	v_fma_f32 v16, v36, s58, |v15|
	v_fmac_f32_e32 v16, 0xb3a22168, v36
	v_fmac_f32_e32 v16, 0xa7c234c4, v36
; %bb.48:                               ;   in Loop: Header=BB349_13 Depth=3
	s_or_b64 exec, exec, s[6:7]
                                        ; implicit-def: $vgpr0
                                        ; implicit-def: $vgpr35
	s_and_saveexec_b64 s[6:7], s[42:43]
	s_xor_b64 s[42:43], exec, s[6:7]
	s_cbranch_execz .LBB349_50
; %bb.49:                               ;   in Loop: Header=BB349_13 Depth=3
	v_cmp_lt_u32_e32 vcc, 63, v21
	v_mad_u64_u32 v[36:37], s[10:11], v20, s49, 0
	s_nop 0
	v_cndmask_b32_e32 v0, 0, v27, vcc
	v_add_u32_e32 v0, v0, v21
	v_cmp_lt_u32_e64 s[6:7], 31, v0
	s_nop 1
	v_cndmask_b32_e64 v21, 0, v28, s[6:7]
	v_add_u32_e32 v0, v21, v0
	v_cmp_lt_u32_e64 s[8:9], 31, v0
	s_nop 1
	v_cndmask_b32_e64 v21, 0, v28, s[8:9]
	v_add_u32_e32 v35, v21, v0
	v_mov_b32_e32 v0, v37
	v_mad_u64_u32 v[38:39], s[10:11], v20, s50, v[0:1]
	v_mov_b32_e32 v0, v39
	v_mad_u64_u32 v[40:41], s[10:11], v20, s51, v[0:1]
	;; [unrolled: 2-line block ×6, first 2 shown]
	v_cndmask_b32_e32 v37, v46, v42, vcc
	v_cndmask_b32_e32 v0, v20, v44, vcc
	;; [unrolled: 1-line block ×3, first 2 shown]
	v_cndmask_b32_e64 v20, v0, v37, s[6:7]
	v_cndmask_b32_e64 v0, v21, v0, s[6:7]
	v_cndmask_b32_e32 v21, v44, v40, vcc
	v_cndmask_b32_e64 v37, v37, v21, s[6:7]
	v_sub_u32_e32 v39, 32, v35
	v_cmp_eq_u32_e64 s[10:11], 0, v35
	v_cndmask_b32_e32 v35, v42, v38, vcc
	v_cndmask_b32_e64 v0, v0, v20, s[8:9]
	v_cndmask_b32_e64 v20, v20, v37, s[8:9]
	;; [unrolled: 1-line block ×3, first 2 shown]
	v_alignbit_b32 v41, v0, v20, v39
	v_cndmask_b32_e64 v37, v37, v21, s[8:9]
	v_cndmask_b32_e64 v0, v41, v0, s[10:11]
	v_alignbit_b32 v38, v20, v37, v39
	v_cndmask_b32_e32 v36, v40, v36, vcc
	v_cndmask_b32_e64 v20, v38, v20, s[10:11]
	v_bfe_u32 v42, v0, 29, 1
	v_cndmask_b32_e64 v35, v35, v36, s[6:7]
	v_alignbit_b32 v38, v0, v20, 30
	v_sub_u32_e32 v43, 0, v42
	v_cndmask_b32_e64 v21, v21, v35, s[8:9]
	v_xor_b32_e32 v38, v38, v43
	v_alignbit_b32 v35, v37, v21, v39
	v_cndmask_b32_e64 v35, v35, v37, s[10:11]
	v_ffbh_u32_e32 v36, v38
	v_alignbit_b32 v20, v20, v35, 30
	v_min_u32_e32 v36, 32, v36
	v_alignbit_b32 v21, v35, v21, 30
	v_xor_b32_e32 v20, v20, v43
	v_sub_u32_e32 v37, 31, v36
	v_xor_b32_e32 v21, v21, v43
	v_alignbit_b32 v38, v38, v20, v37
	v_alignbit_b32 v20, v20, v21, v37
	;; [unrolled: 1-line block ×3, first 2 shown]
	v_ffbh_u32_e32 v35, v21
	v_min_u32_e32 v35, 32, v35
	v_lshrrev_b32_e32 v41, 29, v0
	v_not_b32_e32 v37, v35
	v_alignbit_b32 v20, v21, v20, v37
	v_lshlrev_b32_e32 v21, 31, v41
	v_or_b32_e32 v37, 0x33000000, v21
	v_add_lshl_u32 v35, v35, v36, 23
	v_lshrrev_b32_e32 v20, 9, v20
	v_sub_u32_e32 v35, v37, v35
	v_or_b32_e32 v21, 0.5, v21
	v_lshlrev_b32_e32 v36, 23, v36
	v_or_b32_e32 v20, v35, v20
	v_lshrrev_b32_e32 v35, 9, v38
	v_sub_u32_e32 v21, v21, v36
	v_or_b32_e32 v21, v35, v21
	v_mul_f32_e32 v35, 0x3fc90fda, v21
	v_fma_f32 v36, v21, s56, -v35
	v_fmac_f32_e32 v36, 0x33a22168, v21
	v_fmac_f32_e32 v36, 0x3fc90fda, v20
	v_lshrrev_b32_e32 v0, 30, v0
	v_add_f32_e32 v35, v35, v36
	v_add_u32_e32 v0, v42, v0
                                        ; implicit-def: $vgpr36
	s_andn2_saveexec_b64 s[6:7], s[42:43]
	s_cbranch_execnz .LBB349_51
	s_branch .LBB349_52
.LBB349_50:                             ;   in Loop: Header=BB349_13 Depth=3
	s_andn2_saveexec_b64 s[6:7], s[42:43]
.LBB349_51:                             ;   in Loop: Header=BB349_13 Depth=3
	v_cvt_i32_f32_e32 v0, v36
	v_fma_f32 v35, v36, s58, |v15|
	v_fmac_f32_e32 v35, 0xb3a22168, v36
	v_fmac_f32_e32 v35, 0xa7c234c4, v36
.LBB349_52:                             ;   in Loop: Header=BB349_13 Depth=3
	s_or_b64 exec, exec, s[6:7]
	v_mul_f32_e32 v21, v4, v4
	v_fmamk_f32 v36, v21, 0xb94c1982, v23
	v_fmaak_f32 v36, v21, v36, 0xbe2aaa9d
	v_mul_f32_e32 v36, v21, v36
	v_fmac_f32_e32 v4, v4, v36
	v_fmamk_f32 v36, v21, 0x37d75334, v24
	v_fmaak_f32 v36, v21, v36, 0x3d2aabf7
	v_lshlrev_b32_e32 v20, 30, v7
	v_and_b32_e32 v7, 1, v7
	v_fmaak_f32 v36, v21, v36, 0xbf000004
	v_and_b32_e32 v20, 0x80000000, v20
	v_fma_f32 v21, v21, v36, 1.0
	v_cmp_eq_u32_e32 vcc, 0, v7
	v_xor_b32_e32 v3, v3, v19
	v_xor_b32_e32 v3, v3, v20
	v_cndmask_b32_e32 v4, v21, v4, vcc
	v_xor_b32_e32 v3, v3, v4
	v_mul_f32_e32 v4, v11, v11
	v_fmamk_f32 v7, v4, 0xb94c1982, v23
	v_fmaak_f32 v7, v4, v7, 0xbe2aaa9d
	v_mul_f32_e32 v7, v4, v7
	v_fmac_f32_e32 v11, v11, v7
	v_fmamk_f32 v7, v4, 0x37d75334, v24
	v_fmaak_f32 v7, v4, v7, 0x3d2aabf7
	v_fmaak_f32 v7, v4, v7, 0xbf000004
	v_fma_f32 v4, v4, v7, 1.0
	v_and_b32_e32 v7, 1, v9
	v_cmp_eq_u32_e64 s[6:7], 0, v7
	v_lshlrev_b32_e32 v7, 30, v9
	v_mul_f32_e32 v9, v16, v16
	v_cndmask_b32_e64 v4, -v11, v4, s[6:7]
	v_fmamk_f32 v11, v9, 0xb94c1982, v23
	v_cmp_class_f32_e64 vcc, v17, s3
	v_bitop3_b32 v4, v7, v4, s63 bitop3:0x6c
	v_fmaak_f32 v11, v9, v11, 0xbe2aaa9d
	v_cndmask_b32_e32 v4, v6, v4, vcc
	v_mul_f32_e32 v11, v9, v11
	v_cndmask_b32_e32 v3, v6, v3, vcc
	v_mul_f32_e32 v7, 0x7f800000, v4
	v_cmp_neq_f32_e32 vcc, 0, v4
	v_fmac_f32_e32 v16, v16, v11
	v_fmamk_f32 v11, v9, 0x37d75334, v24
	v_cndmask_b32_e32 v7, 0, v7, vcc
	v_mul_f32_e32 v4, 0x7f800000, v3
	v_cmp_neq_f32_e32 vcc, 0, v3
	v_fmaak_f32 v11, v9, v11, 0x3d2aabf7
	v_fmaak_f32 v11, v9, v11, 0xbf000004
	v_cndmask_b32_e32 v20, 0, v4, vcc
	v_and_b32_e32 v4, 1, v18
	v_lshlrev_b32_e32 v3, 30, v18
	v_fma_f32 v9, v9, v11, 1.0
	v_cmp_eq_u32_e32 vcc, 0, v4
	v_and_b32_e32 v3, 0x80000000, v3
	s_nop 0
	v_cndmask_b32_e32 v4, v9, v16, vcc
	v_xor_b32_e32 v9, v14, v15
	v_xor_b32_e32 v3, v9, v3
	;; [unrolled: 1-line block ×3, first 2 shown]
	v_mul_f32_e32 v4, v35, v35
	v_fmamk_f32 v9, v4, 0xb94c1982, v23
	v_fmaak_f32 v9, v4, v9, 0xbe2aaa9d
	v_mul_f32_e32 v9, v4, v9
	v_fmac_f32_e32 v35, v35, v9
	v_fmamk_f32 v9, v4, 0x37d75334, v24
	v_fmaak_f32 v9, v4, v9, 0x3d2aabf7
	v_fmaak_f32 v9, v4, v9, 0xbf000004
	v_fma_f32 v4, v4, v9, 1.0
	v_and_b32_e32 v9, 1, v0
	v_cmp_eq_u32_e64 s[6:7], 0, v9
	v_lshlrev_b32_e32 v0, 30, v0
	v_cmp_class_f32_e64 vcc, v15, s3
	v_cndmask_b32_e64 v4, -v35, v4, s[6:7]
	v_bitop3_b32 v0, v0, v4, s63 bitop3:0x6c
	v_cndmask_b32_e32 v0, v6, v0, vcc
	v_cndmask_b32_e32 v3, v6, v3, vcc
	v_mul_f32_e32 v4, 0x7f800000, v0
	v_cmp_neq_f32_e32 vcc, 0, v0
	s_nop 1
	v_cndmask_b32_e32 v0, 0, v4, vcc
	v_mul_f32_e32 v4, 0x7f800000, v3
	v_cmp_neq_f32_e32 vcc, 0, v3
	v_add_f32_e32 v21, v7, v0
	s_nop 0
	v_cndmask_b32_e32 v4, 0, v4, vcc
	v_pk_add_f32 v[14:15], v[20:21], v[4:5]
	s_nop 0
	v_max_f32_e64 v0, |v15|, |v14|
	v_cvt_f64_f32_e32 v[16:17], v0
	v_frexp_exp_i32_f64_e32 v3, v[16:17]
	v_sub_u32_e32 v4, 0, v3
	v_ldexp_f32 v7, |v15|, v4
	v_ldexp_f32 v4, |v14|, v4
	v_mul_f32_e32 v4, v4, v4
	v_fmac_f32_e32 v4, v7, v7
	v_sqrt_f32_e32 v4, v4
	v_cmp_eq_f32_e32 vcc, s62, v0
	v_add_f32_e32 v0, 1.0, v15
                                        ; implicit-def: $vgpr16
	v_ldexp_f32 v4, v4, v3
	v_cmp_ngt_f32_e64 s[6:7], 0.5, v4
	v_max_f32_e64 v3, |v0|, |v14|
	s_or_b64 s[6:7], vcc, s[6:7]
	s_and_saveexec_b64 s[8:9], s[6:7]
	s_xor_b64 s[8:9], exec, s[8:9]
	s_cbranch_execz .LBB349_54
; %bb.53:                               ;   in Loop: Header=BB349_13 Depth=3
	v_cvt_f64_f32_e32 v[16:17], v3
	v_frexp_exp_i32_f64_e32 v4, v[16:17]
	v_sub_u32_e32 v7, 0, v4
	v_ldexp_f32 v9, |v0|, v7
	v_ldexp_f32 v7, |v14|, v7
	v_mul_f32_e32 v7, v7, v7
	v_fmac_f32_e32 v7, v9, v9
	v_sqrt_f32_e32 v7, v7
	v_cmp_neq_f32_e32 vcc, s62, v3
	v_ldexp_f32 v4, v7, v4
	s_nop 0
	v_cndmask_b32_e32 v4, v29, v4, vcc
	v_cmp_gt_f32_e32 vcc, s48, v4
	s_nop 1
	v_cndmask_b32_e64 v7, 0, 32, vcc
	v_ldexp_f32 v4, v4, v7
	v_log_f32_e32 v4, v4
	s_nop 0
	v_mul_f32_e32 v7, 0x3f317217, v4
	v_fma_f32 v7, v4, s64, -v7
	v_fmac_f32_e32 v7, 0x3377d1cf, v4
	v_fmac_f32_e32 v7, 0x3f317217, v4
	v_cmp_lt_f32_e64 s[6:7], |v4|, s62
	s_nop 1
	v_cndmask_b32_e64 v4, v4, v7, s[6:7]
	v_cndmask_b32_e32 v7, 0, v30, vcc
	v_sub_f32_e32 v16, v4, v7
.LBB349_54:                             ;   in Loop: Header=BB349_13 Depth=3
	s_andn2_saveexec_b64 s[6:7], s[8:9]
	s_cbranch_execz .LBB349_9
; %bb.55:                               ;   in Loop: Header=BB349_13 Depth=3
	v_add_f32_e32 v17, 2.0, v15
	v_mov_b32_e32 v16, v14
	v_pk_mul_f32 v[16:17], v[14:15], v[16:17]
	s_nop 0
	v_add_f32_e32 v4, v16, v17
	v_cmp_neq_f32_e32 vcc, 0, v4
	s_and_saveexec_b64 s[8:9], vcc
	s_cbranch_execz .LBB349_8
; %bb.56:                               ;   in Loop: Header=BB349_13 Depth=3
	v_add_f32_e32 v7, 1.0, v4
	v_add_f32_e32 v9, -1.0, v7
	v_sub_f32_e32 v11, v9, v7
	v_add_f32_e32 v11, 1.0, v11
	v_sub_f32_e32 v9, v4, v9
	v_add_f32_e32 v9, v9, v11
	v_frexp_mant_f32_e32 v11, v7
	v_cvt_f64_f32_e32 v[16:17], v7
	v_frexp_exp_i32_f64_e32 v15, v[16:17]
	v_cmp_gt_f32_e32 vcc, s65, v11
	s_nop 1
	v_subbrev_co_u32_e32 v11, vcc, 0, v15, vcc
	v_sub_u32_e32 v15, 0, v11
	v_ldexp_f32 v7, v7, v15
	v_ldexp_f32 v9, v9, v15
	v_add_f32_e32 v15, -1.0, v7
	v_add_f32_e32 v17, 1.0, v7
	v_add_f32_e32 v16, 1.0, v15
	v_add_f32_e32 v18, -1.0, v17
	v_sub_f32_e32 v16, v7, v16
	v_sub_f32_e32 v7, v7, v18
	v_add_f32_e32 v7, v9, v7
	v_add_f32_e32 v16, v9, v16
	;; [unrolled: 1-line block ×3, first 2 shown]
	v_rcp_f32_e32 v35, v9
	v_sub_f32_e32 v17, v9, v17
	v_sub_f32_e32 v7, v7, v17
	v_add_f32_e32 v17, v15, v16
	v_mul_f32_e32 v38, v17, v35
	v_mul_f32_e32 v18, v9, v38
	v_fma_f32 v20, v38, v9, -v18
	v_sub_f32_e32 v15, v17, v15
	v_fmac_f32_e32 v20, v38, v7
	v_sub_f32_e32 v15, v16, v15
	v_add_f32_e32 v16, v18, v20
	v_sub_f32_e32 v19, v17, v16
	v_pk_add_f32 v[36:37], v[16:17], v[18:19] neg_lo:[0,1] neg_hi:[0,1]
	v_mov_b32_e32 v21, v16
	v_pk_add_f32 v[16:17], v[36:37], v[20:21] neg_lo:[0,1] neg_hi:[0,1]
	v_cmp_neq_f32_e32 vcc, s62, v4
	v_add_f32_e32 v15, v15, v17
	v_add_f32_e32 v15, v16, v15
	v_add_f32_e32 v17, v19, v15
	v_mul_f32_e32 v39, v35, v17
	v_mul_f32_e32 v18, v9, v39
	v_fma_f32 v20, v39, v9, -v18
	v_fmac_f32_e32 v20, v39, v7
	v_add_f32_e32 v16, v18, v20
	v_sub_f32_e32 v7, v19, v17
	v_sub_f32_e32 v19, v17, v16
	v_pk_add_f32 v[36:37], v[16:17], v[18:19] neg_lo:[0,1] neg_hi:[0,1]
	v_mov_b32_e32 v21, v16
	v_add_f32_e32 v7, v15, v7
	v_pk_add_f32 v[16:17], v[36:37], v[20:21] neg_lo:[0,1] neg_hi:[0,1]
	v_add_f32_e32 v15, v38, v39
	v_add_f32_e32 v7, v7, v17
	;; [unrolled: 1-line block ×4, first 2 shown]
	v_sub_f32_e32 v9, v15, v38
	v_mul_f32_e32 v7, v35, v7
	v_sub_f32_e32 v9, v39, v9
	v_add_f32_e32 v7, v9, v7
	v_add_f32_e32 v17, v15, v7
	v_cvt_f32_i32_e32 v16, v11
	v_mul_f32_e32 v18, v17, v17
	v_fmamk_f32 v9, v18, 0x3e9b6dac, v25
	v_fmaak_f32 v9, v18, v9, 0x3f2aaada
	v_sub_f32_e32 v11, v17, v15
	v_ldexp_f32 v19, v17, 1
	v_mul_f32_e32 v17, v17, v18
	v_pk_mul_f32 v[20:21], v[16:17], v[8:9]
	v_sub_f32_e32 v7, v7, v11
	v_fma_f32 v18, v16, s66, -v20
	v_fmac_f32_e32 v18, 0xb102e308, v16
	v_pk_add_f32 v[16:17], v[20:21], v[18:19]
	v_ldexp_f32 v7, v7, 1
	v_sub_f32_e32 v9, v17, v19
	v_sub_f32_e32 v9, v21, v9
	v_add_f32_e32 v37, v7, v9
	v_mov_b32_e32 v36, v20
	v_pk_add_f32 v[20:21], v[16:17], v[20:21] neg_lo:[0,1] neg_hi:[0,1]
	v_pk_add_f32 v[38:39], v[16:17], v[36:37]
	v_mov_b32_e32 v19, v16
	v_mov_b32_e32 v21, v39
	v_pk_add_f32 v[40:41], v[18:19], v[20:21] neg_lo:[0,1] neg_hi:[0,1]
	v_pk_add_f32 v[18:19], v[18:19], v[20:21]
	v_mov_b32_e32 v36, v37
	v_pk_add_f32 v[20:21], v[18:19], v[16:17] op_sel:[1,0] op_sel_hi:[0,1] neg_lo:[0,1] neg_hi:[0,1]
	v_pk_add_f32 v[42:43], v[38:39], v[20:21] op_sel_hi:[1,0] neg_lo:[0,1] neg_hi:[0,1]
	v_mov_b32_e32 v38, v39
	v_mov_b32_e32 v39, v19
	v_pk_mov_b32 v[20:21], v[16:17], v[20:21] op_sel:[1,0]
	v_mov_b32_e32 v37, v16
	v_pk_add_f32 v[20:21], v[38:39], v[20:21] neg_lo:[0,1] neg_hi:[0,1]
	v_mov_b32_e32 v42, v40
	v_pk_add_f32 v[16:17], v[36:37], v[20:21] neg_lo:[0,1] neg_hi:[0,1]
	v_mov_b32_e32 v41, v19
	v_pk_add_f32 v[20:21], v[42:43], v[16:17]
	s_nop 0
	v_pk_add_f32 v[36:37], v[20:21], v[20:21] op_sel:[0,1] op_sel_hi:[1,0]
	s_nop 0
	v_pk_add_f32 v[18:19], v[18:19], v[36:37] op_sel:[1,0] op_sel_hi:[0,1]
	v_mov_b32_e32 v21, v18
	v_pk_add_f32 v[38:39], v[20:21], v[40:41] neg_lo:[0,1] neg_hi:[0,1]
	v_mov_b32_e32 v17, v36
	v_sub_f32_e32 v7, v20, v38
	v_pk_add_f32 v[16:17], v[16:17], v[38:39] neg_lo:[0,1] neg_hi:[0,1]
	v_sub_f32_e32 v7, v40, v7
	v_add_f32_e32 v7, v16, v7
	v_add_f32_e32 v7, v7, v17
	;; [unrolled: 1-line block ×3, first 2 shown]
	v_cndmask_b32_e32 v7, v29, v7, vcc
	v_cmp_ngt_f32_e32 vcc, -1.0, v4
	s_nop 1
	v_cndmask_b32_e32 v7, v6, v7, vcc
	v_cmp_neq_f32_e32 vcc, -1.0, v4
	s_nop 1
	v_cndmask_b32_e32 v7, v31, v7, vcc
	v_cmp_lt_f32_e64 vcc, |v4|, s67
	s_nop 1
	v_cndmask_b32_e32 v4, v7, v4, vcc
	v_mul_f32_e32 v15, 0.5, v4
	s_branch .LBB349_8
.LBB349_57:
	s_endpgm
	.section	.rodata,"a",@progbits
	.p2align	6, 0x0
	.amdhsa_kernel _ZN2at6native28tensor_kernel_scan_outer_dimIN3c107complexIfEEmZZZNS0_31launch_logcumsumexp_cuda_kernelERKNS_10TensorBaseES7_lENKUlvE_clEvENKUlvE2_clEvEUlS4_S4_E_EEvPT_PKSB_jjjSB_T1_
		.amdhsa_group_segment_fixed_size 0
		.amdhsa_private_segment_fixed_size 0
		.amdhsa_kernarg_size 304
		.amdhsa_user_sgpr_count 2
		.amdhsa_user_sgpr_dispatch_ptr 0
		.amdhsa_user_sgpr_queue_ptr 0
		.amdhsa_user_sgpr_kernarg_segment_ptr 1
		.amdhsa_user_sgpr_dispatch_id 0
		.amdhsa_user_sgpr_kernarg_preload_length 0
		.amdhsa_user_sgpr_kernarg_preload_offset 0
		.amdhsa_user_sgpr_private_segment_size 0
		.amdhsa_uses_dynamic_stack 0
		.amdhsa_enable_private_segment 0
		.amdhsa_system_sgpr_workgroup_id_x 1
		.amdhsa_system_sgpr_workgroup_id_y 1
		.amdhsa_system_sgpr_workgroup_id_z 0
		.amdhsa_system_sgpr_workgroup_info 0
		.amdhsa_system_vgpr_workitem_id 0
		.amdhsa_next_free_vgpr 50
		.amdhsa_next_free_sgpr 71
		.amdhsa_accum_offset 52
		.amdhsa_reserve_vcc 1
		.amdhsa_float_round_mode_32 0
		.amdhsa_float_round_mode_16_64 0
		.amdhsa_float_denorm_mode_32 3
		.amdhsa_float_denorm_mode_16_64 3
		.amdhsa_dx10_clamp 1
		.amdhsa_ieee_mode 1
		.amdhsa_fp16_overflow 0
		.amdhsa_tg_split 0
		.amdhsa_exception_fp_ieee_invalid_op 0
		.amdhsa_exception_fp_denorm_src 0
		.amdhsa_exception_fp_ieee_div_zero 0
		.amdhsa_exception_fp_ieee_overflow 0
		.amdhsa_exception_fp_ieee_underflow 0
		.amdhsa_exception_fp_ieee_inexact 0
		.amdhsa_exception_int_div_zero 0
	.end_amdhsa_kernel
	.section	.text._ZN2at6native28tensor_kernel_scan_outer_dimIN3c107complexIfEEmZZZNS0_31launch_logcumsumexp_cuda_kernelERKNS_10TensorBaseES7_lENKUlvE_clEvENKUlvE2_clEvEUlS4_S4_E_EEvPT_PKSB_jjjSB_T1_,"axG",@progbits,_ZN2at6native28tensor_kernel_scan_outer_dimIN3c107complexIfEEmZZZNS0_31launch_logcumsumexp_cuda_kernelERKNS_10TensorBaseES7_lENKUlvE_clEvENKUlvE2_clEvEUlS4_S4_E_EEvPT_PKSB_jjjSB_T1_,comdat
.Lfunc_end349:
	.size	_ZN2at6native28tensor_kernel_scan_outer_dimIN3c107complexIfEEmZZZNS0_31launch_logcumsumexp_cuda_kernelERKNS_10TensorBaseES7_lENKUlvE_clEvENKUlvE2_clEvEUlS4_S4_E_EEvPT_PKSB_jjjSB_T1_, .Lfunc_end349-_ZN2at6native28tensor_kernel_scan_outer_dimIN3c107complexIfEEmZZZNS0_31launch_logcumsumexp_cuda_kernelERKNS_10TensorBaseES7_lENKUlvE_clEvENKUlvE2_clEvEUlS4_S4_E_EEvPT_PKSB_jjjSB_T1_
                                        ; -- End function
	.set _ZN2at6native28tensor_kernel_scan_outer_dimIN3c107complexIfEEmZZZNS0_31launch_logcumsumexp_cuda_kernelERKNS_10TensorBaseES7_lENKUlvE_clEvENKUlvE2_clEvEUlS4_S4_E_EEvPT_PKSB_jjjSB_T1_.num_vgpr, 50
	.set _ZN2at6native28tensor_kernel_scan_outer_dimIN3c107complexIfEEmZZZNS0_31launch_logcumsumexp_cuda_kernelERKNS_10TensorBaseES7_lENKUlvE_clEvENKUlvE2_clEvEUlS4_S4_E_EEvPT_PKSB_jjjSB_T1_.num_agpr, 0
	.set _ZN2at6native28tensor_kernel_scan_outer_dimIN3c107complexIfEEmZZZNS0_31launch_logcumsumexp_cuda_kernelERKNS_10TensorBaseES7_lENKUlvE_clEvENKUlvE2_clEvEUlS4_S4_E_EEvPT_PKSB_jjjSB_T1_.numbered_sgpr, 71
	.set _ZN2at6native28tensor_kernel_scan_outer_dimIN3c107complexIfEEmZZZNS0_31launch_logcumsumexp_cuda_kernelERKNS_10TensorBaseES7_lENKUlvE_clEvENKUlvE2_clEvEUlS4_S4_E_EEvPT_PKSB_jjjSB_T1_.num_named_barrier, 0
	.set _ZN2at6native28tensor_kernel_scan_outer_dimIN3c107complexIfEEmZZZNS0_31launch_logcumsumexp_cuda_kernelERKNS_10TensorBaseES7_lENKUlvE_clEvENKUlvE2_clEvEUlS4_S4_E_EEvPT_PKSB_jjjSB_T1_.private_seg_size, 0
	.set _ZN2at6native28tensor_kernel_scan_outer_dimIN3c107complexIfEEmZZZNS0_31launch_logcumsumexp_cuda_kernelERKNS_10TensorBaseES7_lENKUlvE_clEvENKUlvE2_clEvEUlS4_S4_E_EEvPT_PKSB_jjjSB_T1_.uses_vcc, 1
	.set _ZN2at6native28tensor_kernel_scan_outer_dimIN3c107complexIfEEmZZZNS0_31launch_logcumsumexp_cuda_kernelERKNS_10TensorBaseES7_lENKUlvE_clEvENKUlvE2_clEvEUlS4_S4_E_EEvPT_PKSB_jjjSB_T1_.uses_flat_scratch, 0
	.set _ZN2at6native28tensor_kernel_scan_outer_dimIN3c107complexIfEEmZZZNS0_31launch_logcumsumexp_cuda_kernelERKNS_10TensorBaseES7_lENKUlvE_clEvENKUlvE2_clEvEUlS4_S4_E_EEvPT_PKSB_jjjSB_T1_.has_dyn_sized_stack, 0
	.set _ZN2at6native28tensor_kernel_scan_outer_dimIN3c107complexIfEEmZZZNS0_31launch_logcumsumexp_cuda_kernelERKNS_10TensorBaseES7_lENKUlvE_clEvENKUlvE2_clEvEUlS4_S4_E_EEvPT_PKSB_jjjSB_T1_.has_recursion, 0
	.set _ZN2at6native28tensor_kernel_scan_outer_dimIN3c107complexIfEEmZZZNS0_31launch_logcumsumexp_cuda_kernelERKNS_10TensorBaseES7_lENKUlvE_clEvENKUlvE2_clEvEUlS4_S4_E_EEvPT_PKSB_jjjSB_T1_.has_indirect_call, 0
	.section	.AMDGPU.csdata,"",@progbits
; Kernel info:
; codeLenInByte = 7452
; TotalNumSgprs: 77
; NumVgprs: 50
; NumAgprs: 0
; TotalNumVgprs: 50
; ScratchSize: 0
; MemoryBound: 0
; FloatMode: 240
; IeeeMode: 1
; LDSByteSize: 0 bytes/workgroup (compile time only)
; SGPRBlocks: 9
; VGPRBlocks: 6
; NumSGPRsForWavesPerEU: 77
; NumVGPRsForWavesPerEU: 50
; AccumOffset: 52
; Occupancy: 8
; WaveLimiterHint : 0
; COMPUTE_PGM_RSRC2:SCRATCH_EN: 0
; COMPUTE_PGM_RSRC2:USER_SGPR: 2
; COMPUTE_PGM_RSRC2:TRAP_HANDLER: 0
; COMPUTE_PGM_RSRC2:TGID_X_EN: 1
; COMPUTE_PGM_RSRC2:TGID_Y_EN: 1
; COMPUTE_PGM_RSRC2:TGID_Z_EN: 0
; COMPUTE_PGM_RSRC2:TIDIG_COMP_CNT: 0
; COMPUTE_PGM_RSRC3_GFX90A:ACCUM_OFFSET: 12
; COMPUTE_PGM_RSRC3_GFX90A:TG_SPLIT: 0
	.section	.text._ZN7rocprim17ROCPRIM_400000_NS6detail31init_lookback_scan_state_kernelINS1_19lookback_scan_stateIN3c104HalfELb0ELb1EEENS1_16block_id_wrapperIjLb0EEEEEvT_jT0_jPNS9_10value_typeE,"axG",@progbits,_ZN7rocprim17ROCPRIM_400000_NS6detail31init_lookback_scan_state_kernelINS1_19lookback_scan_stateIN3c104HalfELb0ELb1EEENS1_16block_id_wrapperIjLb0EEEEEvT_jT0_jPNS9_10value_typeE,comdat
	.protected	_ZN7rocprim17ROCPRIM_400000_NS6detail31init_lookback_scan_state_kernelINS1_19lookback_scan_stateIN3c104HalfELb0ELb1EEENS1_16block_id_wrapperIjLb0EEEEEvT_jT0_jPNS9_10value_typeE ; -- Begin function _ZN7rocprim17ROCPRIM_400000_NS6detail31init_lookback_scan_state_kernelINS1_19lookback_scan_stateIN3c104HalfELb0ELb1EEENS1_16block_id_wrapperIjLb0EEEEEvT_jT0_jPNS9_10value_typeE
	.globl	_ZN7rocprim17ROCPRIM_400000_NS6detail31init_lookback_scan_state_kernelINS1_19lookback_scan_stateIN3c104HalfELb0ELb1EEENS1_16block_id_wrapperIjLb0EEEEEvT_jT0_jPNS9_10value_typeE
	.p2align	8
	.type	_ZN7rocprim17ROCPRIM_400000_NS6detail31init_lookback_scan_state_kernelINS1_19lookback_scan_stateIN3c104HalfELb0ELb1EEENS1_16block_id_wrapperIjLb0EEEEEvT_jT0_jPNS9_10value_typeE,@function
_ZN7rocprim17ROCPRIM_400000_NS6detail31init_lookback_scan_state_kernelINS1_19lookback_scan_stateIN3c104HalfELb0ELb1EEENS1_16block_id_wrapperIjLb0EEEEEvT_jT0_jPNS9_10value_typeE: ; @_ZN7rocprim17ROCPRIM_400000_NS6detail31init_lookback_scan_state_kernelINS1_19lookback_scan_stateIN3c104HalfELb0ELb1EEENS1_16block_id_wrapperIjLb0EEEEEvT_jT0_jPNS9_10value_typeE
; %bb.0:
	s_load_dword s3, s[0:1], 0x2c
	s_load_dwordx2 s[6:7], s[0:1], 0x18
	s_load_dwordx2 s[4:5], s[0:1], 0x0
	s_load_dword s8, s[0:1], 0x8
	s_waitcnt lgkmcnt(0)
	s_and_b32 s3, s3, 0xffff
	s_mul_i32 s2, s2, s3
	s_cmp_eq_u64 s[6:7], 0
	v_add_u32_e32 v0, s2, v0
	s_cbranch_scc1 .LBB350_6
; %bb.1:
	s_load_dword s2, s[0:1], 0x10
	s_mov_b32 s3, 0
	s_waitcnt lgkmcnt(0)
	s_cmp_lt_u32 s2, s8
	s_cselect_b32 s0, s2, 0
	v_cmp_eq_u32_e32 vcc, s0, v0
	s_and_saveexec_b64 s[0:1], vcc
	s_cbranch_execz .LBB350_5
; %bb.2:
	s_add_i32 s2, s2, 64
	s_lshl_b64 s[2:3], s[2:3], 2
	s_add_u32 s2, s4, s2
	s_addc_u32 s3, s5, s3
	v_mov_b32_e32 v2, 0
	global_load_dword v1, v2, s[2:3] sc1
	s_waitcnt vmcnt(0)
	v_and_b32_e32 v3, 0xff0000, v1
	v_cmp_ne_u32_e32 vcc, 0, v3
	s_cbranch_vccnz .LBB350_4
.LBB350_3:                              ; =>This Inner Loop Header: Depth=1
	global_load_dword v1, v2, s[2:3] sc1
	s_waitcnt vmcnt(0)
	v_and_b32_e32 v3, 0xff0000, v1
	v_cmp_eq_u32_e32 vcc, 0, v3
	s_cbranch_vccnz .LBB350_3
.LBB350_4:
	v_mov_b32_e32 v2, 0
	global_store_short v2, v1, s[6:7]
.LBB350_5:
	s_or_b64 exec, exec, s[0:1]
.LBB350_6:
	v_cmp_gt_u32_e32 vcc, s8, v0
	s_and_saveexec_b64 s[0:1], vcc
	s_cbranch_execnz .LBB350_9
; %bb.7:
	s_or_b64 exec, exec, s[0:1]
	v_cmp_gt_u32_e32 vcc, 64, v0
	s_and_saveexec_b64 s[0:1], vcc
	s_cbranch_execnz .LBB350_10
.LBB350_8:
	s_endpgm
.LBB350_9:
	v_add_u32_e32 v2, 64, v0
	v_mov_b32_e32 v3, 0
	v_lshl_add_u64 v[4:5], v[2:3], 2, s[4:5]
	global_store_dword v[4:5], v3, off
	s_or_b64 exec, exec, s[0:1]
	v_cmp_gt_u32_e32 vcc, 64, v0
	s_and_saveexec_b64 s[0:1], vcc
	s_cbranch_execz .LBB350_8
.LBB350_10:
	v_mov_b32_e32 v1, 0
	v_lshl_add_u64 v[0:1], v[0:1], 2, s[4:5]
	v_mov_b32_e32 v2, 0xff0000
	global_store_dword v[0:1], v2, off
	s_endpgm
	.section	.rodata,"a",@progbits
	.p2align	6, 0x0
	.amdhsa_kernel _ZN7rocprim17ROCPRIM_400000_NS6detail31init_lookback_scan_state_kernelINS1_19lookback_scan_stateIN3c104HalfELb0ELb1EEENS1_16block_id_wrapperIjLb0EEEEEvT_jT0_jPNS9_10value_typeE
		.amdhsa_group_segment_fixed_size 0
		.amdhsa_private_segment_fixed_size 0
		.amdhsa_kernarg_size 288
		.amdhsa_user_sgpr_count 2
		.amdhsa_user_sgpr_dispatch_ptr 0
		.amdhsa_user_sgpr_queue_ptr 0
		.amdhsa_user_sgpr_kernarg_segment_ptr 1
		.amdhsa_user_sgpr_dispatch_id 0
		.amdhsa_user_sgpr_kernarg_preload_length 0
		.amdhsa_user_sgpr_kernarg_preload_offset 0
		.amdhsa_user_sgpr_private_segment_size 0
		.amdhsa_uses_dynamic_stack 0
		.amdhsa_enable_private_segment 0
		.amdhsa_system_sgpr_workgroup_id_x 1
		.amdhsa_system_sgpr_workgroup_id_y 0
		.amdhsa_system_sgpr_workgroup_id_z 0
		.amdhsa_system_sgpr_workgroup_info 0
		.amdhsa_system_vgpr_workitem_id 0
		.amdhsa_next_free_vgpr 6
		.amdhsa_next_free_sgpr 9
		.amdhsa_accum_offset 8
		.amdhsa_reserve_vcc 1
		.amdhsa_float_round_mode_32 0
		.amdhsa_float_round_mode_16_64 0
		.amdhsa_float_denorm_mode_32 3
		.amdhsa_float_denorm_mode_16_64 3
		.amdhsa_dx10_clamp 1
		.amdhsa_ieee_mode 1
		.amdhsa_fp16_overflow 0
		.amdhsa_tg_split 0
		.amdhsa_exception_fp_ieee_invalid_op 0
		.amdhsa_exception_fp_denorm_src 0
		.amdhsa_exception_fp_ieee_div_zero 0
		.amdhsa_exception_fp_ieee_overflow 0
		.amdhsa_exception_fp_ieee_underflow 0
		.amdhsa_exception_fp_ieee_inexact 0
		.amdhsa_exception_int_div_zero 0
	.end_amdhsa_kernel
	.section	.text._ZN7rocprim17ROCPRIM_400000_NS6detail31init_lookback_scan_state_kernelINS1_19lookback_scan_stateIN3c104HalfELb0ELb1EEENS1_16block_id_wrapperIjLb0EEEEEvT_jT0_jPNS9_10value_typeE,"axG",@progbits,_ZN7rocprim17ROCPRIM_400000_NS6detail31init_lookback_scan_state_kernelINS1_19lookback_scan_stateIN3c104HalfELb0ELb1EEENS1_16block_id_wrapperIjLb0EEEEEvT_jT0_jPNS9_10value_typeE,comdat
.Lfunc_end350:
	.size	_ZN7rocprim17ROCPRIM_400000_NS6detail31init_lookback_scan_state_kernelINS1_19lookback_scan_stateIN3c104HalfELb0ELb1EEENS1_16block_id_wrapperIjLb0EEEEEvT_jT0_jPNS9_10value_typeE, .Lfunc_end350-_ZN7rocprim17ROCPRIM_400000_NS6detail31init_lookback_scan_state_kernelINS1_19lookback_scan_stateIN3c104HalfELb0ELb1EEENS1_16block_id_wrapperIjLb0EEEEEvT_jT0_jPNS9_10value_typeE
                                        ; -- End function
	.set _ZN7rocprim17ROCPRIM_400000_NS6detail31init_lookback_scan_state_kernelINS1_19lookback_scan_stateIN3c104HalfELb0ELb1EEENS1_16block_id_wrapperIjLb0EEEEEvT_jT0_jPNS9_10value_typeE.num_vgpr, 6
	.set _ZN7rocprim17ROCPRIM_400000_NS6detail31init_lookback_scan_state_kernelINS1_19lookback_scan_stateIN3c104HalfELb0ELb1EEENS1_16block_id_wrapperIjLb0EEEEEvT_jT0_jPNS9_10value_typeE.num_agpr, 0
	.set _ZN7rocprim17ROCPRIM_400000_NS6detail31init_lookback_scan_state_kernelINS1_19lookback_scan_stateIN3c104HalfELb0ELb1EEENS1_16block_id_wrapperIjLb0EEEEEvT_jT0_jPNS9_10value_typeE.numbered_sgpr, 9
	.set _ZN7rocprim17ROCPRIM_400000_NS6detail31init_lookback_scan_state_kernelINS1_19lookback_scan_stateIN3c104HalfELb0ELb1EEENS1_16block_id_wrapperIjLb0EEEEEvT_jT0_jPNS9_10value_typeE.num_named_barrier, 0
	.set _ZN7rocprim17ROCPRIM_400000_NS6detail31init_lookback_scan_state_kernelINS1_19lookback_scan_stateIN3c104HalfELb0ELb1EEENS1_16block_id_wrapperIjLb0EEEEEvT_jT0_jPNS9_10value_typeE.private_seg_size, 0
	.set _ZN7rocprim17ROCPRIM_400000_NS6detail31init_lookback_scan_state_kernelINS1_19lookback_scan_stateIN3c104HalfELb0ELb1EEENS1_16block_id_wrapperIjLb0EEEEEvT_jT0_jPNS9_10value_typeE.uses_vcc, 1
	.set _ZN7rocprim17ROCPRIM_400000_NS6detail31init_lookback_scan_state_kernelINS1_19lookback_scan_stateIN3c104HalfELb0ELb1EEENS1_16block_id_wrapperIjLb0EEEEEvT_jT0_jPNS9_10value_typeE.uses_flat_scratch, 0
	.set _ZN7rocprim17ROCPRIM_400000_NS6detail31init_lookback_scan_state_kernelINS1_19lookback_scan_stateIN3c104HalfELb0ELb1EEENS1_16block_id_wrapperIjLb0EEEEEvT_jT0_jPNS9_10value_typeE.has_dyn_sized_stack, 0
	.set _ZN7rocprim17ROCPRIM_400000_NS6detail31init_lookback_scan_state_kernelINS1_19lookback_scan_stateIN3c104HalfELb0ELb1EEENS1_16block_id_wrapperIjLb0EEEEEvT_jT0_jPNS9_10value_typeE.has_recursion, 0
	.set _ZN7rocprim17ROCPRIM_400000_NS6detail31init_lookback_scan_state_kernelINS1_19lookback_scan_stateIN3c104HalfELb0ELb1EEENS1_16block_id_wrapperIjLb0EEEEEvT_jT0_jPNS9_10value_typeE.has_indirect_call, 0
	.section	.AMDGPU.csdata,"",@progbits
; Kernel info:
; codeLenInByte = 292
; TotalNumSgprs: 15
; NumVgprs: 6
; NumAgprs: 0
; TotalNumVgprs: 6
; ScratchSize: 0
; MemoryBound: 0
; FloatMode: 240
; IeeeMode: 1
; LDSByteSize: 0 bytes/workgroup (compile time only)
; SGPRBlocks: 1
; VGPRBlocks: 0
; NumSGPRsForWavesPerEU: 15
; NumVGPRsForWavesPerEU: 6
; AccumOffset: 8
; Occupancy: 8
; WaveLimiterHint : 0
; COMPUTE_PGM_RSRC2:SCRATCH_EN: 0
; COMPUTE_PGM_RSRC2:USER_SGPR: 2
; COMPUTE_PGM_RSRC2:TRAP_HANDLER: 0
; COMPUTE_PGM_RSRC2:TGID_X_EN: 1
; COMPUTE_PGM_RSRC2:TGID_Y_EN: 0
; COMPUTE_PGM_RSRC2:TGID_Z_EN: 0
; COMPUTE_PGM_RSRC2:TIDIG_COMP_CNT: 0
; COMPUTE_PGM_RSRC3_GFX90A:ACCUM_OFFSET: 1
; COMPUTE_PGM_RSRC3_GFX90A:TG_SPLIT: 0
	.section	.text._ZN7rocprim17ROCPRIM_400000_NS6detail17trampoline_kernelINS0_14default_configENS1_20scan_config_selectorIN3c104HalfEEEZZNS1_9scan_implILNS1_25lookback_scan_determinismE0ELb0ELb0ES3_PKS6_PS6_S6_ZZZN2at6native31launch_logcumsumexp_cuda_kernelERKNSD_10TensorBaseESH_lENKUlvE_clEvENKUlvE3_clEvEUlS6_S6_E_S6_EEDaPvRmT3_T4_T5_mT6_P12ihipStream_tbENKUlT_T0_E_clISt17integral_constantIbLb0EESY_EEDaST_SU_EUlST_E_NS1_11comp_targetILNS1_3genE0ELNS1_11target_archE4294967295ELNS1_3gpuE0ELNS1_3repE0EEENS1_30default_config_static_selectorELNS0_4arch9wavefront6targetE1EEEvT1_,"axG",@progbits,_ZN7rocprim17ROCPRIM_400000_NS6detail17trampoline_kernelINS0_14default_configENS1_20scan_config_selectorIN3c104HalfEEEZZNS1_9scan_implILNS1_25lookback_scan_determinismE0ELb0ELb0ES3_PKS6_PS6_S6_ZZZN2at6native31launch_logcumsumexp_cuda_kernelERKNSD_10TensorBaseESH_lENKUlvE_clEvENKUlvE3_clEvEUlS6_S6_E_S6_EEDaPvRmT3_T4_T5_mT6_P12ihipStream_tbENKUlT_T0_E_clISt17integral_constantIbLb0EESY_EEDaST_SU_EUlST_E_NS1_11comp_targetILNS1_3genE0ELNS1_11target_archE4294967295ELNS1_3gpuE0ELNS1_3repE0EEENS1_30default_config_static_selectorELNS0_4arch9wavefront6targetE1EEEvT1_,comdat
	.globl	_ZN7rocprim17ROCPRIM_400000_NS6detail17trampoline_kernelINS0_14default_configENS1_20scan_config_selectorIN3c104HalfEEEZZNS1_9scan_implILNS1_25lookback_scan_determinismE0ELb0ELb0ES3_PKS6_PS6_S6_ZZZN2at6native31launch_logcumsumexp_cuda_kernelERKNSD_10TensorBaseESH_lENKUlvE_clEvENKUlvE3_clEvEUlS6_S6_E_S6_EEDaPvRmT3_T4_T5_mT6_P12ihipStream_tbENKUlT_T0_E_clISt17integral_constantIbLb0EESY_EEDaST_SU_EUlST_E_NS1_11comp_targetILNS1_3genE0ELNS1_11target_archE4294967295ELNS1_3gpuE0ELNS1_3repE0EEENS1_30default_config_static_selectorELNS0_4arch9wavefront6targetE1EEEvT1_ ; -- Begin function _ZN7rocprim17ROCPRIM_400000_NS6detail17trampoline_kernelINS0_14default_configENS1_20scan_config_selectorIN3c104HalfEEEZZNS1_9scan_implILNS1_25lookback_scan_determinismE0ELb0ELb0ES3_PKS6_PS6_S6_ZZZN2at6native31launch_logcumsumexp_cuda_kernelERKNSD_10TensorBaseESH_lENKUlvE_clEvENKUlvE3_clEvEUlS6_S6_E_S6_EEDaPvRmT3_T4_T5_mT6_P12ihipStream_tbENKUlT_T0_E_clISt17integral_constantIbLb0EESY_EEDaST_SU_EUlST_E_NS1_11comp_targetILNS1_3genE0ELNS1_11target_archE4294967295ELNS1_3gpuE0ELNS1_3repE0EEENS1_30default_config_static_selectorELNS0_4arch9wavefront6targetE1EEEvT1_
	.p2align	8
	.type	_ZN7rocprim17ROCPRIM_400000_NS6detail17trampoline_kernelINS0_14default_configENS1_20scan_config_selectorIN3c104HalfEEEZZNS1_9scan_implILNS1_25lookback_scan_determinismE0ELb0ELb0ES3_PKS6_PS6_S6_ZZZN2at6native31launch_logcumsumexp_cuda_kernelERKNSD_10TensorBaseESH_lENKUlvE_clEvENKUlvE3_clEvEUlS6_S6_E_S6_EEDaPvRmT3_T4_T5_mT6_P12ihipStream_tbENKUlT_T0_E_clISt17integral_constantIbLb0EESY_EEDaST_SU_EUlST_E_NS1_11comp_targetILNS1_3genE0ELNS1_11target_archE4294967295ELNS1_3gpuE0ELNS1_3repE0EEENS1_30default_config_static_selectorELNS0_4arch9wavefront6targetE1EEEvT1_,@function
_ZN7rocprim17ROCPRIM_400000_NS6detail17trampoline_kernelINS0_14default_configENS1_20scan_config_selectorIN3c104HalfEEEZZNS1_9scan_implILNS1_25lookback_scan_determinismE0ELb0ELb0ES3_PKS6_PS6_S6_ZZZN2at6native31launch_logcumsumexp_cuda_kernelERKNSD_10TensorBaseESH_lENKUlvE_clEvENKUlvE3_clEvEUlS6_S6_E_S6_EEDaPvRmT3_T4_T5_mT6_P12ihipStream_tbENKUlT_T0_E_clISt17integral_constantIbLb0EESY_EEDaST_SU_EUlST_E_NS1_11comp_targetILNS1_3genE0ELNS1_11target_archE4294967295ELNS1_3gpuE0ELNS1_3repE0EEENS1_30default_config_static_selectorELNS0_4arch9wavefront6targetE1EEEvT1_: ; @_ZN7rocprim17ROCPRIM_400000_NS6detail17trampoline_kernelINS0_14default_configENS1_20scan_config_selectorIN3c104HalfEEEZZNS1_9scan_implILNS1_25lookback_scan_determinismE0ELb0ELb0ES3_PKS6_PS6_S6_ZZZN2at6native31launch_logcumsumexp_cuda_kernelERKNSD_10TensorBaseESH_lENKUlvE_clEvENKUlvE3_clEvEUlS6_S6_E_S6_EEDaPvRmT3_T4_T5_mT6_P12ihipStream_tbENKUlT_T0_E_clISt17integral_constantIbLb0EESY_EEDaST_SU_EUlST_E_NS1_11comp_targetILNS1_3genE0ELNS1_11target_archE4294967295ELNS1_3gpuE0ELNS1_3repE0EEENS1_30default_config_static_selectorELNS0_4arch9wavefront6targetE1EEEvT1_
; %bb.0:
	s_load_dwordx8 s[36:43], s[0:1], 0x0
	s_load_dword s3, s[0:1], 0x30
	s_mul_i32 s4, s2, 0x700
	s_mov_b32 s5, 0
	v_lshlrev_b32_e32 v2, 1, v0
	s_waitcnt lgkmcnt(0)
	s_lshl_b64 s[38:39], s[38:39], 1
	s_add_u32 s6, s36, s38
	s_addc_u32 s7, s37, s39
	s_add_i32 s3, s3, -1
	s_mul_i32 s8, s3, 0x700
	s_sub_u32 s33, s42, s8
	s_subb_u32 s56, s43, 0
	s_cmp_lg_u32 s2, s3
	s_cselect_b64 s[42:43], -1, 0
	s_lshl_b64 s[52:53], s[4:5], 1
	s_add_u32 s6, s6, s52
	s_addc_u32 s7, s7, s53
	s_mov_b64 s[4:5], -1
	s_and_b64 vcc, exec, s[42:43]
	s_cbranch_vccz .LBB351_2
; %bb.1:
	global_load_ushort v1, v2, s[6:7]
	global_load_ushort v3, v2, s[6:7] offset:256
	global_load_ushort v4, v2, s[6:7] offset:512
	global_load_ushort v5, v2, s[6:7] offset:768
	global_load_ushort v6, v2, s[6:7] offset:1024
	global_load_ushort v7, v2, s[6:7] offset:1280
	global_load_ushort v8, v2, s[6:7] offset:1536
	global_load_ushort v9, v2, s[6:7] offset:1792
	global_load_ushort v10, v2, s[6:7] offset:2048
	global_load_ushort v11, v2, s[6:7] offset:2304
	global_load_ushort v12, v2, s[6:7] offset:2560
	global_load_ushort v13, v2, s[6:7] offset:2816
	global_load_ushort v14, v2, s[6:7] offset:3072
	global_load_ushort v15, v2, s[6:7] offset:3328
	s_mov_b64 s[4:5], 0
	s_waitcnt vmcnt(13)
	ds_write_b16 v2, v1
	s_waitcnt vmcnt(12)
	ds_write_b16 v2, v3 offset:256
	s_waitcnt vmcnt(11)
	ds_write_b16 v2, v4 offset:512
	;; [unrolled: 2-line block ×13, first 2 shown]
	s_waitcnt lgkmcnt(0)
	s_barrier
.LBB351_2:
	s_load_dwordx2 s[54:55], s[0:1], 0x28
	s_andn2_b64 vcc, exec, s[4:5]
	v_cmp_gt_u32_e64 s[4:5], s33, v0
	s_cbranch_vccnz .LBB351_32
; %bb.3:
	v_mov_b32_e32 v1, 0
	global_load_ushort v1, v1, s[6:7]
	s_waitcnt vmcnt(0)
	v_mov_b32_e32 v3, v1
	s_and_saveexec_b64 s[8:9], s[4:5]
	s_cbranch_execz .LBB351_5
; %bb.4:
	global_load_ushort v3, v2, s[6:7]
.LBB351_5:
	s_or_b64 exec, exec, s[8:9]
	v_or_b32_e32 v4, 0x80, v0
	v_cmp_gt_u32_e32 vcc, s33, v4
	v_mov_b32_e32 v4, v1
	s_and_saveexec_b64 s[4:5], vcc
	s_cbranch_execz .LBB351_7
; %bb.6:
	global_load_ushort v4, v2, s[6:7] offset:256
.LBB351_7:
	s_or_b64 exec, exec, s[4:5]
	v_or_b32_e32 v5, 0x100, v0
	v_cmp_gt_u32_e32 vcc, s33, v5
	v_mov_b32_e32 v5, v1
	s_and_saveexec_b64 s[4:5], vcc
	s_cbranch_execz .LBB351_9
; %bb.8:
	global_load_ushort v5, v2, s[6:7] offset:512
.LBB351_9:
	;; [unrolled: 9-line block ×12, first 2 shown]
	s_or_b64 exec, exec, s[4:5]
	v_or_b32_e32 v16, 0x680, v0
	v_cmp_gt_u32_e32 vcc, s33, v16
	s_and_saveexec_b64 s[4:5], vcc
	s_cbranch_execz .LBB351_31
; %bb.30:
	global_load_ushort v1, v2, s[6:7] offset:3328
.LBB351_31:
	s_or_b64 exec, exec, s[4:5]
	s_waitcnt vmcnt(0)
	ds_write_b16 v2, v3
	ds_write_b16 v2, v4 offset:256
	ds_write_b16 v2, v5 offset:512
	;; [unrolled: 1-line block ×13, first 2 shown]
	s_waitcnt lgkmcnt(0)
	s_barrier
.LBB351_32:
	v_mul_u32_u24_e32 v1, 28, v0
	s_waitcnt lgkmcnt(0)
	ds_read2_b32 v[8:9], v1 offset1:1
	ds_read2_b32 v[6:7], v1 offset0:2 offset1:3
	ds_read2_b32 v[4:5], v1 offset0:4 offset1:5
	ds_read_b32 v18, v1 offset:24
	s_cmp_lg_u32 s2, 0
	s_waitcnt lgkmcnt(3)
	v_cvt_f32_f16_sdwa v3, v8 dst_sel:DWORD dst_unused:UNUSED_PAD src0_sel:WORD_1
	v_cmp_u_f16_sdwa s[34:35], v8, v8 src0_sel:WORD_1 src1_sel:WORD_1
	s_waitcnt lgkmcnt(0)
	s_barrier
	s_cbranch_scc0 .LBB351_160
; %bb.33:
	v_cvt_f32_f16_e32 v31, v8
	v_cmp_u_f16_e64 s[28:29], v8, v8
	s_movk_i32 s3, 0x1f8
	v_min_f32_e32 v10, v31, v3
	v_max_f32_e32 v11, v31, v3
	v_cndmask_b32_e64 v10, v10, v31, s[28:29]
	v_cndmask_b32_e64 v11, v11, v31, s[28:29]
	;; [unrolled: 1-line block ×4, first 2 shown]
	v_cmp_neq_f32_e32 vcc, v14, v13
	v_cmp_class_f32_e64 s[4:5], v14, s3
	s_or_b64 s[6:7], vcc, s[4:5]
	v_mov_b32_e32 v12, v31
	v_mov_b32_e32 v11, v8
	;; [unrolled: 1-line block ×3, first 2 shown]
	s_and_saveexec_b64 s[4:5], s[6:7]
	s_cbranch_execz .LBB351_35
; %bb.34:
	v_sub_f32_e32 v10, v14, v13
	s_mov_b32 s6, 0x3fb8aa3b
	v_mul_f32_e32 v11, 0x3fb8aa3b, v10
	v_fma_f32 v12, v10, s6, -v11
	v_rndne_f32_e32 v14, v11
	v_fmamk_f32 v12, v10, 0x32a5705f, v12
	v_sub_f32_e32 v11, v11, v14
	v_add_f32_e32 v11, v11, v12
	v_exp_f32_e32 v11, v11
	v_cvt_i32_f32_e32 v12, v14
	s_mov_b32 s6, 0xc2ce8ed0
	v_cmp_ngt_f32_e32 vcc, s6, v10
	s_mov_b32 s6, 0x42b17218
	v_ldexp_f32 v11, v11, v12
	v_cndmask_b32_e32 v11, 0, v11, vcc
	v_mov_b32_e32 v12, 0x7f800000
	v_cmp_nlt_f32_e32 vcc, s6, v10
	s_mov_b32 s6, 0x3f2aaaab
	s_mov_b32 s7, 0x7f800000
	v_cndmask_b32_e32 v19, v12, v11, vcc
	v_add_f32_e32 v14, 1.0, v19
	v_add_f32_e32 v10, -1.0, v14
	v_sub_f32_e32 v11, v10, v14
	v_add_f32_e32 v11, 1.0, v11
	v_sub_f32_e32 v10, v19, v10
	v_add_f32_e32 v15, v10, v11
	v_frexp_mant_f32_e32 v16, v14
	v_cvt_f64_f32_e32 v[10:11], v14
	v_frexp_exp_i32_f64_e32 v10, v[10:11]
	v_cmp_gt_f32_e32 vcc, s6, v16
	s_mov_b32 s6, 0x3f317218
	s_nop 0
	v_subbrev_co_u32_e32 v22, vcc, 0, v10, vcc
	v_sub_u32_e32 v10, 0, v22
	v_ldexp_f32 v11, v14, v10
	v_add_f32_e32 v14, -1.0, v11
	v_add_f32_e32 v16, 1.0, v11
	v_ldexp_f32 v10, v15, v10
	v_add_f32_e32 v15, 1.0, v14
	v_add_f32_e32 v17, -1.0, v16
	v_sub_f32_e32 v15, v11, v15
	v_sub_f32_e32 v11, v11, v17
	v_add_f32_e32 v15, v10, v15
	v_add_f32_e32 v10, v10, v11
	;; [unrolled: 1-line block ×3, first 2 shown]
	v_rcp_f32_e32 v25, v23
	v_sub_f32_e32 v11, v16, v23
	v_add_f32_e32 v24, v10, v11
	v_add_f32_e32 v11, v14, v15
	v_mul_f32_e32 v27, v11, v25
	v_sub_f32_e32 v10, v14, v11
	v_mul_f32_e32 v14, v23, v27
	v_fma_f32 v16, v27, v23, -v14
	v_fmac_f32_e32 v16, v27, v24
	v_add_f32_e32 v26, v15, v10
	v_add_f32_e32 v10, v14, v16
	v_sub_f32_e32 v15, v11, v10
	v_pk_add_f32 v[20:21], v[10:11], v[14:15] neg_lo:[0,1] neg_hi:[0,1]
	v_mov_b32_e32 v17, v10
	v_pk_add_f32 v[10:11], v[20:21], v[16:17] neg_lo:[0,1] neg_hi:[0,1]
	v_cmp_neq_f32_e32 vcc, s7, v19
	v_add_f32_e32 v11, v26, v11
	v_add_f32_e32 v10, v10, v11
	;; [unrolled: 1-line block ×3, first 2 shown]
	v_mul_f32_e32 v26, v25, v11
	v_mul_f32_e32 v14, v23, v26
	v_fma_f32 v16, v26, v23, -v14
	v_fmac_f32_e32 v16, v26, v24
	v_sub_f32_e32 v15, v15, v11
	v_add_f32_e32 v23, v10, v15
	v_add_f32_e32 v10, v14, v16
	v_sub_f32_e32 v15, v11, v10
	v_pk_add_f32 v[20:21], v[10:11], v[14:15] neg_lo:[0,1] neg_hi:[0,1]
	v_mov_b32_e32 v17, v10
	v_pk_add_f32 v[10:11], v[20:21], v[16:17] neg_lo:[0,1] neg_hi:[0,1]
	v_cvt_f32_i32_e32 v14, v22
	v_add_f32_e32 v11, v23, v11
	v_add_f32_e32 v10, v10, v11
	;; [unrolled: 1-line block ×4, first 2 shown]
	v_sub_f32_e32 v11, v15, v27
	v_mul_f32_e32 v10, v25, v10
	v_sub_f32_e32 v11, v26, v11
	v_add_f32_e32 v10, v11, v10
	v_add_f32_e32 v16, v15, v10
	v_mul_f32_e32 v20, v16, v16
	v_mov_b32_e32 v11, 0x3ecc95a3
	v_sub_f32_e32 v15, v16, v15
	v_fmac_f32_e32 v11, 0x3e9b6dac, v20
	v_sub_f32_e32 v10, v10, v15
	v_fmaak_f32 v11, v20, v11, 0x3f2aaada
	v_ldexp_f32 v21, v10, 1
	v_mul_f32_e32 v15, v16, v20
	v_mov_b32_e32 v10, 0x3f317218
	v_pk_mul_f32 v[10:11], v[14:15], v[10:11]
	v_ldexp_f32 v17, v16, 1
	v_fma_f32 v15, v14, s6, -v10
	v_fmamk_f32 v16, v14, 0xb102e308, v15
	v_pk_add_f32 v[14:15], v[10:11], v[16:17]
	v_mov_b32_e32 v20, v10
	v_sub_f32_e32 v17, v15, v17
	v_sub_f32_e32 v17, v11, v17
	v_add_f32_e32 v21, v21, v17
	v_pk_add_f32 v[10:11], v[14:15], v[10:11] neg_lo:[0,1] neg_hi:[0,1]
	v_pk_add_f32 v[22:23], v[14:15], v[20:21]
	v_mov_b32_e32 v17, v14
	v_mov_b32_e32 v11, v23
	v_pk_add_f32 v[24:25], v[16:17], v[10:11] neg_lo:[0,1] neg_hi:[0,1]
	v_pk_add_f32 v[10:11], v[16:17], v[10:11]
	v_mov_b32_e32 v20, v21
	v_pk_add_f32 v[16:17], v[10:11], v[14:15] op_sel:[1,0] op_sel_hi:[0,1] neg_lo:[0,1] neg_hi:[0,1]
	v_pk_add_f32 v[26:27], v[22:23], v[16:17] op_sel_hi:[1,0] neg_lo:[0,1] neg_hi:[0,1]
	v_mov_b32_e32 v22, v23
	v_mov_b32_e32 v23, v11
	v_pk_mov_b32 v[16:17], v[14:15], v[16:17] op_sel:[1,0]
	v_mov_b32_e32 v21, v14
	v_pk_add_f32 v[16:17], v[22:23], v[16:17] neg_lo:[0,1] neg_hi:[0,1]
	v_mov_b32_e32 v26, v24
	v_pk_add_f32 v[14:15], v[20:21], v[16:17] neg_lo:[0,1] neg_hi:[0,1]
	v_mov_b32_e32 v25, v11
	v_pk_add_f32 v[16:17], v[26:27], v[14:15]
	s_mov_b32 s6, 0x33800000
	v_pk_add_f32 v[20:21], v[16:17], v[16:17] op_sel:[0,1] op_sel_hi:[1,0]
	s_nop 0
	v_pk_add_f32 v[10:11], v[10:11], v[20:21] op_sel:[1,0] op_sel_hi:[0,1]
	v_mov_b32_e32 v17, v10
	v_pk_add_f32 v[22:23], v[16:17], v[24:25] neg_lo:[0,1] neg_hi:[0,1]
	v_mov_b32_e32 v15, v20
	v_sub_f32_e32 v11, v16, v22
	v_pk_add_f32 v[14:15], v[14:15], v[22:23] neg_lo:[0,1] neg_hi:[0,1]
	v_sub_f32_e32 v11, v24, v11
	v_add_f32_e32 v11, v14, v11
	v_add_f32_e32 v11, v11, v15
	;; [unrolled: 1-line block ×3, first 2 shown]
	v_cndmask_b32_e32 v10, v12, v10, vcc
	v_cmp_lt_f32_e64 vcc, |v19|, s6
	s_nop 1
	v_cndmask_b32_e32 v10, v10, v19, vcc
	v_add_f32_e32 v10, v13, v10
	v_cvt_f16_f32_e32 v11, v10
	v_cvt_f32_f16_e32 v12, v11
	v_mov_b32_e32 v10, v11
.LBB351_35:
	s_or_b64 exec, exec, s[4:5]
	v_cvt_f32_f16_e32 v19, v9
	v_max_f32_e32 v13, v12, v12
	v_cmp_u_f16_e32 vcc, v11, v11
	v_cmp_u_f16_e64 s[4:5], v9, v9
	v_min_f32_e32 v14, v13, v19
	v_max_f32_e32 v13, v13, v19
	v_cndmask_b32_e32 v14, v14, v12, vcc
	v_cndmask_b32_e32 v13, v13, v12, vcc
	v_cndmask_b32_e64 v14, v14, v19, s[4:5]
	v_cndmask_b32_e64 v13, v13, v19, s[4:5]
	v_cmp_neq_f32_e32 vcc, v14, v13
	v_cmp_class_f32_e64 s[6:7], v14, s3
	s_or_b64 s[8:9], vcc, s[6:7]
	s_and_saveexec_b64 s[6:7], s[8:9]
	s_cbranch_execz .LBB351_37
; %bb.36:
	v_sub_f32_e32 v10, v14, v13
	s_mov_b32 s3, 0x3fb8aa3b
	v_mul_f32_e32 v11, 0x3fb8aa3b, v10
	v_fma_f32 v12, v10, s3, -v11
	v_rndne_f32_e32 v14, v11
	v_fmamk_f32 v12, v10, 0x32a5705f, v12
	v_sub_f32_e32 v11, v11, v14
	v_add_f32_e32 v11, v11, v12
	v_exp_f32_e32 v11, v11
	v_cvt_i32_f32_e32 v12, v14
	s_mov_b32 s3, 0xc2ce8ed0
	v_cmp_ngt_f32_e32 vcc, s3, v10
	s_mov_b32 s3, 0x42b17218
	v_ldexp_f32 v11, v11, v12
	v_cndmask_b32_e32 v11, 0, v11, vcc
	v_mov_b32_e32 v12, 0x7f800000
	v_cmp_nlt_f32_e32 vcc, s3, v10
	s_mov_b32 s3, 0x3f2aaaab
	s_mov_b32 s8, 0x7f800000
	v_cndmask_b32_e32 v28, v12, v11, vcc
	v_add_f32_e32 v14, 1.0, v28
	v_add_f32_e32 v10, -1.0, v14
	v_sub_f32_e32 v11, v10, v14
	v_add_f32_e32 v11, 1.0, v11
	v_sub_f32_e32 v10, v28, v10
	v_add_f32_e32 v15, v10, v11
	v_frexp_mant_f32_e32 v16, v14
	v_cvt_f64_f32_e32 v[10:11], v14
	v_frexp_exp_i32_f64_e32 v10, v[10:11]
	v_cmp_gt_f32_e32 vcc, s3, v16
	s_mov_b32 s3, 0x3f317218
	s_nop 0
	v_subbrev_co_u32_e32 v22, vcc, 0, v10, vcc
	v_sub_u32_e32 v10, 0, v22
	v_ldexp_f32 v11, v14, v10
	v_add_f32_e32 v14, -1.0, v11
	v_add_f32_e32 v16, 1.0, v11
	v_ldexp_f32 v10, v15, v10
	v_add_f32_e32 v15, 1.0, v14
	v_add_f32_e32 v17, -1.0, v16
	v_sub_f32_e32 v15, v11, v15
	v_sub_f32_e32 v11, v11, v17
	v_add_f32_e32 v15, v10, v15
	v_add_f32_e32 v10, v10, v11
	;; [unrolled: 1-line block ×3, first 2 shown]
	v_rcp_f32_e32 v25, v23
	v_sub_f32_e32 v11, v16, v23
	v_add_f32_e32 v24, v10, v11
	v_add_f32_e32 v11, v14, v15
	v_mul_f32_e32 v27, v11, v25
	v_sub_f32_e32 v10, v14, v11
	v_mul_f32_e32 v14, v23, v27
	v_fma_f32 v16, v27, v23, -v14
	v_fmac_f32_e32 v16, v27, v24
	v_add_f32_e32 v26, v15, v10
	v_add_f32_e32 v10, v14, v16
	v_sub_f32_e32 v15, v11, v10
	v_pk_add_f32 v[20:21], v[10:11], v[14:15] neg_lo:[0,1] neg_hi:[0,1]
	v_mov_b32_e32 v17, v10
	v_pk_add_f32 v[10:11], v[20:21], v[16:17] neg_lo:[0,1] neg_hi:[0,1]
	v_cmp_neq_f32_e32 vcc, s8, v28
	v_add_f32_e32 v11, v26, v11
	v_add_f32_e32 v10, v10, v11
	;; [unrolled: 1-line block ×3, first 2 shown]
	v_mul_f32_e32 v26, v25, v11
	v_mul_f32_e32 v14, v23, v26
	v_fma_f32 v16, v26, v23, -v14
	v_fmac_f32_e32 v16, v26, v24
	v_sub_f32_e32 v15, v15, v11
	v_add_f32_e32 v23, v10, v15
	v_add_f32_e32 v10, v14, v16
	v_sub_f32_e32 v15, v11, v10
	v_pk_add_f32 v[20:21], v[10:11], v[14:15] neg_lo:[0,1] neg_hi:[0,1]
	v_mov_b32_e32 v17, v10
	v_pk_add_f32 v[10:11], v[20:21], v[16:17] neg_lo:[0,1] neg_hi:[0,1]
	v_cvt_f32_i32_e32 v14, v22
	v_add_f32_e32 v11, v23, v11
	v_add_f32_e32 v10, v10, v11
	;; [unrolled: 1-line block ×4, first 2 shown]
	v_sub_f32_e32 v11, v15, v27
	v_mul_f32_e32 v10, v25, v10
	v_sub_f32_e32 v11, v26, v11
	v_add_f32_e32 v10, v11, v10
	v_add_f32_e32 v16, v15, v10
	v_mul_f32_e32 v20, v16, v16
	v_mov_b32_e32 v11, 0x3ecc95a3
	v_sub_f32_e32 v15, v16, v15
	v_fmac_f32_e32 v11, 0x3e9b6dac, v20
	v_sub_f32_e32 v10, v10, v15
	v_fmaak_f32 v11, v20, v11, 0x3f2aaada
	v_ldexp_f32 v21, v10, 1
	v_mul_f32_e32 v15, v16, v20
	v_mov_b32_e32 v10, 0x3f317218
	v_pk_mul_f32 v[10:11], v[14:15], v[10:11]
	v_ldexp_f32 v17, v16, 1
	v_fma_f32 v15, v14, s3, -v10
	v_fmamk_f32 v16, v14, 0xb102e308, v15
	v_pk_add_f32 v[14:15], v[10:11], v[16:17]
	v_mov_b32_e32 v20, v10
	v_sub_f32_e32 v17, v15, v17
	v_sub_f32_e32 v17, v11, v17
	v_add_f32_e32 v21, v21, v17
	v_pk_add_f32 v[10:11], v[14:15], v[10:11] neg_lo:[0,1] neg_hi:[0,1]
	v_pk_add_f32 v[22:23], v[14:15], v[20:21]
	v_mov_b32_e32 v17, v14
	v_mov_b32_e32 v11, v23
	v_pk_add_f32 v[24:25], v[16:17], v[10:11] neg_lo:[0,1] neg_hi:[0,1]
	v_pk_add_f32 v[10:11], v[16:17], v[10:11]
	v_mov_b32_e32 v20, v21
	v_pk_add_f32 v[16:17], v[10:11], v[14:15] op_sel:[1,0] op_sel_hi:[0,1] neg_lo:[0,1] neg_hi:[0,1]
	v_pk_add_f32 v[26:27], v[22:23], v[16:17] op_sel_hi:[1,0] neg_lo:[0,1] neg_hi:[0,1]
	v_mov_b32_e32 v22, v23
	v_mov_b32_e32 v23, v11
	v_pk_mov_b32 v[16:17], v[14:15], v[16:17] op_sel:[1,0]
	v_mov_b32_e32 v21, v14
	v_pk_add_f32 v[16:17], v[22:23], v[16:17] neg_lo:[0,1] neg_hi:[0,1]
	v_mov_b32_e32 v26, v24
	v_pk_add_f32 v[14:15], v[20:21], v[16:17] neg_lo:[0,1] neg_hi:[0,1]
	v_mov_b32_e32 v25, v11
	v_pk_add_f32 v[16:17], v[26:27], v[14:15]
	s_mov_b32 s3, 0x33800000
	v_pk_add_f32 v[20:21], v[16:17], v[16:17] op_sel:[0,1] op_sel_hi:[1,0]
	s_nop 0
	v_pk_add_f32 v[10:11], v[10:11], v[20:21] op_sel:[1,0] op_sel_hi:[0,1]
	v_mov_b32_e32 v17, v10
	v_pk_add_f32 v[22:23], v[16:17], v[24:25] neg_lo:[0,1] neg_hi:[0,1]
	v_mov_b32_e32 v15, v20
	v_sub_f32_e32 v11, v16, v22
	v_pk_add_f32 v[14:15], v[14:15], v[22:23] neg_lo:[0,1] neg_hi:[0,1]
	v_sub_f32_e32 v11, v24, v11
	v_add_f32_e32 v11, v14, v11
	v_add_f32_e32 v11, v11, v15
	;; [unrolled: 1-line block ×3, first 2 shown]
	v_cndmask_b32_e32 v10, v12, v10, vcc
	v_cmp_lt_f32_e64 vcc, |v28|, s3
	s_nop 1
	v_cndmask_b32_e32 v10, v10, v28, vcc
	v_add_f32_e32 v10, v13, v10
	v_cvt_f16_f32_e32 v11, v10
	v_cvt_f32_f16_e32 v12, v11
	v_mov_b32_e32 v10, v11
.LBB351_37:
	s_or_b64 exec, exec, s[6:7]
	v_cvt_f32_f16_sdwa v20, v9 dst_sel:DWORD dst_unused:UNUSED_PAD src0_sel:WORD_1
	v_max_f32_e32 v13, v12, v12
	v_cmp_u_f16_e32 vcc, v11, v11
	v_cmp_u_f16_sdwa s[6:7], v9, v9 src0_sel:WORD_1 src1_sel:WORD_1
	v_min_f32_e32 v14, v13, v20
	v_max_f32_e32 v13, v13, v20
	v_cndmask_b32_e32 v14, v14, v12, vcc
	v_cndmask_b32_e32 v13, v13, v12, vcc
	v_cndmask_b32_e64 v14, v14, v20, s[6:7]
	v_cndmask_b32_e64 v13, v13, v20, s[6:7]
	s_movk_i32 s3, 0x1f8
	v_cmp_neq_f32_e32 vcc, v14, v13
	v_cmp_class_f32_e64 s[8:9], v14, s3
	s_or_b64 s[10:11], vcc, s[8:9]
	s_and_saveexec_b64 s[8:9], s[10:11]
	s_cbranch_execz .LBB351_39
; %bb.38:
	v_sub_f32_e32 v10, v14, v13
	s_mov_b32 s10, 0x3fb8aa3b
	v_mul_f32_e32 v11, 0x3fb8aa3b, v10
	v_fma_f32 v12, v10, s10, -v11
	v_rndne_f32_e32 v14, v11
	v_fmamk_f32 v12, v10, 0x32a5705f, v12
	v_sub_f32_e32 v11, v11, v14
	v_add_f32_e32 v11, v11, v12
	v_exp_f32_e32 v11, v11
	v_cvt_i32_f32_e32 v12, v14
	s_mov_b32 s10, 0xc2ce8ed0
	v_cmp_ngt_f32_e32 vcc, s10, v10
	s_mov_b32 s10, 0x42b17218
	v_ldexp_f32 v11, v11, v12
	v_cndmask_b32_e32 v11, 0, v11, vcc
	v_mov_b32_e32 v12, 0x7f800000
	v_cmp_nlt_f32_e32 vcc, s10, v10
	s_mov_b32 s10, 0x3f2aaaab
	s_mov_b32 s11, 0x7f800000
	v_cndmask_b32_e32 v21, v12, v11, vcc
	v_add_f32_e32 v14, 1.0, v21
	v_add_f32_e32 v10, -1.0, v14
	v_sub_f32_e32 v11, v10, v14
	v_add_f32_e32 v11, 1.0, v11
	v_sub_f32_e32 v10, v21, v10
	v_add_f32_e32 v15, v10, v11
	v_frexp_mant_f32_e32 v16, v14
	v_cvt_f64_f32_e32 v[10:11], v14
	v_frexp_exp_i32_f64_e32 v10, v[10:11]
	v_cmp_gt_f32_e32 vcc, s10, v16
	s_mov_b32 s10, 0x3f317218
	s_nop 0
	v_subbrev_co_u32_e32 v24, vcc, 0, v10, vcc
	v_sub_u32_e32 v10, 0, v24
	v_ldexp_f32 v11, v14, v10
	v_add_f32_e32 v14, -1.0, v11
	v_add_f32_e32 v16, 1.0, v11
	v_ldexp_f32 v10, v15, v10
	v_add_f32_e32 v15, 1.0, v14
	v_add_f32_e32 v17, -1.0, v16
	v_sub_f32_e32 v15, v11, v15
	v_sub_f32_e32 v11, v11, v17
	v_add_f32_e32 v15, v10, v15
	v_add_f32_e32 v10, v10, v11
	;; [unrolled: 1-line block ×3, first 2 shown]
	v_rcp_f32_e32 v27, v25
	v_sub_f32_e32 v11, v16, v25
	v_add_f32_e32 v26, v10, v11
	v_add_f32_e32 v11, v14, v15
	v_mul_f32_e32 v29, v11, v27
	v_sub_f32_e32 v10, v14, v11
	v_mul_f32_e32 v14, v25, v29
	v_fma_f32 v16, v29, v25, -v14
	v_fmac_f32_e32 v16, v29, v26
	v_add_f32_e32 v28, v15, v10
	v_add_f32_e32 v10, v14, v16
	v_sub_f32_e32 v15, v11, v10
	v_pk_add_f32 v[22:23], v[10:11], v[14:15] neg_lo:[0,1] neg_hi:[0,1]
	v_mov_b32_e32 v17, v10
	v_pk_add_f32 v[10:11], v[22:23], v[16:17] neg_lo:[0,1] neg_hi:[0,1]
	v_cmp_neq_f32_e32 vcc, s11, v21
	v_add_f32_e32 v11, v28, v11
	v_add_f32_e32 v10, v10, v11
	;; [unrolled: 1-line block ×3, first 2 shown]
	v_mul_f32_e32 v28, v27, v11
	v_mul_f32_e32 v14, v25, v28
	v_fma_f32 v16, v28, v25, -v14
	v_fmac_f32_e32 v16, v28, v26
	v_sub_f32_e32 v15, v15, v11
	v_add_f32_e32 v25, v10, v15
	v_add_f32_e32 v10, v14, v16
	v_sub_f32_e32 v15, v11, v10
	v_pk_add_f32 v[22:23], v[10:11], v[14:15] neg_lo:[0,1] neg_hi:[0,1]
	v_mov_b32_e32 v17, v10
	v_pk_add_f32 v[10:11], v[22:23], v[16:17] neg_lo:[0,1] neg_hi:[0,1]
	v_cvt_f32_i32_e32 v14, v24
	v_add_f32_e32 v11, v25, v11
	v_add_f32_e32 v10, v10, v11
	;; [unrolled: 1-line block ×4, first 2 shown]
	v_sub_f32_e32 v11, v15, v29
	v_mul_f32_e32 v10, v27, v10
	v_sub_f32_e32 v11, v28, v11
	v_add_f32_e32 v10, v11, v10
	v_add_f32_e32 v16, v15, v10
	v_mul_f32_e32 v22, v16, v16
	v_mov_b32_e32 v11, 0x3ecc95a3
	v_sub_f32_e32 v15, v16, v15
	v_fmac_f32_e32 v11, 0x3e9b6dac, v22
	v_sub_f32_e32 v10, v10, v15
	v_fmaak_f32 v11, v22, v11, 0x3f2aaada
	v_ldexp_f32 v23, v10, 1
	v_mul_f32_e32 v15, v16, v22
	v_mov_b32_e32 v10, 0x3f317218
	v_pk_mul_f32 v[10:11], v[14:15], v[10:11]
	v_ldexp_f32 v17, v16, 1
	v_fma_f32 v15, v14, s10, -v10
	v_fmamk_f32 v16, v14, 0xb102e308, v15
	v_pk_add_f32 v[14:15], v[10:11], v[16:17]
	v_mov_b32_e32 v22, v10
	v_sub_f32_e32 v17, v15, v17
	v_sub_f32_e32 v17, v11, v17
	v_add_f32_e32 v23, v23, v17
	v_pk_add_f32 v[10:11], v[14:15], v[10:11] neg_lo:[0,1] neg_hi:[0,1]
	v_pk_add_f32 v[24:25], v[14:15], v[22:23]
	v_mov_b32_e32 v17, v14
	v_mov_b32_e32 v11, v25
	v_pk_add_f32 v[26:27], v[16:17], v[10:11] neg_lo:[0,1] neg_hi:[0,1]
	v_pk_add_f32 v[10:11], v[16:17], v[10:11]
	v_mov_b32_e32 v22, v23
	v_pk_add_f32 v[16:17], v[10:11], v[14:15] op_sel:[1,0] op_sel_hi:[0,1] neg_lo:[0,1] neg_hi:[0,1]
	v_pk_add_f32 v[28:29], v[24:25], v[16:17] op_sel_hi:[1,0] neg_lo:[0,1] neg_hi:[0,1]
	v_mov_b32_e32 v24, v25
	v_mov_b32_e32 v25, v11
	v_pk_mov_b32 v[16:17], v[14:15], v[16:17] op_sel:[1,0]
	v_mov_b32_e32 v23, v14
	v_pk_add_f32 v[16:17], v[24:25], v[16:17] neg_lo:[0,1] neg_hi:[0,1]
	v_mov_b32_e32 v28, v26
	v_pk_add_f32 v[14:15], v[22:23], v[16:17] neg_lo:[0,1] neg_hi:[0,1]
	v_mov_b32_e32 v27, v11
	v_pk_add_f32 v[16:17], v[28:29], v[14:15]
	s_mov_b32 s10, 0x33800000
	v_pk_add_f32 v[22:23], v[16:17], v[16:17] op_sel:[0,1] op_sel_hi:[1,0]
	s_nop 0
	v_pk_add_f32 v[10:11], v[10:11], v[22:23] op_sel:[1,0] op_sel_hi:[0,1]
	v_mov_b32_e32 v17, v10
	v_pk_add_f32 v[24:25], v[16:17], v[26:27] neg_lo:[0,1] neg_hi:[0,1]
	v_mov_b32_e32 v15, v22
	v_sub_f32_e32 v11, v16, v24
	v_pk_add_f32 v[14:15], v[14:15], v[24:25] neg_lo:[0,1] neg_hi:[0,1]
	v_sub_f32_e32 v11, v26, v11
	v_add_f32_e32 v11, v14, v11
	v_add_f32_e32 v11, v11, v15
	v_add_f32_e32 v10, v10, v11
	v_cndmask_b32_e32 v10, v12, v10, vcc
	v_cmp_lt_f32_e64 vcc, |v21|, s10
	s_nop 1
	v_cndmask_b32_e32 v10, v10, v21, vcc
	v_add_f32_e32 v10, v13, v10
	v_cvt_f16_f32_e32 v11, v10
	v_cvt_f32_f16_e32 v12, v11
	v_mov_b32_e32 v10, v11
.LBB351_39:
	s_or_b64 exec, exec, s[8:9]
	v_cvt_f32_f16_e32 v21, v6
	v_max_f32_e32 v13, v12, v12
	v_cmp_u_f16_e32 vcc, v11, v11
	v_cmp_u_f16_e64 s[8:9], v6, v6
	v_min_f32_e32 v14, v13, v21
	v_max_f32_e32 v13, v13, v21
	v_cndmask_b32_e32 v14, v14, v12, vcc
	v_cndmask_b32_e32 v13, v13, v12, vcc
	v_cndmask_b32_e64 v14, v14, v21, s[8:9]
	v_cndmask_b32_e64 v13, v13, v21, s[8:9]
	v_cmp_neq_f32_e32 vcc, v14, v13
	v_cmp_class_f32_e64 s[10:11], v14, s3
	s_or_b64 s[12:13], vcc, s[10:11]
	s_and_saveexec_b64 s[10:11], s[12:13]
	s_cbranch_execz .LBB351_41
; %bb.40:
	v_sub_f32_e32 v10, v14, v13
	s_mov_b32 s3, 0x3fb8aa3b
	v_mul_f32_e32 v11, 0x3fb8aa3b, v10
	v_fma_f32 v12, v10, s3, -v11
	v_rndne_f32_e32 v14, v11
	v_fmamk_f32 v12, v10, 0x32a5705f, v12
	v_sub_f32_e32 v11, v11, v14
	v_add_f32_e32 v11, v11, v12
	v_exp_f32_e32 v11, v11
	v_cvt_i32_f32_e32 v12, v14
	s_mov_b32 s3, 0xc2ce8ed0
	v_cmp_ngt_f32_e32 vcc, s3, v10
	s_mov_b32 s3, 0x42b17218
	v_ldexp_f32 v11, v11, v12
	v_cndmask_b32_e32 v11, 0, v11, vcc
	v_mov_b32_e32 v12, 0x7f800000
	v_cmp_nlt_f32_e32 vcc, s3, v10
	s_mov_b32 s3, 0x3f2aaaab
	s_mov_b32 s12, 0x7f800000
	v_cndmask_b32_e32 v30, v12, v11, vcc
	v_add_f32_e32 v14, 1.0, v30
	v_add_f32_e32 v10, -1.0, v14
	v_sub_f32_e32 v11, v10, v14
	v_add_f32_e32 v11, 1.0, v11
	v_sub_f32_e32 v10, v30, v10
	v_add_f32_e32 v15, v10, v11
	v_frexp_mant_f32_e32 v16, v14
	v_cvt_f64_f32_e32 v[10:11], v14
	v_frexp_exp_i32_f64_e32 v10, v[10:11]
	v_cmp_gt_f32_e32 vcc, s3, v16
	s_mov_b32 s3, 0x3f317218
	s_nop 0
	v_subbrev_co_u32_e32 v24, vcc, 0, v10, vcc
	v_sub_u32_e32 v10, 0, v24
	v_ldexp_f32 v11, v14, v10
	v_add_f32_e32 v14, -1.0, v11
	v_add_f32_e32 v16, 1.0, v11
	v_ldexp_f32 v10, v15, v10
	v_add_f32_e32 v15, 1.0, v14
	v_add_f32_e32 v17, -1.0, v16
	v_sub_f32_e32 v15, v11, v15
	v_sub_f32_e32 v11, v11, v17
	v_add_f32_e32 v15, v10, v15
	v_add_f32_e32 v10, v10, v11
	;; [unrolled: 1-line block ×3, first 2 shown]
	v_rcp_f32_e32 v27, v25
	v_sub_f32_e32 v11, v16, v25
	v_add_f32_e32 v26, v10, v11
	v_add_f32_e32 v11, v14, v15
	v_mul_f32_e32 v29, v11, v27
	v_sub_f32_e32 v10, v14, v11
	v_mul_f32_e32 v14, v25, v29
	v_fma_f32 v16, v29, v25, -v14
	v_fmac_f32_e32 v16, v29, v26
	v_add_f32_e32 v28, v15, v10
	v_add_f32_e32 v10, v14, v16
	v_sub_f32_e32 v15, v11, v10
	v_pk_add_f32 v[22:23], v[10:11], v[14:15] neg_lo:[0,1] neg_hi:[0,1]
	v_mov_b32_e32 v17, v10
	v_pk_add_f32 v[10:11], v[22:23], v[16:17] neg_lo:[0,1] neg_hi:[0,1]
	v_cmp_neq_f32_e32 vcc, s12, v30
	v_add_f32_e32 v11, v28, v11
	v_add_f32_e32 v10, v10, v11
	v_add_f32_e32 v11, v15, v10
	v_mul_f32_e32 v28, v27, v11
	v_mul_f32_e32 v14, v25, v28
	v_fma_f32 v16, v28, v25, -v14
	v_fmac_f32_e32 v16, v28, v26
	v_sub_f32_e32 v15, v15, v11
	v_add_f32_e32 v25, v10, v15
	v_add_f32_e32 v10, v14, v16
	v_sub_f32_e32 v15, v11, v10
	v_pk_add_f32 v[22:23], v[10:11], v[14:15] neg_lo:[0,1] neg_hi:[0,1]
	v_mov_b32_e32 v17, v10
	v_pk_add_f32 v[10:11], v[22:23], v[16:17] neg_lo:[0,1] neg_hi:[0,1]
	v_cvt_f32_i32_e32 v14, v24
	v_add_f32_e32 v11, v25, v11
	v_add_f32_e32 v10, v10, v11
	;; [unrolled: 1-line block ×4, first 2 shown]
	v_sub_f32_e32 v11, v15, v29
	v_mul_f32_e32 v10, v27, v10
	v_sub_f32_e32 v11, v28, v11
	v_add_f32_e32 v10, v11, v10
	v_add_f32_e32 v16, v15, v10
	v_mul_f32_e32 v22, v16, v16
	v_mov_b32_e32 v11, 0x3ecc95a3
	v_sub_f32_e32 v15, v16, v15
	v_fmac_f32_e32 v11, 0x3e9b6dac, v22
	v_sub_f32_e32 v10, v10, v15
	v_fmaak_f32 v11, v22, v11, 0x3f2aaada
	v_ldexp_f32 v23, v10, 1
	v_mul_f32_e32 v15, v16, v22
	v_mov_b32_e32 v10, 0x3f317218
	v_pk_mul_f32 v[10:11], v[14:15], v[10:11]
	v_ldexp_f32 v17, v16, 1
	v_fma_f32 v15, v14, s3, -v10
	v_fmamk_f32 v16, v14, 0xb102e308, v15
	v_pk_add_f32 v[14:15], v[10:11], v[16:17]
	v_mov_b32_e32 v22, v10
	v_sub_f32_e32 v17, v15, v17
	v_sub_f32_e32 v17, v11, v17
	v_add_f32_e32 v23, v23, v17
	v_pk_add_f32 v[10:11], v[14:15], v[10:11] neg_lo:[0,1] neg_hi:[0,1]
	v_pk_add_f32 v[24:25], v[14:15], v[22:23]
	v_mov_b32_e32 v17, v14
	v_mov_b32_e32 v11, v25
	v_pk_add_f32 v[26:27], v[16:17], v[10:11] neg_lo:[0,1] neg_hi:[0,1]
	v_pk_add_f32 v[10:11], v[16:17], v[10:11]
	v_mov_b32_e32 v22, v23
	v_pk_add_f32 v[16:17], v[10:11], v[14:15] op_sel:[1,0] op_sel_hi:[0,1] neg_lo:[0,1] neg_hi:[0,1]
	v_pk_add_f32 v[28:29], v[24:25], v[16:17] op_sel_hi:[1,0] neg_lo:[0,1] neg_hi:[0,1]
	v_mov_b32_e32 v24, v25
	v_mov_b32_e32 v25, v11
	v_pk_mov_b32 v[16:17], v[14:15], v[16:17] op_sel:[1,0]
	v_mov_b32_e32 v23, v14
	v_pk_add_f32 v[16:17], v[24:25], v[16:17] neg_lo:[0,1] neg_hi:[0,1]
	v_mov_b32_e32 v28, v26
	v_pk_add_f32 v[14:15], v[22:23], v[16:17] neg_lo:[0,1] neg_hi:[0,1]
	v_mov_b32_e32 v27, v11
	v_pk_add_f32 v[16:17], v[28:29], v[14:15]
	s_mov_b32 s3, 0x33800000
	v_pk_add_f32 v[22:23], v[16:17], v[16:17] op_sel:[0,1] op_sel_hi:[1,0]
	s_nop 0
	v_pk_add_f32 v[10:11], v[10:11], v[22:23] op_sel:[1,0] op_sel_hi:[0,1]
	v_mov_b32_e32 v17, v10
	v_pk_add_f32 v[24:25], v[16:17], v[26:27] neg_lo:[0,1] neg_hi:[0,1]
	v_mov_b32_e32 v15, v22
	v_sub_f32_e32 v11, v16, v24
	v_pk_add_f32 v[14:15], v[14:15], v[24:25] neg_lo:[0,1] neg_hi:[0,1]
	v_sub_f32_e32 v11, v26, v11
	v_add_f32_e32 v11, v14, v11
	v_add_f32_e32 v11, v11, v15
	;; [unrolled: 1-line block ×3, first 2 shown]
	v_cndmask_b32_e32 v10, v12, v10, vcc
	v_cmp_lt_f32_e64 vcc, |v30|, s3
	s_nop 1
	v_cndmask_b32_e32 v10, v10, v30, vcc
	v_add_f32_e32 v10, v13, v10
	v_cvt_f16_f32_e32 v11, v10
	v_cvt_f32_f16_e32 v12, v11
	v_mov_b32_e32 v10, v11
.LBB351_41:
	s_or_b64 exec, exec, s[10:11]
	v_cvt_f32_f16_sdwa v22, v6 dst_sel:DWORD dst_unused:UNUSED_PAD src0_sel:WORD_1
	v_max_f32_e32 v13, v12, v12
	v_cmp_u_f16_e32 vcc, v11, v11
	v_cmp_u_f16_sdwa s[10:11], v6, v6 src0_sel:WORD_1 src1_sel:WORD_1
	v_min_f32_e32 v14, v13, v22
	v_max_f32_e32 v13, v13, v22
	v_cndmask_b32_e32 v14, v14, v12, vcc
	v_cndmask_b32_e32 v13, v13, v12, vcc
	v_cndmask_b32_e64 v14, v14, v22, s[10:11]
	v_cndmask_b32_e64 v13, v13, v22, s[10:11]
	s_movk_i32 s3, 0x1f8
	v_cmp_neq_f32_e32 vcc, v14, v13
	v_cmp_class_f32_e64 s[12:13], v14, s3
	s_or_b64 s[14:15], vcc, s[12:13]
	s_and_saveexec_b64 s[12:13], s[14:15]
	s_cbranch_execz .LBB351_43
; %bb.42:
	v_sub_f32_e32 v10, v14, v13
	s_mov_b32 s14, 0x3fb8aa3b
	v_mul_f32_e32 v11, 0x3fb8aa3b, v10
	v_fma_f32 v12, v10, s14, -v11
	v_rndne_f32_e32 v14, v11
	v_fmamk_f32 v12, v10, 0x32a5705f, v12
	v_sub_f32_e32 v11, v11, v14
	v_add_f32_e32 v11, v11, v12
	v_exp_f32_e32 v11, v11
	v_cvt_i32_f32_e32 v12, v14
	s_mov_b32 s14, 0xc2ce8ed0
	v_cmp_ngt_f32_e32 vcc, s14, v10
	s_mov_b32 s14, 0x42b17218
	v_ldexp_f32 v11, v11, v12
	v_cndmask_b32_e32 v11, 0, v11, vcc
	v_mov_b32_e32 v12, 0x7f800000
	v_cmp_nlt_f32_e32 vcc, s14, v10
	s_mov_b32 s14, 0x3f2aaaab
	s_mov_b32 s15, 0x7f800000
	v_cndmask_b32_e32 v23, v12, v11, vcc
	v_add_f32_e32 v14, 1.0, v23
	v_add_f32_e32 v10, -1.0, v14
	v_sub_f32_e32 v11, v10, v14
	v_add_f32_e32 v11, 1.0, v11
	v_sub_f32_e32 v10, v23, v10
	v_add_f32_e32 v15, v10, v11
	v_frexp_mant_f32_e32 v16, v14
	v_cvt_f64_f32_e32 v[10:11], v14
	v_frexp_exp_i32_f64_e32 v10, v[10:11]
	v_cmp_gt_f32_e32 vcc, s14, v16
	s_mov_b32 s14, 0x3f317218
	s_nop 0
	v_subbrev_co_u32_e32 v26, vcc, 0, v10, vcc
	v_sub_u32_e32 v10, 0, v26
	v_ldexp_f32 v11, v14, v10
	v_add_f32_e32 v14, -1.0, v11
	v_add_f32_e32 v16, 1.0, v11
	v_ldexp_f32 v10, v15, v10
	v_add_f32_e32 v15, 1.0, v14
	v_add_f32_e32 v17, -1.0, v16
	v_sub_f32_e32 v15, v11, v15
	v_sub_f32_e32 v11, v11, v17
	v_add_f32_e32 v15, v10, v15
	v_add_f32_e32 v10, v10, v11
	;; [unrolled: 1-line block ×3, first 2 shown]
	v_rcp_f32_e32 v29, v27
	v_sub_f32_e32 v11, v16, v27
	v_add_f32_e32 v28, v10, v11
	v_add_f32_e32 v11, v14, v15
	v_mul_f32_e32 v32, v11, v29
	v_sub_f32_e32 v10, v14, v11
	v_mul_f32_e32 v14, v27, v32
	v_fma_f32 v16, v32, v27, -v14
	v_fmac_f32_e32 v16, v32, v28
	v_add_f32_e32 v30, v15, v10
	v_add_f32_e32 v10, v14, v16
	v_sub_f32_e32 v15, v11, v10
	v_pk_add_f32 v[24:25], v[10:11], v[14:15] neg_lo:[0,1] neg_hi:[0,1]
	v_mov_b32_e32 v17, v10
	v_pk_add_f32 v[10:11], v[24:25], v[16:17] neg_lo:[0,1] neg_hi:[0,1]
	v_cmp_neq_f32_e32 vcc, s15, v23
	v_add_f32_e32 v11, v30, v11
	v_add_f32_e32 v10, v10, v11
	;; [unrolled: 1-line block ×3, first 2 shown]
	v_mul_f32_e32 v30, v29, v11
	v_mul_f32_e32 v14, v27, v30
	v_fma_f32 v16, v30, v27, -v14
	v_fmac_f32_e32 v16, v30, v28
	v_sub_f32_e32 v15, v15, v11
	v_add_f32_e32 v27, v10, v15
	v_add_f32_e32 v10, v14, v16
	v_sub_f32_e32 v15, v11, v10
	v_pk_add_f32 v[24:25], v[10:11], v[14:15] neg_lo:[0,1] neg_hi:[0,1]
	v_mov_b32_e32 v17, v10
	v_pk_add_f32 v[10:11], v[24:25], v[16:17] neg_lo:[0,1] neg_hi:[0,1]
	v_cvt_f32_i32_e32 v14, v26
	v_add_f32_e32 v11, v27, v11
	v_add_f32_e32 v10, v10, v11
	;; [unrolled: 1-line block ×4, first 2 shown]
	v_sub_f32_e32 v11, v15, v32
	v_mul_f32_e32 v10, v29, v10
	v_sub_f32_e32 v11, v30, v11
	v_add_f32_e32 v10, v11, v10
	v_add_f32_e32 v16, v15, v10
	v_mul_f32_e32 v24, v16, v16
	v_mov_b32_e32 v11, 0x3ecc95a3
	v_sub_f32_e32 v15, v16, v15
	v_fmac_f32_e32 v11, 0x3e9b6dac, v24
	v_sub_f32_e32 v10, v10, v15
	v_fmaak_f32 v11, v24, v11, 0x3f2aaada
	v_ldexp_f32 v25, v10, 1
	v_mul_f32_e32 v15, v16, v24
	v_mov_b32_e32 v10, 0x3f317218
	v_pk_mul_f32 v[10:11], v[14:15], v[10:11]
	v_ldexp_f32 v17, v16, 1
	v_fma_f32 v15, v14, s14, -v10
	v_fmamk_f32 v16, v14, 0xb102e308, v15
	v_pk_add_f32 v[14:15], v[10:11], v[16:17]
	v_mov_b32_e32 v24, v10
	v_sub_f32_e32 v17, v15, v17
	v_sub_f32_e32 v17, v11, v17
	v_add_f32_e32 v25, v25, v17
	v_pk_add_f32 v[10:11], v[14:15], v[10:11] neg_lo:[0,1] neg_hi:[0,1]
	v_pk_add_f32 v[26:27], v[14:15], v[24:25]
	v_mov_b32_e32 v17, v14
	v_mov_b32_e32 v11, v27
	v_pk_add_f32 v[28:29], v[16:17], v[10:11] neg_lo:[0,1] neg_hi:[0,1]
	v_pk_add_f32 v[10:11], v[16:17], v[10:11]
	v_mov_b32_e32 v24, v25
	v_pk_add_f32 v[16:17], v[10:11], v[14:15] op_sel:[1,0] op_sel_hi:[0,1] neg_lo:[0,1] neg_hi:[0,1]
	v_pk_add_f32 v[32:33], v[26:27], v[16:17] op_sel_hi:[1,0] neg_lo:[0,1] neg_hi:[0,1]
	v_mov_b32_e32 v26, v27
	v_mov_b32_e32 v27, v11
	v_pk_mov_b32 v[16:17], v[14:15], v[16:17] op_sel:[1,0]
	v_mov_b32_e32 v25, v14
	v_pk_add_f32 v[16:17], v[26:27], v[16:17] neg_lo:[0,1] neg_hi:[0,1]
	v_mov_b32_e32 v32, v28
	v_pk_add_f32 v[14:15], v[24:25], v[16:17] neg_lo:[0,1] neg_hi:[0,1]
	v_mov_b32_e32 v29, v11
	v_pk_add_f32 v[16:17], v[32:33], v[14:15]
	s_mov_b32 s14, 0x33800000
	v_pk_add_f32 v[24:25], v[16:17], v[16:17] op_sel:[0,1] op_sel_hi:[1,0]
	s_nop 0
	v_pk_add_f32 v[10:11], v[10:11], v[24:25] op_sel:[1,0] op_sel_hi:[0,1]
	v_mov_b32_e32 v17, v10
	v_pk_add_f32 v[26:27], v[16:17], v[28:29] neg_lo:[0,1] neg_hi:[0,1]
	v_mov_b32_e32 v15, v24
	v_sub_f32_e32 v11, v16, v26
	v_pk_add_f32 v[14:15], v[14:15], v[26:27] neg_lo:[0,1] neg_hi:[0,1]
	v_sub_f32_e32 v11, v28, v11
	v_add_f32_e32 v11, v14, v11
	v_add_f32_e32 v11, v11, v15
	;; [unrolled: 1-line block ×3, first 2 shown]
	v_cndmask_b32_e32 v10, v12, v10, vcc
	v_cmp_lt_f32_e64 vcc, |v23|, s14
	s_nop 1
	v_cndmask_b32_e32 v10, v10, v23, vcc
	v_add_f32_e32 v10, v13, v10
	v_cvt_f16_f32_e32 v11, v10
	v_cvt_f32_f16_e32 v12, v11
	v_mov_b32_e32 v10, v11
.LBB351_43:
	s_or_b64 exec, exec, s[12:13]
	v_cvt_f32_f16_e32 v23, v7
	v_max_f32_e32 v13, v12, v12
	v_cmp_u_f16_e32 vcc, v11, v11
	v_cmp_u_f16_e64 s[12:13], v7, v7
	v_min_f32_e32 v14, v13, v23
	v_max_f32_e32 v13, v13, v23
	v_cndmask_b32_e32 v14, v14, v12, vcc
	v_cndmask_b32_e32 v13, v13, v12, vcc
	v_cndmask_b32_e64 v14, v14, v23, s[12:13]
	v_cndmask_b32_e64 v13, v13, v23, s[12:13]
	v_cmp_neq_f32_e32 vcc, v14, v13
	v_cmp_class_f32_e64 s[14:15], v14, s3
	s_or_b64 s[16:17], vcc, s[14:15]
	s_and_saveexec_b64 s[14:15], s[16:17]
	s_cbranch_execz .LBB351_45
; %bb.44:
	v_sub_f32_e32 v10, v14, v13
	s_mov_b32 s3, 0x3fb8aa3b
	v_mul_f32_e32 v11, 0x3fb8aa3b, v10
	v_fma_f32 v12, v10, s3, -v11
	v_rndne_f32_e32 v14, v11
	v_fmamk_f32 v12, v10, 0x32a5705f, v12
	v_sub_f32_e32 v11, v11, v14
	v_add_f32_e32 v11, v11, v12
	v_exp_f32_e32 v11, v11
	v_cvt_i32_f32_e32 v12, v14
	s_mov_b32 s3, 0xc2ce8ed0
	v_cmp_ngt_f32_e32 vcc, s3, v10
	s_mov_b32 s3, 0x42b17218
	v_ldexp_f32 v11, v11, v12
	v_cndmask_b32_e32 v11, 0, v11, vcc
	v_mov_b32_e32 v12, 0x7f800000
	v_cmp_nlt_f32_e32 vcc, s3, v10
	s_mov_b32 s3, 0x3f2aaaab
	s_mov_b32 s16, 0x7f800000
	v_cndmask_b32_e32 v30, v12, v11, vcc
	v_add_f32_e32 v14, 1.0, v30
	v_add_f32_e32 v10, -1.0, v14
	v_sub_f32_e32 v11, v10, v14
	v_add_f32_e32 v11, 1.0, v11
	v_sub_f32_e32 v10, v30, v10
	v_add_f32_e32 v15, v10, v11
	v_frexp_mant_f32_e32 v16, v14
	v_cvt_f64_f32_e32 v[10:11], v14
	v_frexp_exp_i32_f64_e32 v10, v[10:11]
	v_cmp_gt_f32_e32 vcc, s3, v16
	s_mov_b32 s3, 0x3f317218
	s_nop 0
	v_subbrev_co_u32_e32 v26, vcc, 0, v10, vcc
	v_sub_u32_e32 v10, 0, v26
	v_ldexp_f32 v11, v14, v10
	v_add_f32_e32 v14, -1.0, v11
	v_add_f32_e32 v16, 1.0, v11
	v_ldexp_f32 v10, v15, v10
	v_add_f32_e32 v15, 1.0, v14
	v_add_f32_e32 v17, -1.0, v16
	v_sub_f32_e32 v15, v11, v15
	v_sub_f32_e32 v11, v11, v17
	v_add_f32_e32 v15, v10, v15
	v_add_f32_e32 v10, v10, v11
	;; [unrolled: 1-line block ×3, first 2 shown]
	v_rcp_f32_e32 v29, v27
	v_sub_f32_e32 v11, v16, v27
	v_add_f32_e32 v28, v10, v11
	v_add_f32_e32 v11, v14, v15
	v_mul_f32_e32 v33, v11, v29
	v_sub_f32_e32 v10, v14, v11
	v_mul_f32_e32 v14, v27, v33
	v_fma_f32 v16, v33, v27, -v14
	v_fmac_f32_e32 v16, v33, v28
	v_add_f32_e32 v32, v15, v10
	v_add_f32_e32 v10, v14, v16
	v_sub_f32_e32 v15, v11, v10
	v_pk_add_f32 v[24:25], v[10:11], v[14:15] neg_lo:[0,1] neg_hi:[0,1]
	v_mov_b32_e32 v17, v10
	v_pk_add_f32 v[10:11], v[24:25], v[16:17] neg_lo:[0,1] neg_hi:[0,1]
	v_cmp_neq_f32_e32 vcc, s16, v30
	v_add_f32_e32 v11, v32, v11
	v_add_f32_e32 v10, v10, v11
	v_add_f32_e32 v11, v15, v10
	v_mul_f32_e32 v32, v29, v11
	v_mul_f32_e32 v14, v27, v32
	v_fma_f32 v16, v32, v27, -v14
	v_fmac_f32_e32 v16, v32, v28
	v_sub_f32_e32 v15, v15, v11
	v_add_f32_e32 v27, v10, v15
	v_add_f32_e32 v10, v14, v16
	v_sub_f32_e32 v15, v11, v10
	v_pk_add_f32 v[24:25], v[10:11], v[14:15] neg_lo:[0,1] neg_hi:[0,1]
	v_mov_b32_e32 v17, v10
	v_pk_add_f32 v[10:11], v[24:25], v[16:17] neg_lo:[0,1] neg_hi:[0,1]
	v_cvt_f32_i32_e32 v14, v26
	v_add_f32_e32 v11, v27, v11
	v_add_f32_e32 v10, v10, v11
	;; [unrolled: 1-line block ×4, first 2 shown]
	v_sub_f32_e32 v11, v15, v33
	v_mul_f32_e32 v10, v29, v10
	v_sub_f32_e32 v11, v32, v11
	v_add_f32_e32 v10, v11, v10
	v_add_f32_e32 v16, v15, v10
	v_mul_f32_e32 v24, v16, v16
	v_mov_b32_e32 v11, 0x3ecc95a3
	v_sub_f32_e32 v15, v16, v15
	v_fmac_f32_e32 v11, 0x3e9b6dac, v24
	v_sub_f32_e32 v10, v10, v15
	v_fmaak_f32 v11, v24, v11, 0x3f2aaada
	v_ldexp_f32 v25, v10, 1
	v_mul_f32_e32 v15, v16, v24
	v_mov_b32_e32 v10, 0x3f317218
	v_pk_mul_f32 v[10:11], v[14:15], v[10:11]
	v_ldexp_f32 v17, v16, 1
	v_fma_f32 v15, v14, s3, -v10
	v_fmamk_f32 v16, v14, 0xb102e308, v15
	v_pk_add_f32 v[14:15], v[10:11], v[16:17]
	v_mov_b32_e32 v24, v10
	v_sub_f32_e32 v17, v15, v17
	v_sub_f32_e32 v17, v11, v17
	v_add_f32_e32 v25, v25, v17
	v_pk_add_f32 v[10:11], v[14:15], v[10:11] neg_lo:[0,1] neg_hi:[0,1]
	v_pk_add_f32 v[26:27], v[14:15], v[24:25]
	v_mov_b32_e32 v17, v14
	v_mov_b32_e32 v11, v27
	v_pk_add_f32 v[28:29], v[16:17], v[10:11] neg_lo:[0,1] neg_hi:[0,1]
	v_pk_add_f32 v[10:11], v[16:17], v[10:11]
	v_mov_b32_e32 v24, v25
	v_pk_add_f32 v[16:17], v[10:11], v[14:15] op_sel:[1,0] op_sel_hi:[0,1] neg_lo:[0,1] neg_hi:[0,1]
	v_pk_add_f32 v[32:33], v[26:27], v[16:17] op_sel_hi:[1,0] neg_lo:[0,1] neg_hi:[0,1]
	v_mov_b32_e32 v26, v27
	v_mov_b32_e32 v27, v11
	v_pk_mov_b32 v[16:17], v[14:15], v[16:17] op_sel:[1,0]
	v_mov_b32_e32 v25, v14
	v_pk_add_f32 v[16:17], v[26:27], v[16:17] neg_lo:[0,1] neg_hi:[0,1]
	v_mov_b32_e32 v32, v28
	v_pk_add_f32 v[14:15], v[24:25], v[16:17] neg_lo:[0,1] neg_hi:[0,1]
	v_mov_b32_e32 v29, v11
	v_pk_add_f32 v[16:17], v[32:33], v[14:15]
	s_mov_b32 s3, 0x33800000
	v_pk_add_f32 v[24:25], v[16:17], v[16:17] op_sel:[0,1] op_sel_hi:[1,0]
	s_nop 0
	v_pk_add_f32 v[10:11], v[10:11], v[24:25] op_sel:[1,0] op_sel_hi:[0,1]
	v_mov_b32_e32 v17, v10
	v_pk_add_f32 v[26:27], v[16:17], v[28:29] neg_lo:[0,1] neg_hi:[0,1]
	v_mov_b32_e32 v15, v24
	v_sub_f32_e32 v11, v16, v26
	v_pk_add_f32 v[14:15], v[14:15], v[26:27] neg_lo:[0,1] neg_hi:[0,1]
	v_sub_f32_e32 v11, v28, v11
	v_add_f32_e32 v11, v14, v11
	v_add_f32_e32 v11, v11, v15
	;; [unrolled: 1-line block ×3, first 2 shown]
	v_cndmask_b32_e32 v10, v12, v10, vcc
	v_cmp_lt_f32_e64 vcc, |v30|, s3
	s_nop 1
	v_cndmask_b32_e32 v10, v10, v30, vcc
	v_add_f32_e32 v10, v13, v10
	v_cvt_f16_f32_e32 v11, v10
	v_cvt_f32_f16_e32 v12, v11
	v_mov_b32_e32 v10, v11
.LBB351_45:
	s_or_b64 exec, exec, s[14:15]
	v_cvt_f32_f16_sdwa v24, v7 dst_sel:DWORD dst_unused:UNUSED_PAD src0_sel:WORD_1
	v_max_f32_e32 v13, v12, v12
	v_cmp_u_f16_e32 vcc, v11, v11
	v_cmp_u_f16_sdwa s[14:15], v7, v7 src0_sel:WORD_1 src1_sel:WORD_1
	v_min_f32_e32 v14, v13, v24
	v_max_f32_e32 v13, v13, v24
	v_cndmask_b32_e32 v14, v14, v12, vcc
	v_cndmask_b32_e32 v13, v13, v12, vcc
	v_cndmask_b32_e64 v14, v14, v24, s[14:15]
	v_cndmask_b32_e64 v13, v13, v24, s[14:15]
	s_movk_i32 s3, 0x1f8
	v_cmp_neq_f32_e32 vcc, v14, v13
	v_cmp_class_f32_e64 s[16:17], v14, s3
	s_or_b64 s[18:19], vcc, s[16:17]
	s_and_saveexec_b64 s[16:17], s[18:19]
	s_cbranch_execz .LBB351_47
; %bb.46:
	v_sub_f32_e32 v10, v14, v13
	s_mov_b32 s18, 0x3fb8aa3b
	v_mul_f32_e32 v11, 0x3fb8aa3b, v10
	v_fma_f32 v12, v10, s18, -v11
	v_rndne_f32_e32 v14, v11
	v_fmamk_f32 v12, v10, 0x32a5705f, v12
	v_sub_f32_e32 v11, v11, v14
	v_add_f32_e32 v11, v11, v12
	v_exp_f32_e32 v11, v11
	v_cvt_i32_f32_e32 v12, v14
	s_mov_b32 s18, 0xc2ce8ed0
	v_cmp_ngt_f32_e32 vcc, s18, v10
	s_mov_b32 s18, 0x42b17218
	v_ldexp_f32 v11, v11, v12
	v_cndmask_b32_e32 v11, 0, v11, vcc
	v_mov_b32_e32 v12, 0x7f800000
	v_cmp_nlt_f32_e32 vcc, s18, v10
	s_mov_b32 s18, 0x3f2aaaab
	s_mov_b32 s19, 0x7f800000
	v_cndmask_b32_e32 v25, v12, v11, vcc
	v_add_f32_e32 v14, 1.0, v25
	v_add_f32_e32 v10, -1.0, v14
	v_sub_f32_e32 v11, v10, v14
	v_add_f32_e32 v11, 1.0, v11
	v_sub_f32_e32 v10, v25, v10
	v_add_f32_e32 v15, v10, v11
	v_frexp_mant_f32_e32 v16, v14
	v_cvt_f64_f32_e32 v[10:11], v14
	v_frexp_exp_i32_f64_e32 v10, v[10:11]
	v_cmp_gt_f32_e32 vcc, s18, v16
	s_mov_b32 s18, 0x3f317218
	s_nop 0
	v_subbrev_co_u32_e32 v28, vcc, 0, v10, vcc
	v_sub_u32_e32 v10, 0, v28
	v_ldexp_f32 v11, v14, v10
	v_add_f32_e32 v14, -1.0, v11
	v_add_f32_e32 v16, 1.0, v11
	v_ldexp_f32 v10, v15, v10
	v_add_f32_e32 v15, 1.0, v14
	v_add_f32_e32 v17, -1.0, v16
	v_sub_f32_e32 v15, v11, v15
	v_sub_f32_e32 v11, v11, v17
	v_add_f32_e32 v15, v10, v15
	v_add_f32_e32 v10, v10, v11
	;; [unrolled: 1-line block ×3, first 2 shown]
	v_rcp_f32_e32 v32, v29
	v_sub_f32_e32 v11, v16, v29
	v_add_f32_e32 v30, v10, v11
	v_add_f32_e32 v11, v14, v15
	v_mul_f32_e32 v34, v11, v32
	v_sub_f32_e32 v10, v14, v11
	v_mul_f32_e32 v14, v29, v34
	v_fma_f32 v16, v34, v29, -v14
	v_fmac_f32_e32 v16, v34, v30
	v_add_f32_e32 v33, v15, v10
	v_add_f32_e32 v10, v14, v16
	v_sub_f32_e32 v15, v11, v10
	v_pk_add_f32 v[26:27], v[10:11], v[14:15] neg_lo:[0,1] neg_hi:[0,1]
	v_mov_b32_e32 v17, v10
	v_pk_add_f32 v[10:11], v[26:27], v[16:17] neg_lo:[0,1] neg_hi:[0,1]
	v_cmp_neq_f32_e32 vcc, s19, v25
	v_add_f32_e32 v11, v33, v11
	v_add_f32_e32 v10, v10, v11
	;; [unrolled: 1-line block ×3, first 2 shown]
	v_mul_f32_e32 v33, v32, v11
	v_mul_f32_e32 v14, v29, v33
	v_fma_f32 v16, v33, v29, -v14
	v_fmac_f32_e32 v16, v33, v30
	v_sub_f32_e32 v15, v15, v11
	v_add_f32_e32 v29, v10, v15
	v_add_f32_e32 v10, v14, v16
	v_sub_f32_e32 v15, v11, v10
	v_pk_add_f32 v[26:27], v[10:11], v[14:15] neg_lo:[0,1] neg_hi:[0,1]
	v_mov_b32_e32 v17, v10
	v_pk_add_f32 v[10:11], v[26:27], v[16:17] neg_lo:[0,1] neg_hi:[0,1]
	v_cvt_f32_i32_e32 v14, v28
	v_add_f32_e32 v11, v29, v11
	v_add_f32_e32 v10, v10, v11
	v_add_f32_e32 v10, v15, v10
	v_add_f32_e32 v15, v34, v33
	v_sub_f32_e32 v11, v15, v34
	v_mul_f32_e32 v10, v32, v10
	v_sub_f32_e32 v11, v33, v11
	v_add_f32_e32 v10, v11, v10
	v_add_f32_e32 v16, v15, v10
	v_mul_f32_e32 v26, v16, v16
	v_mov_b32_e32 v11, 0x3ecc95a3
	v_sub_f32_e32 v15, v16, v15
	v_fmac_f32_e32 v11, 0x3e9b6dac, v26
	v_sub_f32_e32 v10, v10, v15
	v_fmaak_f32 v11, v26, v11, 0x3f2aaada
	v_ldexp_f32 v27, v10, 1
	v_mul_f32_e32 v15, v16, v26
	v_mov_b32_e32 v10, 0x3f317218
	v_pk_mul_f32 v[10:11], v[14:15], v[10:11]
	v_ldexp_f32 v17, v16, 1
	v_fma_f32 v15, v14, s18, -v10
	v_fmamk_f32 v16, v14, 0xb102e308, v15
	v_pk_add_f32 v[14:15], v[10:11], v[16:17]
	v_mov_b32_e32 v26, v10
	v_sub_f32_e32 v17, v15, v17
	v_sub_f32_e32 v17, v11, v17
	v_add_f32_e32 v27, v27, v17
	v_pk_add_f32 v[10:11], v[14:15], v[10:11] neg_lo:[0,1] neg_hi:[0,1]
	v_pk_add_f32 v[28:29], v[14:15], v[26:27]
	v_mov_b32_e32 v17, v14
	v_mov_b32_e32 v11, v29
	v_pk_add_f32 v[32:33], v[16:17], v[10:11] neg_lo:[0,1] neg_hi:[0,1]
	v_pk_add_f32 v[10:11], v[16:17], v[10:11]
	v_mov_b32_e32 v26, v27
	v_pk_add_f32 v[16:17], v[10:11], v[14:15] op_sel:[1,0] op_sel_hi:[0,1] neg_lo:[0,1] neg_hi:[0,1]
	v_pk_add_f32 v[34:35], v[28:29], v[16:17] op_sel_hi:[1,0] neg_lo:[0,1] neg_hi:[0,1]
	v_mov_b32_e32 v28, v29
	v_mov_b32_e32 v29, v11
	v_pk_mov_b32 v[16:17], v[14:15], v[16:17] op_sel:[1,0]
	v_mov_b32_e32 v27, v14
	v_pk_add_f32 v[16:17], v[28:29], v[16:17] neg_lo:[0,1] neg_hi:[0,1]
	v_mov_b32_e32 v34, v32
	v_pk_add_f32 v[14:15], v[26:27], v[16:17] neg_lo:[0,1] neg_hi:[0,1]
	v_mov_b32_e32 v33, v11
	v_pk_add_f32 v[16:17], v[34:35], v[14:15]
	s_mov_b32 s18, 0x33800000
	v_pk_add_f32 v[26:27], v[16:17], v[16:17] op_sel:[0,1] op_sel_hi:[1,0]
	s_nop 0
	v_pk_add_f32 v[10:11], v[10:11], v[26:27] op_sel:[1,0] op_sel_hi:[0,1]
	v_mov_b32_e32 v17, v10
	v_pk_add_f32 v[28:29], v[16:17], v[32:33] neg_lo:[0,1] neg_hi:[0,1]
	v_mov_b32_e32 v15, v26
	v_sub_f32_e32 v11, v16, v28
	v_pk_add_f32 v[14:15], v[14:15], v[28:29] neg_lo:[0,1] neg_hi:[0,1]
	v_sub_f32_e32 v11, v32, v11
	v_add_f32_e32 v11, v14, v11
	v_add_f32_e32 v11, v11, v15
	;; [unrolled: 1-line block ×3, first 2 shown]
	v_cndmask_b32_e32 v10, v12, v10, vcc
	v_cmp_lt_f32_e64 vcc, |v25|, s18
	s_nop 1
	v_cndmask_b32_e32 v10, v10, v25, vcc
	v_add_f32_e32 v10, v13, v10
	v_cvt_f16_f32_e32 v11, v10
	v_cvt_f32_f16_e32 v12, v11
	v_mov_b32_e32 v10, v11
.LBB351_47:
	s_or_b64 exec, exec, s[16:17]
	v_cvt_f32_f16_e32 v25, v4
	v_max_f32_e32 v13, v12, v12
	v_cmp_u_f16_e32 vcc, v11, v11
	v_cmp_u_f16_e64 s[16:17], v4, v4
	v_min_f32_e32 v14, v13, v25
	v_max_f32_e32 v13, v13, v25
	v_cndmask_b32_e32 v14, v14, v12, vcc
	v_cndmask_b32_e32 v13, v13, v12, vcc
	v_cndmask_b32_e64 v14, v14, v25, s[16:17]
	v_cndmask_b32_e64 v13, v13, v25, s[16:17]
	v_cmp_neq_f32_e32 vcc, v14, v13
	v_cmp_class_f32_e64 s[18:19], v14, s3
	s_or_b64 s[20:21], vcc, s[18:19]
	s_and_saveexec_b64 s[18:19], s[20:21]
	s_cbranch_execz .LBB351_49
; %bb.48:
	v_sub_f32_e32 v10, v14, v13
	s_mov_b32 s3, 0x3fb8aa3b
	v_mul_f32_e32 v11, 0x3fb8aa3b, v10
	v_fma_f32 v12, v10, s3, -v11
	v_rndne_f32_e32 v14, v11
	v_fmamk_f32 v12, v10, 0x32a5705f, v12
	v_sub_f32_e32 v11, v11, v14
	v_add_f32_e32 v11, v11, v12
	v_exp_f32_e32 v11, v11
	v_cvt_i32_f32_e32 v12, v14
	s_mov_b32 s3, 0xc2ce8ed0
	v_cmp_ngt_f32_e32 vcc, s3, v10
	s_mov_b32 s3, 0x42b17218
	v_ldexp_f32 v11, v11, v12
	v_cndmask_b32_e32 v11, 0, v11, vcc
	v_mov_b32_e32 v12, 0x7f800000
	v_cmp_nlt_f32_e32 vcc, s3, v10
	s_mov_b32 s3, 0x3f2aaaab
	s_mov_b32 s20, 0x7f800000
	v_cndmask_b32_e32 v30, v12, v11, vcc
	v_add_f32_e32 v14, 1.0, v30
	v_add_f32_e32 v10, -1.0, v14
	v_sub_f32_e32 v11, v10, v14
	v_add_f32_e32 v11, 1.0, v11
	v_sub_f32_e32 v10, v30, v10
	v_add_f32_e32 v15, v10, v11
	v_frexp_mant_f32_e32 v16, v14
	v_cvt_f64_f32_e32 v[10:11], v14
	v_frexp_exp_i32_f64_e32 v10, v[10:11]
	v_cmp_gt_f32_e32 vcc, s3, v16
	s_mov_b32 s3, 0x3f317218
	s_nop 0
	v_subbrev_co_u32_e32 v28, vcc, 0, v10, vcc
	v_sub_u32_e32 v10, 0, v28
	v_ldexp_f32 v11, v14, v10
	v_add_f32_e32 v14, -1.0, v11
	v_add_f32_e32 v16, 1.0, v11
	v_ldexp_f32 v10, v15, v10
	v_add_f32_e32 v15, 1.0, v14
	v_add_f32_e32 v17, -1.0, v16
	v_sub_f32_e32 v15, v11, v15
	v_sub_f32_e32 v11, v11, v17
	v_add_f32_e32 v15, v10, v15
	v_add_f32_e32 v10, v10, v11
	;; [unrolled: 1-line block ×3, first 2 shown]
	v_rcp_f32_e32 v33, v29
	v_sub_f32_e32 v11, v16, v29
	v_add_f32_e32 v32, v10, v11
	v_add_f32_e32 v11, v14, v15
	v_mul_f32_e32 v35, v11, v33
	v_sub_f32_e32 v10, v14, v11
	v_mul_f32_e32 v14, v29, v35
	v_fma_f32 v16, v35, v29, -v14
	v_fmac_f32_e32 v16, v35, v32
	v_add_f32_e32 v34, v15, v10
	v_add_f32_e32 v10, v14, v16
	v_sub_f32_e32 v15, v11, v10
	v_pk_add_f32 v[26:27], v[10:11], v[14:15] neg_lo:[0,1] neg_hi:[0,1]
	v_mov_b32_e32 v17, v10
	v_pk_add_f32 v[10:11], v[26:27], v[16:17] neg_lo:[0,1] neg_hi:[0,1]
	v_cmp_neq_f32_e32 vcc, s20, v30
	v_add_f32_e32 v11, v34, v11
	v_add_f32_e32 v10, v10, v11
	;; [unrolled: 1-line block ×3, first 2 shown]
	v_mul_f32_e32 v34, v33, v11
	v_mul_f32_e32 v14, v29, v34
	v_fma_f32 v16, v34, v29, -v14
	v_fmac_f32_e32 v16, v34, v32
	v_sub_f32_e32 v15, v15, v11
	v_add_f32_e32 v29, v10, v15
	v_add_f32_e32 v10, v14, v16
	v_sub_f32_e32 v15, v11, v10
	v_pk_add_f32 v[26:27], v[10:11], v[14:15] neg_lo:[0,1] neg_hi:[0,1]
	v_mov_b32_e32 v17, v10
	v_pk_add_f32 v[10:11], v[26:27], v[16:17] neg_lo:[0,1] neg_hi:[0,1]
	v_cvt_f32_i32_e32 v14, v28
	v_add_f32_e32 v11, v29, v11
	v_add_f32_e32 v10, v10, v11
	;; [unrolled: 1-line block ×4, first 2 shown]
	v_sub_f32_e32 v11, v15, v35
	v_mul_f32_e32 v10, v33, v10
	v_sub_f32_e32 v11, v34, v11
	v_add_f32_e32 v10, v11, v10
	v_add_f32_e32 v16, v15, v10
	v_mul_f32_e32 v26, v16, v16
	v_mov_b32_e32 v11, 0x3ecc95a3
	v_sub_f32_e32 v15, v16, v15
	v_fmac_f32_e32 v11, 0x3e9b6dac, v26
	v_sub_f32_e32 v10, v10, v15
	v_fmaak_f32 v11, v26, v11, 0x3f2aaada
	v_ldexp_f32 v27, v10, 1
	v_mul_f32_e32 v15, v16, v26
	v_mov_b32_e32 v10, 0x3f317218
	v_pk_mul_f32 v[10:11], v[14:15], v[10:11]
	v_ldexp_f32 v17, v16, 1
	v_fma_f32 v15, v14, s3, -v10
	v_fmamk_f32 v16, v14, 0xb102e308, v15
	v_pk_add_f32 v[14:15], v[10:11], v[16:17]
	v_mov_b32_e32 v26, v10
	v_sub_f32_e32 v17, v15, v17
	v_sub_f32_e32 v17, v11, v17
	v_add_f32_e32 v27, v27, v17
	v_pk_add_f32 v[10:11], v[14:15], v[10:11] neg_lo:[0,1] neg_hi:[0,1]
	v_pk_add_f32 v[28:29], v[14:15], v[26:27]
	v_mov_b32_e32 v17, v14
	v_mov_b32_e32 v11, v29
	v_pk_add_f32 v[32:33], v[16:17], v[10:11] neg_lo:[0,1] neg_hi:[0,1]
	v_pk_add_f32 v[10:11], v[16:17], v[10:11]
	v_mov_b32_e32 v26, v27
	v_pk_add_f32 v[16:17], v[10:11], v[14:15] op_sel:[1,0] op_sel_hi:[0,1] neg_lo:[0,1] neg_hi:[0,1]
	v_pk_add_f32 v[34:35], v[28:29], v[16:17] op_sel_hi:[1,0] neg_lo:[0,1] neg_hi:[0,1]
	v_mov_b32_e32 v28, v29
	v_mov_b32_e32 v29, v11
	v_pk_mov_b32 v[16:17], v[14:15], v[16:17] op_sel:[1,0]
	v_mov_b32_e32 v27, v14
	v_pk_add_f32 v[16:17], v[28:29], v[16:17] neg_lo:[0,1] neg_hi:[0,1]
	v_mov_b32_e32 v34, v32
	v_pk_add_f32 v[14:15], v[26:27], v[16:17] neg_lo:[0,1] neg_hi:[0,1]
	v_mov_b32_e32 v33, v11
	v_pk_add_f32 v[16:17], v[34:35], v[14:15]
	s_mov_b32 s3, 0x33800000
	v_pk_add_f32 v[26:27], v[16:17], v[16:17] op_sel:[0,1] op_sel_hi:[1,0]
	s_nop 0
	v_pk_add_f32 v[10:11], v[10:11], v[26:27] op_sel:[1,0] op_sel_hi:[0,1]
	v_mov_b32_e32 v17, v10
	v_pk_add_f32 v[28:29], v[16:17], v[32:33] neg_lo:[0,1] neg_hi:[0,1]
	v_mov_b32_e32 v15, v26
	v_sub_f32_e32 v11, v16, v28
	v_pk_add_f32 v[14:15], v[14:15], v[28:29] neg_lo:[0,1] neg_hi:[0,1]
	v_sub_f32_e32 v11, v32, v11
	v_add_f32_e32 v11, v14, v11
	v_add_f32_e32 v11, v11, v15
	;; [unrolled: 1-line block ×3, first 2 shown]
	v_cndmask_b32_e32 v10, v12, v10, vcc
	v_cmp_lt_f32_e64 vcc, |v30|, s3
	s_nop 1
	v_cndmask_b32_e32 v10, v10, v30, vcc
	v_add_f32_e32 v10, v13, v10
	v_cvt_f16_f32_e32 v11, v10
	v_cvt_f32_f16_e32 v12, v11
	v_mov_b32_e32 v10, v11
.LBB351_49:
	s_or_b64 exec, exec, s[18:19]
	v_cvt_f32_f16_sdwa v26, v4 dst_sel:DWORD dst_unused:UNUSED_PAD src0_sel:WORD_1
	v_max_f32_e32 v13, v12, v12
	v_cmp_u_f16_e32 vcc, v11, v11
	v_cmp_u_f16_sdwa s[18:19], v4, v4 src0_sel:WORD_1 src1_sel:WORD_1
	v_min_f32_e32 v14, v13, v26
	v_max_f32_e32 v13, v13, v26
	v_cndmask_b32_e32 v14, v14, v12, vcc
	v_cndmask_b32_e32 v13, v13, v12, vcc
	v_cndmask_b32_e64 v14, v14, v26, s[18:19]
	v_cndmask_b32_e64 v13, v13, v26, s[18:19]
	s_movk_i32 s3, 0x1f8
	v_cmp_neq_f32_e32 vcc, v14, v13
	v_cmp_class_f32_e64 s[20:21], v14, s3
	s_or_b64 s[22:23], vcc, s[20:21]
	s_and_saveexec_b64 s[20:21], s[22:23]
	s_cbranch_execz .LBB351_51
; %bb.50:
	v_sub_f32_e32 v10, v14, v13
	s_mov_b32 s22, 0x3fb8aa3b
	v_mul_f32_e32 v11, 0x3fb8aa3b, v10
	v_fma_f32 v12, v10, s22, -v11
	v_rndne_f32_e32 v14, v11
	v_fmamk_f32 v12, v10, 0x32a5705f, v12
	v_sub_f32_e32 v11, v11, v14
	v_add_f32_e32 v11, v11, v12
	v_exp_f32_e32 v11, v11
	v_cvt_i32_f32_e32 v12, v14
	s_mov_b32 s22, 0xc2ce8ed0
	v_cmp_ngt_f32_e32 vcc, s22, v10
	s_mov_b32 s22, 0x42b17218
	v_ldexp_f32 v11, v11, v12
	v_cndmask_b32_e32 v11, 0, v11, vcc
	v_mov_b32_e32 v12, 0x7f800000
	v_cmp_nlt_f32_e32 vcc, s22, v10
	s_mov_b32 s22, 0x3f2aaaab
	s_mov_b32 s23, 0x7f800000
	v_cndmask_b32_e32 v27, v12, v11, vcc
	v_add_f32_e32 v14, 1.0, v27
	v_add_f32_e32 v10, -1.0, v14
	v_sub_f32_e32 v11, v10, v14
	v_add_f32_e32 v11, 1.0, v11
	v_sub_f32_e32 v10, v27, v10
	v_add_f32_e32 v15, v10, v11
	v_frexp_mant_f32_e32 v16, v14
	v_cvt_f64_f32_e32 v[10:11], v14
	v_frexp_exp_i32_f64_e32 v10, v[10:11]
	v_cmp_gt_f32_e32 vcc, s22, v16
	s_mov_b32 s22, 0x3f317218
	s_nop 0
	v_subbrev_co_u32_e32 v30, vcc, 0, v10, vcc
	v_sub_u32_e32 v10, 0, v30
	v_ldexp_f32 v11, v14, v10
	v_add_f32_e32 v14, -1.0, v11
	v_add_f32_e32 v16, 1.0, v11
	v_ldexp_f32 v10, v15, v10
	v_add_f32_e32 v15, 1.0, v14
	v_add_f32_e32 v17, -1.0, v16
	v_sub_f32_e32 v15, v11, v15
	v_sub_f32_e32 v11, v11, v17
	v_add_f32_e32 v15, v10, v15
	v_add_f32_e32 v10, v10, v11
	;; [unrolled: 1-line block ×3, first 2 shown]
	v_rcp_f32_e32 v34, v32
	v_sub_f32_e32 v11, v16, v32
	v_add_f32_e32 v33, v10, v11
	v_add_f32_e32 v11, v14, v15
	v_mul_f32_e32 v36, v11, v34
	v_sub_f32_e32 v10, v14, v11
	v_mul_f32_e32 v14, v32, v36
	v_fma_f32 v16, v36, v32, -v14
	v_fmac_f32_e32 v16, v36, v33
	v_add_f32_e32 v35, v15, v10
	v_add_f32_e32 v10, v14, v16
	v_sub_f32_e32 v15, v11, v10
	v_pk_add_f32 v[28:29], v[10:11], v[14:15] neg_lo:[0,1] neg_hi:[0,1]
	v_mov_b32_e32 v17, v10
	v_pk_add_f32 v[10:11], v[28:29], v[16:17] neg_lo:[0,1] neg_hi:[0,1]
	v_cmp_neq_f32_e32 vcc, s23, v27
	v_add_f32_e32 v11, v35, v11
	v_add_f32_e32 v10, v10, v11
	;; [unrolled: 1-line block ×3, first 2 shown]
	v_mul_f32_e32 v35, v34, v11
	v_mul_f32_e32 v14, v32, v35
	v_fma_f32 v16, v35, v32, -v14
	v_fmac_f32_e32 v16, v35, v33
	v_sub_f32_e32 v15, v15, v11
	v_add_f32_e32 v32, v10, v15
	v_add_f32_e32 v10, v14, v16
	v_sub_f32_e32 v15, v11, v10
	v_pk_add_f32 v[28:29], v[10:11], v[14:15] neg_lo:[0,1] neg_hi:[0,1]
	v_mov_b32_e32 v17, v10
	v_pk_add_f32 v[10:11], v[28:29], v[16:17] neg_lo:[0,1] neg_hi:[0,1]
	v_cvt_f32_i32_e32 v14, v30
	v_add_f32_e32 v11, v32, v11
	v_add_f32_e32 v10, v10, v11
	;; [unrolled: 1-line block ×4, first 2 shown]
	v_sub_f32_e32 v11, v15, v36
	v_mul_f32_e32 v10, v34, v10
	v_sub_f32_e32 v11, v35, v11
	v_add_f32_e32 v10, v11, v10
	v_add_f32_e32 v16, v15, v10
	v_mul_f32_e32 v28, v16, v16
	v_mov_b32_e32 v11, 0x3ecc95a3
	v_sub_f32_e32 v15, v16, v15
	v_fmac_f32_e32 v11, 0x3e9b6dac, v28
	v_sub_f32_e32 v10, v10, v15
	v_fmaak_f32 v11, v28, v11, 0x3f2aaada
	v_ldexp_f32 v29, v10, 1
	v_mul_f32_e32 v15, v16, v28
	v_mov_b32_e32 v10, 0x3f317218
	v_pk_mul_f32 v[10:11], v[14:15], v[10:11]
	v_ldexp_f32 v17, v16, 1
	v_fma_f32 v15, v14, s22, -v10
	v_fmamk_f32 v16, v14, 0xb102e308, v15
	v_pk_add_f32 v[14:15], v[10:11], v[16:17]
	v_mov_b32_e32 v28, v10
	v_sub_f32_e32 v17, v15, v17
	v_sub_f32_e32 v17, v11, v17
	v_add_f32_e32 v29, v29, v17
	v_pk_add_f32 v[10:11], v[14:15], v[10:11] neg_lo:[0,1] neg_hi:[0,1]
	v_pk_add_f32 v[32:33], v[14:15], v[28:29]
	v_mov_b32_e32 v17, v14
	v_mov_b32_e32 v11, v33
	v_pk_add_f32 v[34:35], v[16:17], v[10:11] neg_lo:[0,1] neg_hi:[0,1]
	v_pk_add_f32 v[10:11], v[16:17], v[10:11]
	v_mov_b32_e32 v28, v29
	v_pk_add_f32 v[16:17], v[10:11], v[14:15] op_sel:[1,0] op_sel_hi:[0,1] neg_lo:[0,1] neg_hi:[0,1]
	v_pk_add_f32 v[36:37], v[32:33], v[16:17] op_sel_hi:[1,0] neg_lo:[0,1] neg_hi:[0,1]
	v_mov_b32_e32 v32, v33
	v_mov_b32_e32 v33, v11
	v_pk_mov_b32 v[16:17], v[14:15], v[16:17] op_sel:[1,0]
	v_mov_b32_e32 v29, v14
	v_pk_add_f32 v[16:17], v[32:33], v[16:17] neg_lo:[0,1] neg_hi:[0,1]
	v_mov_b32_e32 v36, v34
	v_pk_add_f32 v[14:15], v[28:29], v[16:17] neg_lo:[0,1] neg_hi:[0,1]
	v_mov_b32_e32 v35, v11
	v_pk_add_f32 v[16:17], v[36:37], v[14:15]
	s_mov_b32 s22, 0x33800000
	v_pk_add_f32 v[28:29], v[16:17], v[16:17] op_sel:[0,1] op_sel_hi:[1,0]
	s_nop 0
	v_pk_add_f32 v[10:11], v[10:11], v[28:29] op_sel:[1,0] op_sel_hi:[0,1]
	v_mov_b32_e32 v17, v10
	v_pk_add_f32 v[32:33], v[16:17], v[34:35] neg_lo:[0,1] neg_hi:[0,1]
	v_mov_b32_e32 v15, v28
	v_sub_f32_e32 v11, v16, v32
	v_pk_add_f32 v[14:15], v[14:15], v[32:33] neg_lo:[0,1] neg_hi:[0,1]
	v_sub_f32_e32 v11, v34, v11
	v_add_f32_e32 v11, v14, v11
	v_add_f32_e32 v11, v11, v15
	;; [unrolled: 1-line block ×3, first 2 shown]
	v_cndmask_b32_e32 v10, v12, v10, vcc
	v_cmp_lt_f32_e64 vcc, |v27|, s22
	s_nop 1
	v_cndmask_b32_e32 v10, v10, v27, vcc
	v_add_f32_e32 v10, v13, v10
	v_cvt_f16_f32_e32 v11, v10
	v_cvt_f32_f16_e32 v12, v11
	v_mov_b32_e32 v10, v11
.LBB351_51:
	s_or_b64 exec, exec, s[20:21]
	v_cvt_f32_f16_e32 v27, v5
	v_max_f32_e32 v13, v12, v12
	v_cmp_u_f16_e32 vcc, v11, v11
	v_cmp_u_f16_e64 s[20:21], v5, v5
	v_min_f32_e32 v14, v13, v27
	v_max_f32_e32 v13, v13, v27
	v_cndmask_b32_e32 v14, v14, v12, vcc
	v_cndmask_b32_e32 v13, v13, v12, vcc
	v_cndmask_b32_e64 v14, v14, v27, s[20:21]
	v_cndmask_b32_e64 v13, v13, v27, s[20:21]
	v_cmp_neq_f32_e32 vcc, v14, v13
	v_cmp_class_f32_e64 s[22:23], v14, s3
	s_or_b64 s[24:25], vcc, s[22:23]
	s_and_saveexec_b64 s[22:23], s[24:25]
	s_cbranch_execz .LBB351_53
; %bb.52:
	v_sub_f32_e32 v10, v14, v13
	s_mov_b32 s3, 0x3fb8aa3b
	v_mul_f32_e32 v11, 0x3fb8aa3b, v10
	v_fma_f32 v12, v10, s3, -v11
	v_rndne_f32_e32 v14, v11
	v_fmamk_f32 v12, v10, 0x32a5705f, v12
	v_sub_f32_e32 v11, v11, v14
	v_add_f32_e32 v11, v11, v12
	v_exp_f32_e32 v11, v11
	v_cvt_i32_f32_e32 v12, v14
	s_mov_b32 s3, 0xc2ce8ed0
	v_cmp_ngt_f32_e32 vcc, s3, v10
	s_mov_b32 s3, 0x42b17218
	v_ldexp_f32 v11, v11, v12
	v_cndmask_b32_e32 v11, 0, v11, vcc
	v_mov_b32_e32 v12, 0x7f800000
	v_cmp_nlt_f32_e32 vcc, s3, v10
	s_mov_b32 s3, 0x3f2aaaab
	s_mov_b32 s24, 0x7f800000
	v_cndmask_b32_e32 v30, v12, v11, vcc
	v_add_f32_e32 v14, 1.0, v30
	v_add_f32_e32 v10, -1.0, v14
	v_sub_f32_e32 v11, v10, v14
	v_add_f32_e32 v11, 1.0, v11
	v_sub_f32_e32 v10, v30, v10
	v_add_f32_e32 v15, v10, v11
	v_frexp_mant_f32_e32 v16, v14
	v_cvt_f64_f32_e32 v[10:11], v14
	v_frexp_exp_i32_f64_e32 v10, v[10:11]
	v_cmp_gt_f32_e32 vcc, s3, v16
	s_mov_b32 s3, 0x3f317218
	s_nop 0
	v_subbrev_co_u32_e32 v32, vcc, 0, v10, vcc
	v_sub_u32_e32 v10, 0, v32
	v_ldexp_f32 v11, v14, v10
	v_add_f32_e32 v14, -1.0, v11
	v_add_f32_e32 v16, 1.0, v11
	v_ldexp_f32 v10, v15, v10
	v_add_f32_e32 v15, 1.0, v14
	v_add_f32_e32 v17, -1.0, v16
	v_sub_f32_e32 v15, v11, v15
	v_sub_f32_e32 v11, v11, v17
	v_add_f32_e32 v15, v10, v15
	v_add_f32_e32 v10, v10, v11
	;; [unrolled: 1-line block ×3, first 2 shown]
	v_rcp_f32_e32 v35, v33
	v_sub_f32_e32 v11, v16, v33
	v_add_f32_e32 v34, v10, v11
	v_add_f32_e32 v11, v14, v15
	v_mul_f32_e32 v37, v11, v35
	v_sub_f32_e32 v10, v14, v11
	v_mul_f32_e32 v14, v33, v37
	v_fma_f32 v16, v37, v33, -v14
	v_fmac_f32_e32 v16, v37, v34
	v_add_f32_e32 v36, v15, v10
	v_add_f32_e32 v10, v14, v16
	v_sub_f32_e32 v15, v11, v10
	v_pk_add_f32 v[28:29], v[10:11], v[14:15] neg_lo:[0,1] neg_hi:[0,1]
	v_mov_b32_e32 v17, v10
	v_pk_add_f32 v[10:11], v[28:29], v[16:17] neg_lo:[0,1] neg_hi:[0,1]
	v_cmp_neq_f32_e32 vcc, s24, v30
	v_add_f32_e32 v11, v36, v11
	v_add_f32_e32 v10, v10, v11
	;; [unrolled: 1-line block ×3, first 2 shown]
	v_mul_f32_e32 v36, v35, v11
	v_mul_f32_e32 v14, v33, v36
	v_fma_f32 v16, v36, v33, -v14
	v_fmac_f32_e32 v16, v36, v34
	v_sub_f32_e32 v15, v15, v11
	v_add_f32_e32 v33, v10, v15
	v_add_f32_e32 v10, v14, v16
	v_sub_f32_e32 v15, v11, v10
	v_pk_add_f32 v[28:29], v[10:11], v[14:15] neg_lo:[0,1] neg_hi:[0,1]
	v_mov_b32_e32 v17, v10
	v_pk_add_f32 v[10:11], v[28:29], v[16:17] neg_lo:[0,1] neg_hi:[0,1]
	v_cvt_f32_i32_e32 v14, v32
	v_add_f32_e32 v11, v33, v11
	v_add_f32_e32 v10, v10, v11
	;; [unrolled: 1-line block ×4, first 2 shown]
	v_sub_f32_e32 v11, v15, v37
	v_mul_f32_e32 v10, v35, v10
	v_sub_f32_e32 v11, v36, v11
	v_add_f32_e32 v10, v11, v10
	v_add_f32_e32 v16, v15, v10
	v_mul_f32_e32 v28, v16, v16
	v_mov_b32_e32 v11, 0x3ecc95a3
	v_sub_f32_e32 v15, v16, v15
	v_fmac_f32_e32 v11, 0x3e9b6dac, v28
	v_sub_f32_e32 v10, v10, v15
	v_fmaak_f32 v11, v28, v11, 0x3f2aaada
	v_ldexp_f32 v29, v10, 1
	v_mul_f32_e32 v15, v16, v28
	v_mov_b32_e32 v10, 0x3f317218
	v_pk_mul_f32 v[10:11], v[14:15], v[10:11]
	v_ldexp_f32 v17, v16, 1
	v_fma_f32 v15, v14, s3, -v10
	v_fmamk_f32 v16, v14, 0xb102e308, v15
	v_pk_add_f32 v[14:15], v[10:11], v[16:17]
	v_mov_b32_e32 v28, v10
	v_sub_f32_e32 v17, v15, v17
	v_sub_f32_e32 v17, v11, v17
	v_add_f32_e32 v29, v29, v17
	v_pk_add_f32 v[10:11], v[14:15], v[10:11] neg_lo:[0,1] neg_hi:[0,1]
	v_pk_add_f32 v[32:33], v[14:15], v[28:29]
	v_mov_b32_e32 v17, v14
	v_mov_b32_e32 v11, v33
	v_pk_add_f32 v[34:35], v[16:17], v[10:11] neg_lo:[0,1] neg_hi:[0,1]
	v_pk_add_f32 v[10:11], v[16:17], v[10:11]
	v_mov_b32_e32 v28, v29
	v_pk_add_f32 v[16:17], v[10:11], v[14:15] op_sel:[1,0] op_sel_hi:[0,1] neg_lo:[0,1] neg_hi:[0,1]
	v_pk_add_f32 v[36:37], v[32:33], v[16:17] op_sel_hi:[1,0] neg_lo:[0,1] neg_hi:[0,1]
	v_mov_b32_e32 v32, v33
	v_mov_b32_e32 v33, v11
	v_pk_mov_b32 v[16:17], v[14:15], v[16:17] op_sel:[1,0]
	v_mov_b32_e32 v29, v14
	v_pk_add_f32 v[16:17], v[32:33], v[16:17] neg_lo:[0,1] neg_hi:[0,1]
	v_mov_b32_e32 v36, v34
	v_pk_add_f32 v[14:15], v[28:29], v[16:17] neg_lo:[0,1] neg_hi:[0,1]
	v_mov_b32_e32 v35, v11
	v_pk_add_f32 v[16:17], v[36:37], v[14:15]
	s_mov_b32 s3, 0x33800000
	v_pk_add_f32 v[28:29], v[16:17], v[16:17] op_sel:[0,1] op_sel_hi:[1,0]
	s_nop 0
	v_pk_add_f32 v[10:11], v[10:11], v[28:29] op_sel:[1,0] op_sel_hi:[0,1]
	v_mov_b32_e32 v17, v10
	v_pk_add_f32 v[32:33], v[16:17], v[34:35] neg_lo:[0,1] neg_hi:[0,1]
	v_mov_b32_e32 v15, v28
	v_sub_f32_e32 v11, v16, v32
	v_pk_add_f32 v[14:15], v[14:15], v[32:33] neg_lo:[0,1] neg_hi:[0,1]
	v_sub_f32_e32 v11, v34, v11
	v_add_f32_e32 v11, v14, v11
	v_add_f32_e32 v11, v11, v15
	;; [unrolled: 1-line block ×3, first 2 shown]
	v_cndmask_b32_e32 v10, v12, v10, vcc
	v_cmp_lt_f32_e64 vcc, |v30|, s3
	s_nop 1
	v_cndmask_b32_e32 v10, v10, v30, vcc
	v_add_f32_e32 v10, v13, v10
	v_cvt_f16_f32_e32 v11, v10
	v_cvt_f32_f16_e32 v12, v11
	v_mov_b32_e32 v10, v11
.LBB351_53:
	s_or_b64 exec, exec, s[22:23]
	v_cvt_f32_f16_sdwa v28, v5 dst_sel:DWORD dst_unused:UNUSED_PAD src0_sel:WORD_1
	v_max_f32_e32 v13, v12, v12
	v_cmp_u_f16_e32 vcc, v11, v11
	v_cmp_u_f16_sdwa s[22:23], v5, v5 src0_sel:WORD_1 src1_sel:WORD_1
	v_min_f32_e32 v14, v13, v28
	v_max_f32_e32 v13, v13, v28
	v_cndmask_b32_e32 v14, v14, v12, vcc
	v_cndmask_b32_e32 v13, v13, v12, vcc
	v_cndmask_b32_e64 v14, v14, v28, s[22:23]
	v_cndmask_b32_e64 v13, v13, v28, s[22:23]
	s_movk_i32 s3, 0x1f8
	v_cmp_neq_f32_e32 vcc, v14, v13
	v_cmp_class_f32_e64 s[24:25], v14, s3
	s_or_b64 s[26:27], vcc, s[24:25]
	s_and_saveexec_b64 s[24:25], s[26:27]
	s_cbranch_execz .LBB351_55
; %bb.54:
	v_sub_f32_e32 v10, v14, v13
	s_mov_b32 s26, 0x3fb8aa3b
	v_mul_f32_e32 v11, 0x3fb8aa3b, v10
	v_fma_f32 v12, v10, s26, -v11
	v_rndne_f32_e32 v14, v11
	v_fmamk_f32 v12, v10, 0x32a5705f, v12
	v_sub_f32_e32 v11, v11, v14
	v_add_f32_e32 v11, v11, v12
	v_exp_f32_e32 v11, v11
	v_cvt_i32_f32_e32 v12, v14
	s_mov_b32 s26, 0xc2ce8ed0
	v_cmp_ngt_f32_e32 vcc, s26, v10
	s_mov_b32 s26, 0x42b17218
	v_ldexp_f32 v11, v11, v12
	v_cndmask_b32_e32 v11, 0, v11, vcc
	v_mov_b32_e32 v12, 0x7f800000
	v_cmp_nlt_f32_e32 vcc, s26, v10
	s_mov_b32 s26, 0x3f2aaaab
	s_mov_b32 s27, 0x7f800000
	v_cndmask_b32_e32 v29, v12, v11, vcc
	v_add_f32_e32 v14, 1.0, v29
	v_add_f32_e32 v10, -1.0, v14
	v_sub_f32_e32 v11, v10, v14
	v_add_f32_e32 v11, 1.0, v11
	v_sub_f32_e32 v10, v29, v10
	v_add_f32_e32 v15, v10, v11
	v_frexp_mant_f32_e32 v16, v14
	v_cvt_f64_f32_e32 v[10:11], v14
	v_frexp_exp_i32_f64_e32 v10, v[10:11]
	v_cmp_gt_f32_e32 vcc, s26, v16
	s_mov_b32 s26, 0x3f317218
	s_nop 0
	v_subbrev_co_u32_e32 v30, vcc, 0, v10, vcc
	v_sub_u32_e32 v10, 0, v30
	v_ldexp_f32 v11, v14, v10
	v_add_f32_e32 v14, -1.0, v11
	v_add_f32_e32 v16, 1.0, v11
	v_ldexp_f32 v10, v15, v10
	v_add_f32_e32 v15, 1.0, v14
	v_add_f32_e32 v17, -1.0, v16
	v_sub_f32_e32 v15, v11, v15
	v_sub_f32_e32 v11, v11, v17
	v_add_f32_e32 v15, v10, v15
	v_add_f32_e32 v10, v10, v11
	;; [unrolled: 1-line block ×3, first 2 shown]
	v_rcp_f32_e32 v36, v34
	v_sub_f32_e32 v11, v16, v34
	v_add_f32_e32 v35, v10, v11
	v_add_f32_e32 v11, v14, v15
	v_mul_f32_e32 v38, v11, v36
	v_sub_f32_e32 v10, v14, v11
	v_mul_f32_e32 v14, v34, v38
	v_fma_f32 v16, v38, v34, -v14
	v_fmac_f32_e32 v16, v38, v35
	v_add_f32_e32 v37, v15, v10
	v_add_f32_e32 v10, v14, v16
	v_sub_f32_e32 v15, v11, v10
	v_pk_add_f32 v[32:33], v[10:11], v[14:15] neg_lo:[0,1] neg_hi:[0,1]
	v_mov_b32_e32 v17, v10
	v_pk_add_f32 v[10:11], v[32:33], v[16:17] neg_lo:[0,1] neg_hi:[0,1]
	v_cmp_neq_f32_e32 vcc, s27, v29
	v_add_f32_e32 v11, v37, v11
	v_add_f32_e32 v10, v10, v11
	;; [unrolled: 1-line block ×3, first 2 shown]
	v_mul_f32_e32 v37, v36, v11
	v_mul_f32_e32 v14, v34, v37
	v_fma_f32 v16, v37, v34, -v14
	v_fmac_f32_e32 v16, v37, v35
	v_sub_f32_e32 v15, v15, v11
	v_add_f32_e32 v34, v10, v15
	v_add_f32_e32 v10, v14, v16
	v_sub_f32_e32 v15, v11, v10
	v_pk_add_f32 v[32:33], v[10:11], v[14:15] neg_lo:[0,1] neg_hi:[0,1]
	v_mov_b32_e32 v17, v10
	v_pk_add_f32 v[10:11], v[32:33], v[16:17] neg_lo:[0,1] neg_hi:[0,1]
	v_cvt_f32_i32_e32 v14, v30
	v_add_f32_e32 v11, v34, v11
	v_add_f32_e32 v10, v10, v11
	v_add_f32_e32 v10, v15, v10
	v_add_f32_e32 v15, v38, v37
	v_sub_f32_e32 v11, v15, v38
	v_mul_f32_e32 v10, v36, v10
	v_sub_f32_e32 v11, v37, v11
	v_add_f32_e32 v10, v11, v10
	v_add_f32_e32 v16, v15, v10
	v_mul_f32_e32 v32, v16, v16
	v_mov_b32_e32 v11, 0x3ecc95a3
	v_sub_f32_e32 v15, v16, v15
	v_fmac_f32_e32 v11, 0x3e9b6dac, v32
	v_sub_f32_e32 v10, v10, v15
	v_fmaak_f32 v11, v32, v11, 0x3f2aaada
	v_ldexp_f32 v30, v10, 1
	v_mul_f32_e32 v15, v16, v32
	v_mov_b32_e32 v10, 0x3f317218
	v_pk_mul_f32 v[10:11], v[14:15], v[10:11]
	v_ldexp_f32 v17, v16, 1
	v_fma_f32 v15, v14, s26, -v10
	v_fmamk_f32 v16, v14, 0xb102e308, v15
	v_pk_add_f32 v[14:15], v[10:11], v[16:17]
	v_mov_b32_e32 v32, v10
	v_sub_f32_e32 v17, v15, v17
	v_sub_f32_e32 v17, v11, v17
	v_add_f32_e32 v33, v30, v17
	v_pk_add_f32 v[10:11], v[14:15], v[10:11] neg_lo:[0,1] neg_hi:[0,1]
	v_pk_add_f32 v[34:35], v[14:15], v[32:33]
	v_mov_b32_e32 v17, v14
	v_mov_b32_e32 v11, v35
	v_pk_add_f32 v[36:37], v[16:17], v[10:11] neg_lo:[0,1] neg_hi:[0,1]
	v_pk_add_f32 v[10:11], v[16:17], v[10:11]
	v_mov_b32_e32 v32, v33
	v_pk_add_f32 v[16:17], v[10:11], v[14:15] op_sel:[1,0] op_sel_hi:[0,1] neg_lo:[0,1] neg_hi:[0,1]
	v_pk_add_f32 v[38:39], v[34:35], v[16:17] op_sel_hi:[1,0] neg_lo:[0,1] neg_hi:[0,1]
	v_mov_b32_e32 v34, v35
	v_mov_b32_e32 v35, v11
	v_pk_mov_b32 v[16:17], v[14:15], v[16:17] op_sel:[1,0]
	v_mov_b32_e32 v33, v14
	v_pk_add_f32 v[16:17], v[34:35], v[16:17] neg_lo:[0,1] neg_hi:[0,1]
	v_mov_b32_e32 v38, v36
	v_pk_add_f32 v[14:15], v[32:33], v[16:17] neg_lo:[0,1] neg_hi:[0,1]
	v_mov_b32_e32 v37, v11
	v_pk_add_f32 v[16:17], v[38:39], v[14:15]
	s_mov_b32 s26, 0x33800000
	v_pk_add_f32 v[32:33], v[16:17], v[16:17] op_sel:[0,1] op_sel_hi:[1,0]
	s_nop 0
	v_pk_add_f32 v[10:11], v[10:11], v[32:33] op_sel:[1,0] op_sel_hi:[0,1]
	v_mov_b32_e32 v17, v10
	v_pk_add_f32 v[34:35], v[16:17], v[36:37] neg_lo:[0,1] neg_hi:[0,1]
	v_mov_b32_e32 v15, v32
	v_sub_f32_e32 v11, v16, v34
	v_pk_add_f32 v[14:15], v[14:15], v[34:35] neg_lo:[0,1] neg_hi:[0,1]
	v_sub_f32_e32 v11, v36, v11
	v_add_f32_e32 v11, v14, v11
	v_add_f32_e32 v11, v11, v15
	;; [unrolled: 1-line block ×3, first 2 shown]
	v_cndmask_b32_e32 v10, v12, v10, vcc
	v_cmp_lt_f32_e64 vcc, |v29|, s26
	s_nop 1
	v_cndmask_b32_e32 v10, v10, v29, vcc
	v_add_f32_e32 v10, v13, v10
	v_cvt_f16_f32_e32 v11, v10
	v_cvt_f32_f16_e32 v12, v11
	v_mov_b32_e32 v10, v11
.LBB351_55:
	s_or_b64 exec, exec, s[24:25]
	v_cvt_f32_f16_e32 v29, v18
	v_max_f32_e32 v13, v12, v12
	v_cmp_u_f16_e32 vcc, v11, v11
	v_cmp_u_f16_e64 s[24:25], v18, v18
	v_min_f32_e32 v14, v13, v29
	v_max_f32_e32 v13, v13, v29
	v_cndmask_b32_e32 v14, v14, v12, vcc
	v_cndmask_b32_e32 v13, v13, v12, vcc
	v_cndmask_b32_e64 v14, v14, v29, s[24:25]
	v_cndmask_b32_e64 v13, v13, v29, s[24:25]
	v_cmp_neq_f32_e32 vcc, v14, v13
	v_cmp_class_f32_e64 s[26:27], v14, s3
	s_or_b64 s[30:31], vcc, s[26:27]
	s_and_saveexec_b64 s[26:27], s[30:31]
	s_cbranch_execz .LBB351_57
; %bb.56:
	v_sub_f32_e32 v10, v14, v13
	s_mov_b32 s3, 0x3fb8aa3b
	v_mul_f32_e32 v11, 0x3fb8aa3b, v10
	v_fma_f32 v12, v10, s3, -v11
	v_rndne_f32_e32 v14, v11
	v_fmamk_f32 v12, v10, 0x32a5705f, v12
	v_sub_f32_e32 v11, v11, v14
	v_add_f32_e32 v11, v11, v12
	v_exp_f32_e32 v11, v11
	v_cvt_i32_f32_e32 v12, v14
	s_mov_b32 s3, 0xc2ce8ed0
	v_cmp_ngt_f32_e32 vcc, s3, v10
	s_mov_b32 s3, 0x42b17218
	v_ldexp_f32 v11, v11, v12
	v_cndmask_b32_e32 v11, 0, v11, vcc
	v_mov_b32_e32 v12, 0x7f800000
	v_cmp_nlt_f32_e32 vcc, s3, v10
	s_mov_b32 s3, 0x3f2aaaab
	s_mov_b32 s30, 0x7f800000
	v_cndmask_b32_e32 v30, v12, v11, vcc
	v_add_f32_e32 v14, 1.0, v30
	v_add_f32_e32 v10, -1.0, v14
	v_sub_f32_e32 v11, v10, v14
	v_add_f32_e32 v11, 1.0, v11
	v_sub_f32_e32 v10, v30, v10
	v_add_f32_e32 v15, v10, v11
	v_frexp_mant_f32_e32 v16, v14
	v_cvt_f64_f32_e32 v[10:11], v14
	v_frexp_exp_i32_f64_e32 v10, v[10:11]
	v_cmp_gt_f32_e32 vcc, s3, v16
	s_mov_b32 s3, 0x3f317218
	s_nop 0
	v_subbrev_co_u32_e32 v34, vcc, 0, v10, vcc
	v_sub_u32_e32 v10, 0, v34
	v_ldexp_f32 v11, v14, v10
	v_add_f32_e32 v14, -1.0, v11
	v_add_f32_e32 v16, 1.0, v11
	v_ldexp_f32 v10, v15, v10
	v_add_f32_e32 v15, 1.0, v14
	v_add_f32_e32 v17, -1.0, v16
	v_sub_f32_e32 v15, v11, v15
	v_sub_f32_e32 v11, v11, v17
	v_add_f32_e32 v15, v10, v15
	v_add_f32_e32 v10, v10, v11
	;; [unrolled: 1-line block ×3, first 2 shown]
	v_rcp_f32_e32 v37, v35
	v_sub_f32_e32 v11, v16, v35
	v_add_f32_e32 v36, v10, v11
	v_add_f32_e32 v11, v14, v15
	v_mul_f32_e32 v39, v11, v37
	v_sub_f32_e32 v10, v14, v11
	v_mul_f32_e32 v14, v35, v39
	v_fma_f32 v16, v39, v35, -v14
	v_fmac_f32_e32 v16, v39, v36
	v_add_f32_e32 v38, v15, v10
	v_add_f32_e32 v10, v14, v16
	v_sub_f32_e32 v15, v11, v10
	v_pk_add_f32 v[32:33], v[10:11], v[14:15] neg_lo:[0,1] neg_hi:[0,1]
	v_mov_b32_e32 v17, v10
	v_pk_add_f32 v[10:11], v[32:33], v[16:17] neg_lo:[0,1] neg_hi:[0,1]
	v_cmp_neq_f32_e32 vcc, s30, v30
	v_add_f32_e32 v11, v38, v11
	v_add_f32_e32 v10, v10, v11
	;; [unrolled: 1-line block ×3, first 2 shown]
	v_mul_f32_e32 v38, v37, v11
	v_mul_f32_e32 v14, v35, v38
	v_fma_f32 v16, v38, v35, -v14
	v_fmac_f32_e32 v16, v38, v36
	v_sub_f32_e32 v15, v15, v11
	v_add_f32_e32 v35, v10, v15
	v_add_f32_e32 v10, v14, v16
	v_sub_f32_e32 v15, v11, v10
	v_pk_add_f32 v[32:33], v[10:11], v[14:15] neg_lo:[0,1] neg_hi:[0,1]
	v_mov_b32_e32 v17, v10
	v_pk_add_f32 v[10:11], v[32:33], v[16:17] neg_lo:[0,1] neg_hi:[0,1]
	v_cvt_f32_i32_e32 v14, v34
	v_add_f32_e32 v11, v35, v11
	v_add_f32_e32 v10, v10, v11
	;; [unrolled: 1-line block ×4, first 2 shown]
	v_sub_f32_e32 v11, v15, v39
	v_mul_f32_e32 v10, v37, v10
	v_sub_f32_e32 v11, v38, v11
	v_add_f32_e32 v10, v11, v10
	v_add_f32_e32 v16, v15, v10
	v_mul_f32_e32 v32, v16, v16
	v_mov_b32_e32 v11, 0x3ecc95a3
	v_sub_f32_e32 v15, v16, v15
	v_fmac_f32_e32 v11, 0x3e9b6dac, v32
	v_sub_f32_e32 v10, v10, v15
	v_fmaak_f32 v11, v32, v11, 0x3f2aaada
	v_ldexp_f32 v33, v10, 1
	v_mul_f32_e32 v15, v16, v32
	v_mov_b32_e32 v10, 0x3f317218
	v_pk_mul_f32 v[10:11], v[14:15], v[10:11]
	v_ldexp_f32 v17, v16, 1
	v_fma_f32 v15, v14, s3, -v10
	v_fmamk_f32 v16, v14, 0xb102e308, v15
	v_pk_add_f32 v[14:15], v[10:11], v[16:17]
	v_mov_b32_e32 v32, v10
	v_sub_f32_e32 v17, v15, v17
	v_sub_f32_e32 v17, v11, v17
	v_add_f32_e32 v33, v33, v17
	v_pk_add_f32 v[10:11], v[14:15], v[10:11] neg_lo:[0,1] neg_hi:[0,1]
	v_pk_add_f32 v[34:35], v[14:15], v[32:33]
	v_mov_b32_e32 v17, v14
	v_mov_b32_e32 v11, v35
	v_pk_add_f32 v[36:37], v[16:17], v[10:11] neg_lo:[0,1] neg_hi:[0,1]
	v_pk_add_f32 v[10:11], v[16:17], v[10:11]
	v_mov_b32_e32 v32, v33
	v_pk_add_f32 v[16:17], v[10:11], v[14:15] op_sel:[1,0] op_sel_hi:[0,1] neg_lo:[0,1] neg_hi:[0,1]
	v_pk_add_f32 v[38:39], v[34:35], v[16:17] op_sel_hi:[1,0] neg_lo:[0,1] neg_hi:[0,1]
	v_mov_b32_e32 v34, v35
	v_mov_b32_e32 v35, v11
	v_pk_mov_b32 v[16:17], v[14:15], v[16:17] op_sel:[1,0]
	v_mov_b32_e32 v33, v14
	v_pk_add_f32 v[16:17], v[34:35], v[16:17] neg_lo:[0,1] neg_hi:[0,1]
	v_mov_b32_e32 v38, v36
	v_pk_add_f32 v[14:15], v[32:33], v[16:17] neg_lo:[0,1] neg_hi:[0,1]
	v_mov_b32_e32 v37, v11
	v_pk_add_f32 v[16:17], v[38:39], v[14:15]
	s_mov_b32 s3, 0x33800000
	v_pk_add_f32 v[32:33], v[16:17], v[16:17] op_sel:[0,1] op_sel_hi:[1,0]
	s_nop 0
	v_pk_add_f32 v[10:11], v[10:11], v[32:33] op_sel:[1,0] op_sel_hi:[0,1]
	v_mov_b32_e32 v17, v10
	v_pk_add_f32 v[34:35], v[16:17], v[36:37] neg_lo:[0,1] neg_hi:[0,1]
	v_mov_b32_e32 v15, v32
	v_sub_f32_e32 v11, v16, v34
	v_pk_add_f32 v[14:15], v[14:15], v[34:35] neg_lo:[0,1] neg_hi:[0,1]
	v_sub_f32_e32 v11, v36, v11
	v_add_f32_e32 v11, v14, v11
	v_add_f32_e32 v11, v11, v15
	;; [unrolled: 1-line block ×3, first 2 shown]
	v_cndmask_b32_e32 v10, v12, v10, vcc
	v_cmp_lt_f32_e64 vcc, |v30|, s3
	s_nop 1
	v_cndmask_b32_e32 v10, v10, v30, vcc
	v_add_f32_e32 v10, v13, v10
	v_cvt_f16_f32_e32 v11, v10
	v_cvt_f32_f16_e32 v12, v11
	v_mov_b32_e32 v10, v11
.LBB351_57:
	s_or_b64 exec, exec, s[26:27]
	v_cvt_f32_f16_sdwa v30, v18 dst_sel:DWORD dst_unused:UNUSED_PAD src0_sel:WORD_1
	v_max_f32_e32 v14, v12, v12
	v_cmp_u_f16_e32 vcc, v11, v11
	v_cmp_u_f16_sdwa s[26:27], v18, v18 src0_sel:WORD_1 src1_sel:WORD_1
	v_min_f32_e32 v13, v14, v30
	v_cndmask_b32_e32 v11, v13, v12, vcc
	v_cndmask_b32_e64 v13, v11, v30, s[26:27]
	v_max_f32_e32 v11, v14, v30
	v_cndmask_b32_e32 v11, v11, v12, vcc
	v_cndmask_b32_e64 v11, v11, v30, s[26:27]
	s_movk_i32 s3, 0x1f8
	v_cmp_neq_f32_e32 vcc, v13, v11
	v_cmp_class_f32_e64 s[30:31], v13, s3
	s_or_b64 s[36:37], vcc, s[30:31]
	s_and_saveexec_b64 s[30:31], s[36:37]
	s_cbranch_execz .LBB351_59
; %bb.58:
	v_sub_f32_e32 v10, v13, v11
	s_mov_b32 s3, 0x3fb8aa3b
	v_mul_f32_e32 v12, 0x3fb8aa3b, v10
	v_fma_f32 v13, v10, s3, -v12
	v_rndne_f32_e32 v14, v12
	v_fmamk_f32 v13, v10, 0x32a5705f, v13
	v_sub_f32_e32 v12, v12, v14
	v_add_f32_e32 v12, v12, v13
	v_exp_f32_e32 v12, v12
	v_cvt_i32_f32_e32 v13, v14
	s_mov_b32 s3, 0xc2ce8ed0
	v_cmp_ngt_f32_e32 vcc, s3, v10
	s_mov_b32 s3, 0x42b17218
	v_ldexp_f32 v12, v12, v13
	v_cndmask_b32_e32 v12, 0, v12, vcc
	v_mov_b32_e32 v40, 0x7f800000
	v_cmp_nlt_f32_e32 vcc, s3, v10
	s_mov_b32 s3, 0x3f2aaaab
	s_mov_b32 s36, 0x7f800000
	v_cndmask_b32_e32 v10, v40, v12, vcc
	v_add_f32_e32 v14, 1.0, v10
	v_add_f32_e32 v12, -1.0, v14
	v_sub_f32_e32 v13, v12, v14
	v_add_f32_e32 v13, 1.0, v13
	v_sub_f32_e32 v12, v10, v12
	v_add_f32_e32 v15, v12, v13
	v_frexp_mant_f32_e32 v16, v14
	v_cvt_f64_f32_e32 v[12:13], v14
	v_frexp_exp_i32_f64_e32 v12, v[12:13]
	v_cmp_gt_f32_e32 vcc, s3, v16
	s_mov_b32 s3, 0x3f317218
	s_nop 0
	v_subbrev_co_u32_e32 v34, vcc, 0, v12, vcc
	v_sub_u32_e32 v12, 0, v34
	v_ldexp_f32 v13, v14, v12
	v_add_f32_e32 v14, -1.0, v13
	v_add_f32_e32 v16, 1.0, v13
	v_ldexp_f32 v12, v15, v12
	v_add_f32_e32 v15, 1.0, v14
	v_add_f32_e32 v17, -1.0, v16
	v_sub_f32_e32 v15, v13, v15
	v_sub_f32_e32 v13, v13, v17
	v_add_f32_e32 v15, v12, v15
	v_add_f32_e32 v12, v12, v13
	;; [unrolled: 1-line block ×3, first 2 shown]
	v_rcp_f32_e32 v37, v35
	v_sub_f32_e32 v13, v16, v35
	v_add_f32_e32 v36, v12, v13
	v_add_f32_e32 v13, v14, v15
	v_mul_f32_e32 v39, v13, v37
	v_sub_f32_e32 v12, v14, v13
	v_mul_f32_e32 v14, v35, v39
	v_fma_f32 v16, v39, v35, -v14
	v_fmac_f32_e32 v16, v39, v36
	v_add_f32_e32 v38, v15, v12
	v_add_f32_e32 v12, v14, v16
	v_sub_f32_e32 v15, v13, v12
	v_pk_add_f32 v[32:33], v[12:13], v[14:15] neg_lo:[0,1] neg_hi:[0,1]
	v_mov_b32_e32 v17, v12
	v_pk_add_f32 v[12:13], v[32:33], v[16:17] neg_lo:[0,1] neg_hi:[0,1]
	v_cmp_neq_f32_e32 vcc, s36, v10
	v_add_f32_e32 v13, v38, v13
	v_add_f32_e32 v12, v12, v13
	;; [unrolled: 1-line block ×3, first 2 shown]
	v_mul_f32_e32 v38, v37, v13
	v_mul_f32_e32 v14, v35, v38
	v_fma_f32 v16, v38, v35, -v14
	v_fmac_f32_e32 v16, v38, v36
	v_sub_f32_e32 v15, v15, v13
	v_add_f32_e32 v35, v12, v15
	v_add_f32_e32 v12, v14, v16
	v_sub_f32_e32 v15, v13, v12
	v_pk_add_f32 v[32:33], v[12:13], v[14:15] neg_lo:[0,1] neg_hi:[0,1]
	v_mov_b32_e32 v17, v12
	v_pk_add_f32 v[12:13], v[32:33], v[16:17] neg_lo:[0,1] neg_hi:[0,1]
	v_cvt_f32_i32_e32 v14, v34
	v_add_f32_e32 v13, v35, v13
	v_add_f32_e32 v12, v12, v13
	;; [unrolled: 1-line block ×4, first 2 shown]
	v_sub_f32_e32 v13, v15, v39
	v_mul_f32_e32 v12, v37, v12
	v_sub_f32_e32 v13, v38, v13
	v_add_f32_e32 v12, v13, v12
	v_add_f32_e32 v16, v15, v12
	v_mul_f32_e32 v32, v16, v16
	v_mov_b32_e32 v13, 0x3ecc95a3
	v_sub_f32_e32 v15, v16, v15
	v_fmac_f32_e32 v13, 0x3e9b6dac, v32
	v_sub_f32_e32 v12, v12, v15
	v_fmaak_f32 v13, v32, v13, 0x3f2aaada
	v_ldexp_f32 v33, v12, 1
	v_mul_f32_e32 v15, v16, v32
	v_mov_b32_e32 v12, 0x3f317218
	v_pk_mul_f32 v[12:13], v[14:15], v[12:13]
	v_ldexp_f32 v17, v16, 1
	v_fma_f32 v15, v14, s3, -v12
	v_fmamk_f32 v16, v14, 0xb102e308, v15
	v_pk_add_f32 v[14:15], v[12:13], v[16:17]
	v_mov_b32_e32 v32, v12
	v_sub_f32_e32 v17, v15, v17
	v_sub_f32_e32 v17, v13, v17
	v_add_f32_e32 v33, v33, v17
	v_pk_add_f32 v[12:13], v[14:15], v[12:13] neg_lo:[0,1] neg_hi:[0,1]
	v_pk_add_f32 v[34:35], v[14:15], v[32:33]
	v_mov_b32_e32 v17, v14
	v_mov_b32_e32 v13, v35
	v_pk_add_f32 v[36:37], v[16:17], v[12:13] neg_lo:[0,1] neg_hi:[0,1]
	v_pk_add_f32 v[12:13], v[16:17], v[12:13]
	v_mov_b32_e32 v32, v33
	v_pk_add_f32 v[16:17], v[12:13], v[14:15] op_sel:[1,0] op_sel_hi:[0,1] neg_lo:[0,1] neg_hi:[0,1]
	v_pk_add_f32 v[38:39], v[34:35], v[16:17] op_sel_hi:[1,0] neg_lo:[0,1] neg_hi:[0,1]
	v_mov_b32_e32 v34, v35
	v_mov_b32_e32 v35, v13
	v_pk_mov_b32 v[16:17], v[14:15], v[16:17] op_sel:[1,0]
	v_mov_b32_e32 v33, v14
	v_pk_add_f32 v[16:17], v[34:35], v[16:17] neg_lo:[0,1] neg_hi:[0,1]
	v_mov_b32_e32 v38, v36
	v_pk_add_f32 v[14:15], v[32:33], v[16:17] neg_lo:[0,1] neg_hi:[0,1]
	v_mov_b32_e32 v37, v13
	v_pk_add_f32 v[16:17], v[38:39], v[14:15]
	s_mov_b32 s3, 0x33800000
	v_pk_add_f32 v[32:33], v[16:17], v[16:17] op_sel:[0,1] op_sel_hi:[1,0]
	s_nop 0
	v_pk_add_f32 v[12:13], v[12:13], v[32:33] op_sel:[1,0] op_sel_hi:[0,1]
	v_mov_b32_e32 v17, v12
	v_pk_add_f32 v[34:35], v[16:17], v[36:37] neg_lo:[0,1] neg_hi:[0,1]
	v_mov_b32_e32 v15, v32
	v_sub_f32_e32 v13, v16, v34
	v_pk_add_f32 v[14:15], v[14:15], v[34:35] neg_lo:[0,1] neg_hi:[0,1]
	v_sub_f32_e32 v13, v36, v13
	v_add_f32_e32 v13, v14, v13
	v_add_f32_e32 v13, v13, v15
	;; [unrolled: 1-line block ×3, first 2 shown]
	v_cndmask_b32_e32 v12, v40, v12, vcc
	v_cmp_lt_f32_e64 vcc, |v10|, s3
	s_nop 1
	v_cndmask_b32_e32 v10, v12, v10, vcc
	v_add_f32_e32 v10, v11, v10
	v_cvt_f16_f32_e32 v10, v10
.LBB351_59:
	s_or_b64 exec, exec, s[30:31]
	v_mbcnt_lo_u32_b32 v11, -1, 0
	v_mbcnt_hi_u32_b32 v11, -1, v11
	v_and_b32_e32 v12, 15, v11
	v_and_b32_e32 v13, 0xffff, v10
	v_cmp_ne_u32_e32 vcc, 0, v12
	s_nop 0
	v_mov_b32_dpp v14, v13 row_shr:1 row_mask:0xf bank_mask:0xf
	s_and_saveexec_b64 s[36:37], vcc
	s_cbranch_execz .LBB351_63
; %bb.60:
	v_cvt_f32_f16_e32 v15, v14
	v_cvt_f32_f16_e32 v16, v10
	v_cmp_u_f16_e32 vcc, v14, v14
	v_cmp_u_f16_e64 s[30:31], v10, v10
	s_movk_i32 s3, 0x1f8
	v_min_f32_e32 v13, v15, v16
	v_max_f32_e32 v10, v15, v16
	v_cndmask_b32_e32 v13, v13, v15, vcc
	v_cndmask_b32_e32 v10, v10, v15, vcc
	v_cndmask_b32_e64 v13, v13, v16, s[30:31]
	v_cndmask_b32_e64 v10, v10, v16, s[30:31]
	v_cmp_neq_f32_e32 vcc, v13, v10
	v_cmp_class_f32_e64 s[30:31], v13, s3
	s_or_b64 s[44:45], vcc, s[30:31]
	s_and_saveexec_b64 s[30:31], s[44:45]
	s_cbranch_execz .LBB351_62
; %bb.61:
	v_sub_f32_e32 v13, v13, v10
	s_mov_b32 s3, 0x3fb8aa3b
	v_mul_f32_e32 v14, 0x3fb8aa3b, v13
	v_fma_f32 v15, v13, s3, -v14
	v_rndne_f32_e32 v16, v14
	v_fmamk_f32 v15, v13, 0x32a5705f, v15
	v_sub_f32_e32 v14, v14, v16
	v_add_f32_e32 v14, v14, v15
	v_exp_f32_e32 v14, v14
	v_cvt_i32_f32_e32 v15, v16
	s_mov_b32 s3, 0xc2ce8ed0
	v_cmp_ngt_f32_e32 vcc, s3, v13
	s_mov_b32 s3, 0x42b17218
	v_ldexp_f32 v14, v14, v15
	v_cndmask_b32_e32 v14, 0, v14, vcc
	v_mov_b32_e32 v42, 0x7f800000
	v_cmp_nlt_f32_e32 vcc, s3, v13
	s_mov_b32 s3, 0x3f2aaaab
	s_mov_b32 s44, 0x7f800000
	v_cndmask_b32_e32 v13, v42, v14, vcc
	v_add_f32_e32 v16, 1.0, v13
	v_add_f32_e32 v14, -1.0, v16
	v_sub_f32_e32 v15, v14, v16
	v_add_f32_e32 v15, 1.0, v15
	v_sub_f32_e32 v14, v13, v14
	v_add_f32_e32 v17, v14, v15
	v_frexp_mant_f32_e32 v32, v16
	v_cvt_f64_f32_e32 v[14:15], v16
	v_frexp_exp_i32_f64_e32 v14, v[14:15]
	v_cmp_gt_f32_e32 vcc, s3, v32
	s_mov_b32 s3, 0x3f317218
	s_nop 0
	v_subbrev_co_u32_e32 v36, vcc, 0, v14, vcc
	v_sub_u32_e32 v14, 0, v36
	v_ldexp_f32 v15, v16, v14
	v_add_f32_e32 v16, -1.0, v15
	v_add_f32_e32 v32, 1.0, v15
	v_ldexp_f32 v14, v17, v14
	v_add_f32_e32 v17, 1.0, v16
	v_add_f32_e32 v33, -1.0, v32
	v_sub_f32_e32 v17, v15, v17
	v_sub_f32_e32 v15, v15, v33
	v_add_f32_e32 v17, v14, v17
	v_add_f32_e32 v14, v14, v15
	;; [unrolled: 1-line block ×3, first 2 shown]
	v_rcp_f32_e32 v39, v37
	v_sub_f32_e32 v15, v32, v37
	v_add_f32_e32 v38, v14, v15
	v_add_f32_e32 v15, v16, v17
	v_mul_f32_e32 v41, v15, v39
	v_sub_f32_e32 v14, v16, v15
	v_mul_f32_e32 v16, v37, v41
	v_fma_f32 v32, v41, v37, -v16
	v_fmac_f32_e32 v32, v41, v38
	v_add_f32_e32 v40, v17, v14
	v_add_f32_e32 v14, v16, v32
	v_sub_f32_e32 v17, v15, v14
	v_pk_add_f32 v[34:35], v[14:15], v[16:17] neg_lo:[0,1] neg_hi:[0,1]
	v_mov_b32_e32 v33, v14
	v_pk_add_f32 v[14:15], v[34:35], v[32:33] neg_lo:[0,1] neg_hi:[0,1]
	v_cmp_neq_f32_e32 vcc, s44, v13
	v_add_f32_e32 v15, v40, v15
	v_add_f32_e32 v14, v14, v15
	;; [unrolled: 1-line block ×3, first 2 shown]
	v_mul_f32_e32 v40, v39, v15
	v_mul_f32_e32 v16, v37, v40
	v_fma_f32 v32, v40, v37, -v16
	v_fmac_f32_e32 v32, v40, v38
	v_sub_f32_e32 v17, v17, v15
	v_add_f32_e32 v37, v14, v17
	v_add_f32_e32 v14, v16, v32
	v_sub_f32_e32 v17, v15, v14
	v_pk_add_f32 v[34:35], v[14:15], v[16:17] neg_lo:[0,1] neg_hi:[0,1]
	v_mov_b32_e32 v33, v14
	v_pk_add_f32 v[14:15], v[34:35], v[32:33] neg_lo:[0,1] neg_hi:[0,1]
	v_cvt_f32_i32_e32 v16, v36
	v_add_f32_e32 v15, v37, v15
	v_add_f32_e32 v14, v14, v15
	;; [unrolled: 1-line block ×4, first 2 shown]
	v_sub_f32_e32 v15, v17, v41
	v_mul_f32_e32 v14, v39, v14
	v_sub_f32_e32 v15, v40, v15
	v_add_f32_e32 v14, v15, v14
	v_add_f32_e32 v32, v17, v14
	v_mul_f32_e32 v34, v32, v32
	v_mov_b32_e32 v15, 0x3ecc95a3
	v_sub_f32_e32 v17, v32, v17
	v_fmac_f32_e32 v15, 0x3e9b6dac, v34
	v_sub_f32_e32 v14, v14, v17
	v_fmaak_f32 v15, v34, v15, 0x3f2aaada
	v_ldexp_f32 v35, v14, 1
	v_mul_f32_e32 v17, v32, v34
	v_mov_b32_e32 v14, 0x3f317218
	v_pk_mul_f32 v[14:15], v[16:17], v[14:15]
	v_ldexp_f32 v33, v32, 1
	v_fma_f32 v17, v16, s3, -v14
	v_fmamk_f32 v32, v16, 0xb102e308, v17
	v_pk_add_f32 v[16:17], v[14:15], v[32:33]
	v_mov_b32_e32 v34, v14
	v_sub_f32_e32 v33, v17, v33
	v_sub_f32_e32 v33, v15, v33
	v_add_f32_e32 v35, v35, v33
	v_pk_add_f32 v[14:15], v[16:17], v[14:15] neg_lo:[0,1] neg_hi:[0,1]
	v_pk_add_f32 v[36:37], v[16:17], v[34:35]
	v_mov_b32_e32 v33, v16
	v_mov_b32_e32 v15, v37
	v_pk_add_f32 v[38:39], v[32:33], v[14:15] neg_lo:[0,1] neg_hi:[0,1]
	v_pk_add_f32 v[14:15], v[32:33], v[14:15]
	v_mov_b32_e32 v34, v35
	v_pk_add_f32 v[32:33], v[14:15], v[16:17] op_sel:[1,0] op_sel_hi:[0,1] neg_lo:[0,1] neg_hi:[0,1]
	v_pk_add_f32 v[40:41], v[36:37], v[32:33] op_sel_hi:[1,0] neg_lo:[0,1] neg_hi:[0,1]
	v_mov_b32_e32 v36, v37
	v_mov_b32_e32 v37, v15
	v_pk_mov_b32 v[32:33], v[16:17], v[32:33] op_sel:[1,0]
	v_mov_b32_e32 v35, v16
	v_pk_add_f32 v[32:33], v[36:37], v[32:33] neg_lo:[0,1] neg_hi:[0,1]
	v_mov_b32_e32 v40, v38
	v_pk_add_f32 v[16:17], v[34:35], v[32:33] neg_lo:[0,1] neg_hi:[0,1]
	v_mov_b32_e32 v39, v15
	v_pk_add_f32 v[32:33], v[40:41], v[16:17]
	s_mov_b32 s3, 0x33800000
	v_pk_add_f32 v[34:35], v[32:33], v[32:33] op_sel:[0,1] op_sel_hi:[1,0]
	s_nop 0
	v_pk_add_f32 v[14:15], v[14:15], v[34:35] op_sel:[1,0] op_sel_hi:[0,1]
	v_mov_b32_e32 v33, v14
	v_pk_add_f32 v[36:37], v[32:33], v[38:39] neg_lo:[0,1] neg_hi:[0,1]
	v_mov_b32_e32 v17, v34
	v_sub_f32_e32 v15, v32, v36
	v_pk_add_f32 v[16:17], v[16:17], v[36:37] neg_lo:[0,1] neg_hi:[0,1]
	v_sub_f32_e32 v15, v38, v15
	v_add_f32_e32 v15, v16, v15
	v_add_f32_e32 v15, v15, v17
	;; [unrolled: 1-line block ×3, first 2 shown]
	v_cndmask_b32_e32 v14, v42, v14, vcc
	v_cmp_lt_f32_e64 vcc, |v13|, s3
	s_nop 1
	v_cndmask_b32_e32 v13, v14, v13, vcc
	v_add_f32_e32 v10, v10, v13
	v_cvt_f16_f32_e32 v14, v10
.LBB351_62:
	s_or_b64 exec, exec, s[30:31]
	v_and_b32_e32 v13, 0xffff, v14
	v_mov_b32_e32 v10, v14
.LBB351_63:
	s_or_b64 exec, exec, s[36:37]
	v_mov_b32_dpp v14, v13 row_shr:2 row_mask:0xf bank_mask:0xf
	v_cmp_lt_u32_e32 vcc, 1, v12
	s_and_saveexec_b64 s[36:37], vcc
	s_cbranch_execz .LBB351_67
; %bb.64:
	v_cvt_f32_f16_e32 v15, v14
	v_cvt_f32_f16_e32 v16, v10
	v_cmp_u_f16_e32 vcc, v14, v14
	v_cmp_u_f16_e64 s[30:31], v10, v10
	s_movk_i32 s3, 0x1f8
	v_min_f32_e32 v13, v15, v16
	v_max_f32_e32 v10, v15, v16
	v_cndmask_b32_e32 v13, v13, v15, vcc
	v_cndmask_b32_e32 v10, v10, v15, vcc
	v_cndmask_b32_e64 v13, v13, v16, s[30:31]
	v_cndmask_b32_e64 v10, v10, v16, s[30:31]
	v_cmp_neq_f32_e32 vcc, v13, v10
	v_cmp_class_f32_e64 s[30:31], v13, s3
	s_or_b64 s[44:45], vcc, s[30:31]
	s_and_saveexec_b64 s[30:31], s[44:45]
	s_cbranch_execz .LBB351_66
; %bb.65:
	v_sub_f32_e32 v13, v13, v10
	s_mov_b32 s3, 0x3fb8aa3b
	v_mul_f32_e32 v14, 0x3fb8aa3b, v13
	v_fma_f32 v15, v13, s3, -v14
	v_rndne_f32_e32 v16, v14
	v_fmamk_f32 v15, v13, 0x32a5705f, v15
	v_sub_f32_e32 v14, v14, v16
	v_add_f32_e32 v14, v14, v15
	v_exp_f32_e32 v14, v14
	v_cvt_i32_f32_e32 v15, v16
	s_mov_b32 s3, 0xc2ce8ed0
	v_cmp_ngt_f32_e32 vcc, s3, v13
	s_mov_b32 s3, 0x42b17218
	v_ldexp_f32 v14, v14, v15
	v_cndmask_b32_e32 v14, 0, v14, vcc
	v_mov_b32_e32 v42, 0x7f800000
	v_cmp_nlt_f32_e32 vcc, s3, v13
	s_mov_b32 s3, 0x3f2aaaab
	s_mov_b32 s44, 0x7f800000
	v_cndmask_b32_e32 v13, v42, v14, vcc
	v_add_f32_e32 v16, 1.0, v13
	v_add_f32_e32 v14, -1.0, v16
	v_sub_f32_e32 v15, v14, v16
	v_add_f32_e32 v15, 1.0, v15
	v_sub_f32_e32 v14, v13, v14
	v_add_f32_e32 v17, v14, v15
	v_frexp_mant_f32_e32 v32, v16
	v_cvt_f64_f32_e32 v[14:15], v16
	v_frexp_exp_i32_f64_e32 v14, v[14:15]
	v_cmp_gt_f32_e32 vcc, s3, v32
	s_mov_b32 s3, 0x3f317218
	s_nop 0
	v_subbrev_co_u32_e32 v36, vcc, 0, v14, vcc
	v_sub_u32_e32 v14, 0, v36
	v_ldexp_f32 v15, v16, v14
	v_add_f32_e32 v16, -1.0, v15
	v_add_f32_e32 v32, 1.0, v15
	v_ldexp_f32 v14, v17, v14
	v_add_f32_e32 v17, 1.0, v16
	v_add_f32_e32 v33, -1.0, v32
	v_sub_f32_e32 v17, v15, v17
	v_sub_f32_e32 v15, v15, v33
	v_add_f32_e32 v17, v14, v17
	v_add_f32_e32 v14, v14, v15
	;; [unrolled: 1-line block ×3, first 2 shown]
	v_rcp_f32_e32 v39, v37
	v_sub_f32_e32 v15, v32, v37
	v_add_f32_e32 v38, v14, v15
	v_add_f32_e32 v15, v16, v17
	v_mul_f32_e32 v41, v15, v39
	v_sub_f32_e32 v14, v16, v15
	v_mul_f32_e32 v16, v37, v41
	v_fma_f32 v32, v41, v37, -v16
	v_fmac_f32_e32 v32, v41, v38
	v_add_f32_e32 v40, v17, v14
	v_add_f32_e32 v14, v16, v32
	v_sub_f32_e32 v17, v15, v14
	v_pk_add_f32 v[34:35], v[14:15], v[16:17] neg_lo:[0,1] neg_hi:[0,1]
	v_mov_b32_e32 v33, v14
	v_pk_add_f32 v[14:15], v[34:35], v[32:33] neg_lo:[0,1] neg_hi:[0,1]
	v_cmp_neq_f32_e32 vcc, s44, v13
	v_add_f32_e32 v15, v40, v15
	v_add_f32_e32 v14, v14, v15
	;; [unrolled: 1-line block ×3, first 2 shown]
	v_mul_f32_e32 v40, v39, v15
	v_mul_f32_e32 v16, v37, v40
	v_fma_f32 v32, v40, v37, -v16
	v_fmac_f32_e32 v32, v40, v38
	v_sub_f32_e32 v17, v17, v15
	v_add_f32_e32 v37, v14, v17
	v_add_f32_e32 v14, v16, v32
	v_sub_f32_e32 v17, v15, v14
	v_pk_add_f32 v[34:35], v[14:15], v[16:17] neg_lo:[0,1] neg_hi:[0,1]
	v_mov_b32_e32 v33, v14
	v_pk_add_f32 v[14:15], v[34:35], v[32:33] neg_lo:[0,1] neg_hi:[0,1]
	v_cvt_f32_i32_e32 v16, v36
	v_add_f32_e32 v15, v37, v15
	v_add_f32_e32 v14, v14, v15
	;; [unrolled: 1-line block ×4, first 2 shown]
	v_sub_f32_e32 v15, v17, v41
	v_mul_f32_e32 v14, v39, v14
	v_sub_f32_e32 v15, v40, v15
	v_add_f32_e32 v14, v15, v14
	v_add_f32_e32 v32, v17, v14
	v_mul_f32_e32 v34, v32, v32
	v_mov_b32_e32 v15, 0x3ecc95a3
	v_sub_f32_e32 v17, v32, v17
	v_fmac_f32_e32 v15, 0x3e9b6dac, v34
	v_sub_f32_e32 v14, v14, v17
	v_fmaak_f32 v15, v34, v15, 0x3f2aaada
	v_ldexp_f32 v35, v14, 1
	v_mul_f32_e32 v17, v32, v34
	v_mov_b32_e32 v14, 0x3f317218
	v_pk_mul_f32 v[14:15], v[16:17], v[14:15]
	v_ldexp_f32 v33, v32, 1
	v_fma_f32 v17, v16, s3, -v14
	v_fmamk_f32 v32, v16, 0xb102e308, v17
	v_pk_add_f32 v[16:17], v[14:15], v[32:33]
	v_mov_b32_e32 v34, v14
	v_sub_f32_e32 v33, v17, v33
	v_sub_f32_e32 v33, v15, v33
	v_add_f32_e32 v35, v35, v33
	v_pk_add_f32 v[14:15], v[16:17], v[14:15] neg_lo:[0,1] neg_hi:[0,1]
	v_pk_add_f32 v[36:37], v[16:17], v[34:35]
	v_mov_b32_e32 v33, v16
	v_mov_b32_e32 v15, v37
	v_pk_add_f32 v[38:39], v[32:33], v[14:15] neg_lo:[0,1] neg_hi:[0,1]
	v_pk_add_f32 v[14:15], v[32:33], v[14:15]
	v_mov_b32_e32 v34, v35
	v_pk_add_f32 v[32:33], v[14:15], v[16:17] op_sel:[1,0] op_sel_hi:[0,1] neg_lo:[0,1] neg_hi:[0,1]
	v_pk_add_f32 v[40:41], v[36:37], v[32:33] op_sel_hi:[1,0] neg_lo:[0,1] neg_hi:[0,1]
	v_mov_b32_e32 v36, v37
	v_mov_b32_e32 v37, v15
	v_pk_mov_b32 v[32:33], v[16:17], v[32:33] op_sel:[1,0]
	v_mov_b32_e32 v35, v16
	v_pk_add_f32 v[32:33], v[36:37], v[32:33] neg_lo:[0,1] neg_hi:[0,1]
	v_mov_b32_e32 v40, v38
	v_pk_add_f32 v[16:17], v[34:35], v[32:33] neg_lo:[0,1] neg_hi:[0,1]
	v_mov_b32_e32 v39, v15
	v_pk_add_f32 v[32:33], v[40:41], v[16:17]
	s_mov_b32 s3, 0x33800000
	v_pk_add_f32 v[34:35], v[32:33], v[32:33] op_sel:[0,1] op_sel_hi:[1,0]
	s_nop 0
	v_pk_add_f32 v[14:15], v[14:15], v[34:35] op_sel:[1,0] op_sel_hi:[0,1]
	v_mov_b32_e32 v33, v14
	v_pk_add_f32 v[36:37], v[32:33], v[38:39] neg_lo:[0,1] neg_hi:[0,1]
	v_mov_b32_e32 v17, v34
	v_sub_f32_e32 v15, v32, v36
	v_pk_add_f32 v[16:17], v[16:17], v[36:37] neg_lo:[0,1] neg_hi:[0,1]
	v_sub_f32_e32 v15, v38, v15
	v_add_f32_e32 v15, v16, v15
	v_add_f32_e32 v15, v15, v17
	;; [unrolled: 1-line block ×3, first 2 shown]
	v_cndmask_b32_e32 v14, v42, v14, vcc
	v_cmp_lt_f32_e64 vcc, |v13|, s3
	s_nop 1
	v_cndmask_b32_e32 v13, v14, v13, vcc
	v_add_f32_e32 v10, v10, v13
	v_cvt_f16_f32_e32 v14, v10
.LBB351_66:
	s_or_b64 exec, exec, s[30:31]
	v_and_b32_e32 v13, 0xffff, v14
	v_mov_b32_e32 v10, v14
.LBB351_67:
	s_or_b64 exec, exec, s[36:37]
	v_mov_b32_dpp v14, v13 row_shr:4 row_mask:0xf bank_mask:0xf
	v_cmp_lt_u32_e32 vcc, 3, v12
	s_and_saveexec_b64 s[36:37], vcc
	s_cbranch_execz .LBB351_71
; %bb.68:
	v_cvt_f32_f16_e32 v15, v14
	v_cvt_f32_f16_e32 v16, v10
	v_cmp_u_f16_e32 vcc, v14, v14
	v_cmp_u_f16_e64 s[30:31], v10, v10
	s_movk_i32 s3, 0x1f8
	v_min_f32_e32 v13, v15, v16
	v_max_f32_e32 v10, v15, v16
	v_cndmask_b32_e32 v13, v13, v15, vcc
	v_cndmask_b32_e32 v10, v10, v15, vcc
	v_cndmask_b32_e64 v13, v13, v16, s[30:31]
	v_cndmask_b32_e64 v10, v10, v16, s[30:31]
	v_cmp_neq_f32_e32 vcc, v13, v10
	v_cmp_class_f32_e64 s[30:31], v13, s3
	s_or_b64 s[44:45], vcc, s[30:31]
	s_and_saveexec_b64 s[30:31], s[44:45]
	s_cbranch_execz .LBB351_70
; %bb.69:
	v_sub_f32_e32 v13, v13, v10
	s_mov_b32 s3, 0x3fb8aa3b
	v_mul_f32_e32 v14, 0x3fb8aa3b, v13
	v_fma_f32 v15, v13, s3, -v14
	v_rndne_f32_e32 v16, v14
	v_fmamk_f32 v15, v13, 0x32a5705f, v15
	v_sub_f32_e32 v14, v14, v16
	v_add_f32_e32 v14, v14, v15
	v_exp_f32_e32 v14, v14
	v_cvt_i32_f32_e32 v15, v16
	s_mov_b32 s3, 0xc2ce8ed0
	v_cmp_ngt_f32_e32 vcc, s3, v13
	s_mov_b32 s3, 0x42b17218
	v_ldexp_f32 v14, v14, v15
	v_cndmask_b32_e32 v14, 0, v14, vcc
	v_mov_b32_e32 v42, 0x7f800000
	v_cmp_nlt_f32_e32 vcc, s3, v13
	s_mov_b32 s3, 0x3f2aaaab
	s_mov_b32 s44, 0x7f800000
	v_cndmask_b32_e32 v13, v42, v14, vcc
	v_add_f32_e32 v16, 1.0, v13
	v_add_f32_e32 v14, -1.0, v16
	v_sub_f32_e32 v15, v14, v16
	v_add_f32_e32 v15, 1.0, v15
	v_sub_f32_e32 v14, v13, v14
	v_add_f32_e32 v17, v14, v15
	v_frexp_mant_f32_e32 v32, v16
	v_cvt_f64_f32_e32 v[14:15], v16
	v_frexp_exp_i32_f64_e32 v14, v[14:15]
	v_cmp_gt_f32_e32 vcc, s3, v32
	s_mov_b32 s3, 0x3f317218
	s_nop 0
	v_subbrev_co_u32_e32 v36, vcc, 0, v14, vcc
	v_sub_u32_e32 v14, 0, v36
	v_ldexp_f32 v15, v16, v14
	v_add_f32_e32 v16, -1.0, v15
	v_add_f32_e32 v32, 1.0, v15
	v_ldexp_f32 v14, v17, v14
	v_add_f32_e32 v17, 1.0, v16
	v_add_f32_e32 v33, -1.0, v32
	v_sub_f32_e32 v17, v15, v17
	v_sub_f32_e32 v15, v15, v33
	v_add_f32_e32 v17, v14, v17
	v_add_f32_e32 v14, v14, v15
	;; [unrolled: 1-line block ×3, first 2 shown]
	v_rcp_f32_e32 v39, v37
	v_sub_f32_e32 v15, v32, v37
	v_add_f32_e32 v38, v14, v15
	v_add_f32_e32 v15, v16, v17
	v_mul_f32_e32 v41, v15, v39
	v_sub_f32_e32 v14, v16, v15
	v_mul_f32_e32 v16, v37, v41
	v_fma_f32 v32, v41, v37, -v16
	v_fmac_f32_e32 v32, v41, v38
	v_add_f32_e32 v40, v17, v14
	v_add_f32_e32 v14, v16, v32
	v_sub_f32_e32 v17, v15, v14
	v_pk_add_f32 v[34:35], v[14:15], v[16:17] neg_lo:[0,1] neg_hi:[0,1]
	v_mov_b32_e32 v33, v14
	v_pk_add_f32 v[14:15], v[34:35], v[32:33] neg_lo:[0,1] neg_hi:[0,1]
	v_cmp_neq_f32_e32 vcc, s44, v13
	v_add_f32_e32 v15, v40, v15
	v_add_f32_e32 v14, v14, v15
	;; [unrolled: 1-line block ×3, first 2 shown]
	v_mul_f32_e32 v40, v39, v15
	v_mul_f32_e32 v16, v37, v40
	v_fma_f32 v32, v40, v37, -v16
	v_fmac_f32_e32 v32, v40, v38
	v_sub_f32_e32 v17, v17, v15
	v_add_f32_e32 v37, v14, v17
	v_add_f32_e32 v14, v16, v32
	v_sub_f32_e32 v17, v15, v14
	v_pk_add_f32 v[34:35], v[14:15], v[16:17] neg_lo:[0,1] neg_hi:[0,1]
	v_mov_b32_e32 v33, v14
	v_pk_add_f32 v[14:15], v[34:35], v[32:33] neg_lo:[0,1] neg_hi:[0,1]
	v_cvt_f32_i32_e32 v16, v36
	v_add_f32_e32 v15, v37, v15
	v_add_f32_e32 v14, v14, v15
	;; [unrolled: 1-line block ×4, first 2 shown]
	v_sub_f32_e32 v15, v17, v41
	v_mul_f32_e32 v14, v39, v14
	v_sub_f32_e32 v15, v40, v15
	v_add_f32_e32 v14, v15, v14
	v_add_f32_e32 v32, v17, v14
	v_mul_f32_e32 v34, v32, v32
	v_mov_b32_e32 v15, 0x3ecc95a3
	v_sub_f32_e32 v17, v32, v17
	v_fmac_f32_e32 v15, 0x3e9b6dac, v34
	v_sub_f32_e32 v14, v14, v17
	v_fmaak_f32 v15, v34, v15, 0x3f2aaada
	v_ldexp_f32 v35, v14, 1
	v_mul_f32_e32 v17, v32, v34
	v_mov_b32_e32 v14, 0x3f317218
	v_pk_mul_f32 v[14:15], v[16:17], v[14:15]
	v_ldexp_f32 v33, v32, 1
	v_fma_f32 v17, v16, s3, -v14
	v_fmamk_f32 v32, v16, 0xb102e308, v17
	v_pk_add_f32 v[16:17], v[14:15], v[32:33]
	v_mov_b32_e32 v34, v14
	v_sub_f32_e32 v33, v17, v33
	v_sub_f32_e32 v33, v15, v33
	v_add_f32_e32 v35, v35, v33
	v_pk_add_f32 v[14:15], v[16:17], v[14:15] neg_lo:[0,1] neg_hi:[0,1]
	v_pk_add_f32 v[36:37], v[16:17], v[34:35]
	v_mov_b32_e32 v33, v16
	v_mov_b32_e32 v15, v37
	v_pk_add_f32 v[38:39], v[32:33], v[14:15] neg_lo:[0,1] neg_hi:[0,1]
	v_pk_add_f32 v[14:15], v[32:33], v[14:15]
	v_mov_b32_e32 v34, v35
	v_pk_add_f32 v[32:33], v[14:15], v[16:17] op_sel:[1,0] op_sel_hi:[0,1] neg_lo:[0,1] neg_hi:[0,1]
	v_pk_add_f32 v[40:41], v[36:37], v[32:33] op_sel_hi:[1,0] neg_lo:[0,1] neg_hi:[0,1]
	v_mov_b32_e32 v36, v37
	v_mov_b32_e32 v37, v15
	v_pk_mov_b32 v[32:33], v[16:17], v[32:33] op_sel:[1,0]
	v_mov_b32_e32 v35, v16
	v_pk_add_f32 v[32:33], v[36:37], v[32:33] neg_lo:[0,1] neg_hi:[0,1]
	v_mov_b32_e32 v40, v38
	v_pk_add_f32 v[16:17], v[34:35], v[32:33] neg_lo:[0,1] neg_hi:[0,1]
	v_mov_b32_e32 v39, v15
	v_pk_add_f32 v[32:33], v[40:41], v[16:17]
	s_mov_b32 s3, 0x33800000
	v_pk_add_f32 v[34:35], v[32:33], v[32:33] op_sel:[0,1] op_sel_hi:[1,0]
	s_nop 0
	v_pk_add_f32 v[14:15], v[14:15], v[34:35] op_sel:[1,0] op_sel_hi:[0,1]
	v_mov_b32_e32 v33, v14
	v_pk_add_f32 v[36:37], v[32:33], v[38:39] neg_lo:[0,1] neg_hi:[0,1]
	v_mov_b32_e32 v17, v34
	v_sub_f32_e32 v15, v32, v36
	v_pk_add_f32 v[16:17], v[16:17], v[36:37] neg_lo:[0,1] neg_hi:[0,1]
	v_sub_f32_e32 v15, v38, v15
	v_add_f32_e32 v15, v16, v15
	v_add_f32_e32 v15, v15, v17
	;; [unrolled: 1-line block ×3, first 2 shown]
	v_cndmask_b32_e32 v14, v42, v14, vcc
	v_cmp_lt_f32_e64 vcc, |v13|, s3
	s_nop 1
	v_cndmask_b32_e32 v13, v14, v13, vcc
	v_add_f32_e32 v10, v10, v13
	v_cvt_f16_f32_e32 v14, v10
.LBB351_70:
	s_or_b64 exec, exec, s[30:31]
	v_and_b32_e32 v13, 0xffff, v14
	v_mov_b32_e32 v10, v14
.LBB351_71:
	s_or_b64 exec, exec, s[36:37]
	v_mov_b32_dpp v14, v13 row_shr:8 row_mask:0xf bank_mask:0xf
	v_cmp_lt_u32_e32 vcc, 7, v12
	s_and_saveexec_b64 s[36:37], vcc
	s_cbranch_execz .LBB351_75
; %bb.72:
	v_cvt_f32_f16_e32 v13, v14
	v_cvt_f32_f16_e32 v15, v10
	v_cmp_u_f16_e32 vcc, v14, v14
	v_cmp_u_f16_e64 s[30:31], v10, v10
	s_movk_i32 s3, 0x1f8
	v_min_f32_e32 v12, v13, v15
	v_max_f32_e32 v10, v13, v15
	v_cndmask_b32_e32 v12, v12, v13, vcc
	v_cndmask_b32_e32 v10, v10, v13, vcc
	v_cndmask_b32_e64 v12, v12, v15, s[30:31]
	v_cndmask_b32_e64 v10, v10, v15, s[30:31]
	v_cmp_neq_f32_e32 vcc, v12, v10
	v_cmp_class_f32_e64 s[30:31], v12, s3
	s_or_b64 s[44:45], vcc, s[30:31]
	s_and_saveexec_b64 s[30:31], s[44:45]
	s_cbranch_execz .LBB351_74
; %bb.73:
	v_sub_f32_e32 v12, v12, v10
	s_mov_b32 s3, 0x3fb8aa3b
	v_mul_f32_e32 v13, 0x3fb8aa3b, v12
	v_fma_f32 v14, v12, s3, -v13
	v_rndne_f32_e32 v15, v13
	v_fmamk_f32 v14, v12, 0x32a5705f, v14
	v_sub_f32_e32 v13, v13, v15
	v_add_f32_e32 v13, v13, v14
	v_exp_f32_e32 v13, v13
	v_cvt_i32_f32_e32 v14, v15
	s_mov_b32 s3, 0xc2ce8ed0
	v_cmp_ngt_f32_e32 vcc, s3, v12
	s_mov_b32 s3, 0x42b17218
	v_ldexp_f32 v13, v13, v14
	v_cndmask_b32_e32 v13, 0, v13, vcc
	v_mov_b32_e32 v40, 0x7f800000
	v_cmp_nlt_f32_e32 vcc, s3, v12
	s_mov_b32 s3, 0x3f2aaaab
	s_mov_b32 s44, 0x7f800000
	v_cndmask_b32_e32 v41, v40, v13, vcc
	v_add_f32_e32 v14, 1.0, v41
	v_add_f32_e32 v12, -1.0, v14
	v_sub_f32_e32 v13, v12, v14
	v_add_f32_e32 v13, 1.0, v13
	v_sub_f32_e32 v12, v41, v12
	v_add_f32_e32 v15, v12, v13
	v_frexp_mant_f32_e32 v16, v14
	v_cvt_f64_f32_e32 v[12:13], v14
	v_frexp_exp_i32_f64_e32 v12, v[12:13]
	v_cmp_gt_f32_e32 vcc, s3, v16
	s_mov_b32 s3, 0x3f317218
	s_nop 0
	v_subbrev_co_u32_e32 v34, vcc, 0, v12, vcc
	v_sub_u32_e32 v12, 0, v34
	v_ldexp_f32 v13, v14, v12
	v_add_f32_e32 v14, -1.0, v13
	v_add_f32_e32 v16, 1.0, v13
	v_ldexp_f32 v12, v15, v12
	v_add_f32_e32 v15, 1.0, v14
	v_add_f32_e32 v17, -1.0, v16
	v_sub_f32_e32 v15, v13, v15
	v_sub_f32_e32 v13, v13, v17
	v_add_f32_e32 v15, v12, v15
	v_add_f32_e32 v12, v12, v13
	;; [unrolled: 1-line block ×3, first 2 shown]
	v_rcp_f32_e32 v37, v35
	v_sub_f32_e32 v13, v16, v35
	v_add_f32_e32 v36, v12, v13
	v_add_f32_e32 v13, v14, v15
	v_mul_f32_e32 v39, v13, v37
	v_sub_f32_e32 v12, v14, v13
	v_mul_f32_e32 v14, v35, v39
	v_fma_f32 v16, v39, v35, -v14
	v_fmac_f32_e32 v16, v39, v36
	v_add_f32_e32 v38, v15, v12
	v_add_f32_e32 v12, v14, v16
	v_sub_f32_e32 v15, v13, v12
	v_pk_add_f32 v[32:33], v[12:13], v[14:15] neg_lo:[0,1] neg_hi:[0,1]
	v_mov_b32_e32 v17, v12
	v_pk_add_f32 v[12:13], v[32:33], v[16:17] neg_lo:[0,1] neg_hi:[0,1]
	v_cmp_neq_f32_e32 vcc, s44, v41
	v_add_f32_e32 v13, v38, v13
	v_add_f32_e32 v12, v12, v13
	;; [unrolled: 1-line block ×3, first 2 shown]
	v_mul_f32_e32 v38, v37, v13
	v_mul_f32_e32 v14, v35, v38
	v_fma_f32 v16, v38, v35, -v14
	v_fmac_f32_e32 v16, v38, v36
	v_sub_f32_e32 v15, v15, v13
	v_add_f32_e32 v35, v12, v15
	v_add_f32_e32 v12, v14, v16
	v_sub_f32_e32 v15, v13, v12
	v_pk_add_f32 v[32:33], v[12:13], v[14:15] neg_lo:[0,1] neg_hi:[0,1]
	v_mov_b32_e32 v17, v12
	v_pk_add_f32 v[12:13], v[32:33], v[16:17] neg_lo:[0,1] neg_hi:[0,1]
	v_cvt_f32_i32_e32 v14, v34
	v_add_f32_e32 v13, v35, v13
	v_add_f32_e32 v12, v12, v13
	;; [unrolled: 1-line block ×4, first 2 shown]
	v_sub_f32_e32 v13, v15, v39
	v_mul_f32_e32 v12, v37, v12
	v_sub_f32_e32 v13, v38, v13
	v_add_f32_e32 v12, v13, v12
	v_add_f32_e32 v16, v15, v12
	v_mul_f32_e32 v32, v16, v16
	v_mov_b32_e32 v13, 0x3ecc95a3
	v_sub_f32_e32 v15, v16, v15
	v_fmac_f32_e32 v13, 0x3e9b6dac, v32
	v_sub_f32_e32 v12, v12, v15
	v_fmaak_f32 v13, v32, v13, 0x3f2aaada
	v_ldexp_f32 v33, v12, 1
	v_mul_f32_e32 v15, v16, v32
	v_mov_b32_e32 v12, 0x3f317218
	v_pk_mul_f32 v[12:13], v[14:15], v[12:13]
	v_ldexp_f32 v17, v16, 1
	v_fma_f32 v15, v14, s3, -v12
	v_fmamk_f32 v16, v14, 0xb102e308, v15
	v_pk_add_f32 v[14:15], v[12:13], v[16:17]
	v_mov_b32_e32 v32, v12
	v_sub_f32_e32 v17, v15, v17
	v_sub_f32_e32 v17, v13, v17
	v_add_f32_e32 v33, v33, v17
	v_pk_add_f32 v[12:13], v[14:15], v[12:13] neg_lo:[0,1] neg_hi:[0,1]
	v_pk_add_f32 v[34:35], v[14:15], v[32:33]
	v_mov_b32_e32 v17, v14
	v_mov_b32_e32 v13, v35
	v_pk_add_f32 v[36:37], v[16:17], v[12:13] neg_lo:[0,1] neg_hi:[0,1]
	v_pk_add_f32 v[12:13], v[16:17], v[12:13]
	v_mov_b32_e32 v32, v33
	v_pk_add_f32 v[16:17], v[12:13], v[14:15] op_sel:[1,0] op_sel_hi:[0,1] neg_lo:[0,1] neg_hi:[0,1]
	v_pk_add_f32 v[38:39], v[34:35], v[16:17] op_sel_hi:[1,0] neg_lo:[0,1] neg_hi:[0,1]
	v_mov_b32_e32 v34, v35
	v_mov_b32_e32 v35, v13
	v_pk_mov_b32 v[16:17], v[14:15], v[16:17] op_sel:[1,0]
	v_mov_b32_e32 v33, v14
	v_pk_add_f32 v[16:17], v[34:35], v[16:17] neg_lo:[0,1] neg_hi:[0,1]
	v_mov_b32_e32 v38, v36
	v_pk_add_f32 v[14:15], v[32:33], v[16:17] neg_lo:[0,1] neg_hi:[0,1]
	v_mov_b32_e32 v37, v13
	v_pk_add_f32 v[16:17], v[38:39], v[14:15]
	s_mov_b32 s3, 0x33800000
	v_pk_add_f32 v[32:33], v[16:17], v[16:17] op_sel:[0,1] op_sel_hi:[1,0]
	s_nop 0
	v_pk_add_f32 v[12:13], v[12:13], v[32:33] op_sel:[1,0] op_sel_hi:[0,1]
	v_mov_b32_e32 v17, v12
	v_pk_add_f32 v[34:35], v[16:17], v[36:37] neg_lo:[0,1] neg_hi:[0,1]
	v_mov_b32_e32 v15, v32
	v_sub_f32_e32 v13, v16, v34
	v_pk_add_f32 v[14:15], v[14:15], v[34:35] neg_lo:[0,1] neg_hi:[0,1]
	v_sub_f32_e32 v13, v36, v13
	v_add_f32_e32 v13, v14, v13
	v_add_f32_e32 v13, v13, v15
	;; [unrolled: 1-line block ×3, first 2 shown]
	v_cndmask_b32_e32 v12, v40, v12, vcc
	v_cmp_lt_f32_e64 vcc, |v41|, s3
	s_nop 1
	v_cndmask_b32_e32 v12, v12, v41, vcc
	v_add_f32_e32 v10, v10, v12
	v_cvt_f16_f32_e32 v14, v10
.LBB351_74:
	s_or_b64 exec, exec, s[30:31]
	v_and_b32_e32 v13, 0xffff, v14
	v_mov_b32_e32 v10, v14
.LBB351_75:
	s_or_b64 exec, exec, s[36:37]
	v_and_b32_e32 v14, 16, v11
	v_mov_b32_dpp v12, v13 row_bcast:15 row_mask:0xf bank_mask:0xf
	v_cmp_ne_u32_e32 vcc, 0, v14
	s_and_saveexec_b64 s[36:37], vcc
	s_cbranch_execz .LBB351_79
; %bb.76:
	v_cvt_f32_f16_e32 v14, v12
	v_cvt_f32_f16_e32 v15, v10
	v_cmp_u_f16_e32 vcc, v12, v12
	v_cmp_u_f16_e64 s[30:31], v10, v10
	s_movk_i32 s3, 0x1f8
	v_min_f32_e32 v13, v14, v15
	v_max_f32_e32 v10, v14, v15
	v_cndmask_b32_e32 v13, v13, v14, vcc
	v_cndmask_b32_e32 v10, v10, v14, vcc
	v_cndmask_b32_e64 v13, v13, v15, s[30:31]
	v_cndmask_b32_e64 v10, v10, v15, s[30:31]
	v_cmp_neq_f32_e32 vcc, v13, v10
	v_cmp_class_f32_e64 s[30:31], v13, s3
	s_or_b64 s[44:45], vcc, s[30:31]
	s_and_saveexec_b64 s[30:31], s[44:45]
	s_cbranch_execz .LBB351_78
; %bb.77:
	v_sub_f32_e32 v12, v13, v10
	s_mov_b32 s3, 0x3fb8aa3b
	v_mul_f32_e32 v13, 0x3fb8aa3b, v12
	v_fma_f32 v14, v12, s3, -v13
	v_rndne_f32_e32 v15, v13
	v_fmamk_f32 v14, v12, 0x32a5705f, v14
	v_sub_f32_e32 v13, v13, v15
	v_add_f32_e32 v13, v13, v14
	v_exp_f32_e32 v13, v13
	v_cvt_i32_f32_e32 v14, v15
	s_mov_b32 s3, 0xc2ce8ed0
	v_cmp_ngt_f32_e32 vcc, s3, v12
	s_mov_b32 s3, 0x42b17218
	v_ldexp_f32 v13, v13, v14
	v_cndmask_b32_e32 v13, 0, v13, vcc
	v_mov_b32_e32 v40, 0x7f800000
	v_cmp_nlt_f32_e32 vcc, s3, v12
	s_mov_b32 s3, 0x3f2aaaab
	s_mov_b32 s44, 0x7f800000
	v_cndmask_b32_e32 v41, v40, v13, vcc
	v_add_f32_e32 v14, 1.0, v41
	v_add_f32_e32 v12, -1.0, v14
	v_sub_f32_e32 v13, v12, v14
	v_add_f32_e32 v13, 1.0, v13
	v_sub_f32_e32 v12, v41, v12
	v_add_f32_e32 v15, v12, v13
	v_frexp_mant_f32_e32 v16, v14
	v_cvt_f64_f32_e32 v[12:13], v14
	v_frexp_exp_i32_f64_e32 v12, v[12:13]
	v_cmp_gt_f32_e32 vcc, s3, v16
	s_mov_b32 s3, 0x3f317218
	s_nop 0
	v_subbrev_co_u32_e32 v34, vcc, 0, v12, vcc
	v_sub_u32_e32 v12, 0, v34
	v_ldexp_f32 v13, v14, v12
	v_add_f32_e32 v14, -1.0, v13
	v_add_f32_e32 v16, 1.0, v13
	v_ldexp_f32 v12, v15, v12
	v_add_f32_e32 v15, 1.0, v14
	v_add_f32_e32 v17, -1.0, v16
	v_sub_f32_e32 v15, v13, v15
	v_sub_f32_e32 v13, v13, v17
	v_add_f32_e32 v15, v12, v15
	v_add_f32_e32 v12, v12, v13
	;; [unrolled: 1-line block ×3, first 2 shown]
	v_rcp_f32_e32 v37, v35
	v_sub_f32_e32 v13, v16, v35
	v_add_f32_e32 v36, v12, v13
	v_add_f32_e32 v13, v14, v15
	v_mul_f32_e32 v39, v13, v37
	v_sub_f32_e32 v12, v14, v13
	v_mul_f32_e32 v14, v35, v39
	v_fma_f32 v16, v39, v35, -v14
	v_fmac_f32_e32 v16, v39, v36
	v_add_f32_e32 v38, v15, v12
	v_add_f32_e32 v12, v14, v16
	v_sub_f32_e32 v15, v13, v12
	v_pk_add_f32 v[32:33], v[12:13], v[14:15] neg_lo:[0,1] neg_hi:[0,1]
	v_mov_b32_e32 v17, v12
	v_pk_add_f32 v[12:13], v[32:33], v[16:17] neg_lo:[0,1] neg_hi:[0,1]
	v_cmp_neq_f32_e32 vcc, s44, v41
	v_add_f32_e32 v13, v38, v13
	v_add_f32_e32 v12, v12, v13
	;; [unrolled: 1-line block ×3, first 2 shown]
	v_mul_f32_e32 v38, v37, v13
	v_mul_f32_e32 v14, v35, v38
	v_fma_f32 v16, v38, v35, -v14
	v_fmac_f32_e32 v16, v38, v36
	v_sub_f32_e32 v15, v15, v13
	v_add_f32_e32 v35, v12, v15
	v_add_f32_e32 v12, v14, v16
	v_sub_f32_e32 v15, v13, v12
	v_pk_add_f32 v[32:33], v[12:13], v[14:15] neg_lo:[0,1] neg_hi:[0,1]
	v_mov_b32_e32 v17, v12
	v_pk_add_f32 v[12:13], v[32:33], v[16:17] neg_lo:[0,1] neg_hi:[0,1]
	v_cvt_f32_i32_e32 v14, v34
	v_add_f32_e32 v13, v35, v13
	v_add_f32_e32 v12, v12, v13
	;; [unrolled: 1-line block ×4, first 2 shown]
	v_sub_f32_e32 v13, v15, v39
	v_mul_f32_e32 v12, v37, v12
	v_sub_f32_e32 v13, v38, v13
	v_add_f32_e32 v12, v13, v12
	v_add_f32_e32 v16, v15, v12
	v_mul_f32_e32 v32, v16, v16
	v_mov_b32_e32 v13, 0x3ecc95a3
	v_sub_f32_e32 v15, v16, v15
	v_fmac_f32_e32 v13, 0x3e9b6dac, v32
	v_sub_f32_e32 v12, v12, v15
	v_fmaak_f32 v13, v32, v13, 0x3f2aaada
	v_ldexp_f32 v33, v12, 1
	v_mul_f32_e32 v15, v16, v32
	v_mov_b32_e32 v12, 0x3f317218
	v_pk_mul_f32 v[12:13], v[14:15], v[12:13]
	v_ldexp_f32 v17, v16, 1
	v_fma_f32 v15, v14, s3, -v12
	v_fmamk_f32 v16, v14, 0xb102e308, v15
	v_pk_add_f32 v[14:15], v[12:13], v[16:17]
	v_mov_b32_e32 v32, v12
	v_sub_f32_e32 v17, v15, v17
	v_sub_f32_e32 v17, v13, v17
	v_add_f32_e32 v33, v33, v17
	v_pk_add_f32 v[12:13], v[14:15], v[12:13] neg_lo:[0,1] neg_hi:[0,1]
	v_pk_add_f32 v[34:35], v[14:15], v[32:33]
	v_mov_b32_e32 v17, v14
	v_mov_b32_e32 v13, v35
	v_pk_add_f32 v[36:37], v[16:17], v[12:13] neg_lo:[0,1] neg_hi:[0,1]
	v_pk_add_f32 v[12:13], v[16:17], v[12:13]
	v_mov_b32_e32 v32, v33
	v_pk_add_f32 v[16:17], v[12:13], v[14:15] op_sel:[1,0] op_sel_hi:[0,1] neg_lo:[0,1] neg_hi:[0,1]
	v_pk_add_f32 v[38:39], v[34:35], v[16:17] op_sel_hi:[1,0] neg_lo:[0,1] neg_hi:[0,1]
	v_mov_b32_e32 v34, v35
	v_mov_b32_e32 v35, v13
	v_pk_mov_b32 v[16:17], v[14:15], v[16:17] op_sel:[1,0]
	v_mov_b32_e32 v33, v14
	v_pk_add_f32 v[16:17], v[34:35], v[16:17] neg_lo:[0,1] neg_hi:[0,1]
	v_mov_b32_e32 v38, v36
	v_pk_add_f32 v[14:15], v[32:33], v[16:17] neg_lo:[0,1] neg_hi:[0,1]
	v_mov_b32_e32 v37, v13
	v_pk_add_f32 v[16:17], v[38:39], v[14:15]
	s_mov_b32 s3, 0x33800000
	v_pk_add_f32 v[32:33], v[16:17], v[16:17] op_sel:[0,1] op_sel_hi:[1,0]
	s_nop 0
	v_pk_add_f32 v[12:13], v[12:13], v[32:33] op_sel:[1,0] op_sel_hi:[0,1]
	v_mov_b32_e32 v17, v12
	v_pk_add_f32 v[34:35], v[16:17], v[36:37] neg_lo:[0,1] neg_hi:[0,1]
	v_mov_b32_e32 v15, v32
	v_sub_f32_e32 v13, v16, v34
	v_pk_add_f32 v[14:15], v[14:15], v[34:35] neg_lo:[0,1] neg_hi:[0,1]
	v_sub_f32_e32 v13, v36, v13
	v_add_f32_e32 v13, v14, v13
	v_add_f32_e32 v13, v13, v15
	;; [unrolled: 1-line block ×3, first 2 shown]
	v_cndmask_b32_e32 v12, v40, v12, vcc
	v_cmp_lt_f32_e64 vcc, |v41|, s3
	s_nop 1
	v_cndmask_b32_e32 v12, v12, v41, vcc
	v_add_f32_e32 v10, v10, v12
	v_cvt_f16_f32_e32 v12, v10
.LBB351_78:
	s_or_b64 exec, exec, s[30:31]
	v_and_b32_e32 v13, 0xffff, v12
	v_mov_b32_e32 v10, v12
.LBB351_79:
	s_or_b64 exec, exec, s[36:37]
	v_mov_b32_dpp v12, v13 row_bcast:31 row_mask:0xf bank_mask:0xf
	v_cmp_lt_u32_e32 vcc, 31, v11
	s_and_saveexec_b64 s[36:37], vcc
	s_cbranch_execz .LBB351_83
; %bb.80:
	v_cvt_f32_f16_e32 v14, v12
	v_cvt_f32_f16_e32 v15, v10
	v_cmp_u_f16_e32 vcc, v12, v12
	v_cmp_u_f16_e64 s[30:31], v10, v10
	s_movk_i32 s3, 0x1f8
	v_min_f32_e32 v13, v14, v15
	v_max_f32_e32 v10, v14, v15
	v_cndmask_b32_e32 v13, v13, v14, vcc
	v_cndmask_b32_e32 v10, v10, v14, vcc
	v_cndmask_b32_e64 v13, v13, v15, s[30:31]
	v_cndmask_b32_e64 v10, v10, v15, s[30:31]
	v_cmp_neq_f32_e32 vcc, v13, v10
	v_cmp_class_f32_e64 s[30:31], v13, s3
	s_or_b64 s[44:45], vcc, s[30:31]
	s_and_saveexec_b64 s[30:31], s[44:45]
	s_cbranch_execz .LBB351_82
; %bb.81:
	v_sub_f32_e32 v12, v13, v10
	s_mov_b32 s3, 0x3fb8aa3b
	v_mul_f32_e32 v13, 0x3fb8aa3b, v12
	v_fma_f32 v14, v12, s3, -v13
	v_rndne_f32_e32 v15, v13
	v_fmamk_f32 v14, v12, 0x32a5705f, v14
	v_sub_f32_e32 v13, v13, v15
	v_add_f32_e32 v13, v13, v14
	v_exp_f32_e32 v13, v13
	v_cvt_i32_f32_e32 v14, v15
	s_mov_b32 s3, 0xc2ce8ed0
	v_cmp_ngt_f32_e32 vcc, s3, v12
	s_mov_b32 s3, 0x42b17218
	v_ldexp_f32 v13, v13, v14
	v_cndmask_b32_e32 v13, 0, v13, vcc
	v_mov_b32_e32 v40, 0x7f800000
	v_cmp_nlt_f32_e32 vcc, s3, v12
	s_mov_b32 s3, 0x3f2aaaab
	s_mov_b32 s44, 0x7f800000
	v_cndmask_b32_e32 v41, v40, v13, vcc
	v_add_f32_e32 v14, 1.0, v41
	v_add_f32_e32 v12, -1.0, v14
	v_sub_f32_e32 v13, v12, v14
	v_add_f32_e32 v13, 1.0, v13
	v_sub_f32_e32 v12, v41, v12
	v_add_f32_e32 v15, v12, v13
	v_frexp_mant_f32_e32 v16, v14
	v_cvt_f64_f32_e32 v[12:13], v14
	v_frexp_exp_i32_f64_e32 v12, v[12:13]
	v_cmp_gt_f32_e32 vcc, s3, v16
	s_mov_b32 s3, 0x3f317218
	s_nop 0
	v_subbrev_co_u32_e32 v34, vcc, 0, v12, vcc
	v_sub_u32_e32 v12, 0, v34
	v_ldexp_f32 v13, v14, v12
	v_add_f32_e32 v14, -1.0, v13
	v_add_f32_e32 v16, 1.0, v13
	v_ldexp_f32 v12, v15, v12
	v_add_f32_e32 v15, 1.0, v14
	v_add_f32_e32 v17, -1.0, v16
	v_sub_f32_e32 v15, v13, v15
	v_sub_f32_e32 v13, v13, v17
	v_add_f32_e32 v15, v12, v15
	v_add_f32_e32 v12, v12, v13
	;; [unrolled: 1-line block ×3, first 2 shown]
	v_rcp_f32_e32 v37, v35
	v_sub_f32_e32 v13, v16, v35
	v_add_f32_e32 v36, v12, v13
	v_add_f32_e32 v13, v14, v15
	v_mul_f32_e32 v39, v13, v37
	v_sub_f32_e32 v12, v14, v13
	v_mul_f32_e32 v14, v35, v39
	v_fma_f32 v16, v39, v35, -v14
	v_fmac_f32_e32 v16, v39, v36
	v_add_f32_e32 v38, v15, v12
	v_add_f32_e32 v12, v14, v16
	v_sub_f32_e32 v15, v13, v12
	v_pk_add_f32 v[32:33], v[12:13], v[14:15] neg_lo:[0,1] neg_hi:[0,1]
	v_mov_b32_e32 v17, v12
	v_pk_add_f32 v[12:13], v[32:33], v[16:17] neg_lo:[0,1] neg_hi:[0,1]
	v_cmp_neq_f32_e32 vcc, s44, v41
	v_add_f32_e32 v13, v38, v13
	v_add_f32_e32 v12, v12, v13
	;; [unrolled: 1-line block ×3, first 2 shown]
	v_mul_f32_e32 v38, v37, v13
	v_mul_f32_e32 v14, v35, v38
	v_fma_f32 v16, v38, v35, -v14
	v_fmac_f32_e32 v16, v38, v36
	v_sub_f32_e32 v15, v15, v13
	v_add_f32_e32 v35, v12, v15
	v_add_f32_e32 v12, v14, v16
	v_sub_f32_e32 v15, v13, v12
	v_pk_add_f32 v[32:33], v[12:13], v[14:15] neg_lo:[0,1] neg_hi:[0,1]
	v_mov_b32_e32 v17, v12
	v_pk_add_f32 v[12:13], v[32:33], v[16:17] neg_lo:[0,1] neg_hi:[0,1]
	v_cvt_f32_i32_e32 v14, v34
	v_add_f32_e32 v13, v35, v13
	v_add_f32_e32 v12, v12, v13
	;; [unrolled: 1-line block ×4, first 2 shown]
	v_sub_f32_e32 v13, v15, v39
	v_mul_f32_e32 v12, v37, v12
	v_sub_f32_e32 v13, v38, v13
	v_add_f32_e32 v12, v13, v12
	v_add_f32_e32 v16, v15, v12
	v_mul_f32_e32 v32, v16, v16
	v_mov_b32_e32 v13, 0x3ecc95a3
	v_sub_f32_e32 v15, v16, v15
	v_fmac_f32_e32 v13, 0x3e9b6dac, v32
	v_sub_f32_e32 v12, v12, v15
	v_fmaak_f32 v13, v32, v13, 0x3f2aaada
	v_ldexp_f32 v33, v12, 1
	v_mul_f32_e32 v15, v16, v32
	v_mov_b32_e32 v12, 0x3f317218
	v_pk_mul_f32 v[12:13], v[14:15], v[12:13]
	v_ldexp_f32 v17, v16, 1
	v_fma_f32 v15, v14, s3, -v12
	v_fmamk_f32 v16, v14, 0xb102e308, v15
	v_pk_add_f32 v[14:15], v[12:13], v[16:17]
	v_mov_b32_e32 v32, v12
	v_sub_f32_e32 v17, v15, v17
	v_sub_f32_e32 v17, v13, v17
	v_add_f32_e32 v33, v33, v17
	v_pk_add_f32 v[12:13], v[14:15], v[12:13] neg_lo:[0,1] neg_hi:[0,1]
	v_pk_add_f32 v[34:35], v[14:15], v[32:33]
	v_mov_b32_e32 v17, v14
	v_mov_b32_e32 v13, v35
	v_pk_add_f32 v[36:37], v[16:17], v[12:13] neg_lo:[0,1] neg_hi:[0,1]
	v_pk_add_f32 v[12:13], v[16:17], v[12:13]
	v_mov_b32_e32 v32, v33
	v_pk_add_f32 v[16:17], v[12:13], v[14:15] op_sel:[1,0] op_sel_hi:[0,1] neg_lo:[0,1] neg_hi:[0,1]
	v_pk_add_f32 v[38:39], v[34:35], v[16:17] op_sel_hi:[1,0] neg_lo:[0,1] neg_hi:[0,1]
	v_mov_b32_e32 v34, v35
	v_mov_b32_e32 v35, v13
	v_pk_mov_b32 v[16:17], v[14:15], v[16:17] op_sel:[1,0]
	v_mov_b32_e32 v33, v14
	v_pk_add_f32 v[16:17], v[34:35], v[16:17] neg_lo:[0,1] neg_hi:[0,1]
	v_mov_b32_e32 v38, v36
	v_pk_add_f32 v[14:15], v[32:33], v[16:17] neg_lo:[0,1] neg_hi:[0,1]
	v_mov_b32_e32 v37, v13
	v_pk_add_f32 v[16:17], v[38:39], v[14:15]
	s_mov_b32 s3, 0x33800000
	v_pk_add_f32 v[32:33], v[16:17], v[16:17] op_sel:[0,1] op_sel_hi:[1,0]
	s_nop 0
	v_pk_add_f32 v[12:13], v[12:13], v[32:33] op_sel:[1,0] op_sel_hi:[0,1]
	v_mov_b32_e32 v17, v12
	v_pk_add_f32 v[34:35], v[16:17], v[36:37] neg_lo:[0,1] neg_hi:[0,1]
	v_mov_b32_e32 v15, v32
	v_sub_f32_e32 v13, v16, v34
	v_pk_add_f32 v[14:15], v[14:15], v[34:35] neg_lo:[0,1] neg_hi:[0,1]
	v_sub_f32_e32 v13, v36, v13
	v_add_f32_e32 v13, v14, v13
	v_add_f32_e32 v13, v13, v15
	;; [unrolled: 1-line block ×3, first 2 shown]
	v_cndmask_b32_e32 v12, v40, v12, vcc
	v_cmp_lt_f32_e64 vcc, |v41|, s3
	s_nop 1
	v_cndmask_b32_e32 v12, v12, v41, vcc
	v_add_f32_e32 v10, v10, v12
	v_cvt_f16_f32_e32 v12, v10
.LBB351_82:
	s_or_b64 exec, exec, s[30:31]
	v_mov_b32_e32 v10, v12
.LBB351_83:
	s_or_b64 exec, exec, s[36:37]
	v_or_b32_e32 v13, 63, v0
	v_lshrrev_b32_e32 v12, 6, v0
	v_cmp_eq_u32_e32 vcc, v0, v13
	s_and_saveexec_b64 s[30:31], vcc
; %bb.84:
	v_lshlrev_b32_e32 v13, 1, v12
	ds_write_b16 v13, v10
; %bb.85:
	s_or_b64 exec, exec, s[30:31]
	v_cmp_gt_u32_e32 vcc, 2, v0
	s_waitcnt lgkmcnt(0)
	s_barrier
	s_and_saveexec_b64 s[36:37], vcc
	s_cbranch_execz .LBB351_91
; %bb.86:
	ds_read_u16 v13, v2
	v_and_b32_e32 v15, 1, v11
	v_cmp_eq_u32_e32 vcc, 1, v15
	s_waitcnt lgkmcnt(0)
	v_and_b32_e32 v14, 0xffff, v13
	s_nop 1
	v_mov_b32_dpp v14, v14 row_shr:1 row_mask:0xf bank_mask:0xf
	s_and_saveexec_b64 s[44:45], vcc
	s_cbranch_execz .LBB351_90
; %bb.87:
	v_cvt_f32_f16_e32 v16, v14
	v_cvt_f32_f16_e32 v17, v13
	v_cmp_u_f16_e32 vcc, v14, v14
	v_cmp_u_f16_e64 s[30:31], v13, v13
	s_movk_i32 s3, 0x1f8
	v_min_f32_e32 v15, v16, v17
	v_max_f32_e32 v13, v16, v17
	v_cndmask_b32_e32 v15, v15, v16, vcc
	v_cndmask_b32_e32 v13, v13, v16, vcc
	v_cndmask_b32_e64 v15, v15, v17, s[30:31]
	v_cndmask_b32_e64 v13, v13, v17, s[30:31]
	v_cmp_neq_f32_e32 vcc, v15, v13
	v_cmp_class_f32_e64 s[30:31], v15, s3
	s_or_b64 s[46:47], vcc, s[30:31]
	s_and_saveexec_b64 s[30:31], s[46:47]
	s_cbranch_execz .LBB351_89
; %bb.88:
	v_sub_f32_e32 v14, v15, v13
	s_mov_b32 s3, 0x3fb8aa3b
	v_mul_f32_e32 v15, 0x3fb8aa3b, v14
	v_fma_f32 v16, v14, s3, -v15
	v_rndne_f32_e32 v17, v15
	v_fmamk_f32 v16, v14, 0x32a5705f, v16
	v_sub_f32_e32 v15, v15, v17
	v_add_f32_e32 v15, v15, v16
	v_exp_f32_e32 v15, v15
	v_cvt_i32_f32_e32 v16, v17
	s_mov_b32 s3, 0xc2ce8ed0
	v_cmp_ngt_f32_e32 vcc, s3, v14
	s_mov_b32 s3, 0x42b17218
	v_ldexp_f32 v15, v15, v16
	v_cndmask_b32_e32 v15, 0, v15, vcc
	v_mov_b32_e32 v42, 0x7f800000
	v_cmp_nlt_f32_e32 vcc, s3, v14
	s_mov_b32 s3, 0x3f2aaaab
	s_mov_b32 s46, 0x7f800000
	v_cndmask_b32_e32 v43, v42, v15, vcc
	v_add_f32_e32 v16, 1.0, v43
	v_add_f32_e32 v14, -1.0, v16
	v_sub_f32_e32 v15, v14, v16
	v_add_f32_e32 v15, 1.0, v15
	v_sub_f32_e32 v14, v43, v14
	v_add_f32_e32 v17, v14, v15
	v_frexp_mant_f32_e32 v32, v16
	v_cvt_f64_f32_e32 v[14:15], v16
	v_frexp_exp_i32_f64_e32 v14, v[14:15]
	v_cmp_gt_f32_e32 vcc, s3, v32
	s_mov_b32 s3, 0x3f317218
	s_nop 0
	v_subbrev_co_u32_e32 v36, vcc, 0, v14, vcc
	v_sub_u32_e32 v14, 0, v36
	v_ldexp_f32 v15, v16, v14
	v_add_f32_e32 v16, -1.0, v15
	v_add_f32_e32 v32, 1.0, v15
	v_ldexp_f32 v14, v17, v14
	v_add_f32_e32 v17, 1.0, v16
	v_add_f32_e32 v33, -1.0, v32
	v_sub_f32_e32 v17, v15, v17
	v_sub_f32_e32 v15, v15, v33
	v_add_f32_e32 v17, v14, v17
	v_add_f32_e32 v14, v14, v15
	;; [unrolled: 1-line block ×3, first 2 shown]
	v_rcp_f32_e32 v39, v37
	v_sub_f32_e32 v15, v32, v37
	v_add_f32_e32 v38, v14, v15
	v_add_f32_e32 v15, v16, v17
	v_mul_f32_e32 v41, v15, v39
	v_sub_f32_e32 v14, v16, v15
	v_mul_f32_e32 v16, v37, v41
	v_fma_f32 v32, v41, v37, -v16
	v_fmac_f32_e32 v32, v41, v38
	v_add_f32_e32 v40, v17, v14
	v_add_f32_e32 v14, v16, v32
	v_sub_f32_e32 v17, v15, v14
	v_pk_add_f32 v[34:35], v[14:15], v[16:17] neg_lo:[0,1] neg_hi:[0,1]
	v_mov_b32_e32 v33, v14
	v_pk_add_f32 v[14:15], v[34:35], v[32:33] neg_lo:[0,1] neg_hi:[0,1]
	v_cmp_neq_f32_e32 vcc, s46, v43
	v_add_f32_e32 v15, v40, v15
	v_add_f32_e32 v14, v14, v15
	;; [unrolled: 1-line block ×3, first 2 shown]
	v_mul_f32_e32 v40, v39, v15
	v_mul_f32_e32 v16, v37, v40
	v_fma_f32 v32, v40, v37, -v16
	v_fmac_f32_e32 v32, v40, v38
	v_sub_f32_e32 v17, v17, v15
	v_add_f32_e32 v37, v14, v17
	v_add_f32_e32 v14, v16, v32
	v_sub_f32_e32 v17, v15, v14
	v_pk_add_f32 v[34:35], v[14:15], v[16:17] neg_lo:[0,1] neg_hi:[0,1]
	v_mov_b32_e32 v33, v14
	v_pk_add_f32 v[14:15], v[34:35], v[32:33] neg_lo:[0,1] neg_hi:[0,1]
	v_cvt_f32_i32_e32 v16, v36
	v_add_f32_e32 v15, v37, v15
	v_add_f32_e32 v14, v14, v15
	;; [unrolled: 1-line block ×4, first 2 shown]
	v_sub_f32_e32 v15, v17, v41
	v_mul_f32_e32 v14, v39, v14
	v_sub_f32_e32 v15, v40, v15
	v_add_f32_e32 v14, v15, v14
	v_add_f32_e32 v32, v17, v14
	v_mul_f32_e32 v34, v32, v32
	v_mov_b32_e32 v15, 0x3ecc95a3
	v_sub_f32_e32 v17, v32, v17
	v_fmac_f32_e32 v15, 0x3e9b6dac, v34
	v_sub_f32_e32 v14, v14, v17
	v_fmaak_f32 v15, v34, v15, 0x3f2aaada
	v_ldexp_f32 v35, v14, 1
	v_mul_f32_e32 v17, v32, v34
	v_mov_b32_e32 v14, 0x3f317218
	v_pk_mul_f32 v[14:15], v[16:17], v[14:15]
	v_ldexp_f32 v33, v32, 1
	v_fma_f32 v17, v16, s3, -v14
	v_fmamk_f32 v32, v16, 0xb102e308, v17
	v_pk_add_f32 v[16:17], v[14:15], v[32:33]
	v_mov_b32_e32 v34, v14
	v_sub_f32_e32 v33, v17, v33
	v_sub_f32_e32 v33, v15, v33
	v_add_f32_e32 v35, v35, v33
	v_pk_add_f32 v[14:15], v[16:17], v[14:15] neg_lo:[0,1] neg_hi:[0,1]
	v_pk_add_f32 v[36:37], v[16:17], v[34:35]
	v_mov_b32_e32 v33, v16
	v_mov_b32_e32 v15, v37
	v_pk_add_f32 v[38:39], v[32:33], v[14:15] neg_lo:[0,1] neg_hi:[0,1]
	v_pk_add_f32 v[14:15], v[32:33], v[14:15]
	v_mov_b32_e32 v34, v35
	v_pk_add_f32 v[32:33], v[14:15], v[16:17] op_sel:[1,0] op_sel_hi:[0,1] neg_lo:[0,1] neg_hi:[0,1]
	v_pk_add_f32 v[40:41], v[36:37], v[32:33] op_sel_hi:[1,0] neg_lo:[0,1] neg_hi:[0,1]
	v_mov_b32_e32 v36, v37
	v_mov_b32_e32 v37, v15
	v_pk_mov_b32 v[32:33], v[16:17], v[32:33] op_sel:[1,0]
	v_mov_b32_e32 v35, v16
	v_pk_add_f32 v[32:33], v[36:37], v[32:33] neg_lo:[0,1] neg_hi:[0,1]
	v_mov_b32_e32 v40, v38
	v_pk_add_f32 v[16:17], v[34:35], v[32:33] neg_lo:[0,1] neg_hi:[0,1]
	v_mov_b32_e32 v39, v15
	v_pk_add_f32 v[32:33], v[40:41], v[16:17]
	s_mov_b32 s3, 0x33800000
	v_pk_add_f32 v[34:35], v[32:33], v[32:33] op_sel:[0,1] op_sel_hi:[1,0]
	s_nop 0
	v_pk_add_f32 v[14:15], v[14:15], v[34:35] op_sel:[1,0] op_sel_hi:[0,1]
	v_mov_b32_e32 v33, v14
	v_pk_add_f32 v[36:37], v[32:33], v[38:39] neg_lo:[0,1] neg_hi:[0,1]
	v_mov_b32_e32 v17, v34
	v_sub_f32_e32 v15, v32, v36
	v_pk_add_f32 v[16:17], v[16:17], v[36:37] neg_lo:[0,1] neg_hi:[0,1]
	v_sub_f32_e32 v15, v38, v15
	v_add_f32_e32 v15, v16, v15
	v_add_f32_e32 v15, v15, v17
	;; [unrolled: 1-line block ×3, first 2 shown]
	v_cndmask_b32_e32 v14, v42, v14, vcc
	v_cmp_lt_f32_e64 vcc, |v43|, s3
	s_nop 1
	v_cndmask_b32_e32 v14, v14, v43, vcc
	v_add_f32_e32 v13, v13, v14
	v_cvt_f16_f32_e32 v14, v13
.LBB351_89:
	s_or_b64 exec, exec, s[30:31]
	v_mov_b32_e32 v13, v14
.LBB351_90:
	s_or_b64 exec, exec, s[44:45]
	ds_write_b16 v2, v13
.LBB351_91:
	s_or_b64 exec, exec, s[36:37]
	v_cmp_gt_u32_e32 vcc, 64, v0
	v_cmp_lt_u32_e64 s[30:31], 63, v0
	s_waitcnt lgkmcnt(0)
	s_barrier
                                        ; implicit-def: $vgpr32
	s_and_saveexec_b64 s[36:37], s[30:31]
	s_cbranch_execz .LBB351_95
; %bb.92:
	v_lshl_add_u32 v12, v12, 1, -2
	ds_read_u16 v32, v12
	v_cvt_f32_f16_e32 v12, v10
	s_movk_i32 s3, 0x1f8
	s_waitcnt lgkmcnt(0)
	v_cvt_f32_f16_e32 v13, v32
	v_cmp_u_f16_e64 s[30:31], v32, v32
	v_min_f32_e32 v14, v13, v12
	v_max_f32_e32 v15, v13, v12
	v_cndmask_b32_e64 v14, v14, v13, s[30:31]
	v_cndmask_b32_e64 v15, v15, v13, s[30:31]
	v_cmp_u_f16_e64 s[30:31], v10, v10
	v_mov_b32_e32 v10, v32
	s_nop 0
	v_cndmask_b32_e64 v13, v14, v12, s[30:31]
	v_cndmask_b32_e64 v12, v15, v12, s[30:31]
	v_cmp_neq_f32_e64 s[30:31], v13, v12
	v_cmp_class_f32_e64 s[44:45], v13, s3
	s_or_b64 s[30:31], s[30:31], s[44:45]
	s_and_saveexec_b64 s[44:45], s[30:31]
	s_cbranch_execz .LBB351_94
; %bb.93:
	v_sub_f32_e32 v10, v13, v12
	s_mov_b32 s3, 0x3fb8aa3b
	v_mul_f32_e32 v13, 0x3fb8aa3b, v10
	v_fma_f32 v14, v10, s3, -v13
	v_rndne_f32_e32 v15, v13
	v_fmamk_f32 v14, v10, 0x32a5705f, v14
	v_sub_f32_e32 v13, v13, v15
	v_add_f32_e32 v13, v13, v14
	v_exp_f32_e32 v13, v13
	v_cvt_i32_f32_e32 v14, v15
	s_mov_b32 s3, 0xc2ce8ed0
	v_cmp_ngt_f32_e64 s[30:31], s3, v10
	s_mov_b32 s3, 0x42b17218
	v_ldexp_f32 v13, v13, v14
	v_cndmask_b32_e64 v13, 0, v13, s[30:31]
	v_mov_b32_e32 v33, 0x7f800000
	v_cmp_nlt_f32_e64 s[30:31], s3, v10
	s_mov_b32 s3, 0x3f2aaaab
	s_mov_b32 s46, 0x7f800000
	v_cndmask_b32_e64 v10, v33, v13, s[30:31]
	v_add_f32_e32 v13, 1.0, v10
	v_add_f32_e32 v14, -1.0, v13
	v_sub_f32_e32 v15, v14, v13
	v_add_f32_e32 v15, 1.0, v15
	v_sub_f32_e32 v14, v10, v14
	v_add_f32_e32 v16, v14, v15
	v_frexp_mant_f32_e32 v17, v13
	v_cvt_f64_f32_e32 v[14:15], v13
	v_frexp_exp_i32_f64_e32 v14, v[14:15]
	v_cmp_gt_f32_e64 s[30:31], s3, v17
	s_mov_b32 s3, 0x3f317218
	s_nop 0
	v_subbrev_co_u32_e64 v38, s[30:31], 0, v14, s[30:31]
	v_sub_u32_e32 v14, 0, v38
	v_ldexp_f32 v13, v13, v14
	v_ldexp_f32 v14, v16, v14
	v_add_f32_e32 v16, -1.0, v13
	v_add_f32_e32 v15, 1.0, v16
	v_sub_f32_e32 v15, v13, v15
	v_add_f32_e32 v17, v14, v15
	v_add_f32_e32 v15, 1.0, v13
	v_add_f32_e32 v34, -1.0, v15
	v_sub_f32_e32 v13, v13, v34
	v_add_f32_e32 v13, v14, v13
	v_add_f32_e32 v39, v15, v13
	v_rcp_f32_e32 v40, v39
	v_sub_f32_e32 v14, v15, v39
	v_add_f32_e32 v15, v16, v17
	v_add_f32_e32 v13, v13, v14
	v_mul_f32_e32 v42, v15, v40
	v_sub_f32_e32 v14, v16, v15
	v_mul_f32_e32 v16, v39, v42
	v_fma_f32 v34, v42, v39, -v16
	v_fmac_f32_e32 v34, v42, v13
	v_add_f32_e32 v41, v17, v14
	v_add_f32_e32 v14, v16, v34
	v_sub_f32_e32 v17, v15, v14
	v_pk_add_f32 v[36:37], v[14:15], v[16:17] neg_lo:[0,1] neg_hi:[0,1]
	v_mov_b32_e32 v35, v14
	v_pk_add_f32 v[14:15], v[36:37], v[34:35] neg_lo:[0,1] neg_hi:[0,1]
	v_cmp_neq_f32_e64 s[30:31], s46, v10
	v_add_f32_e32 v15, v41, v15
	v_add_f32_e32 v14, v14, v15
	v_add_f32_e32 v15, v17, v14
	v_mul_f32_e32 v41, v40, v15
	v_mul_f32_e32 v16, v39, v41
	v_fma_f32 v34, v41, v39, -v16
	v_fmac_f32_e32 v34, v41, v13
	v_sub_f32_e32 v13, v17, v15
	v_add_f32_e32 v13, v14, v13
	v_add_f32_e32 v14, v16, v34
	v_sub_f32_e32 v17, v15, v14
	v_pk_add_f32 v[36:37], v[14:15], v[16:17] neg_lo:[0,1] neg_hi:[0,1]
	v_mov_b32_e32 v35, v14
	v_pk_add_f32 v[14:15], v[36:37], v[34:35] neg_lo:[0,1] neg_hi:[0,1]
	v_cvt_f32_i32_e32 v16, v38
	v_add_f32_e32 v13, v13, v15
	v_add_f32_e32 v13, v14, v13
	;; [unrolled: 1-line block ×4, first 2 shown]
	v_sub_f32_e32 v15, v14, v42
	v_mul_f32_e32 v13, v40, v13
	v_sub_f32_e32 v15, v41, v15
	v_add_f32_e32 v13, v15, v13
	v_add_f32_e32 v17, v14, v13
	v_mul_f32_e32 v34, v17, v17
	v_mov_b32_e32 v15, 0x3ecc95a3
	v_fmac_f32_e32 v15, 0x3e9b6dac, v34
	v_sub_f32_e32 v14, v17, v14
	v_fmaak_f32 v15, v34, v15, 0x3f2aaada
	v_sub_f32_e32 v13, v13, v14
	v_ldexp_f32 v35, v17, 1
	v_mul_f32_e32 v17, v17, v34
	v_mov_b32_e32 v14, 0x3f317218
	v_pk_mul_f32 v[14:15], v[16:17], v[14:15]
	v_ldexp_f32 v13, v13, 1
	v_fma_f32 v17, v16, s3, -v14
	v_fmamk_f32 v34, v16, 0xb102e308, v17
	v_pk_add_f32 v[16:17], v[14:15], v[34:35]
	v_mov_b32_e32 v36, v14
	v_sub_f32_e32 v35, v17, v35
	v_sub_f32_e32 v35, v15, v35
	v_add_f32_e32 v37, v13, v35
	v_pk_add_f32 v[14:15], v[16:17], v[14:15] neg_lo:[0,1] neg_hi:[0,1]
	v_pk_add_f32 v[38:39], v[16:17], v[36:37]
	v_mov_b32_e32 v35, v16
	v_mov_b32_e32 v15, v39
	v_pk_add_f32 v[40:41], v[34:35], v[14:15] neg_lo:[0,1] neg_hi:[0,1]
	v_pk_add_f32 v[14:15], v[34:35], v[14:15]
	v_mov_b32_e32 v36, v37
	v_pk_add_f32 v[34:35], v[14:15], v[16:17] op_sel:[1,0] op_sel_hi:[0,1] neg_lo:[0,1] neg_hi:[0,1]
	v_pk_add_f32 v[42:43], v[38:39], v[34:35] op_sel_hi:[1,0] neg_lo:[0,1] neg_hi:[0,1]
	v_mov_b32_e32 v38, v39
	v_mov_b32_e32 v39, v15
	v_pk_mov_b32 v[34:35], v[16:17], v[34:35] op_sel:[1,0]
	v_mov_b32_e32 v37, v16
	v_pk_add_f32 v[34:35], v[38:39], v[34:35] neg_lo:[0,1] neg_hi:[0,1]
	v_mov_b32_e32 v42, v40
	v_pk_add_f32 v[16:17], v[36:37], v[34:35] neg_lo:[0,1] neg_hi:[0,1]
	v_mov_b32_e32 v41, v15
	v_pk_add_f32 v[34:35], v[42:43], v[16:17]
	s_mov_b32 s3, 0x33800000
	v_pk_add_f32 v[36:37], v[34:35], v[34:35] op_sel:[0,1] op_sel_hi:[1,0]
	s_nop 0
	v_pk_add_f32 v[14:15], v[14:15], v[36:37] op_sel:[1,0] op_sel_hi:[0,1]
	v_mov_b32_e32 v35, v14
	v_pk_add_f32 v[38:39], v[34:35], v[40:41] neg_lo:[0,1] neg_hi:[0,1]
	v_mov_b32_e32 v17, v36
	v_sub_f32_e32 v13, v34, v38
	v_pk_add_f32 v[16:17], v[16:17], v[38:39] neg_lo:[0,1] neg_hi:[0,1]
	v_sub_f32_e32 v13, v40, v13
	v_add_f32_e32 v13, v16, v13
	v_add_f32_e32 v13, v13, v17
	;; [unrolled: 1-line block ×3, first 2 shown]
	v_cndmask_b32_e64 v13, v33, v13, s[30:31]
	v_cmp_lt_f32_e64 s[30:31], |v10|, s3
	s_nop 1
	v_cndmask_b32_e64 v10, v13, v10, s[30:31]
	v_add_f32_e32 v10, v12, v10
	v_cvt_f16_f32_e32 v10, v10
.LBB351_94:
	s_or_b64 exec, exec, s[44:45]
.LBB351_95:
	s_or_b64 exec, exec, s[36:37]
	v_subrev_co_u32_e64 v12, s[30:31], 1, v11
	v_and_b32_e32 v13, 64, v11
	v_cmp_lt_i32_e64 s[36:37], v12, v13
	v_and_b32_e32 v10, 0xffff, v10
	s_nop 0
	v_cndmask_b32_e64 v12, v12, v11, s[36:37]
	v_lshlrev_b32_e32 v12, 2, v12
	ds_bpermute_b32 v33, v12, v10
	s_and_saveexec_b64 s[44:45], vcc
	s_cbranch_execz .LBB351_167
; %bb.96:
	v_mov_b32_e32 v13, 0
	ds_read_u16 v34, v13 offset:2
	s_and_saveexec_b64 s[36:37], s[30:31]
	s_cbranch_execz .LBB351_98
; %bb.97:
	s_add_i32 s46, s2, 64
	s_mov_b32 s47, 0
	s_lshl_b64 s[46:47], s[46:47], 2
	s_add_u32 s46, s54, s46
	s_addc_u32 s47, s55, s47
	s_waitcnt lgkmcnt(0)
	v_or_b32_e32 v10, 0x10000, v34
	global_store_dword v13, v10, s[46:47] sc1
.LBB351_98:
	s_or_b64 exec, exec, s[36:37]
	v_xad_u32 v10, v11, -1, s2
	v_add_u32_e32 v12, 64, v10
	v_lshl_add_u64 v[14:15], v[12:13], 2, s[54:55]
	global_load_dword v52, v[14:15], off sc1
	s_waitcnt vmcnt(0)
	v_lshrrev_b32_e32 v35, 16, v52
	v_cmp_eq_u16_sdwa s[46:47], v35, v13 src0_sel:BYTE_0 src1_sel:DWORD
	s_and_saveexec_b64 s[36:37], s[46:47]
	s_cbranch_execz .LBB351_102
; %bb.99:
	s_mov_b64 s[46:47], 0
	v_mov_b32_e32 v12, 0
.LBB351_100:                            ; =>This Inner Loop Header: Depth=1
	global_load_dword v52, v[14:15], off sc1
	s_waitcnt vmcnt(0)
	v_lshrrev_b32_e32 v35, 16, v52
	v_cmp_ne_u16_sdwa s[48:49], v35, v12 src0_sel:BYTE_0 src1_sel:DWORD
	s_or_b64 s[46:47], s[48:49], s[46:47]
	s_andn2_b64 exec, exec, s[46:47]
	s_cbranch_execnz .LBB351_100
; %bb.101:
	s_or_b64 exec, exec, s[46:47]
.LBB351_102:
	s_or_b64 exec, exec, s[36:37]
	v_and_b32_e32 v36, 63, v11
	v_mov_b32_e32 v12, 2
	v_cmp_ne_u32_e32 vcc, 63, v36
	v_cmp_eq_u16_sdwa s[36:37], v35, v12 src0_sel:BYTE_0 src1_sel:DWORD
	v_lshlrev_b64 v[12:13], v11, -1
	v_addc_co_u32_e32 v15, vcc, 0, v11, vcc
	v_and_b32_e32 v14, s37, v13
	v_lshlrev_b32_e32 v37, 2, v15
	v_and_b32_e32 v15, 0xffff, v52
	v_or_b32_e32 v14, 0x80000000, v14
	ds_bpermute_b32 v16, v37, v15
	v_and_b32_e32 v17, s36, v12
	v_ffbl_b32_e32 v14, v14
	v_add_u32_e32 v14, 32, v14
	v_ffbl_b32_e32 v17, v17
	v_min_u32_e32 v14, v17, v14
	v_cmp_lt_u32_e32 vcc, v36, v14
	s_and_saveexec_b64 s[46:47], vcc
	s_cbranch_execz .LBB351_106
; %bb.103:
	s_waitcnt lgkmcnt(0)
	v_cvt_f32_f16_e32 v15, v16
	v_cvt_f32_f16_e32 v38, v52
	v_cmp_u_f16_e32 vcc, v16, v16
	v_cmp_u_f16_e64 s[36:37], v52, v52
	s_movk_i32 s3, 0x1f8
	v_min_f32_e32 v17, v15, v38
	v_max_f32_e32 v39, v15, v38
	v_cndmask_b32_e32 v17, v17, v15, vcc
	v_cndmask_b32_e32 v15, v39, v15, vcc
	v_cndmask_b32_e64 v17, v17, v38, s[36:37]
	v_cndmask_b32_e64 v15, v15, v38, s[36:37]
	v_cmp_neq_f32_e32 vcc, v17, v15
	v_cmp_class_f32_e64 s[36:37], v17, s3
	s_or_b64 s[48:49], vcc, s[36:37]
	s_and_saveexec_b64 s[36:37], s[48:49]
	s_cbranch_execz .LBB351_105
; %bb.104:
	v_sub_f32_e32 v16, v17, v15
	s_mov_b32 s3, 0x3fb8aa3b
	v_mul_f32_e32 v17, 0x3fb8aa3b, v16
	v_fma_f32 v38, v16, s3, -v17
	v_rndne_f32_e32 v39, v17
	v_fmamk_f32 v38, v16, 0x32a5705f, v38
	v_sub_f32_e32 v17, v17, v39
	v_add_f32_e32 v17, v17, v38
	v_exp_f32_e32 v17, v17
	v_cvt_i32_f32_e32 v38, v39
	s_mov_b32 s3, 0xc2ce8ed0
	v_cmp_ngt_f32_e32 vcc, s3, v16
	s_mov_b32 s3, 0x42b17218
	v_ldexp_f32 v17, v17, v38
	v_cndmask_b32_e32 v17, 0, v17, vcc
	v_mov_b32_e32 v50, 0x7f800000
	v_cmp_nlt_f32_e32 vcc, s3, v16
	s_mov_b32 s3, 0x3f2aaaab
	s_mov_b32 s48, 0x7f800000
	v_cndmask_b32_e32 v51, v50, v17, vcc
	v_add_f32_e32 v38, 1.0, v51
	v_add_f32_e32 v16, -1.0, v38
	v_sub_f32_e32 v17, v16, v38
	v_add_f32_e32 v17, 1.0, v17
	v_sub_f32_e32 v16, v51, v16
	v_add_f32_e32 v39, v16, v17
	v_frexp_mant_f32_e32 v40, v38
	v_cvt_f64_f32_e32 v[16:17], v38
	v_frexp_exp_i32_f64_e32 v16, v[16:17]
	v_cmp_gt_f32_e32 vcc, s3, v40
	s_mov_b32 s3, 0x3f317218
	s_nop 0
	v_subbrev_co_u32_e32 v44, vcc, 0, v16, vcc
	v_sub_u32_e32 v16, 0, v44
	v_ldexp_f32 v17, v38, v16
	v_add_f32_e32 v38, -1.0, v17
	v_add_f32_e32 v40, 1.0, v17
	v_ldexp_f32 v16, v39, v16
	v_add_f32_e32 v39, 1.0, v38
	v_add_f32_e32 v41, -1.0, v40
	v_sub_f32_e32 v39, v17, v39
	v_sub_f32_e32 v17, v17, v41
	v_add_f32_e32 v39, v16, v39
	v_add_f32_e32 v16, v16, v17
	;; [unrolled: 1-line block ×3, first 2 shown]
	v_rcp_f32_e32 v47, v45
	v_sub_f32_e32 v17, v40, v45
	v_add_f32_e32 v46, v16, v17
	v_add_f32_e32 v17, v38, v39
	v_mul_f32_e32 v49, v17, v47
	v_sub_f32_e32 v16, v38, v17
	v_mul_f32_e32 v38, v45, v49
	v_fma_f32 v40, v49, v45, -v38
	v_fmac_f32_e32 v40, v49, v46
	v_add_f32_e32 v48, v39, v16
	v_add_f32_e32 v16, v38, v40
	v_sub_f32_e32 v39, v17, v16
	v_pk_add_f32 v[42:43], v[16:17], v[38:39] neg_lo:[0,1] neg_hi:[0,1]
	v_mov_b32_e32 v41, v16
	v_pk_add_f32 v[16:17], v[42:43], v[40:41] neg_lo:[0,1] neg_hi:[0,1]
	v_cmp_neq_f32_e32 vcc, s48, v51
	v_add_f32_e32 v17, v48, v17
	v_add_f32_e32 v16, v16, v17
	;; [unrolled: 1-line block ×3, first 2 shown]
	v_mul_f32_e32 v48, v47, v17
	v_mul_f32_e32 v38, v45, v48
	v_fma_f32 v40, v48, v45, -v38
	v_fmac_f32_e32 v40, v48, v46
	v_sub_f32_e32 v39, v39, v17
	v_add_f32_e32 v45, v16, v39
	v_add_f32_e32 v16, v38, v40
	v_sub_f32_e32 v39, v17, v16
	v_pk_add_f32 v[42:43], v[16:17], v[38:39] neg_lo:[0,1] neg_hi:[0,1]
	v_mov_b32_e32 v41, v16
	v_pk_add_f32 v[16:17], v[42:43], v[40:41] neg_lo:[0,1] neg_hi:[0,1]
	v_cvt_f32_i32_e32 v38, v44
	v_add_f32_e32 v17, v45, v17
	v_add_f32_e32 v16, v16, v17
	;; [unrolled: 1-line block ×4, first 2 shown]
	v_sub_f32_e32 v17, v39, v49
	v_mul_f32_e32 v16, v47, v16
	v_sub_f32_e32 v17, v48, v17
	v_add_f32_e32 v16, v17, v16
	v_add_f32_e32 v40, v39, v16
	v_mul_f32_e32 v42, v40, v40
	v_mov_b32_e32 v17, 0x3ecc95a3
	v_sub_f32_e32 v39, v40, v39
	v_fmac_f32_e32 v17, 0x3e9b6dac, v42
	v_sub_f32_e32 v16, v16, v39
	v_fmaak_f32 v17, v42, v17, 0x3f2aaada
	v_ldexp_f32 v43, v16, 1
	v_mul_f32_e32 v39, v40, v42
	v_mov_b32_e32 v16, 0x3f317218
	v_pk_mul_f32 v[16:17], v[38:39], v[16:17]
	v_ldexp_f32 v41, v40, 1
	v_fma_f32 v39, v38, s3, -v16
	v_fmamk_f32 v40, v38, 0xb102e308, v39
	v_pk_add_f32 v[38:39], v[16:17], v[40:41]
	v_mov_b32_e32 v42, v16
	v_sub_f32_e32 v41, v39, v41
	v_sub_f32_e32 v41, v17, v41
	v_add_f32_e32 v43, v43, v41
	v_pk_add_f32 v[16:17], v[38:39], v[16:17] neg_lo:[0,1] neg_hi:[0,1]
	v_pk_add_f32 v[44:45], v[38:39], v[42:43]
	v_mov_b32_e32 v41, v38
	v_mov_b32_e32 v17, v45
	v_pk_add_f32 v[46:47], v[40:41], v[16:17] neg_lo:[0,1] neg_hi:[0,1]
	v_pk_add_f32 v[16:17], v[40:41], v[16:17]
	v_mov_b32_e32 v42, v43
	v_pk_add_f32 v[40:41], v[16:17], v[38:39] op_sel:[1,0] op_sel_hi:[0,1] neg_lo:[0,1] neg_hi:[0,1]
	v_pk_add_f32 v[48:49], v[44:45], v[40:41] op_sel_hi:[1,0] neg_lo:[0,1] neg_hi:[0,1]
	v_mov_b32_e32 v44, v45
	v_mov_b32_e32 v45, v17
	v_pk_mov_b32 v[40:41], v[38:39], v[40:41] op_sel:[1,0]
	v_mov_b32_e32 v43, v38
	v_pk_add_f32 v[40:41], v[44:45], v[40:41] neg_lo:[0,1] neg_hi:[0,1]
	v_mov_b32_e32 v48, v46
	v_pk_add_f32 v[38:39], v[42:43], v[40:41] neg_lo:[0,1] neg_hi:[0,1]
	v_mov_b32_e32 v47, v17
	v_pk_add_f32 v[40:41], v[48:49], v[38:39]
	s_mov_b32 s3, 0x33800000
	v_pk_add_f32 v[42:43], v[40:41], v[40:41] op_sel:[0,1] op_sel_hi:[1,0]
	s_nop 0
	v_pk_add_f32 v[16:17], v[16:17], v[42:43] op_sel:[1,0] op_sel_hi:[0,1]
	v_mov_b32_e32 v41, v16
	v_pk_add_f32 v[44:45], v[40:41], v[46:47] neg_lo:[0,1] neg_hi:[0,1]
	v_mov_b32_e32 v39, v42
	v_sub_f32_e32 v17, v40, v44
	v_pk_add_f32 v[38:39], v[38:39], v[44:45] neg_lo:[0,1] neg_hi:[0,1]
	v_sub_f32_e32 v17, v46, v17
	v_add_f32_e32 v17, v38, v17
	v_add_f32_e32 v17, v17, v39
	v_add_f32_e32 v16, v16, v17
	v_cndmask_b32_e32 v16, v50, v16, vcc
	v_cmp_lt_f32_e64 vcc, |v51|, s3
	s_nop 1
	v_cndmask_b32_e32 v16, v16, v51, vcc
	v_add_f32_e32 v15, v15, v16
	v_cvt_f16_f32_e32 v16, v15
.LBB351_105:
	s_or_b64 exec, exec, s[36:37]
	v_and_b32_e32 v15, 0xffff, v16
	v_mov_b32_e32 v52, v16
.LBB351_106:
	s_or_b64 exec, exec, s[46:47]
	v_cmp_gt_u32_e32 vcc, 62, v36
	v_add_u32_e32 v39, 2, v36
	s_waitcnt lgkmcnt(0)
	v_cndmask_b32_e64 v16, 0, 2, vcc
	v_add_lshl_u32 v38, v16, v11, 2
	ds_bpermute_b32 v16, v38, v15
	v_cmp_le_u32_e32 vcc, v39, v14
	s_and_saveexec_b64 s[46:47], vcc
	s_cbranch_execz .LBB351_110
; %bb.107:
	s_waitcnt lgkmcnt(0)
	v_cvt_f32_f16_e32 v15, v16
	v_cvt_f32_f16_e32 v40, v52
	v_cmp_u_f16_e32 vcc, v16, v16
	v_cmp_u_f16_e64 s[36:37], v52, v52
	s_movk_i32 s3, 0x1f8
	v_min_f32_e32 v17, v15, v40
	v_max_f32_e32 v41, v15, v40
	v_cndmask_b32_e32 v17, v17, v15, vcc
	v_cndmask_b32_e32 v15, v41, v15, vcc
	v_cndmask_b32_e64 v17, v17, v40, s[36:37]
	v_cndmask_b32_e64 v15, v15, v40, s[36:37]
	v_cmp_neq_f32_e32 vcc, v17, v15
	v_cmp_class_f32_e64 s[36:37], v17, s3
	s_or_b64 s[48:49], vcc, s[36:37]
	s_and_saveexec_b64 s[36:37], s[48:49]
	s_cbranch_execz .LBB351_109
; %bb.108:
	v_sub_f32_e32 v16, v17, v15
	s_mov_b32 s3, 0x3fb8aa3b
	v_mul_f32_e32 v17, 0x3fb8aa3b, v16
	v_fma_f32 v40, v16, s3, -v17
	v_rndne_f32_e32 v41, v17
	v_fmamk_f32 v40, v16, 0x32a5705f, v40
	v_sub_f32_e32 v17, v17, v41
	v_add_f32_e32 v17, v17, v40
	v_exp_f32_e32 v17, v17
	v_cvt_i32_f32_e32 v40, v41
	s_mov_b32 s3, 0xc2ce8ed0
	v_cmp_ngt_f32_e32 vcc, s3, v16
	s_mov_b32 s3, 0x42b17218
	v_ldexp_f32 v17, v17, v40
	v_cndmask_b32_e32 v17, 0, v17, vcc
	v_mov_b32_e32 v52, 0x7f800000
	v_cmp_nlt_f32_e32 vcc, s3, v16
	s_mov_b32 s3, 0x3f2aaaab
	s_mov_b32 s48, 0x7f800000
	v_cndmask_b32_e32 v53, v52, v17, vcc
	v_add_f32_e32 v40, 1.0, v53
	v_add_f32_e32 v16, -1.0, v40
	v_sub_f32_e32 v17, v16, v40
	v_add_f32_e32 v17, 1.0, v17
	v_sub_f32_e32 v16, v53, v16
	v_add_f32_e32 v41, v16, v17
	v_frexp_mant_f32_e32 v42, v40
	v_cvt_f64_f32_e32 v[16:17], v40
	v_frexp_exp_i32_f64_e32 v16, v[16:17]
	v_cmp_gt_f32_e32 vcc, s3, v42
	s_mov_b32 s3, 0x3f317218
	s_nop 0
	v_subbrev_co_u32_e32 v46, vcc, 0, v16, vcc
	v_sub_u32_e32 v16, 0, v46
	v_ldexp_f32 v17, v40, v16
	v_add_f32_e32 v40, -1.0, v17
	v_add_f32_e32 v42, 1.0, v17
	v_ldexp_f32 v16, v41, v16
	v_add_f32_e32 v41, 1.0, v40
	v_add_f32_e32 v43, -1.0, v42
	v_sub_f32_e32 v41, v17, v41
	v_sub_f32_e32 v17, v17, v43
	v_add_f32_e32 v41, v16, v41
	v_add_f32_e32 v16, v16, v17
	;; [unrolled: 1-line block ×3, first 2 shown]
	v_rcp_f32_e32 v49, v47
	v_sub_f32_e32 v17, v42, v47
	v_add_f32_e32 v48, v16, v17
	v_add_f32_e32 v17, v40, v41
	v_mul_f32_e32 v51, v17, v49
	v_sub_f32_e32 v16, v40, v17
	v_mul_f32_e32 v40, v47, v51
	v_fma_f32 v42, v51, v47, -v40
	v_fmac_f32_e32 v42, v51, v48
	v_add_f32_e32 v50, v41, v16
	v_add_f32_e32 v16, v40, v42
	v_sub_f32_e32 v41, v17, v16
	v_pk_add_f32 v[44:45], v[16:17], v[40:41] neg_lo:[0,1] neg_hi:[0,1]
	v_mov_b32_e32 v43, v16
	v_pk_add_f32 v[16:17], v[44:45], v[42:43] neg_lo:[0,1] neg_hi:[0,1]
	v_cmp_neq_f32_e32 vcc, s48, v53
	v_add_f32_e32 v17, v50, v17
	v_add_f32_e32 v16, v16, v17
	;; [unrolled: 1-line block ×3, first 2 shown]
	v_mul_f32_e32 v50, v49, v17
	v_mul_f32_e32 v40, v47, v50
	v_fma_f32 v42, v50, v47, -v40
	v_fmac_f32_e32 v42, v50, v48
	v_sub_f32_e32 v41, v41, v17
	v_add_f32_e32 v47, v16, v41
	v_add_f32_e32 v16, v40, v42
	v_sub_f32_e32 v41, v17, v16
	v_pk_add_f32 v[44:45], v[16:17], v[40:41] neg_lo:[0,1] neg_hi:[0,1]
	v_mov_b32_e32 v43, v16
	v_pk_add_f32 v[16:17], v[44:45], v[42:43] neg_lo:[0,1] neg_hi:[0,1]
	v_cvt_f32_i32_e32 v40, v46
	v_add_f32_e32 v17, v47, v17
	v_add_f32_e32 v16, v16, v17
	;; [unrolled: 1-line block ×4, first 2 shown]
	v_sub_f32_e32 v17, v41, v51
	v_mul_f32_e32 v16, v49, v16
	v_sub_f32_e32 v17, v50, v17
	v_add_f32_e32 v16, v17, v16
	v_add_f32_e32 v42, v41, v16
	v_mul_f32_e32 v44, v42, v42
	v_mov_b32_e32 v17, 0x3ecc95a3
	v_sub_f32_e32 v41, v42, v41
	v_fmac_f32_e32 v17, 0x3e9b6dac, v44
	v_sub_f32_e32 v16, v16, v41
	v_fmaak_f32 v17, v44, v17, 0x3f2aaada
	v_ldexp_f32 v45, v16, 1
	v_mul_f32_e32 v41, v42, v44
	v_mov_b32_e32 v16, 0x3f317218
	v_pk_mul_f32 v[16:17], v[40:41], v[16:17]
	v_ldexp_f32 v43, v42, 1
	v_fma_f32 v41, v40, s3, -v16
	v_fmamk_f32 v42, v40, 0xb102e308, v41
	v_pk_add_f32 v[40:41], v[16:17], v[42:43]
	v_mov_b32_e32 v44, v16
	v_sub_f32_e32 v43, v41, v43
	v_sub_f32_e32 v43, v17, v43
	v_add_f32_e32 v45, v45, v43
	v_pk_add_f32 v[16:17], v[40:41], v[16:17] neg_lo:[0,1] neg_hi:[0,1]
	v_pk_add_f32 v[46:47], v[40:41], v[44:45]
	v_mov_b32_e32 v43, v40
	v_mov_b32_e32 v17, v47
	v_pk_add_f32 v[48:49], v[42:43], v[16:17] neg_lo:[0,1] neg_hi:[0,1]
	v_pk_add_f32 v[16:17], v[42:43], v[16:17]
	v_mov_b32_e32 v44, v45
	v_pk_add_f32 v[42:43], v[16:17], v[40:41] op_sel:[1,0] op_sel_hi:[0,1] neg_lo:[0,1] neg_hi:[0,1]
	v_pk_add_f32 v[50:51], v[46:47], v[42:43] op_sel_hi:[1,0] neg_lo:[0,1] neg_hi:[0,1]
	v_mov_b32_e32 v46, v47
	v_mov_b32_e32 v47, v17
	v_pk_mov_b32 v[42:43], v[40:41], v[42:43] op_sel:[1,0]
	v_mov_b32_e32 v45, v40
	v_pk_add_f32 v[42:43], v[46:47], v[42:43] neg_lo:[0,1] neg_hi:[0,1]
	v_mov_b32_e32 v50, v48
	v_pk_add_f32 v[40:41], v[44:45], v[42:43] neg_lo:[0,1] neg_hi:[0,1]
	v_mov_b32_e32 v49, v17
	v_pk_add_f32 v[42:43], v[50:51], v[40:41]
	s_mov_b32 s3, 0x33800000
	v_pk_add_f32 v[44:45], v[42:43], v[42:43] op_sel:[0,1] op_sel_hi:[1,0]
	s_nop 0
	v_pk_add_f32 v[16:17], v[16:17], v[44:45] op_sel:[1,0] op_sel_hi:[0,1]
	v_mov_b32_e32 v43, v16
	v_pk_add_f32 v[46:47], v[42:43], v[48:49] neg_lo:[0,1] neg_hi:[0,1]
	v_mov_b32_e32 v41, v44
	v_sub_f32_e32 v17, v42, v46
	v_pk_add_f32 v[40:41], v[40:41], v[46:47] neg_lo:[0,1] neg_hi:[0,1]
	v_sub_f32_e32 v17, v48, v17
	v_add_f32_e32 v17, v40, v17
	v_add_f32_e32 v17, v17, v41
	;; [unrolled: 1-line block ×3, first 2 shown]
	v_cndmask_b32_e32 v16, v52, v16, vcc
	v_cmp_lt_f32_e64 vcc, |v53|, s3
	s_nop 1
	v_cndmask_b32_e32 v16, v16, v53, vcc
	v_add_f32_e32 v15, v15, v16
	v_cvt_f16_f32_e32 v16, v15
.LBB351_109:
	s_or_b64 exec, exec, s[36:37]
	v_and_b32_e32 v15, 0xffff, v16
	v_mov_b32_e32 v52, v16
.LBB351_110:
	s_or_b64 exec, exec, s[46:47]
	v_cmp_gt_u32_e32 vcc, 60, v36
	v_add_u32_e32 v41, 4, v36
	s_waitcnt lgkmcnt(0)
	v_cndmask_b32_e64 v16, 0, 4, vcc
	v_add_lshl_u32 v40, v16, v11, 2
	ds_bpermute_b32 v16, v40, v15
	v_cmp_le_u32_e32 vcc, v41, v14
	s_and_saveexec_b64 s[46:47], vcc
	s_cbranch_execz .LBB351_114
; %bb.111:
	s_waitcnt lgkmcnt(0)
	v_cvt_f32_f16_e32 v15, v16
	v_cvt_f32_f16_e32 v42, v52
	v_cmp_u_f16_e32 vcc, v16, v16
	v_cmp_u_f16_e64 s[36:37], v52, v52
	s_movk_i32 s3, 0x1f8
	v_min_f32_e32 v17, v15, v42
	v_max_f32_e32 v43, v15, v42
	v_cndmask_b32_e32 v17, v17, v15, vcc
	v_cndmask_b32_e32 v15, v43, v15, vcc
	v_cndmask_b32_e64 v17, v17, v42, s[36:37]
	v_cndmask_b32_e64 v15, v15, v42, s[36:37]
	v_cmp_neq_f32_e32 vcc, v17, v15
	v_cmp_class_f32_e64 s[36:37], v17, s3
	s_or_b64 s[48:49], vcc, s[36:37]
	s_and_saveexec_b64 s[36:37], s[48:49]
	s_cbranch_execz .LBB351_113
; %bb.112:
	v_sub_f32_e32 v16, v17, v15
	s_mov_b32 s3, 0x3fb8aa3b
	v_mul_f32_e32 v17, 0x3fb8aa3b, v16
	v_fma_f32 v42, v16, s3, -v17
	v_rndne_f32_e32 v43, v17
	v_fmamk_f32 v42, v16, 0x32a5705f, v42
	v_sub_f32_e32 v17, v17, v43
	v_add_f32_e32 v17, v17, v42
	v_exp_f32_e32 v17, v17
	v_cvt_i32_f32_e32 v42, v43
	s_mov_b32 s3, 0xc2ce8ed0
	v_cmp_ngt_f32_e32 vcc, s3, v16
	s_mov_b32 s3, 0x42b17218
	v_ldexp_f32 v17, v17, v42
	v_cndmask_b32_e32 v17, 0, v17, vcc
	v_mov_b32_e32 v54, 0x7f800000
	v_cmp_nlt_f32_e32 vcc, s3, v16
	s_mov_b32 s3, 0x3f2aaaab
	s_mov_b32 s48, 0x7f800000
	v_cndmask_b32_e32 v55, v54, v17, vcc
	v_add_f32_e32 v42, 1.0, v55
	v_add_f32_e32 v16, -1.0, v42
	v_sub_f32_e32 v17, v16, v42
	v_add_f32_e32 v17, 1.0, v17
	v_sub_f32_e32 v16, v55, v16
	v_add_f32_e32 v43, v16, v17
	v_frexp_mant_f32_e32 v44, v42
	v_cvt_f64_f32_e32 v[16:17], v42
	v_frexp_exp_i32_f64_e32 v16, v[16:17]
	v_cmp_gt_f32_e32 vcc, s3, v44
	s_mov_b32 s3, 0x3f317218
	s_nop 0
	v_subbrev_co_u32_e32 v48, vcc, 0, v16, vcc
	v_sub_u32_e32 v16, 0, v48
	v_ldexp_f32 v17, v42, v16
	v_add_f32_e32 v42, -1.0, v17
	v_add_f32_e32 v44, 1.0, v17
	v_ldexp_f32 v16, v43, v16
	v_add_f32_e32 v43, 1.0, v42
	v_add_f32_e32 v45, -1.0, v44
	v_sub_f32_e32 v43, v17, v43
	v_sub_f32_e32 v17, v17, v45
	v_add_f32_e32 v43, v16, v43
	v_add_f32_e32 v16, v16, v17
	;; [unrolled: 1-line block ×3, first 2 shown]
	v_rcp_f32_e32 v51, v49
	v_sub_f32_e32 v17, v44, v49
	v_add_f32_e32 v50, v16, v17
	v_add_f32_e32 v17, v42, v43
	v_mul_f32_e32 v53, v17, v51
	v_sub_f32_e32 v16, v42, v17
	v_mul_f32_e32 v42, v49, v53
	v_fma_f32 v44, v53, v49, -v42
	v_fmac_f32_e32 v44, v53, v50
	v_add_f32_e32 v52, v43, v16
	v_add_f32_e32 v16, v42, v44
	v_sub_f32_e32 v43, v17, v16
	v_pk_add_f32 v[46:47], v[16:17], v[42:43] neg_lo:[0,1] neg_hi:[0,1]
	v_mov_b32_e32 v45, v16
	v_pk_add_f32 v[16:17], v[46:47], v[44:45] neg_lo:[0,1] neg_hi:[0,1]
	v_cmp_neq_f32_e32 vcc, s48, v55
	v_add_f32_e32 v17, v52, v17
	v_add_f32_e32 v16, v16, v17
	;; [unrolled: 1-line block ×3, first 2 shown]
	v_mul_f32_e32 v52, v51, v17
	v_mul_f32_e32 v42, v49, v52
	v_fma_f32 v44, v52, v49, -v42
	v_fmac_f32_e32 v44, v52, v50
	v_sub_f32_e32 v43, v43, v17
	v_add_f32_e32 v49, v16, v43
	v_add_f32_e32 v16, v42, v44
	v_sub_f32_e32 v43, v17, v16
	v_pk_add_f32 v[46:47], v[16:17], v[42:43] neg_lo:[0,1] neg_hi:[0,1]
	v_mov_b32_e32 v45, v16
	v_pk_add_f32 v[16:17], v[46:47], v[44:45] neg_lo:[0,1] neg_hi:[0,1]
	v_cvt_f32_i32_e32 v42, v48
	v_add_f32_e32 v17, v49, v17
	v_add_f32_e32 v16, v16, v17
	;; [unrolled: 1-line block ×4, first 2 shown]
	v_sub_f32_e32 v17, v43, v53
	v_mul_f32_e32 v16, v51, v16
	v_sub_f32_e32 v17, v52, v17
	v_add_f32_e32 v16, v17, v16
	v_add_f32_e32 v44, v43, v16
	v_mul_f32_e32 v46, v44, v44
	v_mov_b32_e32 v17, 0x3ecc95a3
	v_sub_f32_e32 v43, v44, v43
	v_fmac_f32_e32 v17, 0x3e9b6dac, v46
	v_sub_f32_e32 v16, v16, v43
	v_fmaak_f32 v17, v46, v17, 0x3f2aaada
	v_ldexp_f32 v47, v16, 1
	v_mul_f32_e32 v43, v44, v46
	v_mov_b32_e32 v16, 0x3f317218
	v_pk_mul_f32 v[16:17], v[42:43], v[16:17]
	v_ldexp_f32 v45, v44, 1
	v_fma_f32 v43, v42, s3, -v16
	v_fmamk_f32 v44, v42, 0xb102e308, v43
	v_pk_add_f32 v[42:43], v[16:17], v[44:45]
	v_mov_b32_e32 v46, v16
	v_sub_f32_e32 v45, v43, v45
	v_sub_f32_e32 v45, v17, v45
	v_add_f32_e32 v47, v47, v45
	v_pk_add_f32 v[16:17], v[42:43], v[16:17] neg_lo:[0,1] neg_hi:[0,1]
	v_pk_add_f32 v[48:49], v[42:43], v[46:47]
	v_mov_b32_e32 v45, v42
	v_mov_b32_e32 v17, v49
	v_pk_add_f32 v[50:51], v[44:45], v[16:17] neg_lo:[0,1] neg_hi:[0,1]
	v_pk_add_f32 v[16:17], v[44:45], v[16:17]
	v_mov_b32_e32 v46, v47
	v_pk_add_f32 v[44:45], v[16:17], v[42:43] op_sel:[1,0] op_sel_hi:[0,1] neg_lo:[0,1] neg_hi:[0,1]
	v_pk_add_f32 v[52:53], v[48:49], v[44:45] op_sel_hi:[1,0] neg_lo:[0,1] neg_hi:[0,1]
	v_mov_b32_e32 v48, v49
	v_mov_b32_e32 v49, v17
	v_pk_mov_b32 v[44:45], v[42:43], v[44:45] op_sel:[1,0]
	v_mov_b32_e32 v47, v42
	v_pk_add_f32 v[44:45], v[48:49], v[44:45] neg_lo:[0,1] neg_hi:[0,1]
	v_mov_b32_e32 v52, v50
	v_pk_add_f32 v[42:43], v[46:47], v[44:45] neg_lo:[0,1] neg_hi:[0,1]
	v_mov_b32_e32 v51, v17
	v_pk_add_f32 v[44:45], v[52:53], v[42:43]
	s_mov_b32 s3, 0x33800000
	v_pk_add_f32 v[46:47], v[44:45], v[44:45] op_sel:[0,1] op_sel_hi:[1,0]
	s_nop 0
	v_pk_add_f32 v[16:17], v[16:17], v[46:47] op_sel:[1,0] op_sel_hi:[0,1]
	v_mov_b32_e32 v45, v16
	v_pk_add_f32 v[48:49], v[44:45], v[50:51] neg_lo:[0,1] neg_hi:[0,1]
	v_mov_b32_e32 v43, v46
	v_sub_f32_e32 v17, v44, v48
	v_pk_add_f32 v[42:43], v[42:43], v[48:49] neg_lo:[0,1] neg_hi:[0,1]
	v_sub_f32_e32 v17, v50, v17
	v_add_f32_e32 v17, v42, v17
	v_add_f32_e32 v17, v17, v43
	;; [unrolled: 1-line block ×3, first 2 shown]
	v_cndmask_b32_e32 v16, v54, v16, vcc
	v_cmp_lt_f32_e64 vcc, |v55|, s3
	s_nop 1
	v_cndmask_b32_e32 v16, v16, v55, vcc
	v_add_f32_e32 v15, v15, v16
	v_cvt_f16_f32_e32 v16, v15
.LBB351_113:
	s_or_b64 exec, exec, s[36:37]
	v_and_b32_e32 v15, 0xffff, v16
	v_mov_b32_e32 v52, v16
.LBB351_114:
	s_or_b64 exec, exec, s[46:47]
	v_cmp_gt_u32_e32 vcc, 56, v36
	v_add_u32_e32 v43, 8, v36
	s_waitcnt lgkmcnt(0)
	v_cndmask_b32_e64 v16, 0, 8, vcc
	v_add_lshl_u32 v42, v16, v11, 2
	ds_bpermute_b32 v16, v42, v15
	v_cmp_le_u32_e32 vcc, v43, v14
	s_and_saveexec_b64 s[46:47], vcc
	s_cbranch_execz .LBB351_118
; %bb.115:
	s_waitcnt lgkmcnt(0)
	v_cvt_f32_f16_e32 v15, v16
	v_cvt_f32_f16_e32 v44, v52
	v_cmp_u_f16_e32 vcc, v16, v16
	v_cmp_u_f16_e64 s[36:37], v52, v52
	s_movk_i32 s3, 0x1f8
	v_min_f32_e32 v17, v15, v44
	v_max_f32_e32 v45, v15, v44
	v_cndmask_b32_e32 v17, v17, v15, vcc
	v_cndmask_b32_e32 v15, v45, v15, vcc
	v_cndmask_b32_e64 v17, v17, v44, s[36:37]
	v_cndmask_b32_e64 v15, v15, v44, s[36:37]
	v_cmp_neq_f32_e32 vcc, v17, v15
	v_cmp_class_f32_e64 s[36:37], v17, s3
	s_or_b64 s[48:49], vcc, s[36:37]
	s_and_saveexec_b64 s[36:37], s[48:49]
	s_cbranch_execz .LBB351_117
; %bb.116:
	v_sub_f32_e32 v16, v17, v15
	s_mov_b32 s3, 0x3fb8aa3b
	v_mul_f32_e32 v17, 0x3fb8aa3b, v16
	v_fma_f32 v44, v16, s3, -v17
	v_rndne_f32_e32 v45, v17
	v_fmamk_f32 v44, v16, 0x32a5705f, v44
	v_sub_f32_e32 v17, v17, v45
	v_add_f32_e32 v17, v17, v44
	v_exp_f32_e32 v17, v17
	v_cvt_i32_f32_e32 v44, v45
	s_mov_b32 s3, 0xc2ce8ed0
	v_cmp_ngt_f32_e32 vcc, s3, v16
	s_mov_b32 s3, 0x42b17218
	v_ldexp_f32 v17, v17, v44
	v_cndmask_b32_e32 v17, 0, v17, vcc
	v_mov_b32_e32 v56, 0x7f800000
	v_cmp_nlt_f32_e32 vcc, s3, v16
	s_mov_b32 s3, 0x3f2aaaab
	s_mov_b32 s48, 0x7f800000
	v_cndmask_b32_e32 v57, v56, v17, vcc
	v_add_f32_e32 v44, 1.0, v57
	v_add_f32_e32 v16, -1.0, v44
	v_sub_f32_e32 v17, v16, v44
	v_add_f32_e32 v17, 1.0, v17
	v_sub_f32_e32 v16, v57, v16
	v_add_f32_e32 v45, v16, v17
	v_frexp_mant_f32_e32 v46, v44
	v_cvt_f64_f32_e32 v[16:17], v44
	v_frexp_exp_i32_f64_e32 v16, v[16:17]
	v_cmp_gt_f32_e32 vcc, s3, v46
	s_mov_b32 s3, 0x3f317218
	s_nop 0
	v_subbrev_co_u32_e32 v50, vcc, 0, v16, vcc
	v_sub_u32_e32 v16, 0, v50
	v_ldexp_f32 v17, v44, v16
	v_add_f32_e32 v44, -1.0, v17
	v_add_f32_e32 v46, 1.0, v17
	v_ldexp_f32 v16, v45, v16
	v_add_f32_e32 v45, 1.0, v44
	v_add_f32_e32 v47, -1.0, v46
	v_sub_f32_e32 v45, v17, v45
	v_sub_f32_e32 v17, v17, v47
	v_add_f32_e32 v45, v16, v45
	v_add_f32_e32 v16, v16, v17
	;; [unrolled: 1-line block ×3, first 2 shown]
	v_rcp_f32_e32 v53, v51
	v_sub_f32_e32 v17, v46, v51
	v_add_f32_e32 v52, v16, v17
	v_add_f32_e32 v17, v44, v45
	v_mul_f32_e32 v55, v17, v53
	v_sub_f32_e32 v16, v44, v17
	v_mul_f32_e32 v44, v51, v55
	v_fma_f32 v46, v55, v51, -v44
	v_fmac_f32_e32 v46, v55, v52
	v_add_f32_e32 v54, v45, v16
	v_add_f32_e32 v16, v44, v46
	v_sub_f32_e32 v45, v17, v16
	v_pk_add_f32 v[48:49], v[16:17], v[44:45] neg_lo:[0,1] neg_hi:[0,1]
	v_mov_b32_e32 v47, v16
	v_pk_add_f32 v[16:17], v[48:49], v[46:47] neg_lo:[0,1] neg_hi:[0,1]
	v_cmp_neq_f32_e32 vcc, s48, v57
	v_add_f32_e32 v17, v54, v17
	v_add_f32_e32 v16, v16, v17
	;; [unrolled: 1-line block ×3, first 2 shown]
	v_mul_f32_e32 v54, v53, v17
	v_mul_f32_e32 v44, v51, v54
	v_fma_f32 v46, v54, v51, -v44
	v_fmac_f32_e32 v46, v54, v52
	v_sub_f32_e32 v45, v45, v17
	v_add_f32_e32 v51, v16, v45
	v_add_f32_e32 v16, v44, v46
	v_sub_f32_e32 v45, v17, v16
	v_pk_add_f32 v[48:49], v[16:17], v[44:45] neg_lo:[0,1] neg_hi:[0,1]
	v_mov_b32_e32 v47, v16
	v_pk_add_f32 v[16:17], v[48:49], v[46:47] neg_lo:[0,1] neg_hi:[0,1]
	v_cvt_f32_i32_e32 v44, v50
	v_add_f32_e32 v17, v51, v17
	v_add_f32_e32 v16, v16, v17
	;; [unrolled: 1-line block ×4, first 2 shown]
	v_sub_f32_e32 v17, v45, v55
	v_mul_f32_e32 v16, v53, v16
	v_sub_f32_e32 v17, v54, v17
	v_add_f32_e32 v16, v17, v16
	v_add_f32_e32 v46, v45, v16
	v_mul_f32_e32 v48, v46, v46
	v_mov_b32_e32 v17, 0x3ecc95a3
	v_sub_f32_e32 v45, v46, v45
	v_fmac_f32_e32 v17, 0x3e9b6dac, v48
	v_sub_f32_e32 v16, v16, v45
	v_fmaak_f32 v17, v48, v17, 0x3f2aaada
	v_ldexp_f32 v49, v16, 1
	v_mul_f32_e32 v45, v46, v48
	v_mov_b32_e32 v16, 0x3f317218
	v_pk_mul_f32 v[16:17], v[44:45], v[16:17]
	v_ldexp_f32 v47, v46, 1
	v_fma_f32 v45, v44, s3, -v16
	v_fmamk_f32 v46, v44, 0xb102e308, v45
	v_pk_add_f32 v[44:45], v[16:17], v[46:47]
	v_mov_b32_e32 v48, v16
	v_sub_f32_e32 v47, v45, v47
	v_sub_f32_e32 v47, v17, v47
	v_add_f32_e32 v49, v49, v47
	v_pk_add_f32 v[16:17], v[44:45], v[16:17] neg_lo:[0,1] neg_hi:[0,1]
	v_pk_add_f32 v[50:51], v[44:45], v[48:49]
	v_mov_b32_e32 v47, v44
	v_mov_b32_e32 v17, v51
	v_pk_add_f32 v[52:53], v[46:47], v[16:17] neg_lo:[0,1] neg_hi:[0,1]
	v_pk_add_f32 v[16:17], v[46:47], v[16:17]
	v_mov_b32_e32 v48, v49
	v_pk_add_f32 v[46:47], v[16:17], v[44:45] op_sel:[1,0] op_sel_hi:[0,1] neg_lo:[0,1] neg_hi:[0,1]
	v_pk_add_f32 v[54:55], v[50:51], v[46:47] op_sel_hi:[1,0] neg_lo:[0,1] neg_hi:[0,1]
	v_mov_b32_e32 v50, v51
	v_mov_b32_e32 v51, v17
	v_pk_mov_b32 v[46:47], v[44:45], v[46:47] op_sel:[1,0]
	v_mov_b32_e32 v49, v44
	v_pk_add_f32 v[46:47], v[50:51], v[46:47] neg_lo:[0,1] neg_hi:[0,1]
	v_mov_b32_e32 v54, v52
	v_pk_add_f32 v[44:45], v[48:49], v[46:47] neg_lo:[0,1] neg_hi:[0,1]
	v_mov_b32_e32 v53, v17
	v_pk_add_f32 v[46:47], v[54:55], v[44:45]
	s_mov_b32 s3, 0x33800000
	v_pk_add_f32 v[48:49], v[46:47], v[46:47] op_sel:[0,1] op_sel_hi:[1,0]
	s_nop 0
	v_pk_add_f32 v[16:17], v[16:17], v[48:49] op_sel:[1,0] op_sel_hi:[0,1]
	v_mov_b32_e32 v47, v16
	v_pk_add_f32 v[50:51], v[46:47], v[52:53] neg_lo:[0,1] neg_hi:[0,1]
	v_mov_b32_e32 v45, v48
	v_sub_f32_e32 v17, v46, v50
	v_pk_add_f32 v[44:45], v[44:45], v[50:51] neg_lo:[0,1] neg_hi:[0,1]
	v_sub_f32_e32 v17, v52, v17
	v_add_f32_e32 v17, v44, v17
	v_add_f32_e32 v17, v17, v45
	;; [unrolled: 1-line block ×3, first 2 shown]
	v_cndmask_b32_e32 v16, v56, v16, vcc
	v_cmp_lt_f32_e64 vcc, |v57|, s3
	s_nop 1
	v_cndmask_b32_e32 v16, v16, v57, vcc
	v_add_f32_e32 v15, v15, v16
	v_cvt_f16_f32_e32 v16, v15
.LBB351_117:
	s_or_b64 exec, exec, s[36:37]
	v_and_b32_e32 v15, 0xffff, v16
	v_mov_b32_e32 v52, v16
.LBB351_118:
	s_or_b64 exec, exec, s[46:47]
	v_cmp_gt_u32_e32 vcc, 48, v36
	v_add_u32_e32 v45, 16, v36
	s_waitcnt lgkmcnt(0)
	v_cndmask_b32_e64 v16, 0, 16, vcc
	v_add_lshl_u32 v44, v16, v11, 2
	ds_bpermute_b32 v16, v44, v15
	v_cmp_le_u32_e32 vcc, v45, v14
	s_and_saveexec_b64 s[46:47], vcc
	s_cbranch_execz .LBB351_122
; %bb.119:
	s_waitcnt lgkmcnt(0)
	v_cvt_f32_f16_e32 v15, v16
	v_cvt_f32_f16_e32 v46, v52
	v_cmp_u_f16_e32 vcc, v16, v16
	v_cmp_u_f16_e64 s[36:37], v52, v52
	s_movk_i32 s3, 0x1f8
	v_min_f32_e32 v17, v15, v46
	v_max_f32_e32 v47, v15, v46
	v_cndmask_b32_e32 v17, v17, v15, vcc
	v_cndmask_b32_e32 v15, v47, v15, vcc
	v_cndmask_b32_e64 v17, v17, v46, s[36:37]
	v_cndmask_b32_e64 v15, v15, v46, s[36:37]
	v_cmp_neq_f32_e32 vcc, v17, v15
	v_cmp_class_f32_e64 s[36:37], v17, s3
	s_or_b64 s[48:49], vcc, s[36:37]
	s_and_saveexec_b64 s[36:37], s[48:49]
	s_cbranch_execz .LBB351_121
; %bb.120:
	v_sub_f32_e32 v16, v17, v15
	s_mov_b32 s3, 0x3fb8aa3b
	v_mul_f32_e32 v17, 0x3fb8aa3b, v16
	v_fma_f32 v46, v16, s3, -v17
	v_rndne_f32_e32 v47, v17
	v_fmamk_f32 v46, v16, 0x32a5705f, v46
	v_sub_f32_e32 v17, v17, v47
	v_add_f32_e32 v17, v17, v46
	v_exp_f32_e32 v17, v17
	v_cvt_i32_f32_e32 v46, v47
	s_mov_b32 s3, 0xc2ce8ed0
	v_cmp_ngt_f32_e32 vcc, s3, v16
	s_mov_b32 s3, 0x42b17218
	v_ldexp_f32 v17, v17, v46
	v_cndmask_b32_e32 v17, 0, v17, vcc
	v_mov_b32_e32 v58, 0x7f800000
	v_cmp_nlt_f32_e32 vcc, s3, v16
	s_mov_b32 s3, 0x3f2aaaab
	s_mov_b32 s48, 0x7f800000
	v_cndmask_b32_e32 v59, v58, v17, vcc
	v_add_f32_e32 v46, 1.0, v59
	v_add_f32_e32 v16, -1.0, v46
	v_sub_f32_e32 v17, v16, v46
	v_add_f32_e32 v17, 1.0, v17
	v_sub_f32_e32 v16, v59, v16
	v_add_f32_e32 v47, v16, v17
	v_frexp_mant_f32_e32 v48, v46
	v_cvt_f64_f32_e32 v[16:17], v46
	v_frexp_exp_i32_f64_e32 v16, v[16:17]
	v_cmp_gt_f32_e32 vcc, s3, v48
	s_mov_b32 s3, 0x3f317218
	s_nop 0
	v_subbrev_co_u32_e32 v52, vcc, 0, v16, vcc
	v_sub_u32_e32 v16, 0, v52
	v_ldexp_f32 v17, v46, v16
	v_add_f32_e32 v46, -1.0, v17
	v_add_f32_e32 v48, 1.0, v17
	v_ldexp_f32 v16, v47, v16
	v_add_f32_e32 v47, 1.0, v46
	v_add_f32_e32 v49, -1.0, v48
	v_sub_f32_e32 v47, v17, v47
	v_sub_f32_e32 v17, v17, v49
	v_add_f32_e32 v47, v16, v47
	v_add_f32_e32 v16, v16, v17
	;; [unrolled: 1-line block ×3, first 2 shown]
	v_rcp_f32_e32 v55, v53
	v_sub_f32_e32 v17, v48, v53
	v_add_f32_e32 v54, v16, v17
	v_add_f32_e32 v17, v46, v47
	v_mul_f32_e32 v57, v17, v55
	v_sub_f32_e32 v16, v46, v17
	v_mul_f32_e32 v46, v53, v57
	v_fma_f32 v48, v57, v53, -v46
	v_fmac_f32_e32 v48, v57, v54
	v_add_f32_e32 v56, v47, v16
	v_add_f32_e32 v16, v46, v48
	v_sub_f32_e32 v47, v17, v16
	v_pk_add_f32 v[50:51], v[16:17], v[46:47] neg_lo:[0,1] neg_hi:[0,1]
	v_mov_b32_e32 v49, v16
	v_pk_add_f32 v[16:17], v[50:51], v[48:49] neg_lo:[0,1] neg_hi:[0,1]
	v_cmp_neq_f32_e32 vcc, s48, v59
	v_add_f32_e32 v17, v56, v17
	v_add_f32_e32 v16, v16, v17
	;; [unrolled: 1-line block ×3, first 2 shown]
	v_mul_f32_e32 v56, v55, v17
	v_mul_f32_e32 v46, v53, v56
	v_fma_f32 v48, v56, v53, -v46
	v_fmac_f32_e32 v48, v56, v54
	v_sub_f32_e32 v47, v47, v17
	v_add_f32_e32 v53, v16, v47
	v_add_f32_e32 v16, v46, v48
	v_sub_f32_e32 v47, v17, v16
	v_pk_add_f32 v[50:51], v[16:17], v[46:47] neg_lo:[0,1] neg_hi:[0,1]
	v_mov_b32_e32 v49, v16
	v_pk_add_f32 v[16:17], v[50:51], v[48:49] neg_lo:[0,1] neg_hi:[0,1]
	v_cvt_f32_i32_e32 v46, v52
	v_add_f32_e32 v17, v53, v17
	v_add_f32_e32 v16, v16, v17
	;; [unrolled: 1-line block ×4, first 2 shown]
	v_sub_f32_e32 v17, v47, v57
	v_mul_f32_e32 v16, v55, v16
	v_sub_f32_e32 v17, v56, v17
	v_add_f32_e32 v16, v17, v16
	v_add_f32_e32 v48, v47, v16
	v_mul_f32_e32 v50, v48, v48
	v_mov_b32_e32 v17, 0x3ecc95a3
	v_sub_f32_e32 v47, v48, v47
	v_fmac_f32_e32 v17, 0x3e9b6dac, v50
	v_sub_f32_e32 v16, v16, v47
	v_fmaak_f32 v17, v50, v17, 0x3f2aaada
	v_ldexp_f32 v51, v16, 1
	v_mul_f32_e32 v47, v48, v50
	v_mov_b32_e32 v16, 0x3f317218
	v_pk_mul_f32 v[16:17], v[46:47], v[16:17]
	v_ldexp_f32 v49, v48, 1
	v_fma_f32 v47, v46, s3, -v16
	v_fmamk_f32 v48, v46, 0xb102e308, v47
	v_pk_add_f32 v[46:47], v[16:17], v[48:49]
	v_mov_b32_e32 v50, v16
	v_sub_f32_e32 v49, v47, v49
	v_sub_f32_e32 v49, v17, v49
	v_add_f32_e32 v51, v51, v49
	v_pk_add_f32 v[16:17], v[46:47], v[16:17] neg_lo:[0,1] neg_hi:[0,1]
	v_pk_add_f32 v[52:53], v[46:47], v[50:51]
	v_mov_b32_e32 v49, v46
	v_mov_b32_e32 v17, v53
	v_pk_add_f32 v[54:55], v[48:49], v[16:17] neg_lo:[0,1] neg_hi:[0,1]
	v_pk_add_f32 v[16:17], v[48:49], v[16:17]
	v_mov_b32_e32 v50, v51
	v_pk_add_f32 v[48:49], v[16:17], v[46:47] op_sel:[1,0] op_sel_hi:[0,1] neg_lo:[0,1] neg_hi:[0,1]
	v_pk_add_f32 v[56:57], v[52:53], v[48:49] op_sel_hi:[1,0] neg_lo:[0,1] neg_hi:[0,1]
	v_mov_b32_e32 v52, v53
	v_mov_b32_e32 v53, v17
	v_pk_mov_b32 v[48:49], v[46:47], v[48:49] op_sel:[1,0]
	v_mov_b32_e32 v51, v46
	v_pk_add_f32 v[48:49], v[52:53], v[48:49] neg_lo:[0,1] neg_hi:[0,1]
	v_mov_b32_e32 v56, v54
	v_pk_add_f32 v[46:47], v[50:51], v[48:49] neg_lo:[0,1] neg_hi:[0,1]
	v_mov_b32_e32 v55, v17
	v_pk_add_f32 v[48:49], v[56:57], v[46:47]
	s_mov_b32 s3, 0x33800000
	v_pk_add_f32 v[50:51], v[48:49], v[48:49] op_sel:[0,1] op_sel_hi:[1,0]
	s_nop 0
	v_pk_add_f32 v[16:17], v[16:17], v[50:51] op_sel:[1,0] op_sel_hi:[0,1]
	v_mov_b32_e32 v49, v16
	v_pk_add_f32 v[52:53], v[48:49], v[54:55] neg_lo:[0,1] neg_hi:[0,1]
	v_mov_b32_e32 v47, v50
	v_sub_f32_e32 v17, v48, v52
	v_pk_add_f32 v[46:47], v[46:47], v[52:53] neg_lo:[0,1] neg_hi:[0,1]
	v_sub_f32_e32 v17, v54, v17
	v_add_f32_e32 v17, v46, v17
	v_add_f32_e32 v17, v17, v47
	;; [unrolled: 1-line block ×3, first 2 shown]
	v_cndmask_b32_e32 v16, v58, v16, vcc
	v_cmp_lt_f32_e64 vcc, |v59|, s3
	s_nop 1
	v_cndmask_b32_e32 v16, v16, v59, vcc
	v_add_f32_e32 v15, v15, v16
	v_cvt_f16_f32_e32 v16, v15
.LBB351_121:
	s_or_b64 exec, exec, s[36:37]
	v_and_b32_e32 v15, 0xffff, v16
	v_mov_b32_e32 v52, v16
.LBB351_122:
	s_or_b64 exec, exec, s[46:47]
	s_waitcnt lgkmcnt(0)
	v_mov_b32_e32 v16, 0x80
	v_lshl_or_b32 v46, v11, 2, v16
	ds_bpermute_b32 v15, v46, v15
	v_add_u32_e32 v48, 32, v36
	v_cmp_le_u32_e32 vcc, v48, v14
	s_and_saveexec_b64 s[46:47], vcc
	s_cbranch_execz .LBB351_126
; %bb.123:
	s_waitcnt lgkmcnt(0)
	v_cvt_f32_f16_e32 v11, v15
	v_cvt_f32_f16_e32 v16, v52
	v_cmp_u_f16_e32 vcc, v15, v15
	v_cmp_u_f16_e64 s[36:37], v52, v52
	s_movk_i32 s3, 0x1f8
	v_min_f32_e32 v14, v11, v16
	v_max_f32_e32 v17, v11, v16
	v_cndmask_b32_e32 v14, v14, v11, vcc
	v_cndmask_b32_e32 v11, v17, v11, vcc
	v_cndmask_b32_e64 v14, v14, v16, s[36:37]
	v_cndmask_b32_e64 v11, v11, v16, s[36:37]
	v_cmp_neq_f32_e32 vcc, v14, v11
	v_cmp_class_f32_e64 s[36:37], v14, s3
	s_or_b64 s[48:49], vcc, s[36:37]
	s_and_saveexec_b64 s[36:37], s[48:49]
	s_cbranch_execz .LBB351_125
; %bb.124:
	v_sub_f32_e32 v14, v14, v11
	s_mov_b32 s3, 0x3fb8aa3b
	v_mul_f32_e32 v15, 0x3fb8aa3b, v14
	v_fma_f32 v16, v14, s3, -v15
	v_rndne_f32_e32 v17, v15
	v_fmamk_f32 v16, v14, 0x32a5705f, v16
	v_sub_f32_e32 v15, v15, v17
	v_add_f32_e32 v15, v15, v16
	v_exp_f32_e32 v15, v15
	v_cvt_i32_f32_e32 v16, v17
	s_mov_b32 s3, 0xc2ce8ed0
	v_cmp_ngt_f32_e32 vcc, s3, v14
	s_mov_b32 s3, 0x42b17218
	v_ldexp_f32 v15, v15, v16
	v_cndmask_b32_e32 v15, 0, v15, vcc
	v_mov_b32_e32 v47, 0x7f800000
	v_cmp_nlt_f32_e32 vcc, s3, v14
	s_mov_b32 s3, 0x3f2aaaab
	s_mov_b32 s48, 0x7f800000
	v_cndmask_b32_e32 v49, v47, v15, vcc
	v_add_f32_e32 v16, 1.0, v49
	v_add_f32_e32 v14, -1.0, v16
	v_sub_f32_e32 v15, v14, v16
	v_add_f32_e32 v15, 1.0, v15
	v_sub_f32_e32 v14, v49, v14
	v_add_f32_e32 v17, v14, v15
	v_frexp_mant_f32_e32 v50, v16
	v_cvt_f64_f32_e32 v[14:15], v16
	v_frexp_exp_i32_f64_e32 v14, v[14:15]
	v_cmp_gt_f32_e32 vcc, s3, v50
	s_mov_b32 s3, 0x3f317218
	s_nop 0
	v_subbrev_co_u32_e32 v54, vcc, 0, v14, vcc
	v_sub_u32_e32 v14, 0, v54
	v_ldexp_f32 v15, v16, v14
	v_add_f32_e32 v16, -1.0, v15
	v_add_f32_e32 v50, 1.0, v15
	v_ldexp_f32 v14, v17, v14
	v_add_f32_e32 v17, 1.0, v16
	v_add_f32_e32 v51, -1.0, v50
	v_sub_f32_e32 v17, v15, v17
	v_sub_f32_e32 v15, v15, v51
	v_add_f32_e32 v17, v14, v17
	v_add_f32_e32 v14, v14, v15
	;; [unrolled: 1-line block ×3, first 2 shown]
	v_rcp_f32_e32 v57, v55
	v_sub_f32_e32 v15, v50, v55
	v_add_f32_e32 v56, v14, v15
	v_add_f32_e32 v15, v16, v17
	v_mul_f32_e32 v59, v15, v57
	v_sub_f32_e32 v14, v16, v15
	v_mul_f32_e32 v16, v55, v59
	v_fma_f32 v50, v59, v55, -v16
	v_fmac_f32_e32 v50, v59, v56
	v_add_f32_e32 v58, v17, v14
	v_add_f32_e32 v14, v16, v50
	v_sub_f32_e32 v17, v15, v14
	v_pk_add_f32 v[52:53], v[14:15], v[16:17] neg_lo:[0,1] neg_hi:[0,1]
	v_mov_b32_e32 v51, v14
	v_pk_add_f32 v[14:15], v[52:53], v[50:51] neg_lo:[0,1] neg_hi:[0,1]
	v_cmp_neq_f32_e32 vcc, s48, v49
	v_add_f32_e32 v15, v58, v15
	v_add_f32_e32 v14, v14, v15
	;; [unrolled: 1-line block ×3, first 2 shown]
	v_mul_f32_e32 v58, v57, v15
	v_mul_f32_e32 v16, v55, v58
	v_fma_f32 v50, v58, v55, -v16
	v_fmac_f32_e32 v50, v58, v56
	v_sub_f32_e32 v17, v17, v15
	v_add_f32_e32 v55, v14, v17
	v_add_f32_e32 v14, v16, v50
	v_sub_f32_e32 v17, v15, v14
	v_pk_add_f32 v[52:53], v[14:15], v[16:17] neg_lo:[0,1] neg_hi:[0,1]
	v_mov_b32_e32 v51, v14
	v_pk_add_f32 v[14:15], v[52:53], v[50:51] neg_lo:[0,1] neg_hi:[0,1]
	v_cvt_f32_i32_e32 v16, v54
	v_add_f32_e32 v15, v55, v15
	v_add_f32_e32 v14, v14, v15
	v_add_f32_e32 v14, v17, v14
	v_add_f32_e32 v17, v59, v58
	v_sub_f32_e32 v15, v17, v59
	v_mul_f32_e32 v14, v57, v14
	v_sub_f32_e32 v15, v58, v15
	v_add_f32_e32 v14, v15, v14
	v_add_f32_e32 v50, v17, v14
	v_mul_f32_e32 v52, v50, v50
	v_mov_b32_e32 v15, 0x3ecc95a3
	v_sub_f32_e32 v17, v50, v17
	v_fmac_f32_e32 v15, 0x3e9b6dac, v52
	v_sub_f32_e32 v14, v14, v17
	v_fmaak_f32 v15, v52, v15, 0x3f2aaada
	v_ldexp_f32 v53, v14, 1
	v_mul_f32_e32 v17, v50, v52
	v_mov_b32_e32 v14, 0x3f317218
	v_pk_mul_f32 v[14:15], v[16:17], v[14:15]
	v_ldexp_f32 v51, v50, 1
	v_fma_f32 v17, v16, s3, -v14
	v_fmamk_f32 v50, v16, 0xb102e308, v17
	v_pk_add_f32 v[16:17], v[14:15], v[50:51]
	v_mov_b32_e32 v52, v14
	v_sub_f32_e32 v51, v17, v51
	v_sub_f32_e32 v51, v15, v51
	v_add_f32_e32 v53, v53, v51
	v_pk_add_f32 v[14:15], v[16:17], v[14:15] neg_lo:[0,1] neg_hi:[0,1]
	v_pk_add_f32 v[54:55], v[16:17], v[52:53]
	v_mov_b32_e32 v51, v16
	v_mov_b32_e32 v15, v55
	v_pk_add_f32 v[56:57], v[50:51], v[14:15] neg_lo:[0,1] neg_hi:[0,1]
	v_pk_add_f32 v[14:15], v[50:51], v[14:15]
	v_mov_b32_e32 v52, v53
	v_pk_add_f32 v[50:51], v[14:15], v[16:17] op_sel:[1,0] op_sel_hi:[0,1] neg_lo:[0,1] neg_hi:[0,1]
	v_pk_add_f32 v[58:59], v[54:55], v[50:51] op_sel_hi:[1,0] neg_lo:[0,1] neg_hi:[0,1]
	v_mov_b32_e32 v54, v55
	v_mov_b32_e32 v55, v15
	v_pk_mov_b32 v[50:51], v[16:17], v[50:51] op_sel:[1,0]
	v_mov_b32_e32 v53, v16
	v_pk_add_f32 v[50:51], v[54:55], v[50:51] neg_lo:[0,1] neg_hi:[0,1]
	v_mov_b32_e32 v58, v56
	v_pk_add_f32 v[16:17], v[52:53], v[50:51] neg_lo:[0,1] neg_hi:[0,1]
	v_mov_b32_e32 v57, v15
	v_pk_add_f32 v[50:51], v[58:59], v[16:17]
	s_mov_b32 s3, 0x33800000
	v_pk_add_f32 v[52:53], v[50:51], v[50:51] op_sel:[0,1] op_sel_hi:[1,0]
	s_nop 0
	v_pk_add_f32 v[14:15], v[14:15], v[52:53] op_sel:[1,0] op_sel_hi:[0,1]
	v_mov_b32_e32 v51, v14
	v_pk_add_f32 v[54:55], v[50:51], v[56:57] neg_lo:[0,1] neg_hi:[0,1]
	v_mov_b32_e32 v17, v52
	v_sub_f32_e32 v15, v50, v54
	v_pk_add_f32 v[16:17], v[16:17], v[54:55] neg_lo:[0,1] neg_hi:[0,1]
	v_sub_f32_e32 v15, v56, v15
	v_add_f32_e32 v15, v16, v15
	v_add_f32_e32 v15, v15, v17
	;; [unrolled: 1-line block ×3, first 2 shown]
	v_cndmask_b32_e32 v14, v47, v14, vcc
	v_cmp_lt_f32_e64 vcc, |v49|, s3
	s_nop 1
	v_cndmask_b32_e32 v14, v14, v49, vcc
	v_add_f32_e32 v11, v11, v14
	v_cvt_f16_f32_e32 v15, v11
.LBB351_125:
	s_or_b64 exec, exec, s[36:37]
	v_mov_b32_e32 v52, v15
.LBB351_126:
	s_or_b64 exec, exec, s[46:47]
                                        ; implicit-def: $vgpr14
	v_mov_b32_e32 v11, 0
	s_movk_i32 s3, 0x1f8
	s_mov_b32 s48, 0x3fb8aa3b
	s_mov_b32 s49, 0xc2ce8ed0
	;; [unrolled: 1-line block ×5, first 2 shown]
	v_mov_b32_e32 v49, 0x3ecc95a3
	s_mov_b32 s58, 0x3f317218
	s_mov_b32 s59, 0x33800000
	v_mov_b32_e32 v50, 2
	v_mov_b32_e32 v51, 0x7f800000
	;; [unrolled: 1-line block ×3, first 2 shown]
	s_branch .LBB351_129
.LBB351_127:                            ;   in Loop: Header=BB351_129 Depth=1
	s_or_b64 exec, exec, s[36:37]
	v_subrev_u32_e32 v10, 64, v10
	s_mov_b64 s[36:37], 0
.LBB351_128:                            ;   in Loop: Header=BB351_129 Depth=1
	s_and_b64 vcc, exec, s[36:37]
	s_cbranch_vccnz .LBB351_161
.LBB351_129:                            ; =>This Loop Header: Depth=1
                                        ;     Child Loop BB351_132 Depth 2
	v_cmp_ne_u16_sdwa s[36:37], v35, v50 src0_sel:BYTE_0 src1_sel:DWORD
	v_mov_b32_e32 v47, v52
	s_cmp_lg_u64 s[36:37], exec
	s_mov_b64 s[36:37], -1
                                        ; implicit-def: $vgpr52
                                        ; implicit-def: $vgpr35
	s_cbranch_scc1 .LBB351_128
; %bb.130:                              ;   in Loop: Header=BB351_129 Depth=1
	v_lshl_add_u64 v[16:17], v[10:11], 2, s[54:55]
	global_load_dword v52, v[16:17], off sc1
	s_waitcnt vmcnt(0)
	v_lshrrev_b32_e32 v35, 16, v52
	v_cmp_eq_u16_sdwa s[46:47], v35, v11 src0_sel:BYTE_0 src1_sel:DWORD
	s_and_saveexec_b64 s[36:37], s[46:47]
	s_cbranch_execz .LBB351_134
; %bb.131:                              ;   in Loop: Header=BB351_129 Depth=1
	s_mov_b64 s[46:47], 0
.LBB351_132:                            ;   Parent Loop BB351_129 Depth=1
                                        ; =>  This Inner Loop Header: Depth=2
	global_load_dword v52, v[16:17], off sc1
	s_waitcnt vmcnt(0)
	v_lshrrev_b32_e32 v35, 16, v52
	v_cmp_ne_u16_sdwa s[60:61], v35, v11 src0_sel:BYTE_0 src1_sel:DWORD
	s_or_b64 s[46:47], s[60:61], s[46:47]
	s_andn2_b64 exec, exec, s[46:47]
	s_cbranch_execnz .LBB351_132
; %bb.133:                              ;   in Loop: Header=BB351_129 Depth=1
	s_or_b64 exec, exec, s[46:47]
.LBB351_134:                            ;   in Loop: Header=BB351_129 Depth=1
	s_or_b64 exec, exec, s[36:37]
	v_cmp_eq_u16_sdwa s[36:37], v35, v50 src0_sel:BYTE_0 src1_sel:DWORD
	s_waitcnt lgkmcnt(0)
	s_nop 0
	v_and_b32_e32 v15, s37, v13
	v_or_b32_e32 v15, 0x80000000, v15
	v_ffbl_b32_e32 v17, v15
	v_and_b32_e32 v15, 0xffff, v52
	ds_bpermute_b32 v53, v37, v15
	v_and_b32_e32 v16, s36, v12
	v_add_u32_e32 v17, 32, v17
	v_ffbl_b32_e32 v16, v16
	v_min_u32_e32 v16, v16, v17
	v_cmp_lt_u32_e32 vcc, v36, v16
	s_and_saveexec_b64 s[46:47], vcc
	s_cbranch_execz .LBB351_138
; %bb.135:                              ;   in Loop: Header=BB351_129 Depth=1
	s_waitcnt lgkmcnt(0)
	v_cvt_f32_f16_e32 v17, v53
	v_cvt_f32_f16_e32 v54, v52
	v_cmp_u_f16_e32 vcc, v53, v53
	v_cmp_u_f16_e64 s[36:37], v52, v52
	v_min_f32_e32 v15, v17, v54
	v_max_f32_e32 v52, v17, v54
	v_cndmask_b32_e32 v15, v15, v17, vcc
	v_cndmask_b32_e32 v17, v52, v17, vcc
	v_cndmask_b32_e64 v15, v15, v54, s[36:37]
	v_cndmask_b32_e64 v17, v17, v54, s[36:37]
	v_cmp_neq_f32_e32 vcc, v15, v17
	v_cmp_class_f32_e64 s[36:37], v15, s3
	s_or_b64 s[60:61], vcc, s[36:37]
	s_and_saveexec_b64 s[36:37], s[60:61]
	s_cbranch_execz .LBB351_137
; %bb.136:                              ;   in Loop: Header=BB351_129 Depth=1
	v_sub_f32_e32 v15, v15, v17
	v_mul_f32_e32 v52, 0x3fb8aa3b, v15
	v_fma_f32 v53, v15, s48, -v52
	v_rndne_f32_e32 v54, v52
	v_fmac_f32_e32 v53, 0x32a5705f, v15
	v_sub_f32_e32 v52, v52, v54
	v_add_f32_e32 v52, v52, v53
	v_cvt_i32_f32_e32 v53, v54
	v_exp_f32_e32 v52, v52
	v_cmp_ngt_f32_e32 vcc, s49, v15
	v_ldexp_f32 v52, v52, v53
	s_nop 0
	v_cndmask_b32_e32 v52, 0, v52, vcc
	v_cmp_nlt_f32_e32 vcc, s50, v15
	s_nop 1
	v_cndmask_b32_e32 v66, v51, v52, vcc
	v_add_f32_e32 v15, 1.0, v66
	v_add_f32_e32 v52, -1.0, v15
	v_sub_f32_e32 v53, v52, v15
	v_add_f32_e32 v53, 1.0, v53
	v_sub_f32_e32 v52, v66, v52
	v_add_f32_e32 v54, v52, v53
	v_frexp_mant_f32_e32 v55, v15
	v_cvt_f64_f32_e32 v[52:53], v15
	v_frexp_exp_i32_f64_e32 v52, v[52:53]
	v_cmp_gt_f32_e32 vcc, s57, v55
	s_nop 1
	v_subbrev_co_u32_e32 v60, vcc, 0, v52, vcc
	v_sub_u32_e32 v52, 0, v60
	v_ldexp_f32 v15, v15, v52
	v_ldexp_f32 v52, v54, v52
	v_add_f32_e32 v54, -1.0, v15
	v_add_f32_e32 v53, 1.0, v54
	v_sub_f32_e32 v53, v15, v53
	v_add_f32_e32 v55, v52, v53
	v_add_f32_e32 v53, 1.0, v15
	v_add_f32_e32 v56, -1.0, v53
	v_sub_f32_e32 v15, v15, v56
	v_add_f32_e32 v15, v52, v15
	v_add_f32_e32 v61, v53, v15
	v_rcp_f32_e32 v62, v61
	v_sub_f32_e32 v52, v53, v61
	v_add_f32_e32 v53, v54, v55
	v_add_f32_e32 v15, v15, v52
	v_mul_f32_e32 v64, v53, v62
	v_sub_f32_e32 v52, v54, v53
	v_mul_f32_e32 v54, v61, v64
	v_fma_f32 v56, v64, v61, -v54
	v_fmac_f32_e32 v56, v64, v15
	v_add_f32_e32 v63, v55, v52
	v_add_f32_e32 v52, v54, v56
	v_sub_f32_e32 v55, v53, v52
	v_pk_add_f32 v[58:59], v[52:53], v[54:55] neg_lo:[0,1] neg_hi:[0,1]
	v_mov_b32_e32 v57, v52
	v_pk_add_f32 v[52:53], v[58:59], v[56:57] neg_lo:[0,1] neg_hi:[0,1]
	v_cmp_neq_f32_e32 vcc, s51, v66
	v_add_f32_e32 v53, v63, v53
	v_add_f32_e32 v52, v52, v53
	;; [unrolled: 1-line block ×3, first 2 shown]
	v_mul_f32_e32 v63, v62, v53
	v_mul_f32_e32 v54, v61, v63
	v_fma_f32 v56, v63, v61, -v54
	v_fmac_f32_e32 v56, v63, v15
	v_sub_f32_e32 v15, v55, v53
	v_add_f32_e32 v15, v52, v15
	v_add_f32_e32 v52, v54, v56
	v_sub_f32_e32 v55, v53, v52
	v_pk_add_f32 v[58:59], v[52:53], v[54:55] neg_lo:[0,1] neg_hi:[0,1]
	v_mov_b32_e32 v57, v52
	v_pk_add_f32 v[52:53], v[58:59], v[56:57] neg_lo:[0,1] neg_hi:[0,1]
	s_nop 0
	v_add_f32_e32 v15, v15, v53
	v_add_f32_e32 v15, v52, v15
	;; [unrolled: 1-line block ×4, first 2 shown]
	v_sub_f32_e32 v52, v53, v64
	v_mul_f32_e32 v15, v62, v15
	v_sub_f32_e32 v52, v63, v52
	v_add_f32_e32 v54, v52, v15
	v_add_f32_e32 v56, v53, v54
	v_cvt_f32_i32_e32 v52, v60
	v_mul_f32_e32 v57, v56, v56
	v_sub_f32_e32 v53, v56, v53
	v_fmamk_f32 v15, v57, 0x3e9b6dac, v49
	v_sub_f32_e32 v53, v54, v53
	v_fmaak_f32 v15, v57, v15, 0x3f2aaada
	v_ldexp_f32 v58, v53, 1
	v_mul_f32_e32 v53, v56, v57
	v_ldexp_f32 v55, v56, 1
	v_pk_mul_f32 v[56:57], v[52:53], v[14:15]
	s_nop 0
	v_fma_f32 v54, v52, s58, -v56
	v_fmac_f32_e32 v54, 0xb102e308, v52
	v_pk_add_f32 v[52:53], v[56:57], v[54:55]
	s_nop 0
	v_sub_f32_e32 v15, v53, v55
	v_sub_f32_e32 v15, v57, v15
	v_add_f32_e32 v59, v58, v15
	v_mov_b32_e32 v58, v56
	v_pk_add_f32 v[56:57], v[52:53], v[56:57] neg_lo:[0,1] neg_hi:[0,1]
	v_pk_add_f32 v[60:61], v[52:53], v[58:59]
	v_mov_b32_e32 v55, v52
	v_mov_b32_e32 v57, v61
	v_pk_add_f32 v[62:63], v[54:55], v[56:57] neg_lo:[0,1] neg_hi:[0,1]
	v_pk_add_f32 v[54:55], v[54:55], v[56:57]
	v_mov_b32_e32 v58, v59
	v_pk_add_f32 v[56:57], v[54:55], v[52:53] op_sel:[1,0] op_sel_hi:[0,1] neg_lo:[0,1] neg_hi:[0,1]
	v_pk_add_f32 v[64:65], v[60:61], v[56:57] op_sel_hi:[1,0] neg_lo:[0,1] neg_hi:[0,1]
	v_mov_b32_e32 v60, v61
	v_mov_b32_e32 v61, v55
	v_pk_mov_b32 v[56:57], v[52:53], v[56:57] op_sel:[1,0]
	v_mov_b32_e32 v59, v52
	v_pk_add_f32 v[56:57], v[60:61], v[56:57] neg_lo:[0,1] neg_hi:[0,1]
	v_mov_b32_e32 v64, v62
	v_pk_add_f32 v[52:53], v[58:59], v[56:57] neg_lo:[0,1] neg_hi:[0,1]
	v_mov_b32_e32 v63, v55
	v_pk_add_f32 v[56:57], v[64:65], v[52:53]
	s_nop 0
	v_pk_add_f32 v[58:59], v[56:57], v[56:57] op_sel:[0,1] op_sel_hi:[1,0]
	s_nop 0
	v_pk_add_f32 v[54:55], v[54:55], v[58:59] op_sel:[1,0] op_sel_hi:[0,1]
	v_mov_b32_e32 v57, v54
	v_pk_add_f32 v[60:61], v[56:57], v[62:63] neg_lo:[0,1] neg_hi:[0,1]
	v_mov_b32_e32 v53, v58
	v_sub_f32_e32 v15, v56, v60
	v_pk_add_f32 v[52:53], v[52:53], v[60:61] neg_lo:[0,1] neg_hi:[0,1]
	v_sub_f32_e32 v15, v62, v15
	v_add_f32_e32 v15, v52, v15
	v_add_f32_e32 v15, v15, v53
	;; [unrolled: 1-line block ×3, first 2 shown]
	v_cndmask_b32_e32 v15, v51, v15, vcc
	v_cmp_lt_f32_e64 vcc, |v66|, s59
	s_nop 1
	v_cndmask_b32_e32 v15, v15, v66, vcc
	v_add_f32_e32 v15, v17, v15
	v_cvt_f16_f32_e32 v53, v15
.LBB351_137:                            ;   in Loop: Header=BB351_129 Depth=1
	s_or_b64 exec, exec, s[36:37]
	v_and_b32_e32 v15, 0xffff, v53
	v_mov_b32_e32 v52, v53
.LBB351_138:                            ;   in Loop: Header=BB351_129 Depth=1
	s_or_b64 exec, exec, s[46:47]
	s_waitcnt lgkmcnt(0)
	ds_bpermute_b32 v53, v38, v15
	v_cmp_le_u32_e32 vcc, v39, v16
	s_and_saveexec_b64 s[46:47], vcc
	s_cbranch_execz .LBB351_142
; %bb.139:                              ;   in Loop: Header=BB351_129 Depth=1
	s_waitcnt lgkmcnt(0)
	v_cvt_f32_f16_e32 v17, v53
	v_cvt_f32_f16_e32 v54, v52
	v_cmp_u_f16_e32 vcc, v53, v53
	v_cmp_u_f16_e64 s[36:37], v52, v52
	v_min_f32_e32 v15, v17, v54
	v_max_f32_e32 v52, v17, v54
	v_cndmask_b32_e32 v15, v15, v17, vcc
	v_cndmask_b32_e32 v17, v52, v17, vcc
	v_cndmask_b32_e64 v15, v15, v54, s[36:37]
	v_cndmask_b32_e64 v17, v17, v54, s[36:37]
	v_cmp_neq_f32_e32 vcc, v15, v17
	v_cmp_class_f32_e64 s[36:37], v15, s3
	s_or_b64 s[60:61], vcc, s[36:37]
	s_and_saveexec_b64 s[36:37], s[60:61]
	s_cbranch_execz .LBB351_141
; %bb.140:                              ;   in Loop: Header=BB351_129 Depth=1
	v_sub_f32_e32 v15, v15, v17
	v_mul_f32_e32 v52, 0x3fb8aa3b, v15
	v_fma_f32 v53, v15, s48, -v52
	v_rndne_f32_e32 v54, v52
	v_fmac_f32_e32 v53, 0x32a5705f, v15
	v_sub_f32_e32 v52, v52, v54
	v_add_f32_e32 v52, v52, v53
	v_cvt_i32_f32_e32 v53, v54
	v_exp_f32_e32 v52, v52
	v_cmp_ngt_f32_e32 vcc, s49, v15
	v_ldexp_f32 v52, v52, v53
	s_nop 0
	v_cndmask_b32_e32 v52, 0, v52, vcc
	v_cmp_nlt_f32_e32 vcc, s50, v15
	s_nop 1
	v_cndmask_b32_e32 v66, v51, v52, vcc
	v_add_f32_e32 v15, 1.0, v66
	v_add_f32_e32 v52, -1.0, v15
	v_sub_f32_e32 v53, v52, v15
	v_add_f32_e32 v53, 1.0, v53
	v_sub_f32_e32 v52, v66, v52
	v_add_f32_e32 v54, v52, v53
	v_frexp_mant_f32_e32 v55, v15
	v_cvt_f64_f32_e32 v[52:53], v15
	v_frexp_exp_i32_f64_e32 v52, v[52:53]
	v_cmp_gt_f32_e32 vcc, s57, v55
	s_nop 1
	v_subbrev_co_u32_e32 v60, vcc, 0, v52, vcc
	v_sub_u32_e32 v52, 0, v60
	v_ldexp_f32 v15, v15, v52
	v_ldexp_f32 v52, v54, v52
	v_add_f32_e32 v54, -1.0, v15
	v_add_f32_e32 v53, 1.0, v54
	v_sub_f32_e32 v53, v15, v53
	v_add_f32_e32 v55, v52, v53
	v_add_f32_e32 v53, 1.0, v15
	v_add_f32_e32 v56, -1.0, v53
	v_sub_f32_e32 v15, v15, v56
	v_add_f32_e32 v15, v52, v15
	v_add_f32_e32 v61, v53, v15
	v_rcp_f32_e32 v62, v61
	v_sub_f32_e32 v52, v53, v61
	v_add_f32_e32 v53, v54, v55
	v_add_f32_e32 v15, v15, v52
	v_mul_f32_e32 v64, v53, v62
	v_sub_f32_e32 v52, v54, v53
	v_mul_f32_e32 v54, v61, v64
	v_fma_f32 v56, v64, v61, -v54
	v_fmac_f32_e32 v56, v64, v15
	v_add_f32_e32 v63, v55, v52
	v_add_f32_e32 v52, v54, v56
	v_sub_f32_e32 v55, v53, v52
	v_pk_add_f32 v[58:59], v[52:53], v[54:55] neg_lo:[0,1] neg_hi:[0,1]
	v_mov_b32_e32 v57, v52
	v_pk_add_f32 v[52:53], v[58:59], v[56:57] neg_lo:[0,1] neg_hi:[0,1]
	v_cmp_neq_f32_e32 vcc, s51, v66
	v_add_f32_e32 v53, v63, v53
	v_add_f32_e32 v52, v52, v53
	;; [unrolled: 1-line block ×3, first 2 shown]
	v_mul_f32_e32 v63, v62, v53
	v_mul_f32_e32 v54, v61, v63
	v_fma_f32 v56, v63, v61, -v54
	v_fmac_f32_e32 v56, v63, v15
	v_sub_f32_e32 v15, v55, v53
	v_add_f32_e32 v15, v52, v15
	v_add_f32_e32 v52, v54, v56
	v_sub_f32_e32 v55, v53, v52
	v_pk_add_f32 v[58:59], v[52:53], v[54:55] neg_lo:[0,1] neg_hi:[0,1]
	v_mov_b32_e32 v57, v52
	v_pk_add_f32 v[52:53], v[58:59], v[56:57] neg_lo:[0,1] neg_hi:[0,1]
	s_nop 0
	v_add_f32_e32 v15, v15, v53
	v_add_f32_e32 v15, v52, v15
	v_add_f32_e32 v53, v64, v63
	v_add_f32_e32 v15, v55, v15
	v_sub_f32_e32 v52, v53, v64
	v_mul_f32_e32 v15, v62, v15
	v_sub_f32_e32 v52, v63, v52
	v_add_f32_e32 v54, v52, v15
	v_add_f32_e32 v56, v53, v54
	v_cvt_f32_i32_e32 v52, v60
	v_mul_f32_e32 v57, v56, v56
	v_sub_f32_e32 v53, v56, v53
	v_fmamk_f32 v15, v57, 0x3e9b6dac, v49
	v_sub_f32_e32 v53, v54, v53
	v_fmaak_f32 v15, v57, v15, 0x3f2aaada
	v_ldexp_f32 v58, v53, 1
	v_mul_f32_e32 v53, v56, v57
	v_ldexp_f32 v55, v56, 1
	v_pk_mul_f32 v[56:57], v[52:53], v[14:15]
	s_nop 0
	v_fma_f32 v54, v52, s58, -v56
	v_fmac_f32_e32 v54, 0xb102e308, v52
	v_pk_add_f32 v[52:53], v[56:57], v[54:55]
	s_nop 0
	v_sub_f32_e32 v15, v53, v55
	v_sub_f32_e32 v15, v57, v15
	v_add_f32_e32 v59, v58, v15
	v_mov_b32_e32 v58, v56
	v_pk_add_f32 v[56:57], v[52:53], v[56:57] neg_lo:[0,1] neg_hi:[0,1]
	v_pk_add_f32 v[60:61], v[52:53], v[58:59]
	v_mov_b32_e32 v55, v52
	v_mov_b32_e32 v57, v61
	v_pk_add_f32 v[62:63], v[54:55], v[56:57] neg_lo:[0,1] neg_hi:[0,1]
	v_pk_add_f32 v[54:55], v[54:55], v[56:57]
	v_mov_b32_e32 v58, v59
	v_pk_add_f32 v[56:57], v[54:55], v[52:53] op_sel:[1,0] op_sel_hi:[0,1] neg_lo:[0,1] neg_hi:[0,1]
	v_pk_add_f32 v[64:65], v[60:61], v[56:57] op_sel_hi:[1,0] neg_lo:[0,1] neg_hi:[0,1]
	v_mov_b32_e32 v60, v61
	v_mov_b32_e32 v61, v55
	v_pk_mov_b32 v[56:57], v[52:53], v[56:57] op_sel:[1,0]
	v_mov_b32_e32 v59, v52
	v_pk_add_f32 v[56:57], v[60:61], v[56:57] neg_lo:[0,1] neg_hi:[0,1]
	v_mov_b32_e32 v64, v62
	v_pk_add_f32 v[52:53], v[58:59], v[56:57] neg_lo:[0,1] neg_hi:[0,1]
	v_mov_b32_e32 v63, v55
	v_pk_add_f32 v[56:57], v[64:65], v[52:53]
	s_nop 0
	v_pk_add_f32 v[58:59], v[56:57], v[56:57] op_sel:[0,1] op_sel_hi:[1,0]
	s_nop 0
	v_pk_add_f32 v[54:55], v[54:55], v[58:59] op_sel:[1,0] op_sel_hi:[0,1]
	v_mov_b32_e32 v57, v54
	v_pk_add_f32 v[60:61], v[56:57], v[62:63] neg_lo:[0,1] neg_hi:[0,1]
	v_mov_b32_e32 v53, v58
	v_sub_f32_e32 v15, v56, v60
	v_pk_add_f32 v[52:53], v[52:53], v[60:61] neg_lo:[0,1] neg_hi:[0,1]
	v_sub_f32_e32 v15, v62, v15
	v_add_f32_e32 v15, v52, v15
	v_add_f32_e32 v15, v15, v53
	;; [unrolled: 1-line block ×3, first 2 shown]
	v_cndmask_b32_e32 v15, v51, v15, vcc
	v_cmp_lt_f32_e64 vcc, |v66|, s59
	s_nop 1
	v_cndmask_b32_e32 v15, v15, v66, vcc
	v_add_f32_e32 v15, v17, v15
	v_cvt_f16_f32_e32 v53, v15
.LBB351_141:                            ;   in Loop: Header=BB351_129 Depth=1
	s_or_b64 exec, exec, s[36:37]
	v_and_b32_e32 v15, 0xffff, v53
	v_mov_b32_e32 v52, v53
.LBB351_142:                            ;   in Loop: Header=BB351_129 Depth=1
	s_or_b64 exec, exec, s[46:47]
	s_waitcnt lgkmcnt(0)
	ds_bpermute_b32 v53, v40, v15
	v_cmp_le_u32_e32 vcc, v41, v16
	s_and_saveexec_b64 s[46:47], vcc
	s_cbranch_execz .LBB351_146
; %bb.143:                              ;   in Loop: Header=BB351_129 Depth=1
	s_waitcnt lgkmcnt(0)
	v_cvt_f32_f16_e32 v17, v53
	v_cvt_f32_f16_e32 v54, v52
	v_cmp_u_f16_e32 vcc, v53, v53
	v_cmp_u_f16_e64 s[36:37], v52, v52
	v_min_f32_e32 v15, v17, v54
	v_max_f32_e32 v52, v17, v54
	v_cndmask_b32_e32 v15, v15, v17, vcc
	v_cndmask_b32_e32 v17, v52, v17, vcc
	v_cndmask_b32_e64 v15, v15, v54, s[36:37]
	v_cndmask_b32_e64 v17, v17, v54, s[36:37]
	v_cmp_neq_f32_e32 vcc, v15, v17
	v_cmp_class_f32_e64 s[36:37], v15, s3
	s_or_b64 s[60:61], vcc, s[36:37]
	s_and_saveexec_b64 s[36:37], s[60:61]
	s_cbranch_execz .LBB351_145
; %bb.144:                              ;   in Loop: Header=BB351_129 Depth=1
	v_sub_f32_e32 v15, v15, v17
	v_mul_f32_e32 v52, 0x3fb8aa3b, v15
	v_fma_f32 v53, v15, s48, -v52
	v_rndne_f32_e32 v54, v52
	v_fmac_f32_e32 v53, 0x32a5705f, v15
	v_sub_f32_e32 v52, v52, v54
	v_add_f32_e32 v52, v52, v53
	v_cvt_i32_f32_e32 v53, v54
	v_exp_f32_e32 v52, v52
	v_cmp_ngt_f32_e32 vcc, s49, v15
	v_ldexp_f32 v52, v52, v53
	s_nop 0
	v_cndmask_b32_e32 v52, 0, v52, vcc
	v_cmp_nlt_f32_e32 vcc, s50, v15
	s_nop 1
	v_cndmask_b32_e32 v66, v51, v52, vcc
	v_add_f32_e32 v15, 1.0, v66
	v_add_f32_e32 v52, -1.0, v15
	v_sub_f32_e32 v53, v52, v15
	v_add_f32_e32 v53, 1.0, v53
	v_sub_f32_e32 v52, v66, v52
	v_add_f32_e32 v54, v52, v53
	v_frexp_mant_f32_e32 v55, v15
	v_cvt_f64_f32_e32 v[52:53], v15
	v_frexp_exp_i32_f64_e32 v52, v[52:53]
	v_cmp_gt_f32_e32 vcc, s57, v55
	s_nop 1
	v_subbrev_co_u32_e32 v60, vcc, 0, v52, vcc
	v_sub_u32_e32 v52, 0, v60
	v_ldexp_f32 v15, v15, v52
	v_ldexp_f32 v52, v54, v52
	v_add_f32_e32 v54, -1.0, v15
	v_add_f32_e32 v53, 1.0, v54
	v_sub_f32_e32 v53, v15, v53
	v_add_f32_e32 v55, v52, v53
	v_add_f32_e32 v53, 1.0, v15
	v_add_f32_e32 v56, -1.0, v53
	v_sub_f32_e32 v15, v15, v56
	v_add_f32_e32 v15, v52, v15
	v_add_f32_e32 v61, v53, v15
	v_rcp_f32_e32 v62, v61
	v_sub_f32_e32 v52, v53, v61
	v_add_f32_e32 v53, v54, v55
	v_add_f32_e32 v15, v15, v52
	v_mul_f32_e32 v64, v53, v62
	v_sub_f32_e32 v52, v54, v53
	v_mul_f32_e32 v54, v61, v64
	v_fma_f32 v56, v64, v61, -v54
	v_fmac_f32_e32 v56, v64, v15
	v_add_f32_e32 v63, v55, v52
	v_add_f32_e32 v52, v54, v56
	v_sub_f32_e32 v55, v53, v52
	v_pk_add_f32 v[58:59], v[52:53], v[54:55] neg_lo:[0,1] neg_hi:[0,1]
	v_mov_b32_e32 v57, v52
	v_pk_add_f32 v[52:53], v[58:59], v[56:57] neg_lo:[0,1] neg_hi:[0,1]
	v_cmp_neq_f32_e32 vcc, s51, v66
	v_add_f32_e32 v53, v63, v53
	v_add_f32_e32 v52, v52, v53
	;; [unrolled: 1-line block ×3, first 2 shown]
	v_mul_f32_e32 v63, v62, v53
	v_mul_f32_e32 v54, v61, v63
	v_fma_f32 v56, v63, v61, -v54
	v_fmac_f32_e32 v56, v63, v15
	v_sub_f32_e32 v15, v55, v53
	v_add_f32_e32 v15, v52, v15
	v_add_f32_e32 v52, v54, v56
	v_sub_f32_e32 v55, v53, v52
	v_pk_add_f32 v[58:59], v[52:53], v[54:55] neg_lo:[0,1] neg_hi:[0,1]
	v_mov_b32_e32 v57, v52
	v_pk_add_f32 v[52:53], v[58:59], v[56:57] neg_lo:[0,1] neg_hi:[0,1]
	s_nop 0
	v_add_f32_e32 v15, v15, v53
	v_add_f32_e32 v15, v52, v15
	;; [unrolled: 1-line block ×4, first 2 shown]
	v_sub_f32_e32 v52, v53, v64
	v_mul_f32_e32 v15, v62, v15
	v_sub_f32_e32 v52, v63, v52
	v_add_f32_e32 v54, v52, v15
	v_add_f32_e32 v56, v53, v54
	v_cvt_f32_i32_e32 v52, v60
	v_mul_f32_e32 v57, v56, v56
	v_sub_f32_e32 v53, v56, v53
	v_fmamk_f32 v15, v57, 0x3e9b6dac, v49
	v_sub_f32_e32 v53, v54, v53
	v_fmaak_f32 v15, v57, v15, 0x3f2aaada
	v_ldexp_f32 v58, v53, 1
	v_mul_f32_e32 v53, v56, v57
	v_ldexp_f32 v55, v56, 1
	v_pk_mul_f32 v[56:57], v[52:53], v[14:15]
	s_nop 0
	v_fma_f32 v54, v52, s58, -v56
	v_fmac_f32_e32 v54, 0xb102e308, v52
	v_pk_add_f32 v[52:53], v[56:57], v[54:55]
	s_nop 0
	v_sub_f32_e32 v15, v53, v55
	v_sub_f32_e32 v15, v57, v15
	v_add_f32_e32 v59, v58, v15
	v_mov_b32_e32 v58, v56
	v_pk_add_f32 v[56:57], v[52:53], v[56:57] neg_lo:[0,1] neg_hi:[0,1]
	v_pk_add_f32 v[60:61], v[52:53], v[58:59]
	v_mov_b32_e32 v55, v52
	v_mov_b32_e32 v57, v61
	v_pk_add_f32 v[62:63], v[54:55], v[56:57] neg_lo:[0,1] neg_hi:[0,1]
	v_pk_add_f32 v[54:55], v[54:55], v[56:57]
	v_mov_b32_e32 v58, v59
	v_pk_add_f32 v[56:57], v[54:55], v[52:53] op_sel:[1,0] op_sel_hi:[0,1] neg_lo:[0,1] neg_hi:[0,1]
	v_pk_add_f32 v[64:65], v[60:61], v[56:57] op_sel_hi:[1,0] neg_lo:[0,1] neg_hi:[0,1]
	v_mov_b32_e32 v60, v61
	v_mov_b32_e32 v61, v55
	v_pk_mov_b32 v[56:57], v[52:53], v[56:57] op_sel:[1,0]
	v_mov_b32_e32 v59, v52
	v_pk_add_f32 v[56:57], v[60:61], v[56:57] neg_lo:[0,1] neg_hi:[0,1]
	v_mov_b32_e32 v64, v62
	v_pk_add_f32 v[52:53], v[58:59], v[56:57] neg_lo:[0,1] neg_hi:[0,1]
	v_mov_b32_e32 v63, v55
	v_pk_add_f32 v[56:57], v[64:65], v[52:53]
	s_nop 0
	v_pk_add_f32 v[58:59], v[56:57], v[56:57] op_sel:[0,1] op_sel_hi:[1,0]
	s_nop 0
	v_pk_add_f32 v[54:55], v[54:55], v[58:59] op_sel:[1,0] op_sel_hi:[0,1]
	v_mov_b32_e32 v57, v54
	v_pk_add_f32 v[60:61], v[56:57], v[62:63] neg_lo:[0,1] neg_hi:[0,1]
	v_mov_b32_e32 v53, v58
	v_sub_f32_e32 v15, v56, v60
	v_pk_add_f32 v[52:53], v[52:53], v[60:61] neg_lo:[0,1] neg_hi:[0,1]
	v_sub_f32_e32 v15, v62, v15
	v_add_f32_e32 v15, v52, v15
	v_add_f32_e32 v15, v15, v53
	;; [unrolled: 1-line block ×3, first 2 shown]
	v_cndmask_b32_e32 v15, v51, v15, vcc
	v_cmp_lt_f32_e64 vcc, |v66|, s59
	s_nop 1
	v_cndmask_b32_e32 v15, v15, v66, vcc
	v_add_f32_e32 v15, v17, v15
	v_cvt_f16_f32_e32 v53, v15
.LBB351_145:                            ;   in Loop: Header=BB351_129 Depth=1
	s_or_b64 exec, exec, s[36:37]
	v_and_b32_e32 v15, 0xffff, v53
	v_mov_b32_e32 v52, v53
.LBB351_146:                            ;   in Loop: Header=BB351_129 Depth=1
	s_or_b64 exec, exec, s[46:47]
	s_waitcnt lgkmcnt(0)
	ds_bpermute_b32 v53, v42, v15
	v_cmp_le_u32_e32 vcc, v43, v16
	s_and_saveexec_b64 s[46:47], vcc
	s_cbranch_execz .LBB351_150
; %bb.147:                              ;   in Loop: Header=BB351_129 Depth=1
	s_waitcnt lgkmcnt(0)
	v_cvt_f32_f16_e32 v17, v53
	v_cvt_f32_f16_e32 v54, v52
	v_cmp_u_f16_e32 vcc, v53, v53
	v_cmp_u_f16_e64 s[36:37], v52, v52
	v_min_f32_e32 v15, v17, v54
	v_max_f32_e32 v52, v17, v54
	v_cndmask_b32_e32 v15, v15, v17, vcc
	v_cndmask_b32_e32 v17, v52, v17, vcc
	v_cndmask_b32_e64 v15, v15, v54, s[36:37]
	v_cndmask_b32_e64 v17, v17, v54, s[36:37]
	v_cmp_neq_f32_e32 vcc, v15, v17
	v_cmp_class_f32_e64 s[36:37], v15, s3
	s_or_b64 s[60:61], vcc, s[36:37]
	s_and_saveexec_b64 s[36:37], s[60:61]
	s_cbranch_execz .LBB351_149
; %bb.148:                              ;   in Loop: Header=BB351_129 Depth=1
	v_sub_f32_e32 v15, v15, v17
	v_mul_f32_e32 v52, 0x3fb8aa3b, v15
	v_fma_f32 v53, v15, s48, -v52
	v_rndne_f32_e32 v54, v52
	v_fmac_f32_e32 v53, 0x32a5705f, v15
	v_sub_f32_e32 v52, v52, v54
	v_add_f32_e32 v52, v52, v53
	v_cvt_i32_f32_e32 v53, v54
	v_exp_f32_e32 v52, v52
	v_cmp_ngt_f32_e32 vcc, s49, v15
	v_ldexp_f32 v52, v52, v53
	s_nop 0
	v_cndmask_b32_e32 v52, 0, v52, vcc
	v_cmp_nlt_f32_e32 vcc, s50, v15
	s_nop 1
	v_cndmask_b32_e32 v66, v51, v52, vcc
	v_add_f32_e32 v15, 1.0, v66
	v_add_f32_e32 v52, -1.0, v15
	v_sub_f32_e32 v53, v52, v15
	v_add_f32_e32 v53, 1.0, v53
	v_sub_f32_e32 v52, v66, v52
	v_add_f32_e32 v54, v52, v53
	v_frexp_mant_f32_e32 v55, v15
	v_cvt_f64_f32_e32 v[52:53], v15
	v_frexp_exp_i32_f64_e32 v52, v[52:53]
	v_cmp_gt_f32_e32 vcc, s57, v55
	s_nop 1
	v_subbrev_co_u32_e32 v60, vcc, 0, v52, vcc
	v_sub_u32_e32 v52, 0, v60
	v_ldexp_f32 v15, v15, v52
	v_ldexp_f32 v52, v54, v52
	v_add_f32_e32 v54, -1.0, v15
	v_add_f32_e32 v53, 1.0, v54
	v_sub_f32_e32 v53, v15, v53
	v_add_f32_e32 v55, v52, v53
	v_add_f32_e32 v53, 1.0, v15
	v_add_f32_e32 v56, -1.0, v53
	v_sub_f32_e32 v15, v15, v56
	v_add_f32_e32 v15, v52, v15
	v_add_f32_e32 v61, v53, v15
	v_rcp_f32_e32 v62, v61
	v_sub_f32_e32 v52, v53, v61
	v_add_f32_e32 v53, v54, v55
	v_add_f32_e32 v15, v15, v52
	v_mul_f32_e32 v64, v53, v62
	v_sub_f32_e32 v52, v54, v53
	v_mul_f32_e32 v54, v61, v64
	v_fma_f32 v56, v64, v61, -v54
	v_fmac_f32_e32 v56, v64, v15
	v_add_f32_e32 v63, v55, v52
	v_add_f32_e32 v52, v54, v56
	v_sub_f32_e32 v55, v53, v52
	v_pk_add_f32 v[58:59], v[52:53], v[54:55] neg_lo:[0,1] neg_hi:[0,1]
	v_mov_b32_e32 v57, v52
	v_pk_add_f32 v[52:53], v[58:59], v[56:57] neg_lo:[0,1] neg_hi:[0,1]
	v_cmp_neq_f32_e32 vcc, s51, v66
	v_add_f32_e32 v53, v63, v53
	v_add_f32_e32 v52, v52, v53
	;; [unrolled: 1-line block ×3, first 2 shown]
	v_mul_f32_e32 v63, v62, v53
	v_mul_f32_e32 v54, v61, v63
	v_fma_f32 v56, v63, v61, -v54
	v_fmac_f32_e32 v56, v63, v15
	v_sub_f32_e32 v15, v55, v53
	v_add_f32_e32 v15, v52, v15
	v_add_f32_e32 v52, v54, v56
	v_sub_f32_e32 v55, v53, v52
	v_pk_add_f32 v[58:59], v[52:53], v[54:55] neg_lo:[0,1] neg_hi:[0,1]
	v_mov_b32_e32 v57, v52
	v_pk_add_f32 v[52:53], v[58:59], v[56:57] neg_lo:[0,1] neg_hi:[0,1]
	s_nop 0
	v_add_f32_e32 v15, v15, v53
	v_add_f32_e32 v15, v52, v15
	;; [unrolled: 1-line block ×4, first 2 shown]
	v_sub_f32_e32 v52, v53, v64
	v_mul_f32_e32 v15, v62, v15
	v_sub_f32_e32 v52, v63, v52
	v_add_f32_e32 v54, v52, v15
	v_add_f32_e32 v56, v53, v54
	v_cvt_f32_i32_e32 v52, v60
	v_mul_f32_e32 v57, v56, v56
	v_sub_f32_e32 v53, v56, v53
	v_fmamk_f32 v15, v57, 0x3e9b6dac, v49
	v_sub_f32_e32 v53, v54, v53
	v_fmaak_f32 v15, v57, v15, 0x3f2aaada
	v_ldexp_f32 v58, v53, 1
	v_mul_f32_e32 v53, v56, v57
	v_ldexp_f32 v55, v56, 1
	v_pk_mul_f32 v[56:57], v[52:53], v[14:15]
	s_nop 0
	v_fma_f32 v54, v52, s58, -v56
	v_fmac_f32_e32 v54, 0xb102e308, v52
	v_pk_add_f32 v[52:53], v[56:57], v[54:55]
	s_nop 0
	v_sub_f32_e32 v15, v53, v55
	v_sub_f32_e32 v15, v57, v15
	v_add_f32_e32 v59, v58, v15
	v_mov_b32_e32 v58, v56
	v_pk_add_f32 v[56:57], v[52:53], v[56:57] neg_lo:[0,1] neg_hi:[0,1]
	v_pk_add_f32 v[60:61], v[52:53], v[58:59]
	v_mov_b32_e32 v55, v52
	v_mov_b32_e32 v57, v61
	v_pk_add_f32 v[62:63], v[54:55], v[56:57] neg_lo:[0,1] neg_hi:[0,1]
	v_pk_add_f32 v[54:55], v[54:55], v[56:57]
	v_mov_b32_e32 v58, v59
	v_pk_add_f32 v[56:57], v[54:55], v[52:53] op_sel:[1,0] op_sel_hi:[0,1] neg_lo:[0,1] neg_hi:[0,1]
	v_pk_add_f32 v[64:65], v[60:61], v[56:57] op_sel_hi:[1,0] neg_lo:[0,1] neg_hi:[0,1]
	v_mov_b32_e32 v60, v61
	v_mov_b32_e32 v61, v55
	v_pk_mov_b32 v[56:57], v[52:53], v[56:57] op_sel:[1,0]
	v_mov_b32_e32 v59, v52
	v_pk_add_f32 v[56:57], v[60:61], v[56:57] neg_lo:[0,1] neg_hi:[0,1]
	v_mov_b32_e32 v64, v62
	v_pk_add_f32 v[52:53], v[58:59], v[56:57] neg_lo:[0,1] neg_hi:[0,1]
	v_mov_b32_e32 v63, v55
	v_pk_add_f32 v[56:57], v[64:65], v[52:53]
	s_nop 0
	v_pk_add_f32 v[58:59], v[56:57], v[56:57] op_sel:[0,1] op_sel_hi:[1,0]
	s_nop 0
	v_pk_add_f32 v[54:55], v[54:55], v[58:59] op_sel:[1,0] op_sel_hi:[0,1]
	v_mov_b32_e32 v57, v54
	v_pk_add_f32 v[60:61], v[56:57], v[62:63] neg_lo:[0,1] neg_hi:[0,1]
	v_mov_b32_e32 v53, v58
	v_sub_f32_e32 v15, v56, v60
	v_pk_add_f32 v[52:53], v[52:53], v[60:61] neg_lo:[0,1] neg_hi:[0,1]
	v_sub_f32_e32 v15, v62, v15
	v_add_f32_e32 v15, v52, v15
	v_add_f32_e32 v15, v15, v53
	;; [unrolled: 1-line block ×3, first 2 shown]
	v_cndmask_b32_e32 v15, v51, v15, vcc
	v_cmp_lt_f32_e64 vcc, |v66|, s59
	s_nop 1
	v_cndmask_b32_e32 v15, v15, v66, vcc
	v_add_f32_e32 v15, v17, v15
	v_cvt_f16_f32_e32 v53, v15
.LBB351_149:                            ;   in Loop: Header=BB351_129 Depth=1
	s_or_b64 exec, exec, s[36:37]
	v_and_b32_e32 v15, 0xffff, v53
	v_mov_b32_e32 v52, v53
.LBB351_150:                            ;   in Loop: Header=BB351_129 Depth=1
	s_or_b64 exec, exec, s[46:47]
	s_waitcnt lgkmcnt(0)
	ds_bpermute_b32 v53, v44, v15
	v_cmp_le_u32_e32 vcc, v45, v16
	s_and_saveexec_b64 s[46:47], vcc
	s_cbranch_execz .LBB351_154
; %bb.151:                              ;   in Loop: Header=BB351_129 Depth=1
	s_waitcnt lgkmcnt(0)
	v_cvt_f32_f16_e32 v17, v53
	v_cvt_f32_f16_e32 v54, v52
	v_cmp_u_f16_e32 vcc, v53, v53
	v_cmp_u_f16_e64 s[36:37], v52, v52
	v_min_f32_e32 v15, v17, v54
	v_max_f32_e32 v52, v17, v54
	v_cndmask_b32_e32 v15, v15, v17, vcc
	v_cndmask_b32_e32 v17, v52, v17, vcc
	v_cndmask_b32_e64 v15, v15, v54, s[36:37]
	v_cndmask_b32_e64 v17, v17, v54, s[36:37]
	v_cmp_neq_f32_e32 vcc, v15, v17
	v_cmp_class_f32_e64 s[36:37], v15, s3
	s_or_b64 s[60:61], vcc, s[36:37]
	s_and_saveexec_b64 s[36:37], s[60:61]
	s_cbranch_execz .LBB351_153
; %bb.152:                              ;   in Loop: Header=BB351_129 Depth=1
	v_sub_f32_e32 v15, v15, v17
	v_mul_f32_e32 v52, 0x3fb8aa3b, v15
	v_fma_f32 v53, v15, s48, -v52
	v_rndne_f32_e32 v54, v52
	v_fmac_f32_e32 v53, 0x32a5705f, v15
	v_sub_f32_e32 v52, v52, v54
	v_add_f32_e32 v52, v52, v53
	v_cvt_i32_f32_e32 v53, v54
	v_exp_f32_e32 v52, v52
	v_cmp_ngt_f32_e32 vcc, s49, v15
	v_ldexp_f32 v52, v52, v53
	s_nop 0
	v_cndmask_b32_e32 v52, 0, v52, vcc
	v_cmp_nlt_f32_e32 vcc, s50, v15
	s_nop 1
	v_cndmask_b32_e32 v66, v51, v52, vcc
	v_add_f32_e32 v15, 1.0, v66
	v_add_f32_e32 v52, -1.0, v15
	v_sub_f32_e32 v53, v52, v15
	v_add_f32_e32 v53, 1.0, v53
	v_sub_f32_e32 v52, v66, v52
	v_add_f32_e32 v54, v52, v53
	v_frexp_mant_f32_e32 v55, v15
	v_cvt_f64_f32_e32 v[52:53], v15
	v_frexp_exp_i32_f64_e32 v52, v[52:53]
	v_cmp_gt_f32_e32 vcc, s57, v55
	s_nop 1
	v_subbrev_co_u32_e32 v60, vcc, 0, v52, vcc
	v_sub_u32_e32 v52, 0, v60
	v_ldexp_f32 v15, v15, v52
	v_ldexp_f32 v52, v54, v52
	v_add_f32_e32 v54, -1.0, v15
	v_add_f32_e32 v53, 1.0, v54
	v_sub_f32_e32 v53, v15, v53
	v_add_f32_e32 v55, v52, v53
	v_add_f32_e32 v53, 1.0, v15
	v_add_f32_e32 v56, -1.0, v53
	v_sub_f32_e32 v15, v15, v56
	v_add_f32_e32 v15, v52, v15
	v_add_f32_e32 v61, v53, v15
	v_rcp_f32_e32 v62, v61
	v_sub_f32_e32 v52, v53, v61
	v_add_f32_e32 v53, v54, v55
	v_add_f32_e32 v15, v15, v52
	v_mul_f32_e32 v64, v53, v62
	v_sub_f32_e32 v52, v54, v53
	v_mul_f32_e32 v54, v61, v64
	v_fma_f32 v56, v64, v61, -v54
	v_fmac_f32_e32 v56, v64, v15
	v_add_f32_e32 v63, v55, v52
	v_add_f32_e32 v52, v54, v56
	v_sub_f32_e32 v55, v53, v52
	v_pk_add_f32 v[58:59], v[52:53], v[54:55] neg_lo:[0,1] neg_hi:[0,1]
	v_mov_b32_e32 v57, v52
	v_pk_add_f32 v[52:53], v[58:59], v[56:57] neg_lo:[0,1] neg_hi:[0,1]
	v_cmp_neq_f32_e32 vcc, s51, v66
	v_add_f32_e32 v53, v63, v53
	v_add_f32_e32 v52, v52, v53
	;; [unrolled: 1-line block ×3, first 2 shown]
	v_mul_f32_e32 v63, v62, v53
	v_mul_f32_e32 v54, v61, v63
	v_fma_f32 v56, v63, v61, -v54
	v_fmac_f32_e32 v56, v63, v15
	v_sub_f32_e32 v15, v55, v53
	v_add_f32_e32 v15, v52, v15
	v_add_f32_e32 v52, v54, v56
	v_sub_f32_e32 v55, v53, v52
	v_pk_add_f32 v[58:59], v[52:53], v[54:55] neg_lo:[0,1] neg_hi:[0,1]
	v_mov_b32_e32 v57, v52
	v_pk_add_f32 v[52:53], v[58:59], v[56:57] neg_lo:[0,1] neg_hi:[0,1]
	s_nop 0
	v_add_f32_e32 v15, v15, v53
	v_add_f32_e32 v15, v52, v15
	;; [unrolled: 1-line block ×4, first 2 shown]
	v_sub_f32_e32 v52, v53, v64
	v_mul_f32_e32 v15, v62, v15
	v_sub_f32_e32 v52, v63, v52
	v_add_f32_e32 v54, v52, v15
	v_add_f32_e32 v56, v53, v54
	v_cvt_f32_i32_e32 v52, v60
	v_mul_f32_e32 v57, v56, v56
	v_sub_f32_e32 v53, v56, v53
	v_fmamk_f32 v15, v57, 0x3e9b6dac, v49
	v_sub_f32_e32 v53, v54, v53
	v_fmaak_f32 v15, v57, v15, 0x3f2aaada
	v_ldexp_f32 v58, v53, 1
	v_mul_f32_e32 v53, v56, v57
	v_ldexp_f32 v55, v56, 1
	v_pk_mul_f32 v[56:57], v[52:53], v[14:15]
	s_nop 0
	v_fma_f32 v54, v52, s58, -v56
	v_fmac_f32_e32 v54, 0xb102e308, v52
	v_pk_add_f32 v[52:53], v[56:57], v[54:55]
	s_nop 0
	v_sub_f32_e32 v15, v53, v55
	v_sub_f32_e32 v15, v57, v15
	v_add_f32_e32 v59, v58, v15
	v_mov_b32_e32 v58, v56
	v_pk_add_f32 v[56:57], v[52:53], v[56:57] neg_lo:[0,1] neg_hi:[0,1]
	v_pk_add_f32 v[60:61], v[52:53], v[58:59]
	v_mov_b32_e32 v55, v52
	v_mov_b32_e32 v57, v61
	v_pk_add_f32 v[62:63], v[54:55], v[56:57] neg_lo:[0,1] neg_hi:[0,1]
	v_pk_add_f32 v[54:55], v[54:55], v[56:57]
	v_mov_b32_e32 v58, v59
	v_pk_add_f32 v[56:57], v[54:55], v[52:53] op_sel:[1,0] op_sel_hi:[0,1] neg_lo:[0,1] neg_hi:[0,1]
	v_pk_add_f32 v[64:65], v[60:61], v[56:57] op_sel_hi:[1,0] neg_lo:[0,1] neg_hi:[0,1]
	v_mov_b32_e32 v60, v61
	v_mov_b32_e32 v61, v55
	v_pk_mov_b32 v[56:57], v[52:53], v[56:57] op_sel:[1,0]
	v_mov_b32_e32 v59, v52
	v_pk_add_f32 v[56:57], v[60:61], v[56:57] neg_lo:[0,1] neg_hi:[0,1]
	v_mov_b32_e32 v64, v62
	v_pk_add_f32 v[52:53], v[58:59], v[56:57] neg_lo:[0,1] neg_hi:[0,1]
	v_mov_b32_e32 v63, v55
	v_pk_add_f32 v[56:57], v[64:65], v[52:53]
	s_nop 0
	v_pk_add_f32 v[58:59], v[56:57], v[56:57] op_sel:[0,1] op_sel_hi:[1,0]
	s_nop 0
	v_pk_add_f32 v[54:55], v[54:55], v[58:59] op_sel:[1,0] op_sel_hi:[0,1]
	v_mov_b32_e32 v57, v54
	v_pk_add_f32 v[60:61], v[56:57], v[62:63] neg_lo:[0,1] neg_hi:[0,1]
	v_mov_b32_e32 v53, v58
	v_sub_f32_e32 v15, v56, v60
	v_pk_add_f32 v[52:53], v[52:53], v[60:61] neg_lo:[0,1] neg_hi:[0,1]
	v_sub_f32_e32 v15, v62, v15
	v_add_f32_e32 v15, v52, v15
	v_add_f32_e32 v15, v15, v53
	;; [unrolled: 1-line block ×3, first 2 shown]
	v_cndmask_b32_e32 v15, v51, v15, vcc
	v_cmp_lt_f32_e64 vcc, |v66|, s59
	s_nop 1
	v_cndmask_b32_e32 v15, v15, v66, vcc
	v_add_f32_e32 v15, v17, v15
	v_cvt_f16_f32_e32 v53, v15
.LBB351_153:                            ;   in Loop: Header=BB351_129 Depth=1
	s_or_b64 exec, exec, s[36:37]
	v_and_b32_e32 v15, 0xffff, v53
	v_mov_b32_e32 v52, v53
.LBB351_154:                            ;   in Loop: Header=BB351_129 Depth=1
	s_or_b64 exec, exec, s[46:47]
	ds_bpermute_b32 v15, v46, v15
	v_cmp_le_u32_e32 vcc, v48, v16
	s_and_saveexec_b64 s[46:47], vcc
	s_cbranch_execz .LBB351_158
; %bb.155:                              ;   in Loop: Header=BB351_129 Depth=1
	s_waitcnt lgkmcnt(0)
	v_cvt_f32_f16_e32 v16, v15
	v_cvt_f32_f16_e32 v53, v52
	v_cmp_u_f16_e32 vcc, v15, v15
	v_cmp_u_f16_e64 s[36:37], v52, v52
	v_min_f32_e32 v17, v16, v53
	v_max_f32_e32 v52, v16, v53
	v_cndmask_b32_e32 v17, v17, v16, vcc
	v_cndmask_b32_e32 v16, v52, v16, vcc
	v_cndmask_b32_e64 v17, v17, v53, s[36:37]
	v_cndmask_b32_e64 v16, v16, v53, s[36:37]
	v_cmp_neq_f32_e32 vcc, v17, v16
	v_cmp_class_f32_e64 s[36:37], v17, s3
	s_or_b64 s[60:61], vcc, s[36:37]
	s_and_saveexec_b64 s[36:37], s[60:61]
	s_cbranch_execz .LBB351_157
; %bb.156:                              ;   in Loop: Header=BB351_129 Depth=1
	v_sub_f32_e32 v15, v17, v16
	v_mul_f32_e32 v17, 0x3fb8aa3b, v15
	v_fma_f32 v52, v15, s48, -v17
	v_rndne_f32_e32 v53, v17
	v_fmac_f32_e32 v52, 0x32a5705f, v15
	v_sub_f32_e32 v17, v17, v53
	v_add_f32_e32 v17, v17, v52
	v_cvt_i32_f32_e32 v52, v53
	v_exp_f32_e32 v17, v17
	v_cmp_ngt_f32_e32 vcc, s49, v15
	v_ldexp_f32 v17, v17, v52
	s_nop 0
	v_cndmask_b32_e32 v17, 0, v17, vcc
	v_cmp_nlt_f32_e32 vcc, s50, v15
	s_nop 1
	v_cndmask_b32_e32 v17, v51, v17, vcc
	v_add_f32_e32 v15, 1.0, v17
	v_add_f32_e32 v52, -1.0, v15
	v_sub_f32_e32 v53, v52, v15
	v_add_f32_e32 v53, 1.0, v53
	v_sub_f32_e32 v52, v17, v52
	v_add_f32_e32 v54, v52, v53
	v_frexp_mant_f32_e32 v55, v15
	v_cvt_f64_f32_e32 v[52:53], v15
	v_frexp_exp_i32_f64_e32 v52, v[52:53]
	v_cmp_gt_f32_e32 vcc, s57, v55
	s_nop 1
	v_subbrev_co_u32_e32 v60, vcc, 0, v52, vcc
	v_sub_u32_e32 v52, 0, v60
	v_ldexp_f32 v15, v15, v52
	v_ldexp_f32 v52, v54, v52
	v_add_f32_e32 v54, -1.0, v15
	v_add_f32_e32 v53, 1.0, v54
	v_sub_f32_e32 v53, v15, v53
	v_add_f32_e32 v55, v52, v53
	v_add_f32_e32 v53, 1.0, v15
	v_add_f32_e32 v56, -1.0, v53
	v_sub_f32_e32 v15, v15, v56
	v_add_f32_e32 v15, v52, v15
	v_add_f32_e32 v61, v53, v15
	v_rcp_f32_e32 v62, v61
	v_sub_f32_e32 v52, v53, v61
	v_add_f32_e32 v53, v54, v55
	v_add_f32_e32 v15, v15, v52
	v_mul_f32_e32 v64, v53, v62
	v_sub_f32_e32 v52, v54, v53
	v_mul_f32_e32 v54, v61, v64
	v_fma_f32 v56, v64, v61, -v54
	v_fmac_f32_e32 v56, v64, v15
	v_add_f32_e32 v63, v55, v52
	v_add_f32_e32 v52, v54, v56
	v_sub_f32_e32 v55, v53, v52
	v_pk_add_f32 v[58:59], v[52:53], v[54:55] neg_lo:[0,1] neg_hi:[0,1]
	v_mov_b32_e32 v57, v52
	v_pk_add_f32 v[52:53], v[58:59], v[56:57] neg_lo:[0,1] neg_hi:[0,1]
	v_cmp_neq_f32_e32 vcc, s51, v17
	v_add_f32_e32 v53, v63, v53
	v_add_f32_e32 v52, v52, v53
	;; [unrolled: 1-line block ×3, first 2 shown]
	v_mul_f32_e32 v63, v62, v53
	v_mul_f32_e32 v54, v61, v63
	v_fma_f32 v56, v63, v61, -v54
	v_fmac_f32_e32 v56, v63, v15
	v_sub_f32_e32 v15, v55, v53
	v_add_f32_e32 v15, v52, v15
	v_add_f32_e32 v52, v54, v56
	v_sub_f32_e32 v55, v53, v52
	v_pk_add_f32 v[58:59], v[52:53], v[54:55] neg_lo:[0,1] neg_hi:[0,1]
	v_mov_b32_e32 v57, v52
	v_pk_add_f32 v[52:53], v[58:59], v[56:57] neg_lo:[0,1] neg_hi:[0,1]
	s_nop 0
	v_add_f32_e32 v15, v15, v53
	v_add_f32_e32 v15, v52, v15
	;; [unrolled: 1-line block ×4, first 2 shown]
	v_sub_f32_e32 v52, v53, v64
	v_mul_f32_e32 v15, v62, v15
	v_sub_f32_e32 v52, v63, v52
	v_add_f32_e32 v54, v52, v15
	v_add_f32_e32 v56, v53, v54
	v_cvt_f32_i32_e32 v52, v60
	v_mul_f32_e32 v57, v56, v56
	v_sub_f32_e32 v53, v56, v53
	v_fmamk_f32 v15, v57, 0x3e9b6dac, v49
	v_sub_f32_e32 v53, v54, v53
	v_fmaak_f32 v15, v57, v15, 0x3f2aaada
	v_ldexp_f32 v58, v53, 1
	v_mul_f32_e32 v53, v56, v57
	v_ldexp_f32 v55, v56, 1
	v_pk_mul_f32 v[56:57], v[52:53], v[14:15]
	s_nop 0
	v_fma_f32 v54, v52, s58, -v56
	v_fmac_f32_e32 v54, 0xb102e308, v52
	v_pk_add_f32 v[52:53], v[56:57], v[54:55]
	s_nop 0
	v_sub_f32_e32 v15, v53, v55
	v_sub_f32_e32 v15, v57, v15
	v_add_f32_e32 v59, v58, v15
	v_mov_b32_e32 v58, v56
	v_pk_add_f32 v[56:57], v[52:53], v[56:57] neg_lo:[0,1] neg_hi:[0,1]
	v_pk_add_f32 v[60:61], v[52:53], v[58:59]
	v_mov_b32_e32 v55, v52
	v_mov_b32_e32 v57, v61
	v_pk_add_f32 v[62:63], v[54:55], v[56:57] neg_lo:[0,1] neg_hi:[0,1]
	v_pk_add_f32 v[54:55], v[54:55], v[56:57]
	v_mov_b32_e32 v58, v59
	v_pk_add_f32 v[56:57], v[54:55], v[52:53] op_sel:[1,0] op_sel_hi:[0,1] neg_lo:[0,1] neg_hi:[0,1]
	v_pk_add_f32 v[64:65], v[60:61], v[56:57] op_sel_hi:[1,0] neg_lo:[0,1] neg_hi:[0,1]
	v_mov_b32_e32 v60, v61
	v_mov_b32_e32 v61, v55
	v_pk_mov_b32 v[56:57], v[52:53], v[56:57] op_sel:[1,0]
	v_mov_b32_e32 v59, v52
	v_pk_add_f32 v[56:57], v[60:61], v[56:57] neg_lo:[0,1] neg_hi:[0,1]
	v_mov_b32_e32 v64, v62
	v_pk_add_f32 v[52:53], v[58:59], v[56:57] neg_lo:[0,1] neg_hi:[0,1]
	v_mov_b32_e32 v63, v55
	v_pk_add_f32 v[56:57], v[64:65], v[52:53]
	s_nop 0
	v_pk_add_f32 v[58:59], v[56:57], v[56:57] op_sel:[0,1] op_sel_hi:[1,0]
	s_nop 0
	v_pk_add_f32 v[54:55], v[54:55], v[58:59] op_sel:[1,0] op_sel_hi:[0,1]
	v_mov_b32_e32 v57, v54
	v_pk_add_f32 v[60:61], v[56:57], v[62:63] neg_lo:[0,1] neg_hi:[0,1]
	v_mov_b32_e32 v53, v58
	v_sub_f32_e32 v15, v56, v60
	v_pk_add_f32 v[52:53], v[52:53], v[60:61] neg_lo:[0,1] neg_hi:[0,1]
	v_sub_f32_e32 v15, v62, v15
	v_add_f32_e32 v15, v52, v15
	v_add_f32_e32 v15, v15, v53
	v_add_f32_e32 v15, v54, v15
	v_cndmask_b32_e32 v15, v51, v15, vcc
	v_cmp_lt_f32_e64 vcc, |v17|, s59
	s_nop 1
	v_cndmask_b32_e32 v15, v15, v17, vcc
	v_add_f32_e32 v15, v16, v15
	v_cvt_f16_f32_e32 v15, v15
.LBB351_157:                            ;   in Loop: Header=BB351_129 Depth=1
	s_or_b64 exec, exec, s[36:37]
	v_mov_b32_e32 v52, v15
.LBB351_158:                            ;   in Loop: Header=BB351_129 Depth=1
	s_or_b64 exec, exec, s[46:47]
	v_cvt_f32_f16_e32 v16, v52
	v_cvt_f32_f16_e32 v17, v47
	v_cmp_u_f16_e32 vcc, v52, v52
	v_cmp_u_f16_e64 s[36:37], v47, v47
	s_waitcnt lgkmcnt(0)
	v_min_f32_e32 v15, v16, v17
	v_max_f32_e32 v53, v16, v17
	v_cndmask_b32_e32 v15, v15, v16, vcc
	v_cndmask_b32_e32 v16, v53, v16, vcc
	v_cndmask_b32_e64 v15, v15, v17, s[36:37]
	v_cndmask_b32_e64 v16, v16, v17, s[36:37]
	v_cmp_neq_f32_e32 vcc, v15, v16
	v_cmp_class_f32_e64 s[36:37], v15, s3
	s_or_b64 s[36:37], vcc, s[36:37]
	s_and_saveexec_b64 s[46:47], s[36:37]
	s_xor_b64 s[36:37], exec, s[46:47]
	s_cbranch_execz .LBB351_127
; %bb.159:                              ;   in Loop: Header=BB351_129 Depth=1
	v_sub_f32_e32 v15, v15, v16
	v_mul_f32_e32 v17, 0x3fb8aa3b, v15
	v_fma_f32 v52, v15, s48, -v17
	v_rndne_f32_e32 v53, v17
	v_fmac_f32_e32 v52, 0x32a5705f, v15
	v_sub_f32_e32 v17, v17, v53
	v_add_f32_e32 v17, v17, v52
	v_cvt_i32_f32_e32 v52, v53
	v_exp_f32_e32 v17, v17
	v_cmp_ngt_f32_e32 vcc, s49, v15
	v_ldexp_f32 v17, v17, v52
	s_nop 0
	v_cndmask_b32_e32 v17, 0, v17, vcc
	v_cmp_nlt_f32_e32 vcc, s50, v15
	s_nop 1
	v_cndmask_b32_e32 v17, v51, v17, vcc
	v_add_f32_e32 v15, 1.0, v17
	v_add_f32_e32 v52, -1.0, v15
	v_sub_f32_e32 v53, v52, v15
	v_add_f32_e32 v53, 1.0, v53
	v_sub_f32_e32 v52, v17, v52
	v_add_f32_e32 v54, v52, v53
	v_frexp_mant_f32_e32 v55, v15
	v_cvt_f64_f32_e32 v[52:53], v15
	v_frexp_exp_i32_f64_e32 v52, v[52:53]
	v_cmp_gt_f32_e32 vcc, s57, v55
	s_nop 1
	v_subbrev_co_u32_e32 v52, vcc, 0, v52, vcc
	v_sub_u32_e32 v53, 0, v52
	v_ldexp_f32 v15, v15, v53
	v_ldexp_f32 v53, v54, v53
	v_add_f32_e32 v54, -1.0, v15
	v_add_f32_e32 v57, 1.0, v15
	v_add_f32_e32 v55, 1.0, v54
	v_add_f32_e32 v58, -1.0, v57
	v_sub_f32_e32 v55, v15, v55
	v_sub_f32_e32 v15, v15, v58
	v_add_f32_e32 v15, v53, v15
	v_add_f32_e32 v55, v53, v55
	;; [unrolled: 1-line block ×3, first 2 shown]
	v_rcp_f32_e32 v58, v53
	v_add_f32_e32 v56, v54, v55
	v_sub_f32_e32 v54, v54, v56
	v_add_f32_e32 v54, v55, v54
	v_sub_f32_e32 v55, v57, v53
	v_add_f32_e32 v15, v15, v55
	v_mul_f32_e32 v55, v56, v58
	v_mul_f32_e32 v57, v53, v55
	v_fma_f32 v59, v55, v53, -v57
	v_fmac_f32_e32 v59, v55, v15
	v_add_f32_e32 v60, v57, v59
	v_sub_f32_e32 v61, v56, v60
	v_sub_f32_e32 v56, v56, v61
	;; [unrolled: 1-line block ×4, first 2 shown]
	v_add_f32_e32 v54, v54, v56
	v_sub_f32_e32 v56, v57, v59
	v_add_f32_e32 v54, v56, v54
	v_add_f32_e32 v56, v61, v54
	v_mul_f32_e32 v57, v58, v56
	v_mul_f32_e32 v59, v53, v57
	v_fma_f32 v53, v57, v53, -v59
	v_fmac_f32_e32 v53, v57, v15
	v_sub_f32_e32 v15, v61, v56
	v_add_f32_e32 v15, v54, v15
	v_add_f32_e32 v54, v59, v53
	v_sub_f32_e32 v60, v56, v54
	v_sub_f32_e32 v56, v56, v60
	;; [unrolled: 1-line block ×4, first 2 shown]
	v_add_f32_e32 v15, v15, v54
	v_sub_f32_e32 v53, v59, v53
	v_add_f32_e32 v15, v53, v15
	v_add_f32_e32 v53, v55, v57
	;; [unrolled: 1-line block ×3, first 2 shown]
	v_sub_f32_e32 v54, v53, v55
	v_mul_f32_e32 v15, v58, v15
	v_sub_f32_e32 v54, v57, v54
	v_add_f32_e32 v54, v54, v15
	v_add_f32_e32 v56, v53, v54
	v_cvt_f32_i32_e32 v52, v52
	v_mul_f32_e32 v57, v56, v56
	v_sub_f32_e32 v53, v56, v53
	v_fmamk_f32 v15, v57, 0x3e9b6dac, v49
	v_sub_f32_e32 v53, v54, v53
	v_fmaak_f32 v15, v57, v15, 0x3f2aaada
	v_ldexp_f32 v58, v53, 1
	v_mul_f32_e32 v53, v56, v57
	v_ldexp_f32 v55, v56, 1
	v_pk_mul_f32 v[56:57], v[52:53], v[14:15]
	v_cmp_neq_f32_e32 vcc, s51, v17
	v_fma_f32 v54, v52, s58, -v56
	v_fmac_f32_e32 v54, 0xb102e308, v52
	v_pk_add_f32 v[52:53], v[56:57], v[54:55]
	s_nop 0
	v_sub_f32_e32 v15, v53, v55
	v_sub_f32_e32 v15, v57, v15
	v_add_f32_e32 v59, v58, v15
	v_mov_b32_e32 v58, v56
	v_pk_add_f32 v[56:57], v[52:53], v[56:57] neg_lo:[0,1] neg_hi:[0,1]
	v_pk_add_f32 v[60:61], v[52:53], v[58:59]
	v_mov_b32_e32 v55, v52
	v_mov_b32_e32 v57, v61
	v_pk_add_f32 v[62:63], v[54:55], v[56:57] neg_lo:[0,1] neg_hi:[0,1]
	v_pk_add_f32 v[54:55], v[54:55], v[56:57]
	v_mov_b32_e32 v58, v59
	v_pk_add_f32 v[56:57], v[54:55], v[52:53] op_sel:[1,0] op_sel_hi:[0,1] neg_lo:[0,1] neg_hi:[0,1]
	v_pk_add_f32 v[64:65], v[60:61], v[56:57] op_sel_hi:[1,0] neg_lo:[0,1] neg_hi:[0,1]
	v_mov_b32_e32 v60, v61
	v_mov_b32_e32 v61, v55
	v_pk_mov_b32 v[56:57], v[52:53], v[56:57] op_sel:[1,0]
	v_mov_b32_e32 v59, v52
	v_pk_add_f32 v[56:57], v[60:61], v[56:57] neg_lo:[0,1] neg_hi:[0,1]
	v_mov_b32_e32 v64, v62
	v_pk_add_f32 v[52:53], v[58:59], v[56:57] neg_lo:[0,1] neg_hi:[0,1]
	v_mov_b32_e32 v63, v55
	v_pk_add_f32 v[56:57], v[64:65], v[52:53]
	s_nop 0
	v_pk_add_f32 v[58:59], v[56:57], v[56:57] op_sel:[0,1] op_sel_hi:[1,0]
	s_nop 0
	v_pk_add_f32 v[54:55], v[54:55], v[58:59] op_sel:[1,0] op_sel_hi:[0,1]
	v_mov_b32_e32 v57, v54
	v_pk_add_f32 v[60:61], v[56:57], v[62:63] neg_lo:[0,1] neg_hi:[0,1]
	v_mov_b32_e32 v53, v58
	v_sub_f32_e32 v15, v56, v60
	v_pk_add_f32 v[52:53], v[52:53], v[60:61] neg_lo:[0,1] neg_hi:[0,1]
	v_sub_f32_e32 v15, v62, v15
	v_add_f32_e32 v15, v52, v15
	v_add_f32_e32 v15, v15, v53
	;; [unrolled: 1-line block ×3, first 2 shown]
	v_cndmask_b32_e32 v15, v51, v15, vcc
	v_cmp_lt_f32_e64 vcc, |v17|, s59
	s_nop 1
	v_cndmask_b32_e32 v15, v15, v17, vcc
	v_add_f32_e32 v15, v16, v15
	v_cvt_f16_f32_e32 v52, v15
	s_branch .LBB351_127
.LBB351_160:
                                        ; implicit-def: $vgpr10
                                        ; implicit-def: $vgpr11
                                        ; implicit-def: $vgpr31
                                        ; implicit-def: $vgpr13
                                        ; implicit-def: $vgpr20
                                        ; implicit-def: $vgpr14
                                        ; implicit-def: $vgpr21
                                        ; implicit-def: $vgpr15
                                        ; implicit-def: $vgpr22
                                        ; implicit-def: $vgpr16
                                        ; implicit-def: $vgpr23
                                        ; implicit-def: $vgpr17
                                        ; implicit-def: $vgpr24
                                        ; implicit-def: $vgpr12
	s_load_dwordx8 s[44:51], s[0:1], 0x38
	s_cbranch_execnz .LBB351_200
	s_branch .LBB351_299
.LBB351_161:
	s_and_saveexec_b64 s[46:47], s[30:31]
	s_cbranch_execz .LBB351_165
; %bb.162:
	v_cvt_f32_f16_e32 v10, v47
	v_cvt_f32_f16_e32 v11, v34
	v_cmp_u_f16_e32 vcc, v47, v47
	v_cmp_u_f16_e64 s[36:37], v34, v34
	s_movk_i32 s3, 0x1f8
	v_min_f32_e32 v12, v10, v11
	v_max_f32_e32 v13, v10, v11
	v_cndmask_b32_e32 v12, v12, v10, vcc
	v_cndmask_b32_e32 v10, v13, v10, vcc
	v_cndmask_b32_e64 v12, v12, v11, s[36:37]
	v_cndmask_b32_e64 v10, v10, v11, s[36:37]
	v_cmp_neq_f32_e32 vcc, v12, v10
	v_cmp_class_f32_e64 s[36:37], v12, s3
	s_or_b64 s[48:49], vcc, s[36:37]
	v_mov_b32_e32 v11, v47
	s_and_saveexec_b64 s[36:37], s[48:49]
	s_cbranch_execz .LBB351_164
; %bb.163:
	v_sub_f32_e32 v11, v12, v10
	s_mov_b32 s3, 0x3fb8aa3b
	v_mul_f32_e32 v12, 0x3fb8aa3b, v11
	v_fma_f32 v13, v11, s3, -v12
	v_rndne_f32_e32 v14, v12
	v_fmamk_f32 v13, v11, 0x32a5705f, v13
	v_sub_f32_e32 v12, v12, v14
	v_add_f32_e32 v12, v12, v13
	v_exp_f32_e32 v12, v12
	v_cvt_i32_f32_e32 v13, v14
	s_mov_b32 s3, 0xc2ce8ed0
	v_cmp_ngt_f32_e32 vcc, s3, v11
	s_mov_b32 s3, 0x42b17218
	v_ldexp_f32 v12, v12, v13
	v_cndmask_b32_e32 v12, 0, v12, vcc
	v_mov_b32_e32 v42, 0x7f800000
	v_cmp_nlt_f32_e32 vcc, s3, v11
	s_mov_b32 s3, 0x3f2aaaab
	s_mov_b32 s48, 0x7f800000
	v_cndmask_b32_e32 v11, v42, v12, vcc
	v_add_f32_e32 v14, 1.0, v11
	v_add_f32_e32 v12, -1.0, v14
	v_sub_f32_e32 v13, v12, v14
	v_add_f32_e32 v13, 1.0, v13
	v_sub_f32_e32 v12, v11, v12
	s_waitcnt lgkmcnt(0)
	v_add_f32_e32 v15, v12, v13
	v_frexp_mant_f32_e32 v16, v14
	v_cvt_f64_f32_e32 v[12:13], v14
	v_frexp_exp_i32_f64_e32 v12, v[12:13]
	v_cmp_gt_f32_e32 vcc, s3, v16
	s_mov_b32 s3, 0x3f317218
	s_nop 0
	v_subbrev_co_u32_e32 v36, vcc, 0, v12, vcc
	v_sub_u32_e32 v12, 0, v36
	v_ldexp_f32 v13, v14, v12
	v_add_f32_e32 v14, -1.0, v13
	v_add_f32_e32 v16, 1.0, v13
	v_ldexp_f32 v12, v15, v12
	v_add_f32_e32 v15, 1.0, v14
	v_add_f32_e32 v17, -1.0, v16
	v_sub_f32_e32 v15, v13, v15
	v_sub_f32_e32 v13, v13, v17
	v_add_f32_e32 v15, v12, v15
	v_add_f32_e32 v12, v12, v13
	;; [unrolled: 1-line block ×3, first 2 shown]
	v_rcp_f32_e32 v39, v37
	v_sub_f32_e32 v13, v16, v37
	v_add_f32_e32 v38, v12, v13
	v_add_f32_e32 v13, v14, v15
	v_mul_f32_e32 v41, v13, v39
	v_sub_f32_e32 v12, v14, v13
	v_mul_f32_e32 v14, v37, v41
	v_fma_f32 v16, v41, v37, -v14
	v_fmac_f32_e32 v16, v41, v38
	v_add_f32_e32 v40, v15, v12
	v_add_f32_e32 v12, v14, v16
	v_sub_f32_e32 v15, v13, v12
	v_pk_add_f32 v[34:35], v[12:13], v[14:15] neg_lo:[0,1] neg_hi:[0,1]
	v_mov_b32_e32 v17, v12
	v_pk_add_f32 v[12:13], v[34:35], v[16:17] neg_lo:[0,1] neg_hi:[0,1]
	v_cmp_neq_f32_e32 vcc, s48, v11
	v_add_f32_e32 v13, v40, v13
	v_add_f32_e32 v12, v12, v13
	;; [unrolled: 1-line block ×3, first 2 shown]
	v_mul_f32_e32 v40, v39, v13
	v_mul_f32_e32 v14, v37, v40
	v_fma_f32 v16, v40, v37, -v14
	v_fmac_f32_e32 v16, v40, v38
	v_sub_f32_e32 v15, v15, v13
	v_add_f32_e32 v37, v12, v15
	v_add_f32_e32 v12, v14, v16
	v_sub_f32_e32 v15, v13, v12
	v_pk_add_f32 v[34:35], v[12:13], v[14:15] neg_lo:[0,1] neg_hi:[0,1]
	v_mov_b32_e32 v17, v12
	v_pk_add_f32 v[12:13], v[34:35], v[16:17] neg_lo:[0,1] neg_hi:[0,1]
	v_cvt_f32_i32_e32 v14, v36
	v_add_f32_e32 v13, v37, v13
	v_add_f32_e32 v12, v12, v13
	;; [unrolled: 1-line block ×4, first 2 shown]
	v_sub_f32_e32 v13, v15, v41
	v_mul_f32_e32 v12, v39, v12
	v_sub_f32_e32 v13, v40, v13
	v_add_f32_e32 v12, v13, v12
	v_add_f32_e32 v16, v15, v12
	v_mul_f32_e32 v34, v16, v16
	v_mov_b32_e32 v13, 0x3ecc95a3
	v_sub_f32_e32 v15, v16, v15
	v_fmac_f32_e32 v13, 0x3e9b6dac, v34
	v_sub_f32_e32 v12, v12, v15
	v_fmaak_f32 v13, v34, v13, 0x3f2aaada
	v_ldexp_f32 v35, v12, 1
	v_mul_f32_e32 v15, v16, v34
	v_mov_b32_e32 v12, 0x3f317218
	v_pk_mul_f32 v[12:13], v[14:15], v[12:13]
	v_ldexp_f32 v17, v16, 1
	v_fma_f32 v15, v14, s3, -v12
	v_fmamk_f32 v16, v14, 0xb102e308, v15
	v_pk_add_f32 v[14:15], v[12:13], v[16:17]
	v_mov_b32_e32 v34, v12
	v_sub_f32_e32 v17, v15, v17
	v_sub_f32_e32 v17, v13, v17
	v_add_f32_e32 v35, v35, v17
	v_pk_add_f32 v[12:13], v[14:15], v[12:13] neg_lo:[0,1] neg_hi:[0,1]
	v_pk_add_f32 v[36:37], v[14:15], v[34:35]
	v_mov_b32_e32 v17, v14
	v_mov_b32_e32 v13, v37
	v_pk_add_f32 v[38:39], v[16:17], v[12:13] neg_lo:[0,1] neg_hi:[0,1]
	v_pk_add_f32 v[12:13], v[16:17], v[12:13]
	v_mov_b32_e32 v34, v35
	v_pk_add_f32 v[16:17], v[12:13], v[14:15] op_sel:[1,0] op_sel_hi:[0,1] neg_lo:[0,1] neg_hi:[0,1]
	v_pk_add_f32 v[40:41], v[36:37], v[16:17] op_sel_hi:[1,0] neg_lo:[0,1] neg_hi:[0,1]
	v_mov_b32_e32 v36, v37
	v_mov_b32_e32 v37, v13
	v_pk_mov_b32 v[16:17], v[14:15], v[16:17] op_sel:[1,0]
	v_mov_b32_e32 v35, v14
	v_pk_add_f32 v[16:17], v[36:37], v[16:17] neg_lo:[0,1] neg_hi:[0,1]
	v_mov_b32_e32 v40, v38
	v_pk_add_f32 v[14:15], v[34:35], v[16:17] neg_lo:[0,1] neg_hi:[0,1]
	v_mov_b32_e32 v39, v13
	v_pk_add_f32 v[16:17], v[40:41], v[14:15]
	s_mov_b32 s3, 0x33800000
	v_pk_add_f32 v[34:35], v[16:17], v[16:17] op_sel:[0,1] op_sel_hi:[1,0]
	s_nop 0
	v_pk_add_f32 v[12:13], v[12:13], v[34:35] op_sel:[1,0] op_sel_hi:[0,1]
	v_mov_b32_e32 v17, v12
	v_pk_add_f32 v[36:37], v[16:17], v[38:39] neg_lo:[0,1] neg_hi:[0,1]
	v_mov_b32_e32 v15, v34
	v_sub_f32_e32 v13, v16, v36
	v_pk_add_f32 v[14:15], v[14:15], v[36:37] neg_lo:[0,1] neg_hi:[0,1]
	v_sub_f32_e32 v13, v38, v13
	v_add_f32_e32 v13, v14, v13
	v_add_f32_e32 v13, v13, v15
	;; [unrolled: 1-line block ×3, first 2 shown]
	v_cndmask_b32_e32 v12, v42, v12, vcc
	v_cmp_lt_f32_e64 vcc, |v11|, s3
	s_nop 1
	v_cndmask_b32_e32 v11, v12, v11, vcc
	v_add_f32_e32 v10, v10, v11
	v_cvt_f16_f32_e32 v11, v10
.LBB351_164:
	s_or_b64 exec, exec, s[36:37]
	s_add_i32 s2, s2, 64
	s_mov_b32 s3, 0
	s_lshl_b64 s[2:3], s[2:3], 2
	s_add_u32 s2, s54, s2
	s_mov_b32 s36, 0x20000
	s_addc_u32 s3, s55, s3
	v_mov_b32_e32 v10, 0
	v_or_b32_sdwa v11, v11, s36 dst_sel:DWORD dst_unused:UNUSED_PAD src0_sel:WORD_0 src1_sel:DWORD
	global_store_dword v10, v11, s[2:3] sc1
.LBB351_165:
	s_or_b64 exec, exec, s[46:47]
	v_cmp_eq_u32_e32 vcc, 0, v0
	s_and_b64 exec, exec, vcc
; %bb.166:
	v_mov_b32_e32 v10, 0
	ds_write_b16 v10, v47 offset:2
.LBB351_167:
	s_or_b64 exec, exec, s[44:45]
	v_mov_b32_e32 v10, 0
	s_waitcnt lgkmcnt(0)
	s_barrier
	ds_read_u16 v10, v10 offset:2
	v_cmp_ne_u32_e32 vcc, 0, v0
	v_mov_b32_e32 v13, v8
	s_and_saveexec_b64 s[2:3], vcc
	s_cbranch_execz .LBB351_171
; %bb.168:
	v_cndmask_b32_e64 v13, v33, v32, s[30:31]
	v_cvt_f32_f16_e32 v12, v13
	v_max_f32_e32 v11, v31, v31
	v_cmp_u_f16_e32 vcc, v13, v13
	v_min_f32_e32 v14, v12, v11
	v_max_f32_e32 v11, v12, v11
	v_cndmask_b32_e32 v14, v14, v12, vcc
	v_cndmask_b32_e32 v11, v11, v12, vcc
	v_cndmask_b32_e64 v14, v14, v31, s[28:29]
	v_cndmask_b32_e64 v11, v11, v31, s[28:29]
	s_movk_i32 s28, 0x1f8
	v_cmp_neq_f32_e32 vcc, v14, v11
	v_cmp_class_f32_e64 s[28:29], v14, s28
	s_or_b64 s[30:31], vcc, s[28:29]
	s_and_saveexec_b64 s[28:29], s[30:31]
	s_cbranch_execz .LBB351_170
; %bb.169:
	v_sub_f32_e32 v12, v14, v11
	s_mov_b32 s30, 0x3fb8aa3b
	v_mul_f32_e32 v13, 0x3fb8aa3b, v12
	v_fma_f32 v14, v12, s30, -v13
	v_rndne_f32_e32 v15, v13
	v_fmamk_f32 v14, v12, 0x32a5705f, v14
	v_sub_f32_e32 v13, v13, v15
	v_add_f32_e32 v13, v13, v14
	v_exp_f32_e32 v13, v13
	v_cvt_i32_f32_e32 v14, v15
	s_mov_b32 s30, 0xc2ce8ed0
	v_cmp_ngt_f32_e32 vcc, s30, v12
	s_mov_b32 s30, 0x42b17218
	v_ldexp_f32 v13, v13, v14
	v_cndmask_b32_e32 v13, 0, v13, vcc
	v_mov_b32_e32 v31, 0x7f800000
	v_cmp_nlt_f32_e32 vcc, s30, v12
	s_mov_b32 s30, 0x3f2aaaab
	s_mov_b32 s31, 0x7f800000
	v_cndmask_b32_e32 v40, v31, v13, vcc
	v_add_f32_e32 v14, 1.0, v40
	v_add_f32_e32 v12, -1.0, v14
	v_sub_f32_e32 v13, v12, v14
	v_add_f32_e32 v13, 1.0, v13
	v_sub_f32_e32 v12, v40, v12
	v_add_f32_e32 v15, v12, v13
	v_frexp_mant_f32_e32 v16, v14
	v_cvt_f64_f32_e32 v[12:13], v14
	v_frexp_exp_i32_f64_e32 v12, v[12:13]
	v_cmp_gt_f32_e32 vcc, s30, v16
	s_mov_b32 s30, 0x3f317218
	s_nop 0
	v_subbrev_co_u32_e32 v34, vcc, 0, v12, vcc
	v_sub_u32_e32 v12, 0, v34
	v_ldexp_f32 v13, v14, v12
	v_add_f32_e32 v14, -1.0, v13
	v_add_f32_e32 v16, 1.0, v13
	v_ldexp_f32 v12, v15, v12
	v_add_f32_e32 v15, 1.0, v14
	v_add_f32_e32 v17, -1.0, v16
	v_sub_f32_e32 v15, v13, v15
	v_sub_f32_e32 v13, v13, v17
	v_add_f32_e32 v15, v12, v15
	v_add_f32_e32 v12, v12, v13
	;; [unrolled: 1-line block ×3, first 2 shown]
	v_rcp_f32_e32 v37, v35
	v_sub_f32_e32 v13, v16, v35
	v_add_f32_e32 v36, v12, v13
	v_add_f32_e32 v13, v14, v15
	v_mul_f32_e32 v39, v13, v37
	v_sub_f32_e32 v12, v14, v13
	v_mul_f32_e32 v14, v35, v39
	v_fma_f32 v16, v39, v35, -v14
	v_fmac_f32_e32 v16, v39, v36
	v_add_f32_e32 v38, v15, v12
	v_add_f32_e32 v12, v14, v16
	v_sub_f32_e32 v15, v13, v12
	v_pk_add_f32 v[32:33], v[12:13], v[14:15] neg_lo:[0,1] neg_hi:[0,1]
	v_mov_b32_e32 v17, v12
	v_pk_add_f32 v[12:13], v[32:33], v[16:17] neg_lo:[0,1] neg_hi:[0,1]
	v_cmp_neq_f32_e32 vcc, s31, v40
	v_add_f32_e32 v13, v38, v13
	v_add_f32_e32 v12, v12, v13
	;; [unrolled: 1-line block ×3, first 2 shown]
	v_mul_f32_e32 v38, v37, v13
	v_mul_f32_e32 v14, v35, v38
	v_fma_f32 v16, v38, v35, -v14
	v_fmac_f32_e32 v16, v38, v36
	v_sub_f32_e32 v15, v15, v13
	v_add_f32_e32 v35, v12, v15
	v_add_f32_e32 v12, v14, v16
	v_sub_f32_e32 v15, v13, v12
	v_pk_add_f32 v[32:33], v[12:13], v[14:15] neg_lo:[0,1] neg_hi:[0,1]
	v_mov_b32_e32 v17, v12
	v_pk_add_f32 v[12:13], v[32:33], v[16:17] neg_lo:[0,1] neg_hi:[0,1]
	v_cvt_f32_i32_e32 v14, v34
	v_add_f32_e32 v13, v35, v13
	v_add_f32_e32 v12, v12, v13
	;; [unrolled: 1-line block ×4, first 2 shown]
	v_sub_f32_e32 v13, v15, v39
	v_mul_f32_e32 v12, v37, v12
	v_sub_f32_e32 v13, v38, v13
	v_add_f32_e32 v12, v13, v12
	v_add_f32_e32 v16, v15, v12
	v_mul_f32_e32 v32, v16, v16
	v_mov_b32_e32 v13, 0x3ecc95a3
	v_sub_f32_e32 v15, v16, v15
	v_fmac_f32_e32 v13, 0x3e9b6dac, v32
	v_sub_f32_e32 v12, v12, v15
	v_fmaak_f32 v13, v32, v13, 0x3f2aaada
	v_ldexp_f32 v33, v12, 1
	v_mul_f32_e32 v15, v16, v32
	v_mov_b32_e32 v12, 0x3f317218
	v_pk_mul_f32 v[12:13], v[14:15], v[12:13]
	v_ldexp_f32 v17, v16, 1
	v_fma_f32 v15, v14, s30, -v12
	v_fmamk_f32 v16, v14, 0xb102e308, v15
	v_pk_add_f32 v[14:15], v[12:13], v[16:17]
	v_mov_b32_e32 v32, v12
	v_sub_f32_e32 v17, v15, v17
	v_sub_f32_e32 v17, v13, v17
	v_add_f32_e32 v33, v33, v17
	v_pk_add_f32 v[12:13], v[14:15], v[12:13] neg_lo:[0,1] neg_hi:[0,1]
	v_pk_add_f32 v[34:35], v[14:15], v[32:33]
	v_mov_b32_e32 v17, v14
	v_mov_b32_e32 v13, v35
	v_pk_add_f32 v[36:37], v[16:17], v[12:13] neg_lo:[0,1] neg_hi:[0,1]
	v_pk_add_f32 v[12:13], v[16:17], v[12:13]
	v_mov_b32_e32 v32, v33
	v_pk_add_f32 v[16:17], v[12:13], v[14:15] op_sel:[1,0] op_sel_hi:[0,1] neg_lo:[0,1] neg_hi:[0,1]
	v_pk_add_f32 v[38:39], v[34:35], v[16:17] op_sel_hi:[1,0] neg_lo:[0,1] neg_hi:[0,1]
	v_mov_b32_e32 v34, v35
	v_mov_b32_e32 v35, v13
	v_pk_mov_b32 v[16:17], v[14:15], v[16:17] op_sel:[1,0]
	v_mov_b32_e32 v33, v14
	v_pk_add_f32 v[16:17], v[34:35], v[16:17] neg_lo:[0,1] neg_hi:[0,1]
	v_mov_b32_e32 v38, v36
	v_pk_add_f32 v[14:15], v[32:33], v[16:17] neg_lo:[0,1] neg_hi:[0,1]
	v_mov_b32_e32 v37, v13
	v_pk_add_f32 v[16:17], v[38:39], v[14:15]
	s_mov_b32 s30, 0x33800000
	v_pk_add_f32 v[32:33], v[16:17], v[16:17] op_sel:[0,1] op_sel_hi:[1,0]
	s_nop 0
	v_pk_add_f32 v[12:13], v[12:13], v[32:33] op_sel:[1,0] op_sel_hi:[0,1]
	v_mov_b32_e32 v17, v12
	v_pk_add_f32 v[34:35], v[16:17], v[36:37] neg_lo:[0,1] neg_hi:[0,1]
	v_mov_b32_e32 v15, v32
	v_sub_f32_e32 v13, v16, v34
	v_pk_add_f32 v[14:15], v[14:15], v[34:35] neg_lo:[0,1] neg_hi:[0,1]
	v_sub_f32_e32 v13, v36, v13
	v_add_f32_e32 v13, v14, v13
	v_add_f32_e32 v13, v13, v15
	;; [unrolled: 1-line block ×3, first 2 shown]
	v_cndmask_b32_e32 v12, v31, v12, vcc
	v_cmp_lt_f32_e64 vcc, |v40|, s30
	s_nop 1
	v_cndmask_b32_e32 v12, v12, v40, vcc
	v_add_f32_e32 v11, v11, v12
	v_cvt_f16_f32_e32 v13, v11
	v_cvt_f32_f16_e32 v12, v13
.LBB351_170:
	s_or_b64 exec, exec, s[28:29]
	v_mov_b32_e32 v31, v12
.LBB351_171:
	s_or_b64 exec, exec, s[2:3]
	s_waitcnt lgkmcnt(0)
	v_cvt_f32_f16_e32 v12, v10
	v_max_f32_e32 v11, v31, v31
	v_cmp_u_f16_e32 vcc, v10, v10
	v_cmp_u_f16_e64 s[2:3], v13, v13
	v_min_f32_e32 v14, v12, v11
	v_max_f32_e32 v11, v12, v11
	v_cndmask_b32_e32 v14, v14, v12, vcc
	v_cndmask_b32_e32 v11, v11, v12, vcc
	v_cndmask_b32_e64 v13, v14, v31, s[2:3]
	v_cndmask_b32_e64 v11, v11, v31, s[2:3]
	s_movk_i32 s28, 0x1f8
	v_cmp_neq_f32_e32 vcc, v13, v11
	v_cmp_class_f32_e64 s[2:3], v13, s28
	s_or_b64 s[30:31], vcc, s[2:3]
	s_and_saveexec_b64 s[2:3], s[30:31]
	s_cbranch_execz .LBB351_173
; %bb.172:
	v_sub_f32_e32 v10, v13, v11
	s_mov_b32 s29, 0x3fb8aa3b
	v_mul_f32_e32 v12, 0x3fb8aa3b, v10
	v_fma_f32 v13, v10, s29, -v12
	v_rndne_f32_e32 v14, v12
	v_fmamk_f32 v13, v10, 0x32a5705f, v13
	v_sub_f32_e32 v12, v12, v14
	v_add_f32_e32 v12, v12, v13
	v_exp_f32_e32 v12, v12
	v_cvt_i32_f32_e32 v13, v14
	s_mov_b32 s29, 0xc2ce8ed0
	v_cmp_ngt_f32_e32 vcc, s29, v10
	s_mov_b32 s29, 0x42b17218
	v_ldexp_f32 v12, v12, v13
	v_cndmask_b32_e32 v12, 0, v12, vcc
	v_mov_b32_e32 v31, 0x7f800000
	v_cmp_nlt_f32_e32 vcc, s29, v10
	s_mov_b32 s29, 0x3f2aaaab
	s_mov_b32 s30, 0x7f800000
	v_cndmask_b32_e32 v10, v31, v12, vcc
	v_add_f32_e32 v14, 1.0, v10
	v_add_f32_e32 v12, -1.0, v14
	v_sub_f32_e32 v13, v12, v14
	v_add_f32_e32 v13, 1.0, v13
	v_sub_f32_e32 v12, v10, v12
	v_add_f32_e32 v15, v12, v13
	v_frexp_mant_f32_e32 v16, v14
	v_cvt_f64_f32_e32 v[12:13], v14
	v_frexp_exp_i32_f64_e32 v12, v[12:13]
	v_cmp_gt_f32_e32 vcc, s29, v16
	s_mov_b32 s29, 0x3f317218
	s_nop 0
	v_subbrev_co_u32_e32 v34, vcc, 0, v12, vcc
	v_sub_u32_e32 v12, 0, v34
	v_ldexp_f32 v13, v14, v12
	v_add_f32_e32 v14, -1.0, v13
	v_add_f32_e32 v16, 1.0, v13
	v_ldexp_f32 v12, v15, v12
	v_add_f32_e32 v15, 1.0, v14
	v_add_f32_e32 v17, -1.0, v16
	v_sub_f32_e32 v15, v13, v15
	v_sub_f32_e32 v13, v13, v17
	v_add_f32_e32 v15, v12, v15
	v_add_f32_e32 v12, v12, v13
	;; [unrolled: 1-line block ×3, first 2 shown]
	v_rcp_f32_e32 v37, v35
	v_sub_f32_e32 v13, v16, v35
	v_add_f32_e32 v36, v12, v13
	v_add_f32_e32 v13, v14, v15
	v_mul_f32_e32 v39, v13, v37
	v_sub_f32_e32 v12, v14, v13
	v_mul_f32_e32 v14, v35, v39
	v_fma_f32 v16, v39, v35, -v14
	v_fmac_f32_e32 v16, v39, v36
	v_add_f32_e32 v38, v15, v12
	v_add_f32_e32 v12, v14, v16
	v_sub_f32_e32 v15, v13, v12
	v_pk_add_f32 v[32:33], v[12:13], v[14:15] neg_lo:[0,1] neg_hi:[0,1]
	v_mov_b32_e32 v17, v12
	v_pk_add_f32 v[12:13], v[32:33], v[16:17] neg_lo:[0,1] neg_hi:[0,1]
	v_cmp_neq_f32_e32 vcc, s30, v10
	v_add_f32_e32 v13, v38, v13
	v_add_f32_e32 v12, v12, v13
	;; [unrolled: 1-line block ×3, first 2 shown]
	v_mul_f32_e32 v38, v37, v13
	v_mul_f32_e32 v14, v35, v38
	v_fma_f32 v16, v38, v35, -v14
	v_fmac_f32_e32 v16, v38, v36
	v_sub_f32_e32 v15, v15, v13
	v_add_f32_e32 v35, v12, v15
	v_add_f32_e32 v12, v14, v16
	v_sub_f32_e32 v15, v13, v12
	v_pk_add_f32 v[32:33], v[12:13], v[14:15] neg_lo:[0,1] neg_hi:[0,1]
	v_mov_b32_e32 v17, v12
	v_pk_add_f32 v[12:13], v[32:33], v[16:17] neg_lo:[0,1] neg_hi:[0,1]
	v_cvt_f32_i32_e32 v14, v34
	v_add_f32_e32 v13, v35, v13
	v_add_f32_e32 v12, v12, v13
	;; [unrolled: 1-line block ×4, first 2 shown]
	v_sub_f32_e32 v13, v15, v39
	v_mul_f32_e32 v12, v37, v12
	v_sub_f32_e32 v13, v38, v13
	v_add_f32_e32 v12, v13, v12
	v_add_f32_e32 v16, v15, v12
	v_mul_f32_e32 v32, v16, v16
	v_mov_b32_e32 v13, 0x3ecc95a3
	v_sub_f32_e32 v15, v16, v15
	v_fmac_f32_e32 v13, 0x3e9b6dac, v32
	v_sub_f32_e32 v12, v12, v15
	v_fmaak_f32 v13, v32, v13, 0x3f2aaada
	v_ldexp_f32 v33, v12, 1
	v_mul_f32_e32 v15, v16, v32
	v_mov_b32_e32 v12, 0x3f317218
	v_pk_mul_f32 v[12:13], v[14:15], v[12:13]
	v_ldexp_f32 v17, v16, 1
	v_fma_f32 v15, v14, s29, -v12
	v_fmamk_f32 v16, v14, 0xb102e308, v15
	v_pk_add_f32 v[14:15], v[12:13], v[16:17]
	v_mov_b32_e32 v32, v12
	v_sub_f32_e32 v17, v15, v17
	v_sub_f32_e32 v17, v13, v17
	v_add_f32_e32 v33, v33, v17
	v_pk_add_f32 v[12:13], v[14:15], v[12:13] neg_lo:[0,1] neg_hi:[0,1]
	v_pk_add_f32 v[34:35], v[14:15], v[32:33]
	v_mov_b32_e32 v17, v14
	v_mov_b32_e32 v13, v35
	v_pk_add_f32 v[36:37], v[16:17], v[12:13] neg_lo:[0,1] neg_hi:[0,1]
	v_pk_add_f32 v[12:13], v[16:17], v[12:13]
	v_mov_b32_e32 v32, v33
	v_pk_add_f32 v[16:17], v[12:13], v[14:15] op_sel:[1,0] op_sel_hi:[0,1] neg_lo:[0,1] neg_hi:[0,1]
	v_pk_add_f32 v[38:39], v[34:35], v[16:17] op_sel_hi:[1,0] neg_lo:[0,1] neg_hi:[0,1]
	v_mov_b32_e32 v34, v35
	v_mov_b32_e32 v35, v13
	v_pk_mov_b32 v[16:17], v[14:15], v[16:17] op_sel:[1,0]
	v_mov_b32_e32 v33, v14
	v_pk_add_f32 v[16:17], v[34:35], v[16:17] neg_lo:[0,1] neg_hi:[0,1]
	v_mov_b32_e32 v38, v36
	v_pk_add_f32 v[14:15], v[32:33], v[16:17] neg_lo:[0,1] neg_hi:[0,1]
	v_mov_b32_e32 v37, v13
	v_pk_add_f32 v[16:17], v[38:39], v[14:15]
	s_mov_b32 s29, 0x33800000
	v_pk_add_f32 v[32:33], v[16:17], v[16:17] op_sel:[0,1] op_sel_hi:[1,0]
	s_nop 0
	v_pk_add_f32 v[12:13], v[12:13], v[32:33] op_sel:[1,0] op_sel_hi:[0,1]
	v_mov_b32_e32 v17, v12
	v_pk_add_f32 v[34:35], v[16:17], v[36:37] neg_lo:[0,1] neg_hi:[0,1]
	v_mov_b32_e32 v15, v32
	v_sub_f32_e32 v13, v16, v34
	v_pk_add_f32 v[14:15], v[14:15], v[34:35] neg_lo:[0,1] neg_hi:[0,1]
	v_sub_f32_e32 v13, v36, v13
	v_add_f32_e32 v13, v14, v13
	v_add_f32_e32 v13, v13, v15
	;; [unrolled: 1-line block ×3, first 2 shown]
	v_cndmask_b32_e32 v12, v31, v12, vcc
	v_cmp_lt_f32_e64 vcc, |v10|, s29
	s_nop 1
	v_cndmask_b32_e32 v10, v12, v10, vcc
	v_add_f32_e32 v10, v11, v10
	v_cvt_f16_f32_e32 v10, v10
	v_cvt_f32_f16_e32 v12, v10
.LBB351_173:
	s_or_b64 exec, exec, s[2:3]
	v_max_f32_e32 v11, v3, v3
	v_max_f32_e32 v13, v12, v12
	v_min_f32_e32 v14, v13, v11
	v_cmp_u_f16_e32 vcc, v10, v10
	v_max_f32_e32 v11, v13, v11
	v_mov_b32_e32 v32, v10
	v_cndmask_b32_e32 v14, v14, v12, vcc
	v_cndmask_b32_e32 v11, v11, v12, vcc
	v_cndmask_b32_e64 v14, v14, v3, s[34:35]
	v_cndmask_b32_e64 v13, v11, v3, s[34:35]
	v_cmp_neq_f32_e32 vcc, v14, v13
	v_cmp_class_f32_e64 s[2:3], v14, s28
	s_or_b64 s[28:29], vcc, s[2:3]
	v_mov_b32_e32 v11, v10
	s_and_saveexec_b64 s[2:3], s[28:29]
	s_cbranch_execz .LBB351_175
; %bb.174:
	v_sub_f32_e32 v11, v14, v13
	s_mov_b32 s28, 0x3fb8aa3b
	v_mul_f32_e32 v12, 0x3fb8aa3b, v11
	v_fma_f32 v14, v11, s28, -v12
	v_rndne_f32_e32 v15, v12
	v_fmamk_f32 v14, v11, 0x32a5705f, v14
	v_sub_f32_e32 v12, v12, v15
	v_add_f32_e32 v12, v12, v14
	v_exp_f32_e32 v12, v12
	v_cvt_i32_f32_e32 v14, v15
	s_mov_b32 s28, 0xc2ce8ed0
	v_cmp_ngt_f32_e32 vcc, s28, v11
	s_mov_b32 s28, 0x42b17218
	v_ldexp_f32 v12, v12, v14
	v_cndmask_b32_e32 v12, 0, v12, vcc
	v_mov_b32_e32 v31, 0x7f800000
	v_cmp_nlt_f32_e32 vcc, s28, v11
	s_mov_b32 s28, 0x3f2aaaab
	s_mov_b32 s29, 0x7f800000
	v_cndmask_b32_e32 v11, v31, v12, vcc
	v_add_f32_e32 v12, 1.0, v11
	v_add_f32_e32 v14, -1.0, v12
	v_sub_f32_e32 v15, v14, v12
	v_add_f32_e32 v15, 1.0, v15
	v_sub_f32_e32 v14, v11, v14
	v_add_f32_e32 v16, v14, v15
	v_frexp_mant_f32_e32 v17, v12
	v_cvt_f64_f32_e32 v[14:15], v12
	v_frexp_exp_i32_f64_e32 v14, v[14:15]
	v_cmp_gt_f32_e32 vcc, s28, v17
	s_mov_b32 s28, 0x3f317218
	s_nop 0
	v_subbrev_co_u32_e32 v36, vcc, 0, v14, vcc
	v_sub_u32_e32 v14, 0, v36
	v_ldexp_f32 v12, v12, v14
	v_ldexp_f32 v14, v16, v14
	v_add_f32_e32 v16, -1.0, v12
	v_add_f32_e32 v15, 1.0, v16
	v_sub_f32_e32 v15, v12, v15
	v_add_f32_e32 v17, v14, v15
	v_add_f32_e32 v15, 1.0, v12
	v_add_f32_e32 v32, -1.0, v15
	v_sub_f32_e32 v12, v12, v32
	v_add_f32_e32 v12, v14, v12
	v_add_f32_e32 v37, v15, v12
	v_rcp_f32_e32 v38, v37
	v_sub_f32_e32 v14, v15, v37
	v_add_f32_e32 v15, v16, v17
	v_add_f32_e32 v12, v12, v14
	v_mul_f32_e32 v40, v15, v38
	v_sub_f32_e32 v14, v16, v15
	v_mul_f32_e32 v16, v37, v40
	v_fma_f32 v32, v40, v37, -v16
	v_fmac_f32_e32 v32, v40, v12
	v_add_f32_e32 v39, v17, v14
	v_add_f32_e32 v14, v16, v32
	v_sub_f32_e32 v17, v15, v14
	v_pk_add_f32 v[34:35], v[14:15], v[16:17] neg_lo:[0,1] neg_hi:[0,1]
	v_mov_b32_e32 v33, v14
	v_pk_add_f32 v[14:15], v[34:35], v[32:33] neg_lo:[0,1] neg_hi:[0,1]
	v_cmp_neq_f32_e32 vcc, s29, v11
	v_add_f32_e32 v15, v39, v15
	v_add_f32_e32 v14, v14, v15
	;; [unrolled: 1-line block ×3, first 2 shown]
	v_mul_f32_e32 v39, v38, v15
	v_mul_f32_e32 v16, v37, v39
	v_fma_f32 v32, v39, v37, -v16
	v_fmac_f32_e32 v32, v39, v12
	v_sub_f32_e32 v12, v17, v15
	v_add_f32_e32 v12, v14, v12
	v_add_f32_e32 v14, v16, v32
	v_sub_f32_e32 v17, v15, v14
	v_pk_add_f32 v[34:35], v[14:15], v[16:17] neg_lo:[0,1] neg_hi:[0,1]
	v_mov_b32_e32 v33, v14
	v_pk_add_f32 v[14:15], v[34:35], v[32:33] neg_lo:[0,1] neg_hi:[0,1]
	v_cvt_f32_i32_e32 v16, v36
	v_add_f32_e32 v12, v12, v15
	v_add_f32_e32 v12, v14, v12
	;; [unrolled: 1-line block ×4, first 2 shown]
	v_sub_f32_e32 v15, v14, v40
	v_mul_f32_e32 v12, v38, v12
	v_sub_f32_e32 v15, v39, v15
	v_add_f32_e32 v12, v15, v12
	v_add_f32_e32 v17, v14, v12
	v_mul_f32_e32 v32, v17, v17
	v_mov_b32_e32 v15, 0x3ecc95a3
	v_fmac_f32_e32 v15, 0x3e9b6dac, v32
	v_sub_f32_e32 v14, v17, v14
	v_fmaak_f32 v15, v32, v15, 0x3f2aaada
	v_sub_f32_e32 v12, v12, v14
	v_ldexp_f32 v33, v17, 1
	v_mul_f32_e32 v17, v17, v32
	v_mov_b32_e32 v14, 0x3f317218
	v_pk_mul_f32 v[14:15], v[16:17], v[14:15]
	v_ldexp_f32 v12, v12, 1
	v_fma_f32 v17, v16, s28, -v14
	v_fmamk_f32 v32, v16, 0xb102e308, v17
	v_pk_add_f32 v[16:17], v[14:15], v[32:33]
	v_mov_b32_e32 v34, v14
	v_sub_f32_e32 v33, v17, v33
	v_sub_f32_e32 v33, v15, v33
	v_add_f32_e32 v35, v12, v33
	v_pk_add_f32 v[14:15], v[16:17], v[14:15] neg_lo:[0,1] neg_hi:[0,1]
	v_pk_add_f32 v[36:37], v[16:17], v[34:35]
	v_mov_b32_e32 v33, v16
	v_mov_b32_e32 v15, v37
	v_pk_add_f32 v[38:39], v[32:33], v[14:15] neg_lo:[0,1] neg_hi:[0,1]
	v_pk_add_f32 v[14:15], v[32:33], v[14:15]
	v_mov_b32_e32 v34, v35
	v_pk_add_f32 v[32:33], v[14:15], v[16:17] op_sel:[1,0] op_sel_hi:[0,1] neg_lo:[0,1] neg_hi:[0,1]
	v_pk_add_f32 v[40:41], v[36:37], v[32:33] op_sel_hi:[1,0] neg_lo:[0,1] neg_hi:[0,1]
	v_mov_b32_e32 v36, v37
	v_mov_b32_e32 v37, v15
	v_pk_mov_b32 v[32:33], v[16:17], v[32:33] op_sel:[1,0]
	v_mov_b32_e32 v35, v16
	v_pk_add_f32 v[32:33], v[36:37], v[32:33] neg_lo:[0,1] neg_hi:[0,1]
	v_mov_b32_e32 v40, v38
	v_pk_add_f32 v[16:17], v[34:35], v[32:33] neg_lo:[0,1] neg_hi:[0,1]
	v_mov_b32_e32 v39, v15
	v_pk_add_f32 v[32:33], v[40:41], v[16:17]
	s_mov_b32 s28, 0x33800000
	v_pk_add_f32 v[34:35], v[32:33], v[32:33] op_sel:[0,1] op_sel_hi:[1,0]
	s_nop 0
	v_pk_add_f32 v[14:15], v[14:15], v[34:35] op_sel:[1,0] op_sel_hi:[0,1]
	v_mov_b32_e32 v33, v14
	v_pk_add_f32 v[36:37], v[32:33], v[38:39] neg_lo:[0,1] neg_hi:[0,1]
	v_mov_b32_e32 v17, v34
	v_sub_f32_e32 v12, v32, v36
	v_pk_add_f32 v[16:17], v[16:17], v[36:37] neg_lo:[0,1] neg_hi:[0,1]
	v_sub_f32_e32 v12, v38, v12
	v_add_f32_e32 v12, v16, v12
	v_add_f32_e32 v12, v12, v17
	;; [unrolled: 1-line block ×3, first 2 shown]
	v_cndmask_b32_e32 v12, v31, v12, vcc
	v_cmp_lt_f32_e64 vcc, |v11|, s28
	s_nop 1
	v_cndmask_b32_e32 v11, v12, v11, vcc
	v_add_f32_e32 v11, v13, v11
	v_cvt_f16_f32_e32 v32, v11
	v_cvt_f32_f16_e32 v12, v32
	v_mov_b32_e32 v11, v32
.LBB351_175:
	s_or_b64 exec, exec, s[2:3]
	v_max_f32_e32 v13, v19, v19
	v_max_f32_e32 v15, v12, v12
	v_min_f32_e32 v14, v15, v13
	v_cmp_u_f16_e32 vcc, v32, v32
	v_max_f32_e32 v13, v15, v13
	v_mov_b32_e32 v31, v11
	v_cndmask_b32_e32 v14, v14, v12, vcc
	v_cndmask_b32_e32 v13, v13, v12, vcc
	v_cndmask_b32_e64 v14, v14, v19, s[4:5]
	v_cndmask_b32_e64 v13, v13, v19, s[4:5]
	s_movk_i32 s4, 0x1f8
	v_cmp_neq_f32_e32 vcc, v14, v13
	v_cmp_class_f32_e64 s[2:3], v14, s4
	s_or_b64 s[28:29], vcc, s[2:3]
	s_and_saveexec_b64 s[2:3], s[28:29]
	s_cbranch_execz .LBB351_177
; %bb.176:
	v_sub_f32_e32 v12, v14, v13
	s_mov_b32 s5, 0x3fb8aa3b
	v_mul_f32_e32 v14, 0x3fb8aa3b, v12
	v_fma_f32 v15, v12, s5, -v14
	v_rndne_f32_e32 v16, v14
	v_fmamk_f32 v15, v12, 0x32a5705f, v15
	v_sub_f32_e32 v14, v14, v16
	v_add_f32_e32 v14, v14, v15
	v_exp_f32_e32 v14, v14
	v_cvt_i32_f32_e32 v15, v16
	s_mov_b32 s5, 0xc2ce8ed0
	v_cmp_ngt_f32_e32 vcc, s5, v12
	s_mov_b32 s5, 0x42b17218
	v_ldexp_f32 v14, v14, v15
	v_cndmask_b32_e32 v14, 0, v14, vcc
	v_mov_b32_e32 v19, 0x7f800000
	v_cmp_nlt_f32_e32 vcc, s5, v12
	s_mov_b32 s5, 0x3f2aaaab
	s_mov_b32 s28, 0x7f800000
	v_cndmask_b32_e32 v12, v19, v14, vcc
	v_add_f32_e32 v16, 1.0, v12
	v_add_f32_e32 v14, -1.0, v16
	v_sub_f32_e32 v15, v14, v16
	v_add_f32_e32 v15, 1.0, v15
	v_sub_f32_e32 v14, v12, v14
	v_add_f32_e32 v17, v14, v15
	v_frexp_mant_f32_e32 v31, v16
	v_cvt_f64_f32_e32 v[14:15], v16
	v_frexp_exp_i32_f64_e32 v14, v[14:15]
	v_cmp_gt_f32_e32 vcc, s5, v31
	s_mov_b32 s5, 0x3f317218
	s_nop 0
	v_subbrev_co_u32_e32 v31, vcc, 0, v14, vcc
	v_sub_u32_e32 v14, 0, v31
	v_ldexp_f32 v15, v16, v14
	v_add_f32_e32 v16, -1.0, v15
	v_add_f32_e32 v32, 1.0, v15
	v_ldexp_f32 v14, v17, v14
	v_add_f32_e32 v17, 1.0, v16
	v_add_f32_e32 v33, -1.0, v32
	v_sub_f32_e32 v17, v15, v17
	v_sub_f32_e32 v15, v15, v33
	v_add_f32_e32 v17, v14, v17
	v_add_f32_e32 v14, v14, v15
	;; [unrolled: 1-line block ×3, first 2 shown]
	v_rcp_f32_e32 v38, v36
	v_sub_f32_e32 v15, v32, v36
	v_add_f32_e32 v37, v14, v15
	v_add_f32_e32 v15, v16, v17
	v_mul_f32_e32 v40, v15, v38
	v_sub_f32_e32 v14, v16, v15
	v_mul_f32_e32 v16, v36, v40
	v_fma_f32 v32, v40, v36, -v16
	v_fmac_f32_e32 v32, v40, v37
	v_add_f32_e32 v39, v17, v14
	v_add_f32_e32 v14, v16, v32
	v_sub_f32_e32 v17, v15, v14
	v_pk_add_f32 v[34:35], v[14:15], v[16:17] neg_lo:[0,1] neg_hi:[0,1]
	v_mov_b32_e32 v33, v14
	v_pk_add_f32 v[14:15], v[34:35], v[32:33] neg_lo:[0,1] neg_hi:[0,1]
	v_cmp_neq_f32_e32 vcc, s28, v12
	v_add_f32_e32 v15, v39, v15
	v_add_f32_e32 v14, v14, v15
	;; [unrolled: 1-line block ×3, first 2 shown]
	v_mul_f32_e32 v39, v38, v15
	v_mul_f32_e32 v16, v36, v39
	v_fma_f32 v32, v39, v36, -v16
	v_fmac_f32_e32 v32, v39, v37
	v_sub_f32_e32 v17, v17, v15
	v_add_f32_e32 v36, v14, v17
	v_add_f32_e32 v14, v16, v32
	v_sub_f32_e32 v17, v15, v14
	v_pk_add_f32 v[34:35], v[14:15], v[16:17] neg_lo:[0,1] neg_hi:[0,1]
	v_mov_b32_e32 v33, v14
	v_pk_add_f32 v[14:15], v[34:35], v[32:33] neg_lo:[0,1] neg_hi:[0,1]
	v_cvt_f32_i32_e32 v16, v31
	v_add_f32_e32 v15, v36, v15
	v_add_f32_e32 v14, v14, v15
	v_add_f32_e32 v14, v17, v14
	v_add_f32_e32 v17, v40, v39
	v_sub_f32_e32 v15, v17, v40
	v_mul_f32_e32 v14, v38, v14
	v_sub_f32_e32 v15, v39, v15
	v_add_f32_e32 v14, v15, v14
	v_add_f32_e32 v32, v17, v14
	v_mul_f32_e32 v34, v32, v32
	v_mov_b32_e32 v15, 0x3ecc95a3
	v_sub_f32_e32 v17, v32, v17
	v_fmac_f32_e32 v15, 0x3e9b6dac, v34
	v_sub_f32_e32 v14, v14, v17
	v_fmaak_f32 v15, v34, v15, 0x3f2aaada
	v_ldexp_f32 v31, v14, 1
	v_mul_f32_e32 v17, v32, v34
	v_mov_b32_e32 v14, 0x3f317218
	v_pk_mul_f32 v[14:15], v[16:17], v[14:15]
	v_ldexp_f32 v33, v32, 1
	v_fma_f32 v17, v16, s5, -v14
	v_fmamk_f32 v32, v16, 0xb102e308, v17
	v_pk_add_f32 v[16:17], v[14:15], v[32:33]
	v_mov_b32_e32 v34, v14
	v_sub_f32_e32 v33, v17, v33
	v_sub_f32_e32 v33, v15, v33
	v_add_f32_e32 v35, v31, v33
	v_pk_add_f32 v[14:15], v[16:17], v[14:15] neg_lo:[0,1] neg_hi:[0,1]
	v_pk_add_f32 v[36:37], v[16:17], v[34:35]
	v_mov_b32_e32 v33, v16
	v_mov_b32_e32 v15, v37
	v_pk_add_f32 v[38:39], v[32:33], v[14:15] neg_lo:[0,1] neg_hi:[0,1]
	v_pk_add_f32 v[14:15], v[32:33], v[14:15]
	v_mov_b32_e32 v34, v35
	v_pk_add_f32 v[32:33], v[14:15], v[16:17] op_sel:[1,0] op_sel_hi:[0,1] neg_lo:[0,1] neg_hi:[0,1]
	v_pk_add_f32 v[40:41], v[36:37], v[32:33] op_sel_hi:[1,0] neg_lo:[0,1] neg_hi:[0,1]
	v_mov_b32_e32 v36, v37
	v_mov_b32_e32 v37, v15
	v_pk_mov_b32 v[32:33], v[16:17], v[32:33] op_sel:[1,0]
	v_mov_b32_e32 v35, v16
	v_pk_add_f32 v[32:33], v[36:37], v[32:33] neg_lo:[0,1] neg_hi:[0,1]
	v_mov_b32_e32 v40, v38
	v_pk_add_f32 v[16:17], v[34:35], v[32:33] neg_lo:[0,1] neg_hi:[0,1]
	v_mov_b32_e32 v39, v15
	v_pk_add_f32 v[32:33], v[40:41], v[16:17]
	s_mov_b32 s5, 0x33800000
	v_pk_add_f32 v[34:35], v[32:33], v[32:33] op_sel:[0,1] op_sel_hi:[1,0]
	s_nop 0
	v_pk_add_f32 v[14:15], v[14:15], v[34:35] op_sel:[1,0] op_sel_hi:[0,1]
	v_mov_b32_e32 v33, v14
	v_pk_add_f32 v[36:37], v[32:33], v[38:39] neg_lo:[0,1] neg_hi:[0,1]
	v_mov_b32_e32 v17, v34
	v_sub_f32_e32 v15, v32, v36
	v_pk_add_f32 v[16:17], v[16:17], v[36:37] neg_lo:[0,1] neg_hi:[0,1]
	v_sub_f32_e32 v15, v38, v15
	v_add_f32_e32 v15, v16, v15
	v_add_f32_e32 v15, v15, v17
	;; [unrolled: 1-line block ×3, first 2 shown]
	v_cndmask_b32_e32 v14, v19, v14, vcc
	v_cmp_lt_f32_e64 vcc, |v12|, s5
	s_nop 1
	v_cndmask_b32_e32 v12, v14, v12, vcc
	v_add_f32_e32 v12, v13, v12
	v_cvt_f16_f32_e32 v32, v12
	v_cvt_f32_f16_e32 v12, v32
	v_mov_b32_e32 v31, v32
.LBB351_177:
	s_or_b64 exec, exec, s[2:3]
	v_max_f32_e32 v13, v20, v20
	v_max_f32_e32 v14, v12, v12
	v_min_f32_e32 v15, v14, v13
	v_cmp_u_f16_e32 vcc, v32, v32
	v_max_f32_e32 v13, v14, v13
	s_nop 0
	v_cndmask_b32_e32 v15, v15, v12, vcc
	v_cndmask_b32_e32 v13, v13, v12, vcc
	v_cndmask_b32_e64 v15, v15, v20, s[6:7]
	v_cndmask_b32_e64 v14, v13, v20, s[6:7]
	v_cmp_neq_f32_e32 vcc, v15, v14
	v_cmp_class_f32_e64 s[2:3], v15, s4
	s_or_b64 s[4:5], vcc, s[2:3]
	v_mov_b32_e32 v13, v31
	s_and_saveexec_b64 s[2:3], s[4:5]
	s_cbranch_execz .LBB351_179
; %bb.178:
	v_sub_f32_e32 v12, v15, v14
	s_mov_b32 s4, 0x3fb8aa3b
	v_mul_f32_e32 v13, 0x3fb8aa3b, v12
	v_fma_f32 v15, v12, s4, -v13
	v_rndne_f32_e32 v16, v13
	v_fmamk_f32 v15, v12, 0x32a5705f, v15
	v_sub_f32_e32 v13, v13, v16
	v_add_f32_e32 v13, v13, v15
	v_exp_f32_e32 v13, v13
	v_cvt_i32_f32_e32 v15, v16
	s_mov_b32 s4, 0xc2ce8ed0
	v_cmp_ngt_f32_e32 vcc, s4, v12
	s_mov_b32 s4, 0x42b17218
	v_ldexp_f32 v13, v13, v15
	v_cndmask_b32_e32 v13, 0, v13, vcc
	v_mov_b32_e32 v15, 0x7f800000
	v_cmp_nlt_f32_e32 vcc, s4, v12
	s_mov_b32 s4, 0x3f2aaaab
	s_mov_b32 s5, 0x7f800000
	v_cndmask_b32_e32 v19, v15, v13, vcc
	v_add_f32_e32 v16, 1.0, v19
	v_add_f32_e32 v12, -1.0, v16
	v_sub_f32_e32 v13, v12, v16
	v_add_f32_e32 v13, 1.0, v13
	v_sub_f32_e32 v12, v19, v12
	v_add_f32_e32 v17, v12, v13
	v_frexp_mant_f32_e32 v20, v16
	v_cvt_f64_f32_e32 v[12:13], v16
	v_frexp_exp_i32_f64_e32 v12, v[12:13]
	v_cmp_gt_f32_e32 vcc, s4, v20
	s_mov_b32 s4, 0x3f317218
	s_nop 0
	v_subbrev_co_u32_e32 v20, vcc, 0, v12, vcc
	v_sub_u32_e32 v12, 0, v20
	v_ldexp_f32 v13, v16, v12
	v_add_f32_e32 v16, -1.0, v13
	v_add_f32_e32 v32, 1.0, v13
	v_ldexp_f32 v12, v17, v12
	v_add_f32_e32 v17, 1.0, v16
	v_add_f32_e32 v33, -1.0, v32
	v_sub_f32_e32 v17, v13, v17
	v_sub_f32_e32 v13, v13, v33
	v_add_f32_e32 v17, v12, v17
	v_add_f32_e32 v12, v12, v13
	;; [unrolled: 1-line block ×3, first 2 shown]
	v_rcp_f32_e32 v38, v36
	v_sub_f32_e32 v13, v32, v36
	v_add_f32_e32 v37, v12, v13
	v_add_f32_e32 v13, v16, v17
	v_mul_f32_e32 v40, v13, v38
	v_sub_f32_e32 v12, v16, v13
	v_mul_f32_e32 v16, v36, v40
	v_fma_f32 v32, v40, v36, -v16
	v_fmac_f32_e32 v32, v40, v37
	v_add_f32_e32 v39, v17, v12
	v_add_f32_e32 v12, v16, v32
	v_sub_f32_e32 v17, v13, v12
	v_pk_add_f32 v[34:35], v[12:13], v[16:17] neg_lo:[0,1] neg_hi:[0,1]
	v_mov_b32_e32 v33, v12
	v_pk_add_f32 v[12:13], v[34:35], v[32:33] neg_lo:[0,1] neg_hi:[0,1]
	v_cmp_neq_f32_e32 vcc, s5, v19
	v_add_f32_e32 v13, v39, v13
	v_add_f32_e32 v12, v12, v13
	v_add_f32_e32 v13, v17, v12
	v_mul_f32_e32 v39, v38, v13
	v_mul_f32_e32 v16, v36, v39
	v_fma_f32 v32, v39, v36, -v16
	v_fmac_f32_e32 v32, v39, v37
	v_sub_f32_e32 v17, v17, v13
	v_add_f32_e32 v36, v12, v17
	v_add_f32_e32 v12, v16, v32
	v_sub_f32_e32 v17, v13, v12
	v_pk_add_f32 v[34:35], v[12:13], v[16:17] neg_lo:[0,1] neg_hi:[0,1]
	v_mov_b32_e32 v33, v12
	v_pk_add_f32 v[12:13], v[34:35], v[32:33] neg_lo:[0,1] neg_hi:[0,1]
	v_cvt_f32_i32_e32 v16, v20
	v_add_f32_e32 v13, v36, v13
	v_add_f32_e32 v12, v12, v13
	;; [unrolled: 1-line block ×4, first 2 shown]
	v_sub_f32_e32 v13, v17, v40
	v_mul_f32_e32 v12, v38, v12
	v_sub_f32_e32 v13, v39, v13
	v_add_f32_e32 v12, v13, v12
	v_add_f32_e32 v32, v17, v12
	v_mul_f32_e32 v34, v32, v32
	v_mov_b32_e32 v13, 0x3ecc95a3
	v_sub_f32_e32 v17, v32, v17
	v_fmac_f32_e32 v13, 0x3e9b6dac, v34
	v_sub_f32_e32 v12, v12, v17
	v_fmaak_f32 v13, v34, v13, 0x3f2aaada
	v_ldexp_f32 v20, v12, 1
	v_mul_f32_e32 v17, v32, v34
	v_mov_b32_e32 v12, 0x3f317218
	v_pk_mul_f32 v[12:13], v[16:17], v[12:13]
	v_ldexp_f32 v33, v32, 1
	v_fma_f32 v17, v16, s4, -v12
	v_fmamk_f32 v32, v16, 0xb102e308, v17
	v_pk_add_f32 v[16:17], v[12:13], v[32:33]
	v_mov_b32_e32 v34, v12
	v_sub_f32_e32 v33, v17, v33
	v_sub_f32_e32 v33, v13, v33
	v_add_f32_e32 v35, v20, v33
	v_pk_add_f32 v[12:13], v[16:17], v[12:13] neg_lo:[0,1] neg_hi:[0,1]
	v_pk_add_f32 v[36:37], v[16:17], v[34:35]
	v_mov_b32_e32 v33, v16
	v_mov_b32_e32 v13, v37
	v_pk_add_f32 v[38:39], v[32:33], v[12:13] neg_lo:[0,1] neg_hi:[0,1]
	v_pk_add_f32 v[12:13], v[32:33], v[12:13]
	v_mov_b32_e32 v34, v35
	v_pk_add_f32 v[32:33], v[12:13], v[16:17] op_sel:[1,0] op_sel_hi:[0,1] neg_lo:[0,1] neg_hi:[0,1]
	v_pk_add_f32 v[40:41], v[36:37], v[32:33] op_sel_hi:[1,0] neg_lo:[0,1] neg_hi:[0,1]
	v_mov_b32_e32 v36, v37
	v_mov_b32_e32 v37, v13
	v_pk_mov_b32 v[32:33], v[16:17], v[32:33] op_sel:[1,0]
	v_mov_b32_e32 v35, v16
	v_pk_add_f32 v[32:33], v[36:37], v[32:33] neg_lo:[0,1] neg_hi:[0,1]
	v_mov_b32_e32 v40, v38
	v_pk_add_f32 v[16:17], v[34:35], v[32:33] neg_lo:[0,1] neg_hi:[0,1]
	v_mov_b32_e32 v39, v13
	v_pk_add_f32 v[32:33], v[40:41], v[16:17]
	s_mov_b32 s4, 0x33800000
	v_pk_add_f32 v[34:35], v[32:33], v[32:33] op_sel:[0,1] op_sel_hi:[1,0]
	s_nop 0
	v_pk_add_f32 v[12:13], v[12:13], v[34:35] op_sel:[1,0] op_sel_hi:[0,1]
	v_mov_b32_e32 v33, v12
	v_pk_add_f32 v[36:37], v[32:33], v[38:39] neg_lo:[0,1] neg_hi:[0,1]
	v_mov_b32_e32 v17, v34
	v_sub_f32_e32 v13, v32, v36
	v_pk_add_f32 v[16:17], v[16:17], v[36:37] neg_lo:[0,1] neg_hi:[0,1]
	v_sub_f32_e32 v13, v38, v13
	v_add_f32_e32 v13, v16, v13
	v_add_f32_e32 v13, v13, v17
	;; [unrolled: 1-line block ×3, first 2 shown]
	v_cndmask_b32_e32 v12, v15, v12, vcc
	v_cmp_lt_f32_e64 vcc, |v19|, s4
	s_nop 1
	v_cndmask_b32_e32 v12, v12, v19, vcc
	v_add_f32_e32 v12, v14, v12
	v_cvt_f16_f32_e32 v32, v12
	v_cvt_f32_f16_e32 v12, v32
	v_mov_b32_e32 v13, v32
.LBB351_179:
	s_or_b64 exec, exec, s[2:3]
	v_max_f32_e32 v14, v21, v21
	v_max_f32_e32 v16, v12, v12
	v_min_f32_e32 v15, v16, v14
	v_cmp_u_f16_e32 vcc, v32, v32
	v_max_f32_e32 v14, v16, v14
	s_movk_i32 s4, 0x1f8
	v_cndmask_b32_e32 v15, v15, v12, vcc
	v_cndmask_b32_e32 v14, v14, v12, vcc
	v_cndmask_b32_e64 v15, v15, v21, s[8:9]
	v_cndmask_b32_e64 v14, v14, v21, s[8:9]
	v_cmp_neq_f32_e32 vcc, v15, v14
	v_cmp_class_f32_e64 s[2:3], v15, s4
	s_or_b64 s[6:7], vcc, s[2:3]
	v_mov_b32_e32 v20, v13
	s_and_saveexec_b64 s[2:3], s[6:7]
	s_cbranch_execz .LBB351_181
; %bb.180:
	v_sub_f32_e32 v12, v15, v14
	s_mov_b32 s5, 0x3fb8aa3b
	v_mul_f32_e32 v15, 0x3fb8aa3b, v12
	v_fma_f32 v16, v12, s5, -v15
	v_rndne_f32_e32 v17, v15
	v_fmamk_f32 v16, v12, 0x32a5705f, v16
	v_sub_f32_e32 v15, v15, v17
	v_add_f32_e32 v15, v15, v16
	v_exp_f32_e32 v15, v15
	v_cvt_i32_f32_e32 v16, v17
	s_mov_b32 s5, 0xc2ce8ed0
	v_cmp_ngt_f32_e32 vcc, s5, v12
	s_mov_b32 s5, 0x42b17218
	v_ldexp_f32 v15, v15, v16
	v_cndmask_b32_e32 v15, 0, v15, vcc
	v_mov_b32_e32 v19, 0x7f800000
	v_cmp_nlt_f32_e32 vcc, s5, v12
	s_mov_b32 s5, 0x3f2aaaab
	s_mov_b32 s6, 0x7f800000
	v_cndmask_b32_e32 v12, v19, v15, vcc
	v_add_f32_e32 v15, 1.0, v12
	v_add_f32_e32 v16, -1.0, v15
	v_sub_f32_e32 v17, v16, v15
	v_add_f32_e32 v17, 1.0, v17
	v_sub_f32_e32 v16, v12, v16
	v_add_f32_e32 v20, v16, v17
	v_frexp_mant_f32_e32 v21, v15
	v_cvt_f64_f32_e32 v[16:17], v15
	v_frexp_exp_i32_f64_e32 v16, v[16:17]
	v_cmp_gt_f32_e32 vcc, s5, v21
	s_mov_b32 s5, 0x3f317218
	s_nop 0
	v_subbrev_co_u32_e32 v36, vcc, 0, v16, vcc
	v_sub_u32_e32 v16, 0, v36
	v_ldexp_f32 v15, v15, v16
	v_ldexp_f32 v16, v20, v16
	v_add_f32_e32 v20, -1.0, v15
	v_add_f32_e32 v17, 1.0, v20
	v_sub_f32_e32 v17, v15, v17
	v_add_f32_e32 v21, v16, v17
	v_add_f32_e32 v17, 1.0, v15
	v_add_f32_e32 v32, -1.0, v17
	v_sub_f32_e32 v15, v15, v32
	v_add_f32_e32 v15, v16, v15
	v_add_f32_e32 v37, v17, v15
	v_rcp_f32_e32 v38, v37
	v_sub_f32_e32 v16, v17, v37
	v_add_f32_e32 v17, v20, v21
	v_add_f32_e32 v15, v15, v16
	v_mul_f32_e32 v40, v17, v38
	v_sub_f32_e32 v16, v20, v17
	v_mul_f32_e32 v20, v37, v40
	v_fma_f32 v32, v40, v37, -v20
	v_fmac_f32_e32 v32, v40, v15
	v_add_f32_e32 v39, v21, v16
	v_add_f32_e32 v16, v20, v32
	v_sub_f32_e32 v21, v17, v16
	v_pk_add_f32 v[34:35], v[16:17], v[20:21] neg_lo:[0,1] neg_hi:[0,1]
	v_mov_b32_e32 v33, v16
	v_pk_add_f32 v[16:17], v[34:35], v[32:33] neg_lo:[0,1] neg_hi:[0,1]
	v_cmp_neq_f32_e32 vcc, s6, v12
	v_add_f32_e32 v17, v39, v17
	v_add_f32_e32 v16, v16, v17
	;; [unrolled: 1-line block ×3, first 2 shown]
	v_mul_f32_e32 v39, v38, v17
	v_mul_f32_e32 v20, v37, v39
	v_fma_f32 v32, v39, v37, -v20
	v_fmac_f32_e32 v32, v39, v15
	v_sub_f32_e32 v15, v21, v17
	v_add_f32_e32 v15, v16, v15
	v_add_f32_e32 v16, v20, v32
	v_sub_f32_e32 v21, v17, v16
	v_pk_add_f32 v[34:35], v[16:17], v[20:21] neg_lo:[0,1] neg_hi:[0,1]
	v_mov_b32_e32 v33, v16
	v_pk_add_f32 v[16:17], v[34:35], v[32:33] neg_lo:[0,1] neg_hi:[0,1]
	v_cvt_f32_i32_e32 v20, v36
	v_add_f32_e32 v15, v15, v17
	v_add_f32_e32 v15, v16, v15
	;; [unrolled: 1-line block ×4, first 2 shown]
	v_sub_f32_e32 v17, v16, v40
	v_mul_f32_e32 v15, v38, v15
	v_sub_f32_e32 v17, v39, v17
	v_add_f32_e32 v15, v17, v15
	v_add_f32_e32 v21, v16, v15
	v_mul_f32_e32 v32, v21, v21
	v_mov_b32_e32 v17, 0x3ecc95a3
	v_fmac_f32_e32 v17, 0x3e9b6dac, v32
	v_sub_f32_e32 v16, v21, v16
	v_fmaak_f32 v17, v32, v17, 0x3f2aaada
	v_sub_f32_e32 v15, v15, v16
	v_ldexp_f32 v33, v21, 1
	v_mul_f32_e32 v21, v21, v32
	v_mov_b32_e32 v16, 0x3f317218
	v_pk_mul_f32 v[16:17], v[20:21], v[16:17]
	v_ldexp_f32 v15, v15, 1
	v_fma_f32 v21, v20, s5, -v16
	v_fmamk_f32 v32, v20, 0xb102e308, v21
	v_pk_add_f32 v[20:21], v[16:17], v[32:33]
	v_mov_b32_e32 v34, v16
	v_sub_f32_e32 v33, v21, v33
	v_sub_f32_e32 v33, v17, v33
	v_add_f32_e32 v35, v15, v33
	v_pk_add_f32 v[16:17], v[20:21], v[16:17] neg_lo:[0,1] neg_hi:[0,1]
	v_pk_add_f32 v[36:37], v[20:21], v[34:35]
	v_mov_b32_e32 v33, v20
	v_mov_b32_e32 v17, v37
	v_pk_add_f32 v[38:39], v[32:33], v[16:17] neg_lo:[0,1] neg_hi:[0,1]
	v_pk_add_f32 v[16:17], v[32:33], v[16:17]
	v_mov_b32_e32 v34, v35
	v_pk_add_f32 v[32:33], v[16:17], v[20:21] op_sel:[1,0] op_sel_hi:[0,1] neg_lo:[0,1] neg_hi:[0,1]
	v_pk_add_f32 v[40:41], v[36:37], v[32:33] op_sel_hi:[1,0] neg_lo:[0,1] neg_hi:[0,1]
	v_mov_b32_e32 v36, v37
	v_mov_b32_e32 v37, v17
	v_pk_mov_b32 v[32:33], v[20:21], v[32:33] op_sel:[1,0]
	v_mov_b32_e32 v35, v20
	v_pk_add_f32 v[32:33], v[36:37], v[32:33] neg_lo:[0,1] neg_hi:[0,1]
	v_mov_b32_e32 v40, v38
	v_pk_add_f32 v[20:21], v[34:35], v[32:33] neg_lo:[0,1] neg_hi:[0,1]
	v_mov_b32_e32 v39, v17
	v_pk_add_f32 v[32:33], v[40:41], v[20:21]
	s_mov_b32 s5, 0x33800000
	v_pk_add_f32 v[34:35], v[32:33], v[32:33] op_sel:[0,1] op_sel_hi:[1,0]
	s_nop 0
	v_pk_add_f32 v[16:17], v[16:17], v[34:35] op_sel:[1,0] op_sel_hi:[0,1]
	v_mov_b32_e32 v33, v16
	v_pk_add_f32 v[36:37], v[32:33], v[38:39] neg_lo:[0,1] neg_hi:[0,1]
	v_mov_b32_e32 v21, v34
	v_sub_f32_e32 v15, v32, v36
	v_pk_add_f32 v[20:21], v[20:21], v[36:37] neg_lo:[0,1] neg_hi:[0,1]
	v_sub_f32_e32 v15, v38, v15
	v_add_f32_e32 v15, v20, v15
	v_add_f32_e32 v15, v15, v21
	v_add_f32_e32 v15, v16, v15
	v_cndmask_b32_e32 v15, v19, v15, vcc
	v_cmp_lt_f32_e64 vcc, |v12|, s5
	s_nop 1
	v_cndmask_b32_e32 v12, v15, v12, vcc
	v_add_f32_e32 v12, v14, v12
	v_cvt_f16_f32_e32 v32, v12
	v_cvt_f32_f16_e32 v12, v32
	v_mov_b32_e32 v20, v32
.LBB351_181:
	s_or_b64 exec, exec, s[2:3]
	v_max_f32_e32 v14, v22, v22
	v_max_f32_e32 v15, v12, v12
	v_min_f32_e32 v16, v15, v14
	v_cmp_u_f16_e32 vcc, v32, v32
	v_max_f32_e32 v14, v15, v14
	s_nop 0
	v_cndmask_b32_e32 v16, v16, v12, vcc
	v_cndmask_b32_e32 v14, v14, v12, vcc
	v_cndmask_b32_e64 v16, v16, v22, s[10:11]
	v_cndmask_b32_e64 v15, v14, v22, s[10:11]
	v_cmp_neq_f32_e32 vcc, v16, v15
	v_cmp_class_f32_e64 s[2:3], v16, s4
	s_or_b64 s[4:5], vcc, s[2:3]
	v_mov_b32_e32 v14, v20
	s_and_saveexec_b64 s[2:3], s[4:5]
	s_cbranch_execz .LBB351_183
; %bb.182:
	v_sub_f32_e32 v12, v16, v15
	s_mov_b32 s4, 0x3fb8aa3b
	v_mul_f32_e32 v14, 0x3fb8aa3b, v12
	v_fma_f32 v16, v12, s4, -v14
	v_rndne_f32_e32 v17, v14
	v_fmamk_f32 v16, v12, 0x32a5705f, v16
	v_sub_f32_e32 v14, v14, v17
	v_add_f32_e32 v14, v14, v16
	v_exp_f32_e32 v14, v14
	v_cvt_i32_f32_e32 v16, v17
	s_mov_b32 s4, 0xc2ce8ed0
	v_cmp_ngt_f32_e32 vcc, s4, v12
	s_mov_b32 s4, 0x42b17218
	v_ldexp_f32 v14, v14, v16
	v_cndmask_b32_e32 v14, 0, v14, vcc
	v_mov_b32_e32 v19, 0x7f800000
	v_cmp_nlt_f32_e32 vcc, s4, v12
	s_mov_b32 s4, 0x3f2aaaab
	s_mov_b32 s5, 0x7f800000
	v_cndmask_b32_e32 v12, v19, v14, vcc
	v_add_f32_e32 v14, 1.0, v12
	v_add_f32_e32 v16, -1.0, v14
	v_sub_f32_e32 v17, v16, v14
	v_add_f32_e32 v17, 1.0, v17
	v_sub_f32_e32 v16, v12, v16
	v_add_f32_e32 v21, v16, v17
	v_frexp_mant_f32_e32 v22, v14
	v_cvt_f64_f32_e32 v[16:17], v14
	v_frexp_exp_i32_f64_e32 v16, v[16:17]
	v_cmp_gt_f32_e32 vcc, s4, v22
	s_mov_b32 s4, 0x3f317218
	s_nop 0
	v_subbrev_co_u32_e32 v22, vcc, 0, v16, vcc
	v_sub_u32_e32 v16, 0, v22
	v_ldexp_f32 v14, v14, v16
	v_ldexp_f32 v16, v21, v16
	v_add_f32_e32 v21, -1.0, v14
	v_add_f32_e32 v17, 1.0, v21
	v_sub_f32_e32 v17, v14, v17
	v_add_f32_e32 v32, v16, v17
	v_add_f32_e32 v17, 1.0, v14
	v_add_f32_e32 v33, -1.0, v17
	v_sub_f32_e32 v14, v14, v33
	v_add_f32_e32 v14, v16, v14
	v_add_f32_e32 v38, v17, v14
	v_rcp_f32_e32 v39, v38
	v_sub_f32_e32 v16, v17, v38
	v_add_f32_e32 v17, v21, v32
	v_add_f32_e32 v14, v14, v16
	v_sub_f32_e32 v16, v21, v17
	v_mul_f32_e32 v40, v17, v39
	v_add_f32_e32 v21, v32, v16
	v_mul_f32_e32 v32, v38, v40
	v_fma_f32 v34, v40, v38, -v32
	v_fmac_f32_e32 v34, v40, v14
	v_add_f32_e32 v16, v32, v34
	v_sub_f32_e32 v33, v17, v16
	v_pk_add_f32 v[36:37], v[16:17], v[32:33] neg_lo:[0,1] neg_hi:[0,1]
	v_mov_b32_e32 v35, v16
	v_pk_add_f32 v[16:17], v[36:37], v[34:35] neg_lo:[0,1] neg_hi:[0,1]
	v_cmp_neq_f32_e32 vcc, s5, v12
	v_add_f32_e32 v17, v21, v17
	v_add_f32_e32 v16, v16, v17
	;; [unrolled: 1-line block ×3, first 2 shown]
	v_mul_f32_e32 v21, v39, v17
	v_mul_f32_e32 v32, v38, v21
	v_fma_f32 v34, v21, v38, -v32
	v_fmac_f32_e32 v34, v21, v14
	v_sub_f32_e32 v14, v33, v17
	v_add_f32_e32 v14, v16, v14
	v_add_f32_e32 v16, v32, v34
	v_sub_f32_e32 v33, v17, v16
	v_pk_add_f32 v[36:37], v[16:17], v[32:33] neg_lo:[0,1] neg_hi:[0,1]
	v_mov_b32_e32 v35, v16
	v_pk_add_f32 v[16:17], v[36:37], v[34:35] neg_lo:[0,1] neg_hi:[0,1]
	v_cvt_f32_i32_e32 v32, v22
	v_add_f32_e32 v14, v14, v17
	v_add_f32_e32 v14, v16, v14
	;; [unrolled: 1-line block ×4, first 2 shown]
	v_sub_f32_e32 v17, v16, v40
	v_mul_f32_e32 v14, v39, v14
	v_sub_f32_e32 v17, v21, v17
	v_add_f32_e32 v14, v17, v14
	v_add_f32_e32 v21, v16, v14
	v_mul_f32_e32 v33, v21, v21
	v_mov_b32_e32 v17, 0x3ecc95a3
	v_fmac_f32_e32 v17, 0x3e9b6dac, v33
	v_sub_f32_e32 v16, v21, v16
	v_fmaak_f32 v17, v33, v17, 0x3f2aaada
	v_sub_f32_e32 v14, v14, v16
	v_mul_f32_e32 v33, v21, v33
	v_mov_b32_e32 v16, 0x3f317218
	v_pk_mul_f32 v[16:17], v[32:33], v[16:17]
	v_ldexp_f32 v35, v21, 1
	v_fma_f32 v21, v32, s4, -v16
	v_fmamk_f32 v34, v32, 0xb102e308, v21
	v_pk_add_f32 v[32:33], v[16:17], v[34:35]
	v_ldexp_f32 v14, v14, 1
	v_sub_f32_e32 v21, v33, v35
	v_sub_f32_e32 v21, v17, v21
	v_add_f32_e32 v37, v14, v21
	v_mov_b32_e32 v36, v16
	v_pk_add_f32 v[16:17], v[32:33], v[16:17] neg_lo:[0,1] neg_hi:[0,1]
	v_pk_add_f32 v[38:39], v[32:33], v[36:37]
	v_mov_b32_e32 v35, v32
	v_mov_b32_e32 v17, v39
	v_pk_add_f32 v[40:41], v[34:35], v[16:17] neg_lo:[0,1] neg_hi:[0,1]
	v_pk_add_f32 v[16:17], v[34:35], v[16:17]
	v_mov_b32_e32 v36, v37
	v_pk_add_f32 v[34:35], v[16:17], v[32:33] op_sel:[1,0] op_sel_hi:[0,1] neg_lo:[0,1] neg_hi:[0,1]
	v_pk_add_f32 v[42:43], v[38:39], v[34:35] op_sel_hi:[1,0] neg_lo:[0,1] neg_hi:[0,1]
	v_mov_b32_e32 v38, v39
	v_mov_b32_e32 v39, v17
	v_pk_mov_b32 v[34:35], v[32:33], v[34:35] op_sel:[1,0]
	v_mov_b32_e32 v37, v32
	v_pk_add_f32 v[34:35], v[38:39], v[34:35] neg_lo:[0,1] neg_hi:[0,1]
	v_mov_b32_e32 v42, v40
	v_pk_add_f32 v[32:33], v[36:37], v[34:35] neg_lo:[0,1] neg_hi:[0,1]
	v_mov_b32_e32 v41, v17
	v_pk_add_f32 v[34:35], v[42:43], v[32:33]
	s_mov_b32 s4, 0x33800000
	v_pk_add_f32 v[36:37], v[34:35], v[34:35] op_sel:[0,1] op_sel_hi:[1,0]
	s_nop 0
	v_pk_add_f32 v[16:17], v[16:17], v[36:37] op_sel:[1,0] op_sel_hi:[0,1]
	v_mov_b32_e32 v35, v16
	v_pk_add_f32 v[38:39], v[34:35], v[40:41] neg_lo:[0,1] neg_hi:[0,1]
	v_mov_b32_e32 v33, v36
	v_sub_f32_e32 v14, v34, v38
	v_pk_add_f32 v[32:33], v[32:33], v[38:39] neg_lo:[0,1] neg_hi:[0,1]
	v_sub_f32_e32 v14, v40, v14
	v_add_f32_e32 v14, v32, v14
	v_add_f32_e32 v14, v14, v33
	;; [unrolled: 1-line block ×3, first 2 shown]
	v_cndmask_b32_e32 v14, v19, v14, vcc
	v_cmp_lt_f32_e64 vcc, |v12|, s4
	s_nop 1
	v_cndmask_b32_e32 v12, v14, v12, vcc
	v_add_f32_e32 v12, v15, v12
	v_cvt_f16_f32_e32 v32, v12
	v_cvt_f32_f16_e32 v12, v32
	v_mov_b32_e32 v14, v32
.LBB351_183:
	s_or_b64 exec, exec, s[2:3]
	v_max_f32_e32 v15, v23, v23
	v_max_f32_e32 v17, v12, v12
	v_min_f32_e32 v16, v17, v15
	v_cmp_u_f16_e32 vcc, v32, v32
	v_max_f32_e32 v15, v17, v15
	s_movk_i32 s4, 0x1f8
	v_cndmask_b32_e32 v16, v16, v12, vcc
	v_cndmask_b32_e32 v15, v15, v12, vcc
	v_cndmask_b32_e64 v16, v16, v23, s[12:13]
	v_cndmask_b32_e64 v15, v15, v23, s[12:13]
	v_cmp_neq_f32_e32 vcc, v16, v15
	v_cmp_class_f32_e64 s[2:3], v16, s4
	s_or_b64 s[6:7], vcc, s[2:3]
	v_mov_b32_e32 v21, v14
	s_and_saveexec_b64 s[2:3], s[6:7]
	s_cbranch_execz .LBB351_185
; %bb.184:
	v_sub_f32_e32 v12, v16, v15
	s_mov_b32 s5, 0x3fb8aa3b
	v_mul_f32_e32 v16, 0x3fb8aa3b, v12
	v_fma_f32 v17, v12, s5, -v16
	v_rndne_f32_e32 v19, v16
	v_fmamk_f32 v17, v12, 0x32a5705f, v17
	v_sub_f32_e32 v16, v16, v19
	v_add_f32_e32 v16, v16, v17
	v_exp_f32_e32 v16, v16
	v_cvt_i32_f32_e32 v17, v19
	s_mov_b32 s5, 0xc2ce8ed0
	v_cmp_ngt_f32_e32 vcc, s5, v12
	s_mov_b32 s5, 0x42b17218
	v_ldexp_f32 v16, v16, v17
	v_cndmask_b32_e32 v16, 0, v16, vcc
	v_mov_b32_e32 v19, 0x7f800000
	v_cmp_nlt_f32_e32 vcc, s5, v12
	s_mov_b32 s5, 0x3f2aaaab
	s_mov_b32 s6, 0x7f800000
	v_cndmask_b32_e32 v12, v19, v16, vcc
	v_add_f32_e32 v21, 1.0, v12
	v_add_f32_e32 v16, -1.0, v21
	v_sub_f32_e32 v17, v16, v21
	v_add_f32_e32 v17, 1.0, v17
	v_sub_f32_e32 v16, v12, v16
	v_add_f32_e32 v22, v16, v17
	v_frexp_mant_f32_e32 v23, v21
	v_cvt_f64_f32_e32 v[16:17], v21
	v_frexp_exp_i32_f64_e32 v16, v[16:17]
	v_cmp_gt_f32_e32 vcc, s5, v23
	s_mov_b32 s5, 0x3f317218
	s_nop 0
	v_subbrev_co_u32_e32 v36, vcc, 0, v16, vcc
	v_sub_u32_e32 v16, 0, v36
	v_ldexp_f32 v17, v21, v16
	v_add_f32_e32 v21, -1.0, v17
	v_add_f32_e32 v23, 1.0, v17
	v_ldexp_f32 v16, v22, v16
	v_add_f32_e32 v22, 1.0, v21
	v_add_f32_e32 v32, -1.0, v23
	v_sub_f32_e32 v22, v17, v22
	v_sub_f32_e32 v17, v17, v32
	v_add_f32_e32 v22, v16, v22
	v_add_f32_e32 v16, v16, v17
	;; [unrolled: 1-line block ×3, first 2 shown]
	v_rcp_f32_e32 v39, v37
	v_sub_f32_e32 v17, v23, v37
	v_add_f32_e32 v38, v16, v17
	v_add_f32_e32 v17, v21, v22
	v_sub_f32_e32 v16, v21, v17
	v_mul_f32_e32 v40, v17, v39
	v_add_f32_e32 v21, v22, v16
	v_mul_f32_e32 v22, v37, v40
	v_fma_f32 v32, v40, v37, -v22
	v_fmac_f32_e32 v32, v40, v38
	v_add_f32_e32 v16, v22, v32
	v_sub_f32_e32 v23, v17, v16
	v_pk_add_f32 v[34:35], v[16:17], v[22:23] neg_lo:[0,1] neg_hi:[0,1]
	v_mov_b32_e32 v33, v16
	v_pk_add_f32 v[16:17], v[34:35], v[32:33] neg_lo:[0,1] neg_hi:[0,1]
	v_cmp_neq_f32_e32 vcc, s6, v12
	v_add_f32_e32 v17, v21, v17
	v_add_f32_e32 v16, v16, v17
	;; [unrolled: 1-line block ×3, first 2 shown]
	v_mul_f32_e32 v21, v39, v17
	v_mul_f32_e32 v22, v37, v21
	v_fma_f32 v32, v21, v37, -v22
	v_fmac_f32_e32 v32, v21, v38
	v_sub_f32_e32 v23, v23, v17
	v_add_f32_e32 v37, v16, v23
	v_add_f32_e32 v16, v22, v32
	v_sub_f32_e32 v23, v17, v16
	v_pk_add_f32 v[34:35], v[16:17], v[22:23] neg_lo:[0,1] neg_hi:[0,1]
	v_mov_b32_e32 v33, v16
	v_pk_add_f32 v[16:17], v[34:35], v[32:33] neg_lo:[0,1] neg_hi:[0,1]
	v_cvt_f32_i32_e32 v22, v36
	v_add_f32_e32 v17, v37, v17
	v_add_f32_e32 v16, v16, v17
	;; [unrolled: 1-line block ×4, first 2 shown]
	v_sub_f32_e32 v17, v23, v40
	v_mul_f32_e32 v16, v39, v16
	v_sub_f32_e32 v17, v21, v17
	v_add_f32_e32 v16, v17, v16
	v_add_f32_e32 v21, v23, v16
	v_mul_f32_e32 v32, v21, v21
	v_mov_b32_e32 v17, 0x3ecc95a3
	v_sub_f32_e32 v23, v21, v23
	v_fmac_f32_e32 v17, 0x3e9b6dac, v32
	v_sub_f32_e32 v16, v16, v23
	v_fmaak_f32 v17, v32, v17, 0x3f2aaada
	v_ldexp_f32 v34, v16, 1
	v_mul_f32_e32 v23, v21, v32
	v_mov_b32_e32 v16, 0x3f317218
	v_pk_mul_f32 v[16:17], v[22:23], v[16:17]
	v_ldexp_f32 v33, v21, 1
	v_fma_f32 v21, v22, s5, -v16
	v_fmamk_f32 v32, v22, 0xb102e308, v21
	v_pk_add_f32 v[22:23], v[16:17], v[32:33]
	s_mov_b32 s5, 0x33800000
	v_sub_f32_e32 v21, v23, v33
	v_sub_f32_e32 v21, v17, v21
	v_add_f32_e32 v35, v34, v21
	v_mov_b32_e32 v34, v16
	v_pk_add_f32 v[16:17], v[22:23], v[16:17] neg_lo:[0,1] neg_hi:[0,1]
	v_pk_add_f32 v[36:37], v[22:23], v[34:35]
	v_mov_b32_e32 v33, v22
	v_mov_b32_e32 v17, v37
	v_pk_add_f32 v[38:39], v[32:33], v[16:17] neg_lo:[0,1] neg_hi:[0,1]
	v_pk_add_f32 v[16:17], v[32:33], v[16:17]
	v_mov_b32_e32 v34, v35
	v_pk_add_f32 v[32:33], v[16:17], v[22:23] op_sel:[1,0] op_sel_hi:[0,1] neg_lo:[0,1] neg_hi:[0,1]
	v_pk_add_f32 v[40:41], v[36:37], v[32:33] op_sel_hi:[1,0] neg_lo:[0,1] neg_hi:[0,1]
	v_mov_b32_e32 v36, v37
	v_mov_b32_e32 v37, v17
	v_pk_mov_b32 v[32:33], v[22:23], v[32:33] op_sel:[1,0]
	v_mov_b32_e32 v35, v22
	v_pk_add_f32 v[32:33], v[36:37], v[32:33] neg_lo:[0,1] neg_hi:[0,1]
	v_mov_b32_e32 v40, v38
	v_pk_add_f32 v[22:23], v[34:35], v[32:33] neg_lo:[0,1] neg_hi:[0,1]
	v_mov_b32_e32 v39, v17
	v_pk_add_f32 v[32:33], v[40:41], v[22:23]
	s_nop 0
	v_pk_add_f32 v[34:35], v[32:33], v[32:33] op_sel:[0,1] op_sel_hi:[1,0]
	s_nop 0
	v_pk_add_f32 v[16:17], v[16:17], v[34:35] op_sel:[1,0] op_sel_hi:[0,1]
	v_mov_b32_e32 v33, v16
	v_pk_add_f32 v[36:37], v[32:33], v[38:39] neg_lo:[0,1] neg_hi:[0,1]
	v_mov_b32_e32 v23, v34
	v_sub_f32_e32 v17, v32, v36
	v_pk_add_f32 v[22:23], v[22:23], v[36:37] neg_lo:[0,1] neg_hi:[0,1]
	v_sub_f32_e32 v17, v38, v17
	v_add_f32_e32 v17, v22, v17
	v_add_f32_e32 v17, v17, v23
	;; [unrolled: 1-line block ×3, first 2 shown]
	v_cndmask_b32_e32 v16, v19, v16, vcc
	v_cmp_lt_f32_e64 vcc, |v12|, s5
	s_nop 1
	v_cndmask_b32_e32 v12, v16, v12, vcc
	v_add_f32_e32 v12, v15, v12
	v_cvt_f16_f32_e32 v32, v12
	v_cvt_f32_f16_e32 v12, v32
	v_mov_b32_e32 v21, v32
.LBB351_185:
	s_or_b64 exec, exec, s[2:3]
	v_max_f32_e32 v15, v24, v24
	v_max_f32_e32 v16, v12, v12
	v_min_f32_e32 v17, v16, v15
	v_cmp_u_f16_e32 vcc, v32, v32
	v_max_f32_e32 v15, v16, v15
	s_nop 0
	v_cndmask_b32_e32 v17, v17, v12, vcc
	v_cndmask_b32_e32 v15, v15, v12, vcc
	v_cndmask_b32_e64 v17, v17, v24, s[14:15]
	v_cndmask_b32_e64 v16, v15, v24, s[14:15]
	v_cmp_neq_f32_e32 vcc, v17, v16
	v_cmp_class_f32_e64 s[2:3], v17, s4
	s_or_b64 s[4:5], vcc, s[2:3]
	v_mov_b32_e32 v15, v21
	s_and_saveexec_b64 s[2:3], s[4:5]
	s_cbranch_execz .LBB351_187
; %bb.186:
	v_sub_f32_e32 v12, v17, v16
	s_mov_b32 s4, 0x3fb8aa3b
	v_mul_f32_e32 v15, 0x3fb8aa3b, v12
	v_fma_f32 v17, v12, s4, -v15
	v_rndne_f32_e32 v19, v15
	v_fmamk_f32 v17, v12, 0x32a5705f, v17
	v_sub_f32_e32 v15, v15, v19
	v_add_f32_e32 v15, v15, v17
	v_exp_f32_e32 v15, v15
	v_cvt_i32_f32_e32 v17, v19
	s_mov_b32 s4, 0xc2ce8ed0
	v_cmp_ngt_f32_e32 vcc, s4, v12
	s_mov_b32 s4, 0x42b17218
	v_ldexp_f32 v15, v15, v17
	v_cndmask_b32_e32 v15, 0, v15, vcc
	v_mov_b32_e32 v17, 0x7f800000
	v_cmp_nlt_f32_e32 vcc, s4, v12
	s_mov_b32 s4, 0x3f2aaaab
	s_mov_b32 s5, 0x7f800000
	v_cndmask_b32_e32 v12, v17, v15, vcc
	v_add_f32_e32 v15, 1.0, v12
	v_add_f32_e32 v19, -1.0, v15
	v_sub_f32_e32 v22, v19, v15
	v_add_f32_e32 v22, 1.0, v22
	v_sub_f32_e32 v19, v12, v19
	v_add_f32_e32 v19, v19, v22
	v_frexp_mant_f32_e32 v24, v15
	v_cvt_f64_f32_e32 v[22:23], v15
	v_frexp_exp_i32_f64_e32 v22, v[22:23]
	v_cmp_gt_f32_e32 vcc, s4, v24
	s_mov_b32 s4, 0x3f317218
	s_nop 0
	v_subbrev_co_u32_e32 v24, vcc, 0, v22, vcc
	v_sub_u32_e32 v22, 0, v24
	v_ldexp_f32 v15, v15, v22
	v_ldexp_f32 v19, v19, v22
	v_add_f32_e32 v22, -1.0, v15
	v_add_f32_e32 v23, 1.0, v22
	v_sub_f32_e32 v23, v15, v23
	v_add_f32_e32 v32, v19, v23
	v_add_f32_e32 v23, 1.0, v15
	v_add_f32_e32 v33, -1.0, v23
	v_sub_f32_e32 v15, v15, v33
	v_add_f32_e32 v15, v19, v15
	v_add_f32_e32 v19, v23, v15
	v_rcp_f32_e32 v38, v19
	v_sub_f32_e32 v23, v23, v19
	v_add_f32_e32 v15, v15, v23
	v_add_f32_e32 v23, v22, v32
	v_sub_f32_e32 v22, v22, v23
	v_mul_f32_e32 v40, v23, v38
	v_add_f32_e32 v39, v32, v22
	v_mul_f32_e32 v32, v19, v40
	v_fma_f32 v34, v40, v19, -v32
	v_fmac_f32_e32 v34, v40, v15
	v_add_f32_e32 v22, v32, v34
	v_sub_f32_e32 v33, v23, v22
	v_pk_add_f32 v[36:37], v[22:23], v[32:33] neg_lo:[0,1] neg_hi:[0,1]
	v_mov_b32_e32 v35, v22
	v_pk_add_f32 v[22:23], v[36:37], v[34:35] neg_lo:[0,1] neg_hi:[0,1]
	v_cmp_neq_f32_e32 vcc, s5, v12
	v_add_f32_e32 v23, v39, v23
	v_add_f32_e32 v22, v22, v23
	v_add_f32_e32 v23, v33, v22
	v_mul_f32_e32 v39, v38, v23
	v_mul_f32_e32 v32, v19, v39
	v_fma_f32 v34, v39, v19, -v32
	v_fmac_f32_e32 v34, v39, v15
	v_sub_f32_e32 v15, v33, v23
	v_add_f32_e32 v15, v22, v15
	v_add_f32_e32 v22, v32, v34
	v_sub_f32_e32 v33, v23, v22
	v_pk_add_f32 v[36:37], v[22:23], v[32:33] neg_lo:[0,1] neg_hi:[0,1]
	v_mov_b32_e32 v35, v22
	v_pk_add_f32 v[22:23], v[36:37], v[34:35] neg_lo:[0,1] neg_hi:[0,1]
	v_add_f32_e32 v19, v40, v39
	v_add_f32_e32 v15, v15, v23
	;; [unrolled: 1-line block ×4, first 2 shown]
	v_sub_f32_e32 v22, v19, v40
	v_mul_f32_e32 v15, v38, v15
	v_sub_f32_e32 v22, v39, v22
	v_add_f32_e32 v15, v22, v15
	v_add_f32_e32 v22, v19, v15
	v_cvt_f32_i32_e32 v32, v24
	v_mul_f32_e32 v33, v22, v22
	v_mov_b32_e32 v23, 0x3ecc95a3
	v_fmac_f32_e32 v23, 0x3e9b6dac, v33
	v_fmaak_f32 v23, v33, v23, 0x3f2aaada
	v_sub_f32_e32 v19, v22, v19
	v_ldexp_f32 v35, v22, 1
	v_mul_f32_e32 v33, v22, v33
	v_mov_b32_e32 v22, 0x3f317218
	v_pk_mul_f32 v[22:23], v[32:33], v[22:23]
	v_sub_f32_e32 v15, v15, v19
	v_fma_f32 v19, v32, s4, -v22
	v_fmamk_f32 v34, v32, 0xb102e308, v19
	v_pk_add_f32 v[32:33], v[22:23], v[34:35]
	v_ldexp_f32 v15, v15, 1
	v_sub_f32_e32 v19, v33, v35
	v_sub_f32_e32 v19, v23, v19
	v_add_f32_e32 v37, v15, v19
	v_mov_b32_e32 v36, v22
	v_pk_add_f32 v[22:23], v[32:33], v[22:23] neg_lo:[0,1] neg_hi:[0,1]
	v_pk_add_f32 v[38:39], v[32:33], v[36:37]
	v_mov_b32_e32 v35, v32
	v_mov_b32_e32 v23, v39
	v_pk_add_f32 v[40:41], v[34:35], v[22:23] neg_lo:[0,1] neg_hi:[0,1]
	v_pk_add_f32 v[22:23], v[34:35], v[22:23]
	v_mov_b32_e32 v36, v37
	v_pk_add_f32 v[34:35], v[22:23], v[32:33] op_sel:[1,0] op_sel_hi:[0,1] neg_lo:[0,1] neg_hi:[0,1]
	v_pk_add_f32 v[42:43], v[38:39], v[34:35] op_sel_hi:[1,0] neg_lo:[0,1] neg_hi:[0,1]
	v_mov_b32_e32 v38, v39
	v_mov_b32_e32 v39, v23
	v_pk_mov_b32 v[34:35], v[32:33], v[34:35] op_sel:[1,0]
	v_mov_b32_e32 v37, v32
	v_pk_add_f32 v[34:35], v[38:39], v[34:35] neg_lo:[0,1] neg_hi:[0,1]
	v_mov_b32_e32 v42, v40
	v_pk_add_f32 v[32:33], v[36:37], v[34:35] neg_lo:[0,1] neg_hi:[0,1]
	v_mov_b32_e32 v41, v23
	v_pk_add_f32 v[34:35], v[42:43], v[32:33]
	s_mov_b32 s4, 0x33800000
	v_pk_add_f32 v[36:37], v[34:35], v[34:35] op_sel:[0,1] op_sel_hi:[1,0]
	s_nop 0
	v_pk_add_f32 v[22:23], v[22:23], v[36:37] op_sel:[1,0] op_sel_hi:[0,1]
	v_mov_b32_e32 v35, v22
	v_pk_add_f32 v[38:39], v[34:35], v[40:41] neg_lo:[0,1] neg_hi:[0,1]
	v_mov_b32_e32 v33, v36
	v_sub_f32_e32 v15, v34, v38
	v_pk_add_f32 v[32:33], v[32:33], v[38:39] neg_lo:[0,1] neg_hi:[0,1]
	v_sub_f32_e32 v15, v40, v15
	v_add_f32_e32 v15, v32, v15
	v_add_f32_e32 v15, v15, v33
	;; [unrolled: 1-line block ×3, first 2 shown]
	v_cndmask_b32_e32 v15, v17, v15, vcc
	v_cmp_lt_f32_e64 vcc, |v12|, s4
	s_nop 1
	v_cndmask_b32_e32 v12, v15, v12, vcc
	v_add_f32_e32 v12, v16, v12
	v_cvt_f16_f32_e32 v32, v12
	v_cvt_f32_f16_e32 v12, v32
	v_mov_b32_e32 v15, v32
.LBB351_187:
	s_or_b64 exec, exec, s[2:3]
	v_max_f32_e32 v16, v25, v25
	v_max_f32_e32 v19, v12, v12
	v_min_f32_e32 v17, v19, v16
	v_cmp_u_f16_e32 vcc, v32, v32
	v_max_f32_e32 v16, v19, v16
	s_movk_i32 s4, 0x1f8
	v_cndmask_b32_e32 v17, v17, v12, vcc
	v_cndmask_b32_e32 v16, v16, v12, vcc
	v_cndmask_b32_e64 v17, v17, v25, s[16:17]
	v_cndmask_b32_e64 v16, v16, v25, s[16:17]
	v_cmp_neq_f32_e32 vcc, v17, v16
	v_cmp_class_f32_e64 s[2:3], v17, s4
	s_or_b64 s[6:7], vcc, s[2:3]
	v_mov_b32_e32 v22, v15
	s_and_saveexec_b64 s[2:3], s[6:7]
	s_cbranch_execz .LBB351_189
; %bb.188:
	v_sub_f32_e32 v12, v17, v16
	s_mov_b32 s5, 0x3fb8aa3b
	v_mul_f32_e32 v17, 0x3fb8aa3b, v12
	v_fma_f32 v19, v12, s5, -v17
	v_rndne_f32_e32 v22, v17
	v_fmamk_f32 v19, v12, 0x32a5705f, v19
	v_sub_f32_e32 v17, v17, v22
	v_add_f32_e32 v17, v17, v19
	v_exp_f32_e32 v17, v17
	v_cvt_i32_f32_e32 v19, v22
	s_mov_b32 s5, 0xc2ce8ed0
	v_cmp_ngt_f32_e32 vcc, s5, v12
	s_mov_b32 s5, 0x42b17218
	v_ldexp_f32 v17, v17, v19
	v_cndmask_b32_e32 v17, 0, v17, vcc
	v_mov_b32_e32 v19, 0x7f800000
	v_cmp_nlt_f32_e32 vcc, s5, v12
	s_mov_b32 s5, 0x3f2aaaab
	s_mov_b32 s6, 0x7f800000
	v_cndmask_b32_e32 v12, v19, v17, vcc
	v_add_f32_e32 v17, 1.0, v12
	v_add_f32_e32 v22, -1.0, v17
	v_sub_f32_e32 v23, v22, v17
	v_add_f32_e32 v23, 1.0, v23
	v_sub_f32_e32 v22, v12, v22
	v_add_f32_e32 v24, v22, v23
	v_frexp_mant_f32_e32 v25, v17
	v_cvt_f64_f32_e32 v[22:23], v17
	v_frexp_exp_i32_f64_e32 v22, v[22:23]
	v_cmp_gt_f32_e32 vcc, s5, v25
	s_mov_b32 s5, 0x3f317218
	s_nop 0
	v_subbrev_co_u32_e32 v36, vcc, 0, v22, vcc
	v_sub_u32_e32 v22, 0, v36
	v_ldexp_f32 v17, v17, v22
	v_ldexp_f32 v22, v24, v22
	v_add_f32_e32 v24, -1.0, v17
	v_add_f32_e32 v23, 1.0, v24
	v_sub_f32_e32 v23, v17, v23
	v_add_f32_e32 v25, v22, v23
	v_add_f32_e32 v23, 1.0, v17
	v_add_f32_e32 v32, -1.0, v23
	v_sub_f32_e32 v17, v17, v32
	v_add_f32_e32 v17, v22, v17
	v_add_f32_e32 v37, v23, v17
	v_rcp_f32_e32 v38, v37
	v_sub_f32_e32 v22, v23, v37
	v_add_f32_e32 v23, v24, v25
	v_add_f32_e32 v17, v17, v22
	v_mul_f32_e32 v40, v23, v38
	v_sub_f32_e32 v22, v24, v23
	v_mul_f32_e32 v24, v37, v40
	v_fma_f32 v32, v40, v37, -v24
	v_fmac_f32_e32 v32, v40, v17
	v_add_f32_e32 v39, v25, v22
	v_add_f32_e32 v22, v24, v32
	v_sub_f32_e32 v25, v23, v22
	v_pk_add_f32 v[34:35], v[22:23], v[24:25] neg_lo:[0,1] neg_hi:[0,1]
	v_mov_b32_e32 v33, v22
	v_pk_add_f32 v[22:23], v[34:35], v[32:33] neg_lo:[0,1] neg_hi:[0,1]
	v_cmp_neq_f32_e32 vcc, s6, v12
	v_add_f32_e32 v23, v39, v23
	v_add_f32_e32 v22, v22, v23
	;; [unrolled: 1-line block ×3, first 2 shown]
	v_mul_f32_e32 v39, v38, v23
	v_mul_f32_e32 v24, v37, v39
	v_fma_f32 v32, v39, v37, -v24
	v_fmac_f32_e32 v32, v39, v17
	v_sub_f32_e32 v17, v25, v23
	v_add_f32_e32 v17, v22, v17
	v_add_f32_e32 v22, v24, v32
	v_sub_f32_e32 v25, v23, v22
	v_pk_add_f32 v[34:35], v[22:23], v[24:25] neg_lo:[0,1] neg_hi:[0,1]
	v_mov_b32_e32 v33, v22
	v_pk_add_f32 v[22:23], v[34:35], v[32:33] neg_lo:[0,1] neg_hi:[0,1]
	v_cvt_f32_i32_e32 v24, v36
	v_add_f32_e32 v17, v17, v23
	v_add_f32_e32 v17, v22, v17
	;; [unrolled: 1-line block ×4, first 2 shown]
	v_sub_f32_e32 v23, v22, v40
	v_mul_f32_e32 v17, v38, v17
	v_sub_f32_e32 v23, v39, v23
	v_add_f32_e32 v17, v23, v17
	v_add_f32_e32 v25, v22, v17
	v_mul_f32_e32 v32, v25, v25
	v_mov_b32_e32 v23, 0x3ecc95a3
	v_fmac_f32_e32 v23, 0x3e9b6dac, v32
	v_sub_f32_e32 v22, v25, v22
	v_fmaak_f32 v23, v32, v23, 0x3f2aaada
	v_sub_f32_e32 v17, v17, v22
	v_ldexp_f32 v33, v25, 1
	v_mul_f32_e32 v25, v25, v32
	v_mov_b32_e32 v22, 0x3f317218
	v_pk_mul_f32 v[22:23], v[24:25], v[22:23]
	v_ldexp_f32 v17, v17, 1
	v_fma_f32 v25, v24, s5, -v22
	v_fmamk_f32 v32, v24, 0xb102e308, v25
	v_pk_add_f32 v[24:25], v[22:23], v[32:33]
	v_mov_b32_e32 v34, v22
	v_sub_f32_e32 v33, v25, v33
	v_sub_f32_e32 v33, v23, v33
	v_add_f32_e32 v35, v17, v33
	v_pk_add_f32 v[22:23], v[24:25], v[22:23] neg_lo:[0,1] neg_hi:[0,1]
	v_pk_add_f32 v[36:37], v[24:25], v[34:35]
	v_mov_b32_e32 v33, v24
	v_mov_b32_e32 v23, v37
	v_pk_add_f32 v[38:39], v[32:33], v[22:23] neg_lo:[0,1] neg_hi:[0,1]
	v_pk_add_f32 v[22:23], v[32:33], v[22:23]
	v_mov_b32_e32 v34, v35
	v_pk_add_f32 v[32:33], v[22:23], v[24:25] op_sel:[1,0] op_sel_hi:[0,1] neg_lo:[0,1] neg_hi:[0,1]
	v_pk_add_f32 v[40:41], v[36:37], v[32:33] op_sel_hi:[1,0] neg_lo:[0,1] neg_hi:[0,1]
	v_mov_b32_e32 v36, v37
	v_mov_b32_e32 v37, v23
	v_pk_mov_b32 v[32:33], v[24:25], v[32:33] op_sel:[1,0]
	v_mov_b32_e32 v35, v24
	v_pk_add_f32 v[32:33], v[36:37], v[32:33] neg_lo:[0,1] neg_hi:[0,1]
	v_mov_b32_e32 v40, v38
	v_pk_add_f32 v[24:25], v[34:35], v[32:33] neg_lo:[0,1] neg_hi:[0,1]
	v_mov_b32_e32 v39, v23
	v_pk_add_f32 v[32:33], v[40:41], v[24:25]
	s_mov_b32 s5, 0x33800000
	v_pk_add_f32 v[34:35], v[32:33], v[32:33] op_sel:[0,1] op_sel_hi:[1,0]
	s_nop 0
	v_pk_add_f32 v[22:23], v[22:23], v[34:35] op_sel:[1,0] op_sel_hi:[0,1]
	v_mov_b32_e32 v33, v22
	v_pk_add_f32 v[36:37], v[32:33], v[38:39] neg_lo:[0,1] neg_hi:[0,1]
	v_mov_b32_e32 v25, v34
	v_sub_f32_e32 v17, v32, v36
	v_pk_add_f32 v[24:25], v[24:25], v[36:37] neg_lo:[0,1] neg_hi:[0,1]
	v_sub_f32_e32 v17, v38, v17
	v_add_f32_e32 v17, v24, v17
	v_add_f32_e32 v17, v17, v25
	;; [unrolled: 1-line block ×3, first 2 shown]
	v_cndmask_b32_e32 v17, v19, v17, vcc
	v_cmp_lt_f32_e64 vcc, |v12|, s5
	s_nop 1
	v_cndmask_b32_e32 v12, v17, v12, vcc
	v_add_f32_e32 v12, v16, v12
	v_cvt_f16_f32_e32 v32, v12
	v_cvt_f32_f16_e32 v12, v32
	v_mov_b32_e32 v22, v32
.LBB351_189:
	s_or_b64 exec, exec, s[2:3]
	v_max_f32_e32 v16, v26, v26
	v_max_f32_e32 v17, v12, v12
	v_min_f32_e32 v19, v17, v16
	v_cmp_u_f16_e32 vcc, v32, v32
	v_max_f32_e32 v16, v17, v16
	s_nop 0
	v_cndmask_b32_e32 v19, v19, v12, vcc
	v_cndmask_b32_e32 v16, v16, v12, vcc
	v_cndmask_b32_e64 v19, v19, v26, s[18:19]
	v_cndmask_b32_e64 v17, v16, v26, s[18:19]
	v_cmp_neq_f32_e32 vcc, v19, v17
	v_cmp_class_f32_e64 s[2:3], v19, s4
	s_or_b64 s[4:5], vcc, s[2:3]
	v_mov_b32_e32 v16, v22
	s_and_saveexec_b64 s[2:3], s[4:5]
	s_cbranch_execz .LBB351_191
; %bb.190:
	v_sub_f32_e32 v12, v19, v17
	s_mov_b32 s4, 0x3fb8aa3b
	v_mul_f32_e32 v16, 0x3fb8aa3b, v12
	v_fma_f32 v19, v12, s4, -v16
	v_rndne_f32_e32 v23, v16
	v_fmamk_f32 v19, v12, 0x32a5705f, v19
	v_sub_f32_e32 v16, v16, v23
	v_add_f32_e32 v16, v16, v19
	v_exp_f32_e32 v16, v16
	v_cvt_i32_f32_e32 v19, v23
	s_mov_b32 s4, 0xc2ce8ed0
	v_cmp_ngt_f32_e32 vcc, s4, v12
	s_mov_b32 s4, 0x42b17218
	v_ldexp_f32 v16, v16, v19
	v_cndmask_b32_e32 v16, 0, v16, vcc
	v_mov_b32_e32 v19, 0x7f800000
	v_cmp_nlt_f32_e32 vcc, s4, v12
	s_mov_b32 s4, 0x3f2aaaab
	s_mov_b32 s5, 0x7f800000
	v_cndmask_b32_e32 v12, v19, v16, vcc
	v_add_f32_e32 v16, 1.0, v12
	v_add_f32_e32 v23, -1.0, v16
	v_sub_f32_e32 v24, v23, v16
	v_add_f32_e32 v24, 1.0, v24
	v_sub_f32_e32 v23, v12, v23
	v_add_f32_e32 v23, v23, v24
	v_frexp_mant_f32_e32 v26, v16
	v_cvt_f64_f32_e32 v[24:25], v16
	v_frexp_exp_i32_f64_e32 v24, v[24:25]
	v_cmp_gt_f32_e32 vcc, s4, v26
	s_mov_b32 s4, 0x3f317218
	s_nop 0
	v_subbrev_co_u32_e32 v26, vcc, 0, v24, vcc
	v_sub_u32_e32 v24, 0, v26
	v_ldexp_f32 v16, v16, v24
	v_ldexp_f32 v23, v23, v24
	v_add_f32_e32 v24, -1.0, v16
	v_add_f32_e32 v25, 1.0, v24
	v_sub_f32_e32 v25, v16, v25
	v_add_f32_e32 v32, v23, v25
	v_add_f32_e32 v25, 1.0, v16
	v_add_f32_e32 v33, -1.0, v25
	v_sub_f32_e32 v16, v16, v33
	v_add_f32_e32 v16, v23, v16
	v_add_f32_e32 v23, v25, v16
	v_rcp_f32_e32 v38, v23
	v_sub_f32_e32 v25, v25, v23
	v_add_f32_e32 v16, v16, v25
	v_add_f32_e32 v25, v24, v32
	v_sub_f32_e32 v24, v24, v25
	v_mul_f32_e32 v40, v25, v38
	v_add_f32_e32 v39, v32, v24
	v_mul_f32_e32 v32, v23, v40
	v_fma_f32 v34, v40, v23, -v32
	v_fmac_f32_e32 v34, v40, v16
	v_add_f32_e32 v24, v32, v34
	v_sub_f32_e32 v33, v25, v24
	v_pk_add_f32 v[36:37], v[24:25], v[32:33] neg_lo:[0,1] neg_hi:[0,1]
	v_mov_b32_e32 v35, v24
	v_pk_add_f32 v[24:25], v[36:37], v[34:35] neg_lo:[0,1] neg_hi:[0,1]
	v_cmp_neq_f32_e32 vcc, s5, v12
	v_add_f32_e32 v25, v39, v25
	v_add_f32_e32 v24, v24, v25
	;; [unrolled: 1-line block ×3, first 2 shown]
	v_mul_f32_e32 v39, v38, v25
	v_mul_f32_e32 v32, v23, v39
	v_fma_f32 v34, v39, v23, -v32
	v_fmac_f32_e32 v34, v39, v16
	v_sub_f32_e32 v16, v33, v25
	v_add_f32_e32 v16, v24, v16
	v_add_f32_e32 v24, v32, v34
	v_sub_f32_e32 v33, v25, v24
	v_pk_add_f32 v[36:37], v[24:25], v[32:33] neg_lo:[0,1] neg_hi:[0,1]
	v_mov_b32_e32 v35, v24
	v_pk_add_f32 v[24:25], v[36:37], v[34:35] neg_lo:[0,1] neg_hi:[0,1]
	v_add_f32_e32 v23, v40, v39
	v_add_f32_e32 v16, v16, v25
	;; [unrolled: 1-line block ×4, first 2 shown]
	v_sub_f32_e32 v24, v23, v40
	v_mul_f32_e32 v16, v38, v16
	v_sub_f32_e32 v24, v39, v24
	v_add_f32_e32 v16, v24, v16
	v_add_f32_e32 v24, v23, v16
	v_cvt_f32_i32_e32 v32, v26
	v_mul_f32_e32 v33, v24, v24
	v_mov_b32_e32 v25, 0x3ecc95a3
	v_fmac_f32_e32 v25, 0x3e9b6dac, v33
	v_fmaak_f32 v25, v33, v25, 0x3f2aaada
	v_sub_f32_e32 v23, v24, v23
	v_ldexp_f32 v35, v24, 1
	v_mul_f32_e32 v33, v24, v33
	v_mov_b32_e32 v24, 0x3f317218
	v_pk_mul_f32 v[24:25], v[32:33], v[24:25]
	v_sub_f32_e32 v16, v16, v23
	v_fma_f32 v23, v32, s4, -v24
	v_fmamk_f32 v34, v32, 0xb102e308, v23
	v_pk_add_f32 v[32:33], v[24:25], v[34:35]
	v_ldexp_f32 v16, v16, 1
	v_sub_f32_e32 v23, v33, v35
	v_sub_f32_e32 v23, v25, v23
	v_add_f32_e32 v37, v16, v23
	v_mov_b32_e32 v36, v24
	v_pk_add_f32 v[24:25], v[32:33], v[24:25] neg_lo:[0,1] neg_hi:[0,1]
	v_pk_add_f32 v[38:39], v[32:33], v[36:37]
	v_mov_b32_e32 v35, v32
	v_mov_b32_e32 v25, v39
	v_pk_add_f32 v[40:41], v[34:35], v[24:25] neg_lo:[0,1] neg_hi:[0,1]
	v_pk_add_f32 v[24:25], v[34:35], v[24:25]
	v_mov_b32_e32 v36, v37
	v_pk_add_f32 v[34:35], v[24:25], v[32:33] op_sel:[1,0] op_sel_hi:[0,1] neg_lo:[0,1] neg_hi:[0,1]
	v_pk_add_f32 v[42:43], v[38:39], v[34:35] op_sel_hi:[1,0] neg_lo:[0,1] neg_hi:[0,1]
	v_mov_b32_e32 v38, v39
	v_mov_b32_e32 v39, v25
	v_pk_mov_b32 v[34:35], v[32:33], v[34:35] op_sel:[1,0]
	v_mov_b32_e32 v37, v32
	v_pk_add_f32 v[34:35], v[38:39], v[34:35] neg_lo:[0,1] neg_hi:[0,1]
	v_mov_b32_e32 v42, v40
	v_pk_add_f32 v[32:33], v[36:37], v[34:35] neg_lo:[0,1] neg_hi:[0,1]
	v_mov_b32_e32 v41, v25
	v_pk_add_f32 v[34:35], v[42:43], v[32:33]
	s_mov_b32 s4, 0x33800000
	v_pk_add_f32 v[36:37], v[34:35], v[34:35] op_sel:[0,1] op_sel_hi:[1,0]
	s_nop 0
	v_pk_add_f32 v[24:25], v[24:25], v[36:37] op_sel:[1,0] op_sel_hi:[0,1]
	v_mov_b32_e32 v35, v24
	v_pk_add_f32 v[38:39], v[34:35], v[40:41] neg_lo:[0,1] neg_hi:[0,1]
	v_mov_b32_e32 v33, v36
	v_sub_f32_e32 v16, v34, v38
	v_pk_add_f32 v[32:33], v[32:33], v[38:39] neg_lo:[0,1] neg_hi:[0,1]
	v_sub_f32_e32 v16, v40, v16
	v_add_f32_e32 v16, v32, v16
	v_add_f32_e32 v16, v16, v33
	v_add_f32_e32 v16, v24, v16
	v_cndmask_b32_e32 v16, v19, v16, vcc
	v_cmp_lt_f32_e64 vcc, |v12|, s4
	s_nop 1
	v_cndmask_b32_e32 v12, v16, v12, vcc
	v_add_f32_e32 v12, v17, v12
	v_cvt_f16_f32_e32 v32, v12
	v_cvt_f32_f16_e32 v12, v32
	v_mov_b32_e32 v16, v32
.LBB351_191:
	s_or_b64 exec, exec, s[2:3]
	v_max_f32_e32 v17, v27, v27
	v_max_f32_e32 v23, v12, v12
	v_min_f32_e32 v19, v23, v17
	v_cmp_u_f16_e32 vcc, v32, v32
	v_max_f32_e32 v17, v23, v17
	s_movk_i32 s4, 0x1f8
	v_cndmask_b32_e32 v19, v19, v12, vcc
	v_cndmask_b32_e32 v17, v17, v12, vcc
	v_cndmask_b32_e64 v19, v19, v27, s[20:21]
	v_cndmask_b32_e64 v17, v17, v27, s[20:21]
	v_cmp_neq_f32_e32 vcc, v19, v17
	v_cmp_class_f32_e64 s[2:3], v19, s4
	s_or_b64 s[6:7], vcc, s[2:3]
	v_mov_b32_e32 v23, v16
	s_and_saveexec_b64 s[2:3], s[6:7]
	s_cbranch_execz .LBB351_193
; %bb.192:
	v_sub_f32_e32 v12, v19, v17
	s_mov_b32 s5, 0x3fb8aa3b
	v_mul_f32_e32 v19, 0x3fb8aa3b, v12
	v_fma_f32 v23, v12, s5, -v19
	v_rndne_f32_e32 v24, v19
	v_fmamk_f32 v23, v12, 0x32a5705f, v23
	v_sub_f32_e32 v19, v19, v24
	v_add_f32_e32 v19, v19, v23
	v_exp_f32_e32 v19, v19
	v_cvt_i32_f32_e32 v23, v24
	s_mov_b32 s5, 0xc2ce8ed0
	v_cmp_ngt_f32_e32 vcc, s5, v12
	s_mov_b32 s5, 0x42b17218
	v_ldexp_f32 v19, v19, v23
	v_cndmask_b32_e32 v19, 0, v19, vcc
	v_mov_b32_e32 v23, 0x7f800000
	v_cmp_nlt_f32_e32 vcc, s5, v12
	s_mov_b32 s5, 0x3f2aaaab
	s_mov_b32 s6, 0x7f800000
	v_cndmask_b32_e32 v12, v23, v19, vcc
	v_add_f32_e32 v19, 1.0, v12
	v_add_f32_e32 v24, -1.0, v19
	v_sub_f32_e32 v25, v24, v19
	v_add_f32_e32 v25, 1.0, v25
	v_sub_f32_e32 v24, v12, v24
	v_add_f32_e32 v26, v24, v25
	v_frexp_mant_f32_e32 v27, v19
	v_cvt_f64_f32_e32 v[24:25], v19
	v_frexp_exp_i32_f64_e32 v24, v[24:25]
	v_cmp_gt_f32_e32 vcc, s5, v27
	s_mov_b32 s5, 0x3f317218
	s_nop 0
	v_subbrev_co_u32_e32 v36, vcc, 0, v24, vcc
	v_sub_u32_e32 v24, 0, v36
	v_ldexp_f32 v19, v19, v24
	v_ldexp_f32 v24, v26, v24
	v_add_f32_e32 v26, -1.0, v19
	v_add_f32_e32 v25, 1.0, v26
	v_sub_f32_e32 v25, v19, v25
	v_add_f32_e32 v27, v24, v25
	v_add_f32_e32 v25, 1.0, v19
	v_add_f32_e32 v32, -1.0, v25
	v_sub_f32_e32 v19, v19, v32
	v_add_f32_e32 v19, v24, v19
	v_add_f32_e32 v37, v25, v19
	v_rcp_f32_e32 v38, v37
	v_sub_f32_e32 v24, v25, v37
	v_add_f32_e32 v25, v26, v27
	v_add_f32_e32 v19, v19, v24
	v_mul_f32_e32 v40, v25, v38
	v_sub_f32_e32 v24, v26, v25
	v_mul_f32_e32 v26, v37, v40
	v_fma_f32 v32, v40, v37, -v26
	v_fmac_f32_e32 v32, v40, v19
	v_add_f32_e32 v39, v27, v24
	v_add_f32_e32 v24, v26, v32
	v_sub_f32_e32 v27, v25, v24
	v_pk_add_f32 v[34:35], v[24:25], v[26:27] neg_lo:[0,1] neg_hi:[0,1]
	v_mov_b32_e32 v33, v24
	v_pk_add_f32 v[24:25], v[34:35], v[32:33] neg_lo:[0,1] neg_hi:[0,1]
	v_cmp_neq_f32_e32 vcc, s6, v12
	v_add_f32_e32 v25, v39, v25
	v_add_f32_e32 v24, v24, v25
	;; [unrolled: 1-line block ×3, first 2 shown]
	v_mul_f32_e32 v39, v38, v25
	v_mul_f32_e32 v26, v37, v39
	v_fma_f32 v32, v39, v37, -v26
	v_fmac_f32_e32 v32, v39, v19
	v_sub_f32_e32 v19, v27, v25
	v_add_f32_e32 v19, v24, v19
	v_add_f32_e32 v24, v26, v32
	v_sub_f32_e32 v27, v25, v24
	v_pk_add_f32 v[34:35], v[24:25], v[26:27] neg_lo:[0,1] neg_hi:[0,1]
	v_mov_b32_e32 v33, v24
	v_pk_add_f32 v[24:25], v[34:35], v[32:33] neg_lo:[0,1] neg_hi:[0,1]
	v_cvt_f32_i32_e32 v26, v36
	v_add_f32_e32 v19, v19, v25
	v_add_f32_e32 v19, v24, v19
	;; [unrolled: 1-line block ×4, first 2 shown]
	v_sub_f32_e32 v25, v24, v40
	v_mul_f32_e32 v19, v38, v19
	v_sub_f32_e32 v25, v39, v25
	v_add_f32_e32 v19, v25, v19
	v_add_f32_e32 v27, v24, v19
	v_mul_f32_e32 v32, v27, v27
	v_mov_b32_e32 v25, 0x3ecc95a3
	v_fmac_f32_e32 v25, 0x3e9b6dac, v32
	v_sub_f32_e32 v24, v27, v24
	v_fmaak_f32 v25, v32, v25, 0x3f2aaada
	v_sub_f32_e32 v19, v19, v24
	v_ldexp_f32 v33, v27, 1
	v_mul_f32_e32 v27, v27, v32
	v_mov_b32_e32 v24, 0x3f317218
	v_pk_mul_f32 v[24:25], v[26:27], v[24:25]
	v_ldexp_f32 v19, v19, 1
	v_fma_f32 v27, v26, s5, -v24
	v_fmamk_f32 v32, v26, 0xb102e308, v27
	v_pk_add_f32 v[26:27], v[24:25], v[32:33]
	v_mov_b32_e32 v34, v24
	v_sub_f32_e32 v33, v27, v33
	v_sub_f32_e32 v33, v25, v33
	v_add_f32_e32 v35, v19, v33
	v_pk_add_f32 v[24:25], v[26:27], v[24:25] neg_lo:[0,1] neg_hi:[0,1]
	v_pk_add_f32 v[36:37], v[26:27], v[34:35]
	v_mov_b32_e32 v33, v26
	v_mov_b32_e32 v25, v37
	v_pk_add_f32 v[38:39], v[32:33], v[24:25] neg_lo:[0,1] neg_hi:[0,1]
	v_pk_add_f32 v[24:25], v[32:33], v[24:25]
	v_mov_b32_e32 v34, v35
	v_pk_add_f32 v[32:33], v[24:25], v[26:27] op_sel:[1,0] op_sel_hi:[0,1] neg_lo:[0,1] neg_hi:[0,1]
	v_pk_add_f32 v[40:41], v[36:37], v[32:33] op_sel_hi:[1,0] neg_lo:[0,1] neg_hi:[0,1]
	v_mov_b32_e32 v36, v37
	v_mov_b32_e32 v37, v25
	v_pk_mov_b32 v[32:33], v[26:27], v[32:33] op_sel:[1,0]
	v_mov_b32_e32 v35, v26
	v_pk_add_f32 v[32:33], v[36:37], v[32:33] neg_lo:[0,1] neg_hi:[0,1]
	v_mov_b32_e32 v40, v38
	v_pk_add_f32 v[26:27], v[34:35], v[32:33] neg_lo:[0,1] neg_hi:[0,1]
	v_mov_b32_e32 v39, v25
	v_pk_add_f32 v[32:33], v[40:41], v[26:27]
	s_mov_b32 s5, 0x33800000
	v_pk_add_f32 v[34:35], v[32:33], v[32:33] op_sel:[0,1] op_sel_hi:[1,0]
	s_nop 0
	v_pk_add_f32 v[24:25], v[24:25], v[34:35] op_sel:[1,0] op_sel_hi:[0,1]
	v_mov_b32_e32 v33, v24
	v_pk_add_f32 v[36:37], v[32:33], v[38:39] neg_lo:[0,1] neg_hi:[0,1]
	v_mov_b32_e32 v27, v34
	v_sub_f32_e32 v19, v32, v36
	v_pk_add_f32 v[26:27], v[26:27], v[36:37] neg_lo:[0,1] neg_hi:[0,1]
	v_sub_f32_e32 v19, v38, v19
	v_add_f32_e32 v19, v26, v19
	v_add_f32_e32 v19, v19, v27
	;; [unrolled: 1-line block ×3, first 2 shown]
	v_cndmask_b32_e32 v19, v23, v19, vcc
	v_cmp_lt_f32_e64 vcc, |v12|, s5
	s_nop 1
	v_cndmask_b32_e32 v12, v19, v12, vcc
	v_add_f32_e32 v12, v17, v12
	v_cvt_f16_f32_e32 v32, v12
	v_cvt_f32_f16_e32 v12, v32
	v_mov_b32_e32 v23, v32
.LBB351_193:
	s_or_b64 exec, exec, s[2:3]
	v_max_f32_e32 v17, v28, v28
	v_max_f32_e32 v19, v12, v12
	v_min_f32_e32 v24, v19, v17
	v_cmp_u_f16_e32 vcc, v32, v32
	v_max_f32_e32 v17, v19, v17
	s_nop 0
	v_cndmask_b32_e32 v24, v24, v12, vcc
	v_cndmask_b32_e32 v17, v17, v12, vcc
	v_cndmask_b32_e64 v24, v24, v28, s[22:23]
	v_cndmask_b32_e64 v19, v17, v28, s[22:23]
	v_cmp_neq_f32_e32 vcc, v24, v19
	v_cmp_class_f32_e64 s[2:3], v24, s4
	s_or_b64 s[4:5], vcc, s[2:3]
	v_mov_b32_e32 v17, v23
	s_and_saveexec_b64 s[2:3], s[4:5]
	s_cbranch_execz .LBB351_195
; %bb.194:
	v_sub_f32_e32 v12, v24, v19
	s_mov_b32 s4, 0x3fb8aa3b
	v_mul_f32_e32 v17, 0x3fb8aa3b, v12
	v_fma_f32 v24, v12, s4, -v17
	v_rndne_f32_e32 v25, v17
	v_fmamk_f32 v24, v12, 0x32a5705f, v24
	v_sub_f32_e32 v17, v17, v25
	v_add_f32_e32 v17, v17, v24
	v_exp_f32_e32 v17, v17
	v_cvt_i32_f32_e32 v24, v25
	s_mov_b32 s4, 0xc2ce8ed0
	v_cmp_ngt_f32_e32 vcc, s4, v12
	s_mov_b32 s4, 0x42b17218
	v_ldexp_f32 v17, v17, v24
	v_cndmask_b32_e32 v17, 0, v17, vcc
	v_mov_b32_e32 v28, 0x7f800000
	v_cmp_nlt_f32_e32 vcc, s4, v12
	s_mov_b32 s4, 0x3f2aaaab
	s_mov_b32 s5, 0x7f800000
	v_cndmask_b32_e32 v12, v28, v17, vcc
	v_add_f32_e32 v17, 1.0, v12
	v_add_f32_e32 v24, -1.0, v17
	v_sub_f32_e32 v25, v24, v17
	v_add_f32_e32 v25, 1.0, v25
	v_sub_f32_e32 v24, v12, v24
	v_add_f32_e32 v26, v24, v25
	v_frexp_mant_f32_e32 v27, v17
	v_cvt_f64_f32_e32 v[24:25], v17
	v_frexp_exp_i32_f64_e32 v24, v[24:25]
	v_cmp_gt_f32_e32 vcc, s4, v27
	s_mov_b32 s4, 0x3f317218
	s_nop 0
	v_subbrev_co_u32_e32 v36, vcc, 0, v24, vcc
	v_sub_u32_e32 v24, 0, v36
	v_ldexp_f32 v17, v17, v24
	v_ldexp_f32 v24, v26, v24
	v_add_f32_e32 v26, -1.0, v17
	v_add_f32_e32 v25, 1.0, v26
	v_sub_f32_e32 v25, v17, v25
	v_add_f32_e32 v27, v24, v25
	v_add_f32_e32 v25, 1.0, v17
	v_add_f32_e32 v32, -1.0, v25
	v_sub_f32_e32 v17, v17, v32
	v_add_f32_e32 v17, v24, v17
	v_add_f32_e32 v37, v25, v17
	v_rcp_f32_e32 v38, v37
	v_sub_f32_e32 v24, v25, v37
	v_add_f32_e32 v25, v26, v27
	v_add_f32_e32 v17, v17, v24
	v_mul_f32_e32 v40, v25, v38
	v_sub_f32_e32 v24, v26, v25
	v_mul_f32_e32 v26, v37, v40
	v_fma_f32 v32, v40, v37, -v26
	v_fmac_f32_e32 v32, v40, v17
	v_add_f32_e32 v39, v27, v24
	v_add_f32_e32 v24, v26, v32
	v_sub_f32_e32 v27, v25, v24
	v_pk_add_f32 v[34:35], v[24:25], v[26:27] neg_lo:[0,1] neg_hi:[0,1]
	v_mov_b32_e32 v33, v24
	v_pk_add_f32 v[24:25], v[34:35], v[32:33] neg_lo:[0,1] neg_hi:[0,1]
	v_cmp_neq_f32_e32 vcc, s5, v12
	v_add_f32_e32 v25, v39, v25
	v_add_f32_e32 v24, v24, v25
	;; [unrolled: 1-line block ×3, first 2 shown]
	v_mul_f32_e32 v39, v38, v25
	v_mul_f32_e32 v26, v37, v39
	v_fma_f32 v32, v39, v37, -v26
	v_fmac_f32_e32 v32, v39, v17
	v_sub_f32_e32 v17, v27, v25
	v_add_f32_e32 v17, v24, v17
	v_add_f32_e32 v24, v26, v32
	v_sub_f32_e32 v27, v25, v24
	v_pk_add_f32 v[34:35], v[24:25], v[26:27] neg_lo:[0,1] neg_hi:[0,1]
	v_mov_b32_e32 v33, v24
	v_pk_add_f32 v[24:25], v[34:35], v[32:33] neg_lo:[0,1] neg_hi:[0,1]
	v_cvt_f32_i32_e32 v26, v36
	v_add_f32_e32 v17, v17, v25
	v_add_f32_e32 v17, v24, v17
	;; [unrolled: 1-line block ×4, first 2 shown]
	v_sub_f32_e32 v25, v24, v40
	v_mul_f32_e32 v17, v38, v17
	v_sub_f32_e32 v25, v39, v25
	v_add_f32_e32 v17, v25, v17
	v_add_f32_e32 v27, v24, v17
	v_mul_f32_e32 v32, v27, v27
	v_mov_b32_e32 v25, 0x3ecc95a3
	v_fmac_f32_e32 v25, 0x3e9b6dac, v32
	v_sub_f32_e32 v24, v27, v24
	v_fmaak_f32 v25, v32, v25, 0x3f2aaada
	v_sub_f32_e32 v17, v17, v24
	v_ldexp_f32 v33, v27, 1
	v_mul_f32_e32 v27, v27, v32
	v_mov_b32_e32 v24, 0x3f317218
	v_pk_mul_f32 v[24:25], v[26:27], v[24:25]
	v_ldexp_f32 v17, v17, 1
	v_fma_f32 v27, v26, s4, -v24
	v_fmamk_f32 v32, v26, 0xb102e308, v27
	v_pk_add_f32 v[26:27], v[24:25], v[32:33]
	v_mov_b32_e32 v34, v24
	v_sub_f32_e32 v33, v27, v33
	v_sub_f32_e32 v33, v25, v33
	v_add_f32_e32 v35, v17, v33
	v_pk_add_f32 v[24:25], v[26:27], v[24:25] neg_lo:[0,1] neg_hi:[0,1]
	v_pk_add_f32 v[36:37], v[26:27], v[34:35]
	v_mov_b32_e32 v33, v26
	v_mov_b32_e32 v25, v37
	v_pk_add_f32 v[38:39], v[32:33], v[24:25] neg_lo:[0,1] neg_hi:[0,1]
	v_pk_add_f32 v[24:25], v[32:33], v[24:25]
	v_mov_b32_e32 v34, v35
	v_pk_add_f32 v[32:33], v[24:25], v[26:27] op_sel:[1,0] op_sel_hi:[0,1] neg_lo:[0,1] neg_hi:[0,1]
	v_pk_add_f32 v[40:41], v[36:37], v[32:33] op_sel_hi:[1,0] neg_lo:[0,1] neg_hi:[0,1]
	v_mov_b32_e32 v36, v37
	v_mov_b32_e32 v37, v25
	v_pk_mov_b32 v[32:33], v[26:27], v[32:33] op_sel:[1,0]
	v_mov_b32_e32 v35, v26
	v_pk_add_f32 v[32:33], v[36:37], v[32:33] neg_lo:[0,1] neg_hi:[0,1]
	v_mov_b32_e32 v40, v38
	v_pk_add_f32 v[26:27], v[34:35], v[32:33] neg_lo:[0,1] neg_hi:[0,1]
	v_mov_b32_e32 v39, v25
	v_pk_add_f32 v[32:33], v[40:41], v[26:27]
	s_mov_b32 s4, 0x33800000
	v_pk_add_f32 v[34:35], v[32:33], v[32:33] op_sel:[0,1] op_sel_hi:[1,0]
	s_nop 0
	v_pk_add_f32 v[24:25], v[24:25], v[34:35] op_sel:[1,0] op_sel_hi:[0,1]
	v_mov_b32_e32 v33, v24
	v_pk_add_f32 v[36:37], v[32:33], v[38:39] neg_lo:[0,1] neg_hi:[0,1]
	v_mov_b32_e32 v27, v34
	v_sub_f32_e32 v17, v32, v36
	v_pk_add_f32 v[26:27], v[26:27], v[36:37] neg_lo:[0,1] neg_hi:[0,1]
	v_sub_f32_e32 v17, v38, v17
	v_add_f32_e32 v17, v26, v17
	v_add_f32_e32 v17, v17, v27
	;; [unrolled: 1-line block ×3, first 2 shown]
	v_cndmask_b32_e32 v17, v28, v17, vcc
	v_cmp_lt_f32_e64 vcc, |v12|, s4
	s_nop 1
	v_cndmask_b32_e32 v12, v17, v12, vcc
	v_add_f32_e32 v12, v19, v12
	v_cvt_f16_f32_e32 v32, v12
	v_cvt_f32_f16_e32 v12, v32
	v_mov_b32_e32 v17, v32
.LBB351_195:
	s_or_b64 exec, exec, s[2:3]
	v_max_f32_e32 v19, v29, v29
	v_max_f32_e32 v24, v12, v12
	v_min_f32_e32 v25, v24, v19
	v_cmp_u_f16_e32 vcc, v32, v32
	v_max_f32_e32 v19, v24, v19
	s_movk_i32 s4, 0x1f8
	v_cndmask_b32_e32 v25, v25, v12, vcc
	v_cndmask_b32_e32 v19, v19, v12, vcc
	v_cndmask_b32_e64 v25, v25, v29, s[24:25]
	v_cndmask_b32_e64 v19, v19, v29, s[24:25]
	v_cmp_neq_f32_e32 vcc, v25, v19
	v_cmp_class_f32_e64 s[2:3], v25, s4
	s_or_b64 s[6:7], vcc, s[2:3]
	v_mov_b32_e32 v24, v17
	s_and_saveexec_b64 s[2:3], s[6:7]
	s_cbranch_execz .LBB351_197
; %bb.196:
	v_sub_f32_e32 v12, v25, v19
	s_mov_b32 s5, 0x3fb8aa3b
	v_mul_f32_e32 v24, 0x3fb8aa3b, v12
	v_fma_f32 v25, v12, s5, -v24
	v_rndne_f32_e32 v26, v24
	v_fmamk_f32 v25, v12, 0x32a5705f, v25
	v_sub_f32_e32 v24, v24, v26
	v_add_f32_e32 v24, v24, v25
	v_exp_f32_e32 v24, v24
	v_cvt_i32_f32_e32 v25, v26
	s_mov_b32 s5, 0xc2ce8ed0
	v_cmp_ngt_f32_e32 vcc, s5, v12
	s_mov_b32 s5, 0x42b17218
	v_ldexp_f32 v24, v24, v25
	v_cndmask_b32_e32 v24, 0, v24, vcc
	v_mov_b32_e32 v40, 0x7f800000
	v_cmp_nlt_f32_e32 vcc, s5, v12
	s_mov_b32 s5, 0x3f2aaaab
	s_mov_b32 s6, 0x7f800000
	v_cndmask_b32_e32 v12, v40, v24, vcc
	v_add_f32_e32 v26, 1.0, v12
	v_add_f32_e32 v24, -1.0, v26
	v_sub_f32_e32 v25, v24, v26
	v_add_f32_e32 v25, 1.0, v25
	v_sub_f32_e32 v24, v12, v24
	v_add_f32_e32 v27, v24, v25
	v_frexp_mant_f32_e32 v28, v26
	v_cvt_f64_f32_e32 v[24:25], v26
	v_frexp_exp_i32_f64_e32 v24, v[24:25]
	v_cmp_gt_f32_e32 vcc, s5, v28
	s_mov_b32 s5, 0x3f317218
	s_nop 0
	v_subbrev_co_u32_e32 v34, vcc, 0, v24, vcc
	v_sub_u32_e32 v24, 0, v34
	v_ldexp_f32 v25, v26, v24
	v_add_f32_e32 v26, -1.0, v25
	v_add_f32_e32 v28, 1.0, v25
	v_ldexp_f32 v24, v27, v24
	v_add_f32_e32 v27, 1.0, v26
	v_add_f32_e32 v29, -1.0, v28
	v_sub_f32_e32 v27, v25, v27
	v_sub_f32_e32 v25, v25, v29
	v_add_f32_e32 v27, v24, v27
	v_add_f32_e32 v24, v24, v25
	v_add_f32_e32 v35, v28, v24
	v_rcp_f32_e32 v37, v35
	v_sub_f32_e32 v25, v28, v35
	v_add_f32_e32 v36, v24, v25
	v_add_f32_e32 v25, v26, v27
	v_mul_f32_e32 v39, v25, v37
	v_sub_f32_e32 v24, v26, v25
	v_mul_f32_e32 v26, v35, v39
	v_fma_f32 v28, v39, v35, -v26
	v_fmac_f32_e32 v28, v39, v36
	v_add_f32_e32 v38, v27, v24
	v_add_f32_e32 v24, v26, v28
	v_sub_f32_e32 v27, v25, v24
	v_pk_add_f32 v[32:33], v[24:25], v[26:27] neg_lo:[0,1] neg_hi:[0,1]
	v_mov_b32_e32 v29, v24
	v_pk_add_f32 v[24:25], v[32:33], v[28:29] neg_lo:[0,1] neg_hi:[0,1]
	v_cmp_neq_f32_e32 vcc, s6, v12
	v_add_f32_e32 v25, v38, v25
	v_add_f32_e32 v24, v24, v25
	;; [unrolled: 1-line block ×3, first 2 shown]
	v_mul_f32_e32 v38, v37, v25
	v_mul_f32_e32 v26, v35, v38
	v_fma_f32 v28, v38, v35, -v26
	v_fmac_f32_e32 v28, v38, v36
	v_sub_f32_e32 v27, v27, v25
	v_add_f32_e32 v35, v24, v27
	v_add_f32_e32 v24, v26, v28
	v_sub_f32_e32 v27, v25, v24
	v_pk_add_f32 v[32:33], v[24:25], v[26:27] neg_lo:[0,1] neg_hi:[0,1]
	v_mov_b32_e32 v29, v24
	v_pk_add_f32 v[24:25], v[32:33], v[28:29] neg_lo:[0,1] neg_hi:[0,1]
	v_cvt_f32_i32_e32 v26, v34
	v_add_f32_e32 v25, v35, v25
	v_add_f32_e32 v24, v24, v25
	;; [unrolled: 1-line block ×4, first 2 shown]
	v_sub_f32_e32 v25, v27, v39
	v_mul_f32_e32 v24, v37, v24
	v_sub_f32_e32 v25, v38, v25
	v_add_f32_e32 v24, v25, v24
	v_add_f32_e32 v28, v27, v24
	v_mul_f32_e32 v32, v28, v28
	v_mov_b32_e32 v25, 0x3ecc95a3
	v_sub_f32_e32 v27, v28, v27
	v_fmac_f32_e32 v25, 0x3e9b6dac, v32
	v_sub_f32_e32 v24, v24, v27
	v_fmaak_f32 v25, v32, v25, 0x3f2aaada
	v_ldexp_f32 v33, v24, 1
	v_mul_f32_e32 v27, v28, v32
	v_mov_b32_e32 v24, 0x3f317218
	v_pk_mul_f32 v[24:25], v[26:27], v[24:25]
	v_ldexp_f32 v29, v28, 1
	v_fma_f32 v27, v26, s5, -v24
	v_fmamk_f32 v28, v26, 0xb102e308, v27
	v_pk_add_f32 v[26:27], v[24:25], v[28:29]
	v_mov_b32_e32 v32, v24
	v_sub_f32_e32 v29, v27, v29
	v_sub_f32_e32 v29, v25, v29
	v_add_f32_e32 v33, v33, v29
	v_pk_add_f32 v[24:25], v[26:27], v[24:25] neg_lo:[0,1] neg_hi:[0,1]
	v_pk_add_f32 v[34:35], v[26:27], v[32:33]
	v_mov_b32_e32 v29, v26
	v_mov_b32_e32 v25, v35
	v_pk_add_f32 v[36:37], v[28:29], v[24:25] neg_lo:[0,1] neg_hi:[0,1]
	v_pk_add_f32 v[24:25], v[28:29], v[24:25]
	v_mov_b32_e32 v32, v33
	v_pk_add_f32 v[28:29], v[24:25], v[26:27] op_sel:[1,0] op_sel_hi:[0,1] neg_lo:[0,1] neg_hi:[0,1]
	v_pk_add_f32 v[38:39], v[34:35], v[28:29] op_sel_hi:[1,0] neg_lo:[0,1] neg_hi:[0,1]
	v_mov_b32_e32 v34, v35
	v_mov_b32_e32 v35, v25
	v_pk_mov_b32 v[28:29], v[26:27], v[28:29] op_sel:[1,0]
	v_mov_b32_e32 v33, v26
	v_pk_add_f32 v[28:29], v[34:35], v[28:29] neg_lo:[0,1] neg_hi:[0,1]
	v_mov_b32_e32 v38, v36
	v_pk_add_f32 v[26:27], v[32:33], v[28:29] neg_lo:[0,1] neg_hi:[0,1]
	v_mov_b32_e32 v37, v25
	v_pk_add_f32 v[28:29], v[38:39], v[26:27]
	s_mov_b32 s5, 0x33800000
	v_pk_add_f32 v[32:33], v[28:29], v[28:29] op_sel:[0,1] op_sel_hi:[1,0]
	s_nop 0
	v_pk_add_f32 v[24:25], v[24:25], v[32:33] op_sel:[1,0] op_sel_hi:[0,1]
	v_mov_b32_e32 v29, v24
	v_pk_add_f32 v[34:35], v[28:29], v[36:37] neg_lo:[0,1] neg_hi:[0,1]
	v_mov_b32_e32 v27, v32
	v_sub_f32_e32 v25, v28, v34
	v_pk_add_f32 v[26:27], v[26:27], v[34:35] neg_lo:[0,1] neg_hi:[0,1]
	v_sub_f32_e32 v25, v36, v25
	v_add_f32_e32 v25, v26, v25
	v_add_f32_e32 v25, v25, v27
	;; [unrolled: 1-line block ×3, first 2 shown]
	v_cndmask_b32_e32 v24, v40, v24, vcc
	v_cmp_lt_f32_e64 vcc, |v12|, s5
	s_nop 1
	v_cndmask_b32_e32 v12, v24, v12, vcc
	v_add_f32_e32 v12, v19, v12
	v_cvt_f16_f32_e32 v32, v12
	v_cvt_f32_f16_e32 v12, v32
	v_mov_b32_e32 v24, v32
.LBB351_197:
	s_or_b64 exec, exec, s[2:3]
	v_max_f32_e32 v19, v30, v30
	v_max_f32_e32 v26, v12, v12
	v_min_f32_e32 v25, v26, v19
	v_cmp_u_f16_e32 vcc, v32, v32
	v_max_f32_e32 v19, v26, v19
	s_nop 0
	v_cndmask_b32_e32 v25, v25, v12, vcc
	v_cndmask_b32_e32 v12, v19, v12, vcc
	v_cndmask_b32_e64 v25, v25, v30, s[26:27]
	v_cndmask_b32_e64 v19, v12, v30, s[26:27]
	v_cmp_neq_f32_e32 vcc, v25, v19
	v_cmp_class_f32_e64 s[2:3], v25, s4
	s_or_b64 s[4:5], vcc, s[2:3]
	v_mov_b32_e32 v12, v24
	s_and_saveexec_b64 s[2:3], s[4:5]
	s_cbranch_execz .LBB351_199
; %bb.198:
	v_sub_f32_e32 v12, v25, v19
	s_mov_b32 s4, 0x3fb8aa3b
	v_mul_f32_e32 v25, 0x3fb8aa3b, v12
	v_fma_f32 v26, v12, s4, -v25
	v_rndne_f32_e32 v27, v25
	v_fmamk_f32 v26, v12, 0x32a5705f, v26
	v_sub_f32_e32 v25, v25, v27
	v_add_f32_e32 v25, v25, v26
	v_exp_f32_e32 v25, v25
	v_cvt_i32_f32_e32 v26, v27
	s_mov_b32 s4, 0xc2ce8ed0
	v_cmp_ngt_f32_e32 vcc, s4, v12
	s_mov_b32 s4, 0x42b17218
	v_ldexp_f32 v25, v25, v26
	v_cndmask_b32_e32 v25, 0, v25, vcc
	v_mov_b32_e32 v30, 0x7f800000
	v_cmp_nlt_f32_e32 vcc, s4, v12
	s_mov_b32 s4, 0x3f2aaaab
	s_mov_b32 s5, 0x7f800000
	v_cndmask_b32_e32 v12, v30, v25, vcc
	v_add_f32_e32 v25, 1.0, v12
	v_add_f32_e32 v26, -1.0, v25
	v_sub_f32_e32 v27, v26, v25
	v_add_f32_e32 v27, 1.0, v27
	v_sub_f32_e32 v26, v12, v26
	v_add_f32_e32 v28, v26, v27
	v_frexp_mant_f32_e32 v29, v25
	v_cvt_f64_f32_e32 v[26:27], v25
	v_frexp_exp_i32_f64_e32 v26, v[26:27]
	v_cmp_gt_f32_e32 vcc, s4, v29
	s_mov_b32 s4, 0x3f317218
	s_nop 0
	v_subbrev_co_u32_e32 v36, vcc, 0, v26, vcc
	v_sub_u32_e32 v26, 0, v36
	v_ldexp_f32 v25, v25, v26
	v_ldexp_f32 v26, v28, v26
	v_add_f32_e32 v28, -1.0, v25
	v_add_f32_e32 v27, 1.0, v28
	v_sub_f32_e32 v27, v25, v27
	v_add_f32_e32 v29, v26, v27
	v_add_f32_e32 v27, 1.0, v25
	v_add_f32_e32 v32, -1.0, v27
	v_sub_f32_e32 v25, v25, v32
	v_add_f32_e32 v25, v26, v25
	v_add_f32_e32 v37, v27, v25
	v_rcp_f32_e32 v38, v37
	v_sub_f32_e32 v26, v27, v37
	v_add_f32_e32 v27, v28, v29
	v_add_f32_e32 v25, v25, v26
	v_mul_f32_e32 v40, v27, v38
	v_sub_f32_e32 v26, v28, v27
	v_mul_f32_e32 v28, v37, v40
	v_fma_f32 v32, v40, v37, -v28
	v_fmac_f32_e32 v32, v40, v25
	v_add_f32_e32 v39, v29, v26
	v_add_f32_e32 v26, v28, v32
	v_sub_f32_e32 v29, v27, v26
	v_pk_add_f32 v[34:35], v[26:27], v[28:29] neg_lo:[0,1] neg_hi:[0,1]
	v_mov_b32_e32 v33, v26
	v_pk_add_f32 v[26:27], v[34:35], v[32:33] neg_lo:[0,1] neg_hi:[0,1]
	v_cmp_neq_f32_e32 vcc, s5, v12
	v_add_f32_e32 v27, v39, v27
	v_add_f32_e32 v26, v26, v27
	;; [unrolled: 1-line block ×3, first 2 shown]
	v_mul_f32_e32 v39, v38, v27
	v_mul_f32_e32 v28, v37, v39
	v_fma_f32 v32, v39, v37, -v28
	v_fmac_f32_e32 v32, v39, v25
	v_sub_f32_e32 v25, v29, v27
	v_add_f32_e32 v25, v26, v25
	v_add_f32_e32 v26, v28, v32
	v_sub_f32_e32 v29, v27, v26
	v_pk_add_f32 v[34:35], v[26:27], v[28:29] neg_lo:[0,1] neg_hi:[0,1]
	v_mov_b32_e32 v33, v26
	v_pk_add_f32 v[26:27], v[34:35], v[32:33] neg_lo:[0,1] neg_hi:[0,1]
	v_cvt_f32_i32_e32 v28, v36
	v_add_f32_e32 v25, v25, v27
	v_add_f32_e32 v25, v26, v25
	;; [unrolled: 1-line block ×4, first 2 shown]
	v_sub_f32_e32 v27, v26, v40
	v_mul_f32_e32 v25, v38, v25
	v_sub_f32_e32 v27, v39, v27
	v_add_f32_e32 v25, v27, v25
	v_add_f32_e32 v29, v26, v25
	v_mul_f32_e32 v32, v29, v29
	v_mov_b32_e32 v27, 0x3ecc95a3
	v_fmac_f32_e32 v27, 0x3e9b6dac, v32
	v_sub_f32_e32 v26, v29, v26
	v_fmaak_f32 v27, v32, v27, 0x3f2aaada
	v_sub_f32_e32 v25, v25, v26
	v_ldexp_f32 v33, v29, 1
	v_mul_f32_e32 v29, v29, v32
	v_mov_b32_e32 v26, 0x3f317218
	v_pk_mul_f32 v[26:27], v[28:29], v[26:27]
	v_ldexp_f32 v25, v25, 1
	v_fma_f32 v29, v28, s4, -v26
	v_fmamk_f32 v32, v28, 0xb102e308, v29
	v_pk_add_f32 v[28:29], v[26:27], v[32:33]
	v_mov_b32_e32 v34, v26
	v_sub_f32_e32 v33, v29, v33
	v_sub_f32_e32 v33, v27, v33
	v_add_f32_e32 v35, v25, v33
	v_pk_add_f32 v[26:27], v[28:29], v[26:27] neg_lo:[0,1] neg_hi:[0,1]
	v_pk_add_f32 v[36:37], v[28:29], v[34:35]
	v_mov_b32_e32 v33, v28
	v_mov_b32_e32 v27, v37
	v_pk_add_f32 v[38:39], v[32:33], v[26:27] neg_lo:[0,1] neg_hi:[0,1]
	v_pk_add_f32 v[26:27], v[32:33], v[26:27]
	v_mov_b32_e32 v34, v35
	v_pk_add_f32 v[32:33], v[26:27], v[28:29] op_sel:[1,0] op_sel_hi:[0,1] neg_lo:[0,1] neg_hi:[0,1]
	v_pk_add_f32 v[40:41], v[36:37], v[32:33] op_sel_hi:[1,0] neg_lo:[0,1] neg_hi:[0,1]
	v_mov_b32_e32 v36, v37
	v_mov_b32_e32 v37, v27
	v_pk_mov_b32 v[32:33], v[28:29], v[32:33] op_sel:[1,0]
	v_mov_b32_e32 v35, v28
	v_pk_add_f32 v[32:33], v[36:37], v[32:33] neg_lo:[0,1] neg_hi:[0,1]
	v_mov_b32_e32 v40, v38
	v_pk_add_f32 v[28:29], v[34:35], v[32:33] neg_lo:[0,1] neg_hi:[0,1]
	v_mov_b32_e32 v39, v27
	v_pk_add_f32 v[32:33], v[40:41], v[28:29]
	s_mov_b32 s4, 0x33800000
	v_pk_add_f32 v[34:35], v[32:33], v[32:33] op_sel:[0,1] op_sel_hi:[1,0]
	s_nop 0
	v_pk_add_f32 v[26:27], v[26:27], v[34:35] op_sel:[1,0] op_sel_hi:[0,1]
	v_mov_b32_e32 v33, v26
	v_pk_add_f32 v[36:37], v[32:33], v[38:39] neg_lo:[0,1] neg_hi:[0,1]
	v_mov_b32_e32 v29, v34
	v_sub_f32_e32 v25, v32, v36
	v_pk_add_f32 v[28:29], v[28:29], v[36:37] neg_lo:[0,1] neg_hi:[0,1]
	v_sub_f32_e32 v25, v38, v25
	v_add_f32_e32 v25, v28, v25
	v_add_f32_e32 v25, v25, v29
	;; [unrolled: 1-line block ×3, first 2 shown]
	v_cndmask_b32_e32 v25, v30, v25, vcc
	v_cmp_lt_f32_e64 vcc, |v12|, s4
	s_nop 1
	v_cndmask_b32_e32 v12, v25, v12, vcc
	v_add_f32_e32 v12, v19, v12
	v_cvt_f16_f32_e32 v12, v12
.LBB351_199:
	s_or_b64 exec, exec, s[2:3]
	s_load_dwordx8 s[44:51], s[0:1], 0x38
	s_branch .LBB351_299
.LBB351_200:
	s_waitcnt lgkmcnt(0)
	s_cmp_lg_u64 s[48:49], 0
	s_cselect_b64 s[0:1], -1, 0
	v_cmp_eq_u32_e32 vcc, 0, v0
	v_cmp_ne_u32_e64 s[2:3], 0, v0
	s_and_b64 s[4:5], vcc, s[0:1]
	v_mov_b32_e32 v10, v8
	s_and_saveexec_b64 s[0:1], s[4:5]
	s_cbranch_execz .LBB351_204
; %bb.201:
	v_mov_b32_e32 v10, 0
	global_load_ushort v10, v10, s[44:45]
	v_cvt_f32_f16_e32 v11, v8
	s_movk_i32 s4, 0x1f8
	s_waitcnt vmcnt(0)
	v_cvt_f32_f16_e32 v12, v10
	v_cmp_u_f16_e32 vcc, v10, v10
	v_min_f32_e32 v13, v12, v11
	v_max_f32_e32 v14, v12, v11
	v_cndmask_b32_e32 v13, v13, v12, vcc
	v_cndmask_b32_e32 v14, v14, v12, vcc
	v_cmp_u_f16_e32 vcc, v8, v8
	s_nop 1
	v_cndmask_b32_e32 v12, v13, v11, vcc
	v_cndmask_b32_e32 v11, v14, v11, vcc
	v_cmp_neq_f32_e32 vcc, v12, v11
	v_cmp_class_f32_e64 s[4:5], v12, s4
	s_or_b64 s[6:7], vcc, s[4:5]
	s_and_saveexec_b64 s[4:5], s[6:7]
	s_cbranch_execz .LBB351_203
; %bb.202:
	v_sub_f32_e32 v10, v12, v11
	s_mov_b32 s6, 0x3fb8aa3b
	v_mul_f32_e32 v12, 0x3fb8aa3b, v10
	v_fma_f32 v13, v10, s6, -v12
	v_rndne_f32_e32 v14, v12
	v_fmamk_f32 v13, v10, 0x32a5705f, v13
	v_sub_f32_e32 v12, v12, v14
	v_add_f32_e32 v12, v12, v13
	v_exp_f32_e32 v12, v12
	v_cvt_i32_f32_e32 v13, v14
	s_mov_b32 s6, 0xc2ce8ed0
	v_cmp_ngt_f32_e32 vcc, s6, v10
	s_mov_b32 s6, 0x42b17218
	v_ldexp_f32 v12, v12, v13
	v_cndmask_b32_e32 v12, 0, v12, vcc
	v_mov_b32_e32 v19, 0x7f800000
	v_cmp_nlt_f32_e32 vcc, s6, v10
	s_mov_b32 s6, 0x3f2aaaab
	s_mov_b32 s7, 0x7f800000
	v_cndmask_b32_e32 v10, v19, v12, vcc
	v_add_f32_e32 v14, 1.0, v10
	v_add_f32_e32 v12, -1.0, v14
	v_sub_f32_e32 v13, v12, v14
	v_add_f32_e32 v13, 1.0, v13
	v_sub_f32_e32 v12, v10, v12
	v_add_f32_e32 v15, v12, v13
	v_frexp_mant_f32_e32 v16, v14
	v_cvt_f64_f32_e32 v[12:13], v14
	v_frexp_exp_i32_f64_e32 v12, v[12:13]
	v_cmp_gt_f32_e32 vcc, s6, v16
	s_mov_b32 s6, 0x3f317218
	s_nop 0
	v_subbrev_co_u32_e32 v22, vcc, 0, v12, vcc
	v_sub_u32_e32 v12, 0, v22
	v_ldexp_f32 v13, v14, v12
	v_add_f32_e32 v14, -1.0, v13
	v_add_f32_e32 v16, 1.0, v13
	v_ldexp_f32 v12, v15, v12
	v_add_f32_e32 v15, 1.0, v14
	v_add_f32_e32 v17, -1.0, v16
	v_sub_f32_e32 v15, v13, v15
	v_sub_f32_e32 v13, v13, v17
	v_add_f32_e32 v15, v12, v15
	v_add_f32_e32 v12, v12, v13
	;; [unrolled: 1-line block ×3, first 2 shown]
	v_rcp_f32_e32 v25, v23
	v_sub_f32_e32 v13, v16, v23
	v_add_f32_e32 v24, v12, v13
	v_add_f32_e32 v13, v14, v15
	v_mul_f32_e32 v27, v13, v25
	v_sub_f32_e32 v12, v14, v13
	v_mul_f32_e32 v14, v23, v27
	v_fma_f32 v16, v27, v23, -v14
	v_fmac_f32_e32 v16, v27, v24
	v_add_f32_e32 v26, v15, v12
	v_add_f32_e32 v12, v14, v16
	v_sub_f32_e32 v15, v13, v12
	v_pk_add_f32 v[20:21], v[12:13], v[14:15] neg_lo:[0,1] neg_hi:[0,1]
	v_mov_b32_e32 v17, v12
	v_pk_add_f32 v[12:13], v[20:21], v[16:17] neg_lo:[0,1] neg_hi:[0,1]
	v_cmp_neq_f32_e32 vcc, s7, v10
	v_add_f32_e32 v13, v26, v13
	v_add_f32_e32 v12, v12, v13
	;; [unrolled: 1-line block ×3, first 2 shown]
	v_mul_f32_e32 v26, v25, v13
	v_mul_f32_e32 v14, v23, v26
	v_fma_f32 v16, v26, v23, -v14
	v_fmac_f32_e32 v16, v26, v24
	v_sub_f32_e32 v15, v15, v13
	v_add_f32_e32 v23, v12, v15
	v_add_f32_e32 v12, v14, v16
	v_sub_f32_e32 v15, v13, v12
	v_pk_add_f32 v[20:21], v[12:13], v[14:15] neg_lo:[0,1] neg_hi:[0,1]
	v_mov_b32_e32 v17, v12
	v_pk_add_f32 v[12:13], v[20:21], v[16:17] neg_lo:[0,1] neg_hi:[0,1]
	v_cvt_f32_i32_e32 v14, v22
	v_add_f32_e32 v13, v23, v13
	v_add_f32_e32 v12, v12, v13
	;; [unrolled: 1-line block ×4, first 2 shown]
	v_sub_f32_e32 v13, v15, v27
	v_mul_f32_e32 v12, v25, v12
	v_sub_f32_e32 v13, v26, v13
	v_add_f32_e32 v12, v13, v12
	v_add_f32_e32 v16, v15, v12
	v_mul_f32_e32 v20, v16, v16
	v_mov_b32_e32 v13, 0x3ecc95a3
	v_sub_f32_e32 v15, v16, v15
	v_fmac_f32_e32 v13, 0x3e9b6dac, v20
	v_sub_f32_e32 v12, v12, v15
	v_fmaak_f32 v13, v20, v13, 0x3f2aaada
	v_ldexp_f32 v21, v12, 1
	v_mul_f32_e32 v15, v16, v20
	v_mov_b32_e32 v12, 0x3f317218
	v_pk_mul_f32 v[12:13], v[14:15], v[12:13]
	v_ldexp_f32 v17, v16, 1
	v_fma_f32 v15, v14, s6, -v12
	v_fmamk_f32 v16, v14, 0xb102e308, v15
	v_pk_add_f32 v[14:15], v[12:13], v[16:17]
	v_mov_b32_e32 v20, v12
	v_sub_f32_e32 v17, v15, v17
	v_sub_f32_e32 v17, v13, v17
	v_add_f32_e32 v21, v21, v17
	v_pk_add_f32 v[12:13], v[14:15], v[12:13] neg_lo:[0,1] neg_hi:[0,1]
	v_pk_add_f32 v[22:23], v[14:15], v[20:21]
	v_mov_b32_e32 v17, v14
	v_mov_b32_e32 v13, v23
	v_pk_add_f32 v[24:25], v[16:17], v[12:13] neg_lo:[0,1] neg_hi:[0,1]
	v_pk_add_f32 v[12:13], v[16:17], v[12:13]
	v_mov_b32_e32 v20, v21
	v_pk_add_f32 v[16:17], v[12:13], v[14:15] op_sel:[1,0] op_sel_hi:[0,1] neg_lo:[0,1] neg_hi:[0,1]
	v_pk_add_f32 v[26:27], v[22:23], v[16:17] op_sel_hi:[1,0] neg_lo:[0,1] neg_hi:[0,1]
	v_mov_b32_e32 v22, v23
	v_mov_b32_e32 v23, v13
	v_pk_mov_b32 v[16:17], v[14:15], v[16:17] op_sel:[1,0]
	v_mov_b32_e32 v21, v14
	v_pk_add_f32 v[16:17], v[22:23], v[16:17] neg_lo:[0,1] neg_hi:[0,1]
	v_mov_b32_e32 v26, v24
	v_pk_add_f32 v[14:15], v[20:21], v[16:17] neg_lo:[0,1] neg_hi:[0,1]
	v_mov_b32_e32 v25, v13
	v_pk_add_f32 v[16:17], v[26:27], v[14:15]
	s_mov_b32 s6, 0x33800000
	v_pk_add_f32 v[20:21], v[16:17], v[16:17] op_sel:[0,1] op_sel_hi:[1,0]
	s_nop 0
	v_pk_add_f32 v[12:13], v[12:13], v[20:21] op_sel:[1,0] op_sel_hi:[0,1]
	v_mov_b32_e32 v17, v12
	v_pk_add_f32 v[22:23], v[16:17], v[24:25] neg_lo:[0,1] neg_hi:[0,1]
	v_mov_b32_e32 v15, v20
	v_sub_f32_e32 v13, v16, v22
	v_pk_add_f32 v[14:15], v[14:15], v[22:23] neg_lo:[0,1] neg_hi:[0,1]
	v_sub_f32_e32 v13, v24, v13
	v_add_f32_e32 v13, v14, v13
	v_add_f32_e32 v13, v13, v15
	;; [unrolled: 1-line block ×3, first 2 shown]
	v_cndmask_b32_e32 v12, v19, v12, vcc
	v_cmp_lt_f32_e64 vcc, |v10|, s6
	s_nop 1
	v_cndmask_b32_e32 v10, v12, v10, vcc
	v_add_f32_e32 v10, v11, v10
	v_cvt_f16_f32_e32 v10, v10
.LBB351_203:
	s_or_b64 exec, exec, s[4:5]
.LBB351_204:
	s_or_b64 exec, exec, s[0:1]
	v_cvt_f32_f16_e32 v12, v10
	v_cmp_u_f16_e64 s[26:27], v10, v10
	v_cmp_u_f16_sdwa vcc, v8, v8 src0_sel:WORD_1 src1_sel:WORD_1
	s_movk_i32 s6, 0x1f8
	v_min_f32_e32 v11, v12, v3
	v_max_f32_e32 v20, v12, v3
	v_cndmask_b32_e64 v13, v11, v12, s[26:27]
	v_cndmask_b32_e64 v8, v20, v12, s[26:27]
	v_cndmask_b32_e32 v13, v13, v3, vcc
	v_cndmask_b32_e32 v8, v8, v3, vcc
	v_cmp_neq_f32_e64 s[0:1], v13, v8
	v_cmp_class_f32_e64 s[4:5], v13, s6
	s_or_b64 s[0:1], s[0:1], s[4:5]
	v_mov_b32_e32 v22, v12
	v_mov_b32_e32 v21, v10
	s_and_saveexec_b64 s[4:5], s[0:1]
	s_cbranch_execz .LBB351_206
; %bb.205:
	v_sub_f32_e32 v13, v13, v8
	s_mov_b32 s0, 0x3fb8aa3b
	v_mul_f32_e32 v14, 0x3fb8aa3b, v13
	v_fma_f32 v15, v13, s0, -v14
	v_rndne_f32_e32 v16, v14
	v_fmamk_f32 v15, v13, 0x32a5705f, v15
	v_sub_f32_e32 v14, v14, v16
	v_add_f32_e32 v14, v14, v15
	v_exp_f32_e32 v14, v14
	v_cvt_i32_f32_e32 v15, v16
	s_mov_b32 s0, 0xc2ce8ed0
	v_cmp_ngt_f32_e64 s[0:1], s0, v13
	v_mov_b32_e32 v19, 0x7f800000
	v_ldexp_f32 v14, v14, v15
	v_cndmask_b32_e64 v14, 0, v14, s[0:1]
	s_mov_b32 s0, 0x42b17218
	v_cmp_nlt_f32_e64 s[0:1], s0, v13
	s_mov_b32 s7, 0x7f800000
	s_nop 0
	v_cndmask_b32_e64 v13, v19, v14, s[0:1]
	v_add_f32_e32 v16, 1.0, v13
	v_add_f32_e32 v14, -1.0, v16
	v_sub_f32_e32 v15, v14, v16
	v_add_f32_e32 v15, 1.0, v15
	v_sub_f32_e32 v14, v13, v14
	v_add_f32_e32 v17, v14, v15
	v_frexp_mant_f32_e32 v21, v16
	s_mov_b32 s0, 0x3f2aaaab
	v_cvt_f64_f32_e32 v[14:15], v16
	v_frexp_exp_i32_f64_e32 v14, v[14:15]
	v_cmp_gt_f32_e64 s[0:1], s0, v21
	s_nop 1
	v_subbrev_co_u32_e64 v21, s[0:1], 0, v14, s[0:1]
	v_sub_u32_e32 v14, 0, v21
	v_ldexp_f32 v15, v16, v14
	v_add_f32_e32 v16, -1.0, v15
	v_add_f32_e32 v22, 1.0, v15
	v_ldexp_f32 v14, v17, v14
	v_add_f32_e32 v17, 1.0, v16
	v_add_f32_e32 v23, -1.0, v22
	v_sub_f32_e32 v17, v15, v17
	v_sub_f32_e32 v15, v15, v23
	v_add_f32_e32 v17, v14, v17
	v_add_f32_e32 v14, v14, v15
	;; [unrolled: 1-line block ×3, first 2 shown]
	v_rcp_f32_e32 v28, v26
	v_sub_f32_e32 v15, v22, v26
	v_add_f32_e32 v27, v14, v15
	v_add_f32_e32 v15, v16, v17
	v_mul_f32_e32 v30, v15, v28
	v_sub_f32_e32 v14, v16, v15
	v_mul_f32_e32 v16, v26, v30
	v_fma_f32 v22, v30, v26, -v16
	v_fmac_f32_e32 v22, v30, v27
	v_add_f32_e32 v29, v17, v14
	v_add_f32_e32 v14, v16, v22
	v_sub_f32_e32 v17, v15, v14
	v_pk_add_f32 v[24:25], v[14:15], v[16:17] neg_lo:[0,1] neg_hi:[0,1]
	v_mov_b32_e32 v23, v14
	v_pk_add_f32 v[14:15], v[24:25], v[22:23] neg_lo:[0,1] neg_hi:[0,1]
	s_mov_b32 s0, 0x3f317218
	v_add_f32_e32 v15, v29, v15
	v_add_f32_e32 v14, v14, v15
	;; [unrolled: 1-line block ×3, first 2 shown]
	v_mul_f32_e32 v29, v28, v15
	v_mul_f32_e32 v16, v26, v29
	v_fma_f32 v22, v29, v26, -v16
	v_fmac_f32_e32 v22, v29, v27
	v_sub_f32_e32 v17, v17, v15
	v_add_f32_e32 v26, v14, v17
	v_add_f32_e32 v14, v16, v22
	v_sub_f32_e32 v17, v15, v14
	v_pk_add_f32 v[24:25], v[14:15], v[16:17] neg_lo:[0,1] neg_hi:[0,1]
	v_mov_b32_e32 v23, v14
	v_pk_add_f32 v[14:15], v[24:25], v[22:23] neg_lo:[0,1] neg_hi:[0,1]
	v_cvt_f32_i32_e32 v16, v21
	v_add_f32_e32 v15, v26, v15
	v_add_f32_e32 v14, v14, v15
	;; [unrolled: 1-line block ×4, first 2 shown]
	v_sub_f32_e32 v15, v17, v30
	v_mul_f32_e32 v14, v28, v14
	v_sub_f32_e32 v15, v29, v15
	v_add_f32_e32 v14, v15, v14
	v_add_f32_e32 v22, v17, v14
	v_mul_f32_e32 v24, v22, v22
	v_mov_b32_e32 v15, 0x3ecc95a3
	v_sub_f32_e32 v17, v22, v17
	v_fmac_f32_e32 v15, 0x3e9b6dac, v24
	v_sub_f32_e32 v14, v14, v17
	v_fmaak_f32 v15, v24, v15, 0x3f2aaada
	v_ldexp_f32 v21, v14, 1
	v_mul_f32_e32 v17, v22, v24
	v_mov_b32_e32 v14, 0x3f317218
	v_pk_mul_f32 v[14:15], v[16:17], v[14:15]
	v_ldexp_f32 v23, v22, 1
	v_fma_f32 v17, v16, s0, -v14
	v_fmamk_f32 v22, v16, 0xb102e308, v17
	v_pk_add_f32 v[16:17], v[14:15], v[22:23]
	v_mov_b32_e32 v24, v14
	v_sub_f32_e32 v23, v17, v23
	v_sub_f32_e32 v23, v15, v23
	v_add_f32_e32 v25, v21, v23
	v_pk_add_f32 v[14:15], v[16:17], v[14:15] neg_lo:[0,1] neg_hi:[0,1]
	v_pk_add_f32 v[26:27], v[16:17], v[24:25]
	v_mov_b32_e32 v23, v16
	v_mov_b32_e32 v15, v27
	v_pk_add_f32 v[28:29], v[22:23], v[14:15] neg_lo:[0,1] neg_hi:[0,1]
	v_pk_add_f32 v[14:15], v[22:23], v[14:15]
	v_mov_b32_e32 v24, v25
	v_pk_add_f32 v[22:23], v[14:15], v[16:17] op_sel:[1,0] op_sel_hi:[0,1] neg_lo:[0,1] neg_hi:[0,1]
	v_pk_add_f32 v[30:31], v[26:27], v[22:23] op_sel_hi:[1,0] neg_lo:[0,1] neg_hi:[0,1]
	v_mov_b32_e32 v26, v27
	v_mov_b32_e32 v27, v15
	v_pk_mov_b32 v[22:23], v[16:17], v[22:23] op_sel:[1,0]
	v_mov_b32_e32 v25, v16
	v_pk_add_f32 v[22:23], v[26:27], v[22:23] neg_lo:[0,1] neg_hi:[0,1]
	v_mov_b32_e32 v30, v28
	v_pk_add_f32 v[16:17], v[24:25], v[22:23] neg_lo:[0,1] neg_hi:[0,1]
	v_mov_b32_e32 v29, v15
	v_pk_add_f32 v[22:23], v[30:31], v[16:17]
	v_cmp_neq_f32_e64 s[0:1], s7, v13
	v_pk_add_f32 v[24:25], v[22:23], v[22:23] op_sel:[0,1] op_sel_hi:[1,0]
	s_nop 0
	v_pk_add_f32 v[14:15], v[14:15], v[24:25] op_sel:[1,0] op_sel_hi:[0,1]
	v_mov_b32_e32 v23, v14
	v_pk_add_f32 v[26:27], v[22:23], v[28:29] neg_lo:[0,1] neg_hi:[0,1]
	v_mov_b32_e32 v17, v24
	v_sub_f32_e32 v15, v22, v26
	v_pk_add_f32 v[16:17], v[16:17], v[26:27] neg_lo:[0,1] neg_hi:[0,1]
	v_sub_f32_e32 v15, v28, v15
	v_add_f32_e32 v15, v16, v15
	v_add_f32_e32 v15, v15, v17
	;; [unrolled: 1-line block ×3, first 2 shown]
	v_cndmask_b32_e64 v14, v19, v14, s[0:1]
	s_mov_b32 s0, 0x33800000
	v_cmp_lt_f32_e64 s[0:1], |v13|, s0
	s_nop 1
	v_cndmask_b32_e64 v13, v14, v13, s[0:1]
	v_add_f32_e32 v8, v8, v13
	v_cvt_f16_f32_e32 v21, v8
	v_cvt_f32_f16_e32 v22, v21
.LBB351_206:
	s_or_b64 exec, exec, s[4:5]
	v_cvt_f32_f16_e32 v8, v9
	v_max_f32_e32 v13, v22, v22
	v_cmp_u_f16_e64 s[4:5], v21, v21
	v_cmp_u_f16_e64 s[0:1], v9, v9
	v_min_f32_e32 v14, v13, v8
	v_max_f32_e32 v13, v13, v8
	v_cndmask_b32_e64 v14, v14, v22, s[4:5]
	v_cndmask_b32_e64 v13, v13, v22, s[4:5]
	v_cndmask_b32_e64 v14, v14, v8, s[0:1]
	v_cndmask_b32_e64 v13, v13, v8, s[0:1]
	v_cmp_neq_f32_e64 s[4:5], v14, v13
	v_cmp_class_f32_e64 s[6:7], v14, s6
	s_or_b64 s[4:5], s[4:5], s[6:7]
	s_and_saveexec_b64 s[6:7], s[4:5]
	s_cbranch_execz .LBB351_208
; %bb.207:
	v_sub_f32_e32 v14, v14, v13
	s_mov_b32 s4, 0x3fb8aa3b
	v_mul_f32_e32 v15, 0x3fb8aa3b, v14
	v_fma_f32 v16, v14, s4, -v15
	v_rndne_f32_e32 v17, v15
	v_fmamk_f32 v16, v14, 0x32a5705f, v16
	v_sub_f32_e32 v15, v15, v17
	v_add_f32_e32 v15, v15, v16
	v_exp_f32_e32 v15, v15
	v_cvt_i32_f32_e32 v16, v17
	s_mov_b32 s4, 0xc2ce8ed0
	v_cmp_ngt_f32_e64 s[4:5], s4, v14
	v_mov_b32_e32 v19, 0x7f800000
	v_ldexp_f32 v15, v15, v16
	v_cndmask_b32_e64 v15, 0, v15, s[4:5]
	s_mov_b32 s4, 0x42b17218
	v_cmp_nlt_f32_e64 s[4:5], s4, v14
	s_mov_b32 s8, 0x7f800000
	s_nop 0
	v_cndmask_b32_e64 v21, v19, v15, s[4:5]
	v_add_f32_e32 v16, 1.0, v21
	v_add_f32_e32 v14, -1.0, v16
	v_sub_f32_e32 v15, v14, v16
	v_add_f32_e32 v15, 1.0, v15
	v_sub_f32_e32 v14, v21, v14
	v_add_f32_e32 v17, v14, v15
	v_frexp_mant_f32_e32 v22, v16
	s_mov_b32 s4, 0x3f2aaaab
	v_cvt_f64_f32_e32 v[14:15], v16
	v_frexp_exp_i32_f64_e32 v14, v[14:15]
	v_cmp_gt_f32_e64 s[4:5], s4, v22
	s_nop 1
	v_subbrev_co_u32_e64 v26, s[4:5], 0, v14, s[4:5]
	v_sub_u32_e32 v14, 0, v26
	v_ldexp_f32 v15, v16, v14
	v_add_f32_e32 v16, -1.0, v15
	v_add_f32_e32 v22, 1.0, v15
	v_ldexp_f32 v14, v17, v14
	v_add_f32_e32 v17, 1.0, v16
	v_add_f32_e32 v23, -1.0, v22
	v_sub_f32_e32 v17, v15, v17
	v_sub_f32_e32 v15, v15, v23
	v_add_f32_e32 v17, v14, v17
	v_add_f32_e32 v14, v14, v15
	;; [unrolled: 1-line block ×3, first 2 shown]
	v_rcp_f32_e32 v29, v27
	v_sub_f32_e32 v15, v22, v27
	v_add_f32_e32 v28, v14, v15
	v_add_f32_e32 v15, v16, v17
	v_mul_f32_e32 v31, v15, v29
	v_sub_f32_e32 v14, v16, v15
	v_mul_f32_e32 v16, v27, v31
	v_fma_f32 v22, v31, v27, -v16
	v_fmac_f32_e32 v22, v31, v28
	v_add_f32_e32 v30, v17, v14
	v_add_f32_e32 v14, v16, v22
	v_sub_f32_e32 v17, v15, v14
	v_pk_add_f32 v[24:25], v[14:15], v[16:17] neg_lo:[0,1] neg_hi:[0,1]
	v_mov_b32_e32 v23, v14
	v_pk_add_f32 v[14:15], v[24:25], v[22:23] neg_lo:[0,1] neg_hi:[0,1]
	s_mov_b32 s4, 0x3f317218
	v_add_f32_e32 v15, v30, v15
	v_add_f32_e32 v14, v14, v15
	;; [unrolled: 1-line block ×3, first 2 shown]
	v_mul_f32_e32 v30, v29, v15
	v_mul_f32_e32 v16, v27, v30
	v_fma_f32 v22, v30, v27, -v16
	v_fmac_f32_e32 v22, v30, v28
	v_sub_f32_e32 v17, v17, v15
	v_add_f32_e32 v27, v14, v17
	v_add_f32_e32 v14, v16, v22
	v_sub_f32_e32 v17, v15, v14
	v_pk_add_f32 v[24:25], v[14:15], v[16:17] neg_lo:[0,1] neg_hi:[0,1]
	v_mov_b32_e32 v23, v14
	v_pk_add_f32 v[14:15], v[24:25], v[22:23] neg_lo:[0,1] neg_hi:[0,1]
	v_cvt_f32_i32_e32 v16, v26
	v_add_f32_e32 v15, v27, v15
	v_add_f32_e32 v14, v14, v15
	;; [unrolled: 1-line block ×4, first 2 shown]
	v_sub_f32_e32 v15, v17, v31
	v_mul_f32_e32 v14, v29, v14
	v_sub_f32_e32 v15, v30, v15
	v_add_f32_e32 v14, v15, v14
	v_add_f32_e32 v22, v17, v14
	v_mul_f32_e32 v24, v22, v22
	v_mov_b32_e32 v15, 0x3ecc95a3
	v_sub_f32_e32 v17, v22, v17
	v_fmac_f32_e32 v15, 0x3e9b6dac, v24
	v_sub_f32_e32 v14, v14, v17
	v_fmaak_f32 v15, v24, v15, 0x3f2aaada
	v_ldexp_f32 v25, v14, 1
	v_mul_f32_e32 v17, v22, v24
	v_mov_b32_e32 v14, 0x3f317218
	v_pk_mul_f32 v[14:15], v[16:17], v[14:15]
	v_ldexp_f32 v23, v22, 1
	v_fma_f32 v17, v16, s4, -v14
	v_fmamk_f32 v22, v16, 0xb102e308, v17
	v_pk_add_f32 v[16:17], v[14:15], v[22:23]
	v_mov_b32_e32 v24, v14
	v_sub_f32_e32 v23, v17, v23
	v_sub_f32_e32 v23, v15, v23
	v_add_f32_e32 v25, v25, v23
	v_pk_add_f32 v[14:15], v[16:17], v[14:15] neg_lo:[0,1] neg_hi:[0,1]
	v_pk_add_f32 v[26:27], v[16:17], v[24:25]
	v_mov_b32_e32 v23, v16
	v_mov_b32_e32 v15, v27
	v_pk_add_f32 v[28:29], v[22:23], v[14:15] neg_lo:[0,1] neg_hi:[0,1]
	v_pk_add_f32 v[14:15], v[22:23], v[14:15]
	v_mov_b32_e32 v24, v25
	v_pk_add_f32 v[22:23], v[14:15], v[16:17] op_sel:[1,0] op_sel_hi:[0,1] neg_lo:[0,1] neg_hi:[0,1]
	v_pk_add_f32 v[30:31], v[26:27], v[22:23] op_sel_hi:[1,0] neg_lo:[0,1] neg_hi:[0,1]
	v_mov_b32_e32 v26, v27
	v_mov_b32_e32 v27, v15
	v_pk_mov_b32 v[22:23], v[16:17], v[22:23] op_sel:[1,0]
	v_mov_b32_e32 v25, v16
	v_pk_add_f32 v[22:23], v[26:27], v[22:23] neg_lo:[0,1] neg_hi:[0,1]
	v_mov_b32_e32 v30, v28
	v_pk_add_f32 v[16:17], v[24:25], v[22:23] neg_lo:[0,1] neg_hi:[0,1]
	v_mov_b32_e32 v29, v15
	v_pk_add_f32 v[22:23], v[30:31], v[16:17]
	v_cmp_neq_f32_e64 s[4:5], s8, v21
	v_pk_add_f32 v[24:25], v[22:23], v[22:23] op_sel:[0,1] op_sel_hi:[1,0]
	s_nop 0
	v_pk_add_f32 v[14:15], v[14:15], v[24:25] op_sel:[1,0] op_sel_hi:[0,1]
	v_mov_b32_e32 v23, v14
	v_pk_add_f32 v[26:27], v[22:23], v[28:29] neg_lo:[0,1] neg_hi:[0,1]
	v_mov_b32_e32 v17, v24
	v_sub_f32_e32 v15, v22, v26
	v_pk_add_f32 v[16:17], v[16:17], v[26:27] neg_lo:[0,1] neg_hi:[0,1]
	v_sub_f32_e32 v15, v28, v15
	v_add_f32_e32 v15, v16, v15
	v_add_f32_e32 v15, v15, v17
	;; [unrolled: 1-line block ×3, first 2 shown]
	v_cndmask_b32_e64 v14, v19, v14, s[4:5]
	s_mov_b32 s4, 0x33800000
	v_cmp_lt_f32_e64 s[4:5], |v21|, s4
	s_nop 1
	v_cndmask_b32_e64 v14, v14, v21, s[4:5]
	v_add_f32_e32 v13, v13, v14
	v_cvt_f16_f32_e32 v21, v13
	v_cvt_f32_f16_e32 v22, v21
.LBB351_208:
	s_or_b64 exec, exec, s[6:7]
	v_cvt_f32_f16_sdwa v13, v9 dst_sel:DWORD dst_unused:UNUSED_PAD src0_sel:WORD_1
	v_max_f32_e32 v15, v22, v22
	v_cmp_u_f16_e64 s[6:7], v21, v21
	v_cmp_u_f16_sdwa s[4:5], v9, v9 src0_sel:WORD_1 src1_sel:WORD_1
	v_min_f32_e32 v14, v15, v13
	v_max_f32_e32 v9, v15, v13
	v_cndmask_b32_e64 v14, v14, v22, s[6:7]
	v_cndmask_b32_e64 v9, v9, v22, s[6:7]
	;; [unrolled: 1-line block ×4, first 2 shown]
	s_movk_i32 s10, 0x1f8
	v_cmp_neq_f32_e64 s[6:7], v14, v9
	v_cmp_class_f32_e64 s[8:9], v14, s10
	s_or_b64 s[6:7], s[6:7], s[8:9]
	s_and_saveexec_b64 s[8:9], s[6:7]
	s_cbranch_execz .LBB351_210
; %bb.209:
	v_sub_f32_e32 v14, v14, v9
	s_mov_b32 s6, 0x3fb8aa3b
	v_mul_f32_e32 v15, 0x3fb8aa3b, v14
	v_fma_f32 v16, v14, s6, -v15
	v_rndne_f32_e32 v17, v15
	v_fmamk_f32 v16, v14, 0x32a5705f, v16
	v_sub_f32_e32 v15, v15, v17
	v_add_f32_e32 v15, v15, v16
	v_exp_f32_e32 v15, v15
	v_cvt_i32_f32_e32 v16, v17
	s_mov_b32 s6, 0xc2ce8ed0
	v_cmp_ngt_f32_e64 s[6:7], s6, v14
	v_mov_b32_e32 v19, 0x7f800000
	v_ldexp_f32 v15, v15, v16
	v_cndmask_b32_e64 v15, 0, v15, s[6:7]
	s_mov_b32 s6, 0x42b17218
	v_cmp_nlt_f32_e64 s[6:7], s6, v14
	s_mov_b32 s11, 0x7f800000
	s_nop 0
	v_cndmask_b32_e64 v21, v19, v15, s[6:7]
	v_add_f32_e32 v16, 1.0, v21
	v_add_f32_e32 v14, -1.0, v16
	v_sub_f32_e32 v15, v14, v16
	v_add_f32_e32 v15, 1.0, v15
	v_sub_f32_e32 v14, v21, v14
	v_add_f32_e32 v17, v14, v15
	v_frexp_mant_f32_e32 v22, v16
	s_mov_b32 s6, 0x3f2aaaab
	v_cvt_f64_f32_e32 v[14:15], v16
	v_frexp_exp_i32_f64_e32 v14, v[14:15]
	v_cmp_gt_f32_e64 s[6:7], s6, v22
	s_nop 1
	v_subbrev_co_u32_e64 v26, s[6:7], 0, v14, s[6:7]
	v_sub_u32_e32 v14, 0, v26
	v_ldexp_f32 v15, v16, v14
	v_add_f32_e32 v16, -1.0, v15
	v_add_f32_e32 v22, 1.0, v15
	v_ldexp_f32 v14, v17, v14
	v_add_f32_e32 v17, 1.0, v16
	v_add_f32_e32 v23, -1.0, v22
	v_sub_f32_e32 v17, v15, v17
	v_sub_f32_e32 v15, v15, v23
	v_add_f32_e32 v17, v14, v17
	v_add_f32_e32 v14, v14, v15
	;; [unrolled: 1-line block ×3, first 2 shown]
	v_rcp_f32_e32 v29, v27
	v_sub_f32_e32 v15, v22, v27
	v_add_f32_e32 v28, v14, v15
	v_add_f32_e32 v15, v16, v17
	v_mul_f32_e32 v31, v15, v29
	v_sub_f32_e32 v14, v16, v15
	v_mul_f32_e32 v16, v27, v31
	v_fma_f32 v22, v31, v27, -v16
	v_fmac_f32_e32 v22, v31, v28
	v_add_f32_e32 v30, v17, v14
	v_add_f32_e32 v14, v16, v22
	v_sub_f32_e32 v17, v15, v14
	v_pk_add_f32 v[24:25], v[14:15], v[16:17] neg_lo:[0,1] neg_hi:[0,1]
	v_mov_b32_e32 v23, v14
	v_pk_add_f32 v[14:15], v[24:25], v[22:23] neg_lo:[0,1] neg_hi:[0,1]
	s_mov_b32 s6, 0x3f317218
	v_add_f32_e32 v15, v30, v15
	v_add_f32_e32 v14, v14, v15
	;; [unrolled: 1-line block ×3, first 2 shown]
	v_mul_f32_e32 v30, v29, v15
	v_mul_f32_e32 v16, v27, v30
	v_fma_f32 v22, v30, v27, -v16
	v_fmac_f32_e32 v22, v30, v28
	v_sub_f32_e32 v17, v17, v15
	v_add_f32_e32 v27, v14, v17
	v_add_f32_e32 v14, v16, v22
	v_sub_f32_e32 v17, v15, v14
	v_pk_add_f32 v[24:25], v[14:15], v[16:17] neg_lo:[0,1] neg_hi:[0,1]
	v_mov_b32_e32 v23, v14
	v_pk_add_f32 v[14:15], v[24:25], v[22:23] neg_lo:[0,1] neg_hi:[0,1]
	v_cvt_f32_i32_e32 v16, v26
	v_add_f32_e32 v15, v27, v15
	v_add_f32_e32 v14, v14, v15
	;; [unrolled: 1-line block ×4, first 2 shown]
	v_sub_f32_e32 v15, v17, v31
	v_mul_f32_e32 v14, v29, v14
	v_sub_f32_e32 v15, v30, v15
	v_add_f32_e32 v14, v15, v14
	v_add_f32_e32 v22, v17, v14
	v_mul_f32_e32 v24, v22, v22
	v_mov_b32_e32 v15, 0x3ecc95a3
	v_sub_f32_e32 v17, v22, v17
	v_fmac_f32_e32 v15, 0x3e9b6dac, v24
	v_sub_f32_e32 v14, v14, v17
	v_fmaak_f32 v15, v24, v15, 0x3f2aaada
	v_ldexp_f32 v25, v14, 1
	v_mul_f32_e32 v17, v22, v24
	v_mov_b32_e32 v14, 0x3f317218
	v_pk_mul_f32 v[14:15], v[16:17], v[14:15]
	v_ldexp_f32 v23, v22, 1
	v_fma_f32 v17, v16, s6, -v14
	v_fmamk_f32 v22, v16, 0xb102e308, v17
	v_pk_add_f32 v[16:17], v[14:15], v[22:23]
	v_mov_b32_e32 v24, v14
	v_sub_f32_e32 v23, v17, v23
	v_sub_f32_e32 v23, v15, v23
	v_add_f32_e32 v25, v25, v23
	v_pk_add_f32 v[14:15], v[16:17], v[14:15] neg_lo:[0,1] neg_hi:[0,1]
	v_pk_add_f32 v[26:27], v[16:17], v[24:25]
	v_mov_b32_e32 v23, v16
	v_mov_b32_e32 v15, v27
	v_pk_add_f32 v[28:29], v[22:23], v[14:15] neg_lo:[0,1] neg_hi:[0,1]
	v_pk_add_f32 v[14:15], v[22:23], v[14:15]
	v_mov_b32_e32 v24, v25
	v_pk_add_f32 v[22:23], v[14:15], v[16:17] op_sel:[1,0] op_sel_hi:[0,1] neg_lo:[0,1] neg_hi:[0,1]
	v_pk_add_f32 v[30:31], v[26:27], v[22:23] op_sel_hi:[1,0] neg_lo:[0,1] neg_hi:[0,1]
	v_mov_b32_e32 v26, v27
	v_mov_b32_e32 v27, v15
	v_pk_mov_b32 v[22:23], v[16:17], v[22:23] op_sel:[1,0]
	v_mov_b32_e32 v25, v16
	v_pk_add_f32 v[22:23], v[26:27], v[22:23] neg_lo:[0,1] neg_hi:[0,1]
	v_mov_b32_e32 v30, v28
	v_pk_add_f32 v[16:17], v[24:25], v[22:23] neg_lo:[0,1] neg_hi:[0,1]
	v_mov_b32_e32 v29, v15
	v_pk_add_f32 v[22:23], v[30:31], v[16:17]
	v_cmp_neq_f32_e64 s[6:7], s11, v21
	v_pk_add_f32 v[24:25], v[22:23], v[22:23] op_sel:[0,1] op_sel_hi:[1,0]
	s_nop 0
	v_pk_add_f32 v[14:15], v[14:15], v[24:25] op_sel:[1,0] op_sel_hi:[0,1]
	v_mov_b32_e32 v23, v14
	v_pk_add_f32 v[26:27], v[22:23], v[28:29] neg_lo:[0,1] neg_hi:[0,1]
	v_mov_b32_e32 v17, v24
	v_sub_f32_e32 v15, v22, v26
	v_pk_add_f32 v[16:17], v[16:17], v[26:27] neg_lo:[0,1] neg_hi:[0,1]
	v_sub_f32_e32 v15, v28, v15
	v_add_f32_e32 v15, v16, v15
	v_add_f32_e32 v15, v15, v17
	v_add_f32_e32 v14, v14, v15
	v_cndmask_b32_e64 v14, v19, v14, s[6:7]
	s_mov_b32 s6, 0x33800000
	v_cmp_lt_f32_e64 s[6:7], |v21|, s6
	s_nop 1
	v_cndmask_b32_e64 v14, v14, v21, s[6:7]
	v_add_f32_e32 v9, v9, v14
	v_cvt_f16_f32_e32 v21, v9
	v_cvt_f32_f16_e32 v22, v21
.LBB351_210:
	s_or_b64 exec, exec, s[8:9]
	v_cvt_f32_f16_e32 v9, v6
	v_max_f32_e32 v14, v22, v22
	v_cmp_u_f16_e64 s[8:9], v21, v21
	v_cmp_u_f16_e64 s[6:7], v6, v6
	v_min_f32_e32 v15, v14, v9
	v_max_f32_e32 v14, v14, v9
	v_cndmask_b32_e64 v15, v15, v22, s[8:9]
	v_cndmask_b32_e64 v14, v14, v22, s[8:9]
	;; [unrolled: 1-line block ×4, first 2 shown]
	v_cmp_neq_f32_e64 s[8:9], v15, v14
	v_cmp_class_f32_e64 s[10:11], v15, s10
	s_or_b64 s[8:9], s[8:9], s[10:11]
	s_and_saveexec_b64 s[10:11], s[8:9]
	s_cbranch_execz .LBB351_212
; %bb.211:
	v_sub_f32_e32 v15, v15, v14
	s_mov_b32 s8, 0x3fb8aa3b
	v_mul_f32_e32 v16, 0x3fb8aa3b, v15
	v_fma_f32 v17, v15, s8, -v16
	v_rndne_f32_e32 v19, v16
	v_fmamk_f32 v17, v15, 0x32a5705f, v17
	v_sub_f32_e32 v16, v16, v19
	v_add_f32_e32 v16, v16, v17
	v_exp_f32_e32 v16, v16
	v_cvt_i32_f32_e32 v17, v19
	s_mov_b32 s8, 0xc2ce8ed0
	v_cmp_ngt_f32_e64 s[8:9], s8, v15
	v_mov_b32_e32 v19, 0x7f800000
	v_ldexp_f32 v16, v16, v17
	v_cndmask_b32_e64 v16, 0, v16, s[8:9]
	s_mov_b32 s8, 0x42b17218
	v_cmp_nlt_f32_e64 s[8:9], s8, v15
	s_mov_b32 s12, 0x7f800000
	s_nop 0
	v_cndmask_b32_e64 v15, v19, v16, s[8:9]
	v_add_f32_e32 v21, 1.0, v15
	v_add_f32_e32 v16, -1.0, v21
	v_sub_f32_e32 v17, v16, v21
	v_add_f32_e32 v17, 1.0, v17
	v_sub_f32_e32 v16, v15, v16
	v_add_f32_e32 v22, v16, v17
	v_frexp_mant_f32_e32 v23, v21
	s_mov_b32 s8, 0x3f2aaaab
	v_cvt_f64_f32_e32 v[16:17], v21
	v_frexp_exp_i32_f64_e32 v16, v[16:17]
	v_cmp_gt_f32_e64 s[8:9], s8, v23
	s_nop 1
	v_subbrev_co_u32_e64 v28, s[8:9], 0, v16, s[8:9]
	v_sub_u32_e32 v16, 0, v28
	v_ldexp_f32 v17, v21, v16
	v_add_f32_e32 v21, -1.0, v17
	v_add_f32_e32 v23, 1.0, v17
	v_ldexp_f32 v16, v22, v16
	v_add_f32_e32 v22, 1.0, v21
	v_add_f32_e32 v24, -1.0, v23
	v_sub_f32_e32 v22, v17, v22
	v_sub_f32_e32 v17, v17, v24
	v_add_f32_e32 v22, v16, v22
	v_add_f32_e32 v16, v16, v17
	;; [unrolled: 1-line block ×3, first 2 shown]
	v_rcp_f32_e32 v31, v29
	v_sub_f32_e32 v17, v23, v29
	v_add_f32_e32 v30, v16, v17
	v_add_f32_e32 v17, v21, v22
	v_sub_f32_e32 v16, v21, v17
	v_mul_f32_e32 v32, v17, v31
	v_add_f32_e32 v21, v22, v16
	v_mul_f32_e32 v22, v29, v32
	v_fma_f32 v24, v32, v29, -v22
	v_fmac_f32_e32 v24, v32, v30
	v_add_f32_e32 v16, v22, v24
	v_sub_f32_e32 v23, v17, v16
	v_pk_add_f32 v[26:27], v[16:17], v[22:23] neg_lo:[0,1] neg_hi:[0,1]
	v_mov_b32_e32 v25, v16
	v_pk_add_f32 v[16:17], v[26:27], v[24:25] neg_lo:[0,1] neg_hi:[0,1]
	s_mov_b32 s8, 0x3f317218
	v_add_f32_e32 v17, v21, v17
	v_add_f32_e32 v16, v16, v17
	;; [unrolled: 1-line block ×3, first 2 shown]
	v_mul_f32_e32 v21, v31, v17
	v_mul_f32_e32 v22, v29, v21
	v_fma_f32 v24, v21, v29, -v22
	v_fmac_f32_e32 v24, v21, v30
	v_sub_f32_e32 v23, v23, v17
	v_add_f32_e32 v29, v16, v23
	v_add_f32_e32 v16, v22, v24
	v_sub_f32_e32 v23, v17, v16
	v_pk_add_f32 v[26:27], v[16:17], v[22:23] neg_lo:[0,1] neg_hi:[0,1]
	v_mov_b32_e32 v25, v16
	v_pk_add_f32 v[16:17], v[26:27], v[24:25] neg_lo:[0,1] neg_hi:[0,1]
	v_cvt_f32_i32_e32 v22, v28
	v_add_f32_e32 v17, v29, v17
	v_add_f32_e32 v16, v16, v17
	;; [unrolled: 1-line block ×4, first 2 shown]
	v_sub_f32_e32 v17, v23, v32
	v_mul_f32_e32 v16, v31, v16
	v_sub_f32_e32 v17, v21, v17
	v_add_f32_e32 v16, v17, v16
	v_add_f32_e32 v21, v23, v16
	v_mul_f32_e32 v24, v21, v21
	v_mov_b32_e32 v17, 0x3ecc95a3
	v_sub_f32_e32 v23, v21, v23
	v_fmac_f32_e32 v17, 0x3e9b6dac, v24
	v_sub_f32_e32 v16, v16, v23
	v_fmaak_f32 v17, v24, v17, 0x3f2aaada
	v_ldexp_f32 v26, v16, 1
	v_mul_f32_e32 v23, v21, v24
	v_mov_b32_e32 v16, 0x3f317218
	v_pk_mul_f32 v[16:17], v[22:23], v[16:17]
	v_ldexp_f32 v25, v21, 1
	v_fma_f32 v21, v22, s8, -v16
	v_fmamk_f32 v24, v22, 0xb102e308, v21
	v_pk_add_f32 v[22:23], v[16:17], v[24:25]
	v_cmp_neq_f32_e64 s[8:9], s12, v15
	v_sub_f32_e32 v21, v23, v25
	v_sub_f32_e32 v21, v17, v21
	v_add_f32_e32 v27, v26, v21
	v_mov_b32_e32 v26, v16
	v_pk_add_f32 v[16:17], v[22:23], v[16:17] neg_lo:[0,1] neg_hi:[0,1]
	v_pk_add_f32 v[28:29], v[22:23], v[26:27]
	v_mov_b32_e32 v25, v22
	v_mov_b32_e32 v17, v29
	v_pk_add_f32 v[30:31], v[24:25], v[16:17] neg_lo:[0,1] neg_hi:[0,1]
	v_pk_add_f32 v[16:17], v[24:25], v[16:17]
	v_mov_b32_e32 v26, v27
	v_pk_add_f32 v[24:25], v[16:17], v[22:23] op_sel:[1,0] op_sel_hi:[0,1] neg_lo:[0,1] neg_hi:[0,1]
	v_pk_add_f32 v[32:33], v[28:29], v[24:25] op_sel_hi:[1,0] neg_lo:[0,1] neg_hi:[0,1]
	v_mov_b32_e32 v28, v29
	v_mov_b32_e32 v29, v17
	v_pk_mov_b32 v[24:25], v[22:23], v[24:25] op_sel:[1,0]
	v_mov_b32_e32 v27, v22
	v_pk_add_f32 v[24:25], v[28:29], v[24:25] neg_lo:[0,1] neg_hi:[0,1]
	v_mov_b32_e32 v32, v30
	v_pk_add_f32 v[22:23], v[26:27], v[24:25] neg_lo:[0,1] neg_hi:[0,1]
	v_mov_b32_e32 v31, v17
	v_pk_add_f32 v[24:25], v[32:33], v[22:23]
	s_nop 0
	v_pk_add_f32 v[26:27], v[24:25], v[24:25] op_sel:[0,1] op_sel_hi:[1,0]
	s_nop 0
	v_pk_add_f32 v[16:17], v[16:17], v[26:27] op_sel:[1,0] op_sel_hi:[0,1]
	v_mov_b32_e32 v25, v16
	v_pk_add_f32 v[28:29], v[24:25], v[30:31] neg_lo:[0,1] neg_hi:[0,1]
	v_mov_b32_e32 v23, v26
	v_sub_f32_e32 v17, v24, v28
	v_pk_add_f32 v[22:23], v[22:23], v[28:29] neg_lo:[0,1] neg_hi:[0,1]
	v_sub_f32_e32 v17, v30, v17
	v_add_f32_e32 v17, v22, v17
	v_add_f32_e32 v17, v17, v23
	v_add_f32_e32 v16, v16, v17
	v_cndmask_b32_e64 v16, v19, v16, s[8:9]
	s_mov_b32 s8, 0x33800000
	v_cmp_lt_f32_e64 s[8:9], |v15|, s8
	s_nop 1
	v_cndmask_b32_e64 v15, v16, v15, s[8:9]
	v_add_f32_e32 v14, v14, v15
	v_cvt_f16_f32_e32 v21, v14
	v_cvt_f32_f16_e32 v22, v21
.LBB351_212:
	s_or_b64 exec, exec, s[10:11]
	v_cvt_f32_f16_sdwa v14, v6 dst_sel:DWORD dst_unused:UNUSED_PAD src0_sel:WORD_1
	v_max_f32_e32 v16, v22, v22
	v_cmp_u_f16_e64 s[10:11], v21, v21
	v_cmp_u_f16_sdwa s[8:9], v6, v6 src0_sel:WORD_1 src1_sel:WORD_1
	v_min_f32_e32 v15, v16, v14
	v_max_f32_e32 v6, v16, v14
	v_cndmask_b32_e64 v15, v15, v22, s[10:11]
	v_cndmask_b32_e64 v6, v6, v22, s[10:11]
	;; [unrolled: 1-line block ×4, first 2 shown]
	s_movk_i32 s14, 0x1f8
	v_cmp_neq_f32_e64 s[10:11], v15, v6
	v_cmp_class_f32_e64 s[12:13], v15, s14
	s_or_b64 s[10:11], s[10:11], s[12:13]
	s_and_saveexec_b64 s[12:13], s[10:11]
	s_cbranch_execz .LBB351_214
; %bb.213:
	v_sub_f32_e32 v15, v15, v6
	s_mov_b32 s10, 0x3fb8aa3b
	v_mul_f32_e32 v16, 0x3fb8aa3b, v15
	v_fma_f32 v17, v15, s10, -v16
	v_rndne_f32_e32 v19, v16
	v_fmamk_f32 v17, v15, 0x32a5705f, v17
	v_sub_f32_e32 v16, v16, v19
	v_add_f32_e32 v16, v16, v17
	v_exp_f32_e32 v16, v16
	v_cvt_i32_f32_e32 v17, v19
	s_mov_b32 s10, 0xc2ce8ed0
	v_cmp_ngt_f32_e64 s[10:11], s10, v15
	v_mov_b32_e32 v19, 0x7f800000
	v_ldexp_f32 v16, v16, v17
	v_cndmask_b32_e64 v16, 0, v16, s[10:11]
	s_mov_b32 s10, 0x42b17218
	v_cmp_nlt_f32_e64 s[10:11], s10, v15
	s_mov_b32 s15, 0x7f800000
	s_nop 0
	v_cndmask_b32_e64 v15, v19, v16, s[10:11]
	v_add_f32_e32 v21, 1.0, v15
	v_add_f32_e32 v16, -1.0, v21
	v_sub_f32_e32 v17, v16, v21
	v_add_f32_e32 v17, 1.0, v17
	v_sub_f32_e32 v16, v15, v16
	v_add_f32_e32 v22, v16, v17
	v_frexp_mant_f32_e32 v23, v21
	s_mov_b32 s10, 0x3f2aaaab
	v_cvt_f64_f32_e32 v[16:17], v21
	v_frexp_exp_i32_f64_e32 v16, v[16:17]
	v_cmp_gt_f32_e64 s[10:11], s10, v23
	s_nop 1
	v_subbrev_co_u32_e64 v28, s[10:11], 0, v16, s[10:11]
	v_sub_u32_e32 v16, 0, v28
	v_ldexp_f32 v17, v21, v16
	v_add_f32_e32 v21, -1.0, v17
	v_add_f32_e32 v23, 1.0, v17
	v_ldexp_f32 v16, v22, v16
	v_add_f32_e32 v22, 1.0, v21
	v_add_f32_e32 v24, -1.0, v23
	v_sub_f32_e32 v22, v17, v22
	v_sub_f32_e32 v17, v17, v24
	v_add_f32_e32 v22, v16, v22
	v_add_f32_e32 v16, v16, v17
	;; [unrolled: 1-line block ×3, first 2 shown]
	v_rcp_f32_e32 v31, v29
	v_sub_f32_e32 v17, v23, v29
	v_add_f32_e32 v30, v16, v17
	v_add_f32_e32 v17, v21, v22
	v_sub_f32_e32 v16, v21, v17
	v_mul_f32_e32 v32, v17, v31
	v_add_f32_e32 v21, v22, v16
	v_mul_f32_e32 v22, v29, v32
	v_fma_f32 v24, v32, v29, -v22
	v_fmac_f32_e32 v24, v32, v30
	v_add_f32_e32 v16, v22, v24
	v_sub_f32_e32 v23, v17, v16
	v_pk_add_f32 v[26:27], v[16:17], v[22:23] neg_lo:[0,1] neg_hi:[0,1]
	v_mov_b32_e32 v25, v16
	v_pk_add_f32 v[16:17], v[26:27], v[24:25] neg_lo:[0,1] neg_hi:[0,1]
	s_mov_b32 s10, 0x3f317218
	v_add_f32_e32 v17, v21, v17
	v_add_f32_e32 v16, v16, v17
	;; [unrolled: 1-line block ×3, first 2 shown]
	v_mul_f32_e32 v21, v31, v17
	v_mul_f32_e32 v22, v29, v21
	v_fma_f32 v24, v21, v29, -v22
	v_fmac_f32_e32 v24, v21, v30
	v_sub_f32_e32 v23, v23, v17
	v_add_f32_e32 v29, v16, v23
	v_add_f32_e32 v16, v22, v24
	v_sub_f32_e32 v23, v17, v16
	v_pk_add_f32 v[26:27], v[16:17], v[22:23] neg_lo:[0,1] neg_hi:[0,1]
	v_mov_b32_e32 v25, v16
	v_pk_add_f32 v[16:17], v[26:27], v[24:25] neg_lo:[0,1] neg_hi:[0,1]
	v_cvt_f32_i32_e32 v22, v28
	v_add_f32_e32 v17, v29, v17
	v_add_f32_e32 v16, v16, v17
	v_add_f32_e32 v16, v23, v16
	v_add_f32_e32 v23, v32, v21
	v_sub_f32_e32 v17, v23, v32
	v_mul_f32_e32 v16, v31, v16
	v_sub_f32_e32 v17, v21, v17
	v_add_f32_e32 v16, v17, v16
	v_add_f32_e32 v21, v23, v16
	v_mul_f32_e32 v24, v21, v21
	v_mov_b32_e32 v17, 0x3ecc95a3
	v_sub_f32_e32 v23, v21, v23
	v_fmac_f32_e32 v17, 0x3e9b6dac, v24
	v_sub_f32_e32 v16, v16, v23
	v_fmaak_f32 v17, v24, v17, 0x3f2aaada
	v_ldexp_f32 v26, v16, 1
	v_mul_f32_e32 v23, v21, v24
	v_mov_b32_e32 v16, 0x3f317218
	v_pk_mul_f32 v[16:17], v[22:23], v[16:17]
	v_ldexp_f32 v25, v21, 1
	v_fma_f32 v21, v22, s10, -v16
	v_fmamk_f32 v24, v22, 0xb102e308, v21
	v_pk_add_f32 v[22:23], v[16:17], v[24:25]
	v_cmp_neq_f32_e64 s[10:11], s15, v15
	v_sub_f32_e32 v21, v23, v25
	v_sub_f32_e32 v21, v17, v21
	v_add_f32_e32 v27, v26, v21
	v_mov_b32_e32 v26, v16
	v_pk_add_f32 v[16:17], v[22:23], v[16:17] neg_lo:[0,1] neg_hi:[0,1]
	v_pk_add_f32 v[28:29], v[22:23], v[26:27]
	v_mov_b32_e32 v25, v22
	v_mov_b32_e32 v17, v29
	v_pk_add_f32 v[30:31], v[24:25], v[16:17] neg_lo:[0,1] neg_hi:[0,1]
	v_pk_add_f32 v[16:17], v[24:25], v[16:17]
	v_mov_b32_e32 v26, v27
	v_pk_add_f32 v[24:25], v[16:17], v[22:23] op_sel:[1,0] op_sel_hi:[0,1] neg_lo:[0,1] neg_hi:[0,1]
	v_pk_add_f32 v[32:33], v[28:29], v[24:25] op_sel_hi:[1,0] neg_lo:[0,1] neg_hi:[0,1]
	v_mov_b32_e32 v28, v29
	v_mov_b32_e32 v29, v17
	v_pk_mov_b32 v[24:25], v[22:23], v[24:25] op_sel:[1,0]
	v_mov_b32_e32 v27, v22
	v_pk_add_f32 v[24:25], v[28:29], v[24:25] neg_lo:[0,1] neg_hi:[0,1]
	v_mov_b32_e32 v32, v30
	v_pk_add_f32 v[22:23], v[26:27], v[24:25] neg_lo:[0,1] neg_hi:[0,1]
	v_mov_b32_e32 v31, v17
	v_pk_add_f32 v[24:25], v[32:33], v[22:23]
	s_nop 0
	v_pk_add_f32 v[26:27], v[24:25], v[24:25] op_sel:[0,1] op_sel_hi:[1,0]
	s_nop 0
	v_pk_add_f32 v[16:17], v[16:17], v[26:27] op_sel:[1,0] op_sel_hi:[0,1]
	v_mov_b32_e32 v25, v16
	v_pk_add_f32 v[28:29], v[24:25], v[30:31] neg_lo:[0,1] neg_hi:[0,1]
	v_mov_b32_e32 v23, v26
	v_sub_f32_e32 v17, v24, v28
	v_pk_add_f32 v[22:23], v[22:23], v[28:29] neg_lo:[0,1] neg_hi:[0,1]
	v_sub_f32_e32 v17, v30, v17
	v_add_f32_e32 v17, v22, v17
	v_add_f32_e32 v17, v17, v23
	;; [unrolled: 1-line block ×3, first 2 shown]
	v_cndmask_b32_e64 v16, v19, v16, s[10:11]
	s_mov_b32 s10, 0x33800000
	v_cmp_lt_f32_e64 s[10:11], |v15|, s10
	s_nop 1
	v_cndmask_b32_e64 v15, v16, v15, s[10:11]
	v_add_f32_e32 v6, v6, v15
	v_cvt_f16_f32_e32 v21, v6
	v_cvt_f32_f16_e32 v22, v21
.LBB351_214:
	s_or_b64 exec, exec, s[12:13]
	v_cvt_f32_f16_e32 v6, v7
	v_max_f32_e32 v15, v22, v22
	v_cmp_u_f16_e64 s[12:13], v21, v21
	v_cmp_u_f16_e64 s[10:11], v7, v7
	v_min_f32_e32 v16, v15, v6
	v_max_f32_e32 v15, v15, v6
	v_cndmask_b32_e64 v16, v16, v22, s[12:13]
	v_cndmask_b32_e64 v15, v15, v22, s[12:13]
	;; [unrolled: 1-line block ×4, first 2 shown]
	v_cmp_neq_f32_e64 s[12:13], v16, v15
	v_cmp_class_f32_e64 s[14:15], v16, s14
	s_or_b64 s[12:13], s[12:13], s[14:15]
	s_and_saveexec_b64 s[14:15], s[12:13]
	s_cbranch_execz .LBB351_216
; %bb.215:
	v_sub_f32_e32 v16, v16, v15
	s_mov_b32 s12, 0x3fb8aa3b
	v_mul_f32_e32 v17, 0x3fb8aa3b, v16
	v_fma_f32 v19, v16, s12, -v17
	v_rndne_f32_e32 v21, v17
	v_fmamk_f32 v19, v16, 0x32a5705f, v19
	v_sub_f32_e32 v17, v17, v21
	v_add_f32_e32 v17, v17, v19
	v_exp_f32_e32 v17, v17
	v_cvt_i32_f32_e32 v19, v21
	s_mov_b32 s12, 0xc2ce8ed0
	v_cmp_ngt_f32_e64 s[12:13], s12, v16
	s_mov_b32 s16, 0x7f800000
	v_ldexp_f32 v17, v17, v19
	v_cndmask_b32_e64 v17, 0, v17, s[12:13]
	s_mov_b32 s12, 0x42b17218
	v_mov_b32_e32 v19, 0x7f800000
	v_cmp_nlt_f32_e64 s[12:13], s12, v16
	s_nop 1
	v_cndmask_b32_e64 v21, v19, v17, s[12:13]
	v_add_f32_e32 v22, 1.0, v21
	v_add_f32_e32 v16, -1.0, v22
	v_sub_f32_e32 v17, v16, v22
	v_add_f32_e32 v17, 1.0, v17
	v_sub_f32_e32 v16, v21, v16
	v_add_f32_e32 v23, v16, v17
	v_frexp_mant_f32_e32 v24, v22
	s_mov_b32 s12, 0x3f2aaaab
	v_cvt_f64_f32_e32 v[16:17], v22
	v_frexp_exp_i32_f64_e32 v16, v[16:17]
	v_cmp_gt_f32_e64 s[12:13], s12, v24
	s_nop 1
	v_subbrev_co_u32_e64 v28, s[12:13], 0, v16, s[12:13]
	v_sub_u32_e32 v16, 0, v28
	v_ldexp_f32 v17, v22, v16
	v_add_f32_e32 v22, -1.0, v17
	v_add_f32_e32 v24, 1.0, v17
	v_ldexp_f32 v16, v23, v16
	v_add_f32_e32 v23, 1.0, v22
	v_add_f32_e32 v25, -1.0, v24
	v_sub_f32_e32 v23, v17, v23
	v_sub_f32_e32 v17, v17, v25
	v_add_f32_e32 v23, v16, v23
	v_add_f32_e32 v16, v16, v17
	;; [unrolled: 1-line block ×3, first 2 shown]
	v_rcp_f32_e32 v31, v29
	v_sub_f32_e32 v17, v24, v29
	v_add_f32_e32 v30, v16, v17
	v_add_f32_e32 v17, v22, v23
	v_mul_f32_e32 v33, v17, v31
	v_sub_f32_e32 v16, v22, v17
	v_mul_f32_e32 v22, v29, v33
	v_fma_f32 v24, v33, v29, -v22
	v_fmac_f32_e32 v24, v33, v30
	v_add_f32_e32 v32, v23, v16
	v_add_f32_e32 v16, v22, v24
	v_sub_f32_e32 v23, v17, v16
	v_pk_add_f32 v[26:27], v[16:17], v[22:23] neg_lo:[0,1] neg_hi:[0,1]
	v_mov_b32_e32 v25, v16
	v_pk_add_f32 v[16:17], v[26:27], v[24:25] neg_lo:[0,1] neg_hi:[0,1]
	s_mov_b32 s12, 0x3f317218
	v_add_f32_e32 v17, v32, v17
	v_add_f32_e32 v16, v16, v17
	;; [unrolled: 1-line block ×3, first 2 shown]
	v_mul_f32_e32 v32, v31, v17
	v_mul_f32_e32 v22, v29, v32
	v_fma_f32 v24, v32, v29, -v22
	v_fmac_f32_e32 v24, v32, v30
	v_sub_f32_e32 v23, v23, v17
	v_add_f32_e32 v29, v16, v23
	v_add_f32_e32 v16, v22, v24
	v_sub_f32_e32 v23, v17, v16
	v_pk_add_f32 v[26:27], v[16:17], v[22:23] neg_lo:[0,1] neg_hi:[0,1]
	v_mov_b32_e32 v25, v16
	v_pk_add_f32 v[16:17], v[26:27], v[24:25] neg_lo:[0,1] neg_hi:[0,1]
	v_cvt_f32_i32_e32 v22, v28
	v_add_f32_e32 v17, v29, v17
	v_add_f32_e32 v16, v16, v17
	;; [unrolled: 1-line block ×4, first 2 shown]
	v_sub_f32_e32 v17, v23, v33
	v_mul_f32_e32 v16, v31, v16
	v_sub_f32_e32 v17, v32, v17
	v_add_f32_e32 v16, v17, v16
	v_add_f32_e32 v24, v23, v16
	v_mul_f32_e32 v26, v24, v24
	v_mov_b32_e32 v17, 0x3ecc95a3
	v_sub_f32_e32 v23, v24, v23
	v_fmac_f32_e32 v17, 0x3e9b6dac, v26
	v_sub_f32_e32 v16, v16, v23
	v_fmaak_f32 v17, v26, v17, 0x3f2aaada
	v_ldexp_f32 v27, v16, 1
	v_mul_f32_e32 v23, v24, v26
	v_mov_b32_e32 v16, 0x3f317218
	v_pk_mul_f32 v[16:17], v[22:23], v[16:17]
	v_ldexp_f32 v25, v24, 1
	v_fma_f32 v23, v22, s12, -v16
	v_fmamk_f32 v24, v22, 0xb102e308, v23
	v_pk_add_f32 v[22:23], v[16:17], v[24:25]
	v_mov_b32_e32 v26, v16
	v_sub_f32_e32 v25, v23, v25
	v_sub_f32_e32 v25, v17, v25
	v_add_f32_e32 v27, v27, v25
	v_pk_add_f32 v[16:17], v[22:23], v[16:17] neg_lo:[0,1] neg_hi:[0,1]
	v_pk_add_f32 v[28:29], v[22:23], v[26:27]
	v_mov_b32_e32 v25, v22
	v_mov_b32_e32 v17, v29
	v_pk_add_f32 v[30:31], v[24:25], v[16:17] neg_lo:[0,1] neg_hi:[0,1]
	v_pk_add_f32 v[16:17], v[24:25], v[16:17]
	v_mov_b32_e32 v26, v27
	v_pk_add_f32 v[24:25], v[16:17], v[22:23] op_sel:[1,0] op_sel_hi:[0,1] neg_lo:[0,1] neg_hi:[0,1]
	v_pk_add_f32 v[32:33], v[28:29], v[24:25] op_sel_hi:[1,0] neg_lo:[0,1] neg_hi:[0,1]
	v_mov_b32_e32 v28, v29
	v_mov_b32_e32 v29, v17
	v_pk_mov_b32 v[24:25], v[22:23], v[24:25] op_sel:[1,0]
	v_mov_b32_e32 v27, v22
	v_pk_add_f32 v[24:25], v[28:29], v[24:25] neg_lo:[0,1] neg_hi:[0,1]
	v_mov_b32_e32 v32, v30
	v_pk_add_f32 v[22:23], v[26:27], v[24:25] neg_lo:[0,1] neg_hi:[0,1]
	v_mov_b32_e32 v31, v17
	v_pk_add_f32 v[24:25], v[32:33], v[22:23]
	v_cmp_neq_f32_e64 s[12:13], s16, v21
	v_pk_add_f32 v[26:27], v[24:25], v[24:25] op_sel:[0,1] op_sel_hi:[1,0]
	s_nop 0
	v_pk_add_f32 v[16:17], v[16:17], v[26:27] op_sel:[1,0] op_sel_hi:[0,1]
	v_mov_b32_e32 v25, v16
	v_pk_add_f32 v[28:29], v[24:25], v[30:31] neg_lo:[0,1] neg_hi:[0,1]
	v_mov_b32_e32 v23, v26
	v_sub_f32_e32 v17, v24, v28
	v_pk_add_f32 v[22:23], v[22:23], v[28:29] neg_lo:[0,1] neg_hi:[0,1]
	v_sub_f32_e32 v17, v30, v17
	v_add_f32_e32 v17, v22, v17
	v_add_f32_e32 v17, v17, v23
	;; [unrolled: 1-line block ×3, first 2 shown]
	v_cndmask_b32_e64 v16, v19, v16, s[12:13]
	s_mov_b32 s12, 0x33800000
	v_cmp_lt_f32_e64 s[12:13], |v21|, s12
	s_nop 1
	v_cndmask_b32_e64 v16, v16, v21, s[12:13]
	v_add_f32_e32 v15, v15, v16
	v_cvt_f16_f32_e32 v21, v15
	v_cvt_f32_f16_e32 v22, v21
.LBB351_216:
	s_or_b64 exec, exec, s[14:15]
	v_cvt_f32_f16_sdwa v15, v7 dst_sel:DWORD dst_unused:UNUSED_PAD src0_sel:WORD_1
	v_max_f32_e32 v17, v22, v22
	v_cmp_u_f16_e64 s[14:15], v21, v21
	v_cmp_u_f16_sdwa s[12:13], v7, v7 src0_sel:WORD_1 src1_sel:WORD_1
	v_min_f32_e32 v16, v17, v15
	v_max_f32_e32 v7, v17, v15
	v_cndmask_b32_e64 v16, v16, v22, s[14:15]
	v_cndmask_b32_e64 v7, v7, v22, s[14:15]
	;; [unrolled: 1-line block ×4, first 2 shown]
	s_movk_i32 s18, 0x1f8
	v_cmp_neq_f32_e64 s[14:15], v16, v7
	v_cmp_class_f32_e64 s[16:17], v16, s18
	s_or_b64 s[14:15], s[14:15], s[16:17]
	s_and_saveexec_b64 s[16:17], s[14:15]
	s_cbranch_execz .LBB351_218
; %bb.217:
	v_sub_f32_e32 v16, v16, v7
	s_mov_b32 s14, 0x3fb8aa3b
	v_mul_f32_e32 v17, 0x3fb8aa3b, v16
	v_fma_f32 v19, v16, s14, -v17
	v_rndne_f32_e32 v21, v17
	v_fmamk_f32 v19, v16, 0x32a5705f, v19
	v_sub_f32_e32 v17, v17, v21
	v_add_f32_e32 v17, v17, v19
	v_exp_f32_e32 v17, v17
	v_cvt_i32_f32_e32 v19, v21
	s_mov_b32 s14, 0xc2ce8ed0
	v_cmp_ngt_f32_e64 s[14:15], s14, v16
	s_mov_b32 s19, 0x7f800000
	v_ldexp_f32 v17, v17, v19
	v_cndmask_b32_e64 v17, 0, v17, s[14:15]
	s_mov_b32 s14, 0x42b17218
	v_mov_b32_e32 v19, 0x7f800000
	v_cmp_nlt_f32_e64 s[14:15], s14, v16
	s_nop 1
	v_cndmask_b32_e64 v21, v19, v17, s[14:15]
	v_add_f32_e32 v22, 1.0, v21
	v_add_f32_e32 v16, -1.0, v22
	v_sub_f32_e32 v17, v16, v22
	v_add_f32_e32 v17, 1.0, v17
	v_sub_f32_e32 v16, v21, v16
	v_add_f32_e32 v23, v16, v17
	v_frexp_mant_f32_e32 v24, v22
	s_mov_b32 s14, 0x3f2aaaab
	v_cvt_f64_f32_e32 v[16:17], v22
	v_frexp_exp_i32_f64_e32 v16, v[16:17]
	v_cmp_gt_f32_e64 s[14:15], s14, v24
	s_nop 1
	v_subbrev_co_u32_e64 v28, s[14:15], 0, v16, s[14:15]
	v_sub_u32_e32 v16, 0, v28
	v_ldexp_f32 v17, v22, v16
	v_add_f32_e32 v22, -1.0, v17
	v_add_f32_e32 v24, 1.0, v17
	v_ldexp_f32 v16, v23, v16
	v_add_f32_e32 v23, 1.0, v22
	v_add_f32_e32 v25, -1.0, v24
	v_sub_f32_e32 v23, v17, v23
	v_sub_f32_e32 v17, v17, v25
	v_add_f32_e32 v23, v16, v23
	v_add_f32_e32 v16, v16, v17
	;; [unrolled: 1-line block ×3, first 2 shown]
	v_rcp_f32_e32 v31, v29
	v_sub_f32_e32 v17, v24, v29
	v_add_f32_e32 v30, v16, v17
	v_add_f32_e32 v17, v22, v23
	v_mul_f32_e32 v33, v17, v31
	v_sub_f32_e32 v16, v22, v17
	v_mul_f32_e32 v22, v29, v33
	v_fma_f32 v24, v33, v29, -v22
	v_fmac_f32_e32 v24, v33, v30
	v_add_f32_e32 v32, v23, v16
	v_add_f32_e32 v16, v22, v24
	v_sub_f32_e32 v23, v17, v16
	v_pk_add_f32 v[26:27], v[16:17], v[22:23] neg_lo:[0,1] neg_hi:[0,1]
	v_mov_b32_e32 v25, v16
	v_pk_add_f32 v[16:17], v[26:27], v[24:25] neg_lo:[0,1] neg_hi:[0,1]
	s_mov_b32 s14, 0x3f317218
	v_add_f32_e32 v17, v32, v17
	v_add_f32_e32 v16, v16, v17
	;; [unrolled: 1-line block ×3, first 2 shown]
	v_mul_f32_e32 v32, v31, v17
	v_mul_f32_e32 v22, v29, v32
	v_fma_f32 v24, v32, v29, -v22
	v_fmac_f32_e32 v24, v32, v30
	v_sub_f32_e32 v23, v23, v17
	v_add_f32_e32 v29, v16, v23
	v_add_f32_e32 v16, v22, v24
	v_sub_f32_e32 v23, v17, v16
	v_pk_add_f32 v[26:27], v[16:17], v[22:23] neg_lo:[0,1] neg_hi:[0,1]
	v_mov_b32_e32 v25, v16
	v_pk_add_f32 v[16:17], v[26:27], v[24:25] neg_lo:[0,1] neg_hi:[0,1]
	v_cvt_f32_i32_e32 v22, v28
	v_add_f32_e32 v17, v29, v17
	v_add_f32_e32 v16, v16, v17
	;; [unrolled: 1-line block ×4, first 2 shown]
	v_sub_f32_e32 v17, v23, v33
	v_mul_f32_e32 v16, v31, v16
	v_sub_f32_e32 v17, v32, v17
	v_add_f32_e32 v16, v17, v16
	v_add_f32_e32 v24, v23, v16
	v_mul_f32_e32 v26, v24, v24
	v_mov_b32_e32 v17, 0x3ecc95a3
	v_sub_f32_e32 v23, v24, v23
	v_fmac_f32_e32 v17, 0x3e9b6dac, v26
	v_sub_f32_e32 v16, v16, v23
	v_fmaak_f32 v17, v26, v17, 0x3f2aaada
	v_ldexp_f32 v27, v16, 1
	v_mul_f32_e32 v23, v24, v26
	v_mov_b32_e32 v16, 0x3f317218
	v_pk_mul_f32 v[16:17], v[22:23], v[16:17]
	v_ldexp_f32 v25, v24, 1
	v_fma_f32 v23, v22, s14, -v16
	v_fmamk_f32 v24, v22, 0xb102e308, v23
	v_pk_add_f32 v[22:23], v[16:17], v[24:25]
	v_mov_b32_e32 v26, v16
	v_sub_f32_e32 v25, v23, v25
	v_sub_f32_e32 v25, v17, v25
	v_add_f32_e32 v27, v27, v25
	v_pk_add_f32 v[16:17], v[22:23], v[16:17] neg_lo:[0,1] neg_hi:[0,1]
	v_pk_add_f32 v[28:29], v[22:23], v[26:27]
	v_mov_b32_e32 v25, v22
	v_mov_b32_e32 v17, v29
	v_pk_add_f32 v[30:31], v[24:25], v[16:17] neg_lo:[0,1] neg_hi:[0,1]
	v_pk_add_f32 v[16:17], v[24:25], v[16:17]
	v_mov_b32_e32 v26, v27
	v_pk_add_f32 v[24:25], v[16:17], v[22:23] op_sel:[1,0] op_sel_hi:[0,1] neg_lo:[0,1] neg_hi:[0,1]
	v_pk_add_f32 v[32:33], v[28:29], v[24:25] op_sel_hi:[1,0] neg_lo:[0,1] neg_hi:[0,1]
	v_mov_b32_e32 v28, v29
	v_mov_b32_e32 v29, v17
	v_pk_mov_b32 v[24:25], v[22:23], v[24:25] op_sel:[1,0]
	v_mov_b32_e32 v27, v22
	v_pk_add_f32 v[24:25], v[28:29], v[24:25] neg_lo:[0,1] neg_hi:[0,1]
	v_mov_b32_e32 v32, v30
	v_pk_add_f32 v[22:23], v[26:27], v[24:25] neg_lo:[0,1] neg_hi:[0,1]
	v_mov_b32_e32 v31, v17
	v_pk_add_f32 v[24:25], v[32:33], v[22:23]
	v_cmp_neq_f32_e64 s[14:15], s19, v21
	v_pk_add_f32 v[26:27], v[24:25], v[24:25] op_sel:[0,1] op_sel_hi:[1,0]
	s_nop 0
	v_pk_add_f32 v[16:17], v[16:17], v[26:27] op_sel:[1,0] op_sel_hi:[0,1]
	v_mov_b32_e32 v25, v16
	v_pk_add_f32 v[28:29], v[24:25], v[30:31] neg_lo:[0,1] neg_hi:[0,1]
	v_mov_b32_e32 v23, v26
	v_sub_f32_e32 v17, v24, v28
	v_pk_add_f32 v[22:23], v[22:23], v[28:29] neg_lo:[0,1] neg_hi:[0,1]
	v_sub_f32_e32 v17, v30, v17
	v_add_f32_e32 v17, v22, v17
	v_add_f32_e32 v17, v17, v23
	;; [unrolled: 1-line block ×3, first 2 shown]
	v_cndmask_b32_e64 v16, v19, v16, s[14:15]
	s_mov_b32 s14, 0x33800000
	v_cmp_lt_f32_e64 s[14:15], |v21|, s14
	s_nop 1
	v_cndmask_b32_e64 v16, v16, v21, s[14:15]
	v_add_f32_e32 v7, v7, v16
	v_cvt_f16_f32_e32 v21, v7
	v_cvt_f32_f16_e32 v22, v21
.LBB351_218:
	s_or_b64 exec, exec, s[16:17]
	v_cvt_f32_f16_e32 v7, v4
	v_max_f32_e32 v16, v22, v22
	v_cmp_u_f16_e64 s[16:17], v21, v21
	v_cmp_u_f16_e64 s[14:15], v4, v4
	v_min_f32_e32 v17, v16, v7
	v_max_f32_e32 v16, v16, v7
	v_cndmask_b32_e64 v17, v17, v22, s[16:17]
	v_cndmask_b32_e64 v16, v16, v22, s[16:17]
	;; [unrolled: 1-line block ×4, first 2 shown]
	v_cmp_neq_f32_e64 s[16:17], v17, v16
	v_cmp_class_f32_e64 s[18:19], v17, s18
	s_or_b64 s[16:17], s[16:17], s[18:19]
	s_and_saveexec_b64 s[18:19], s[16:17]
	s_cbranch_execz .LBB351_220
; %bb.219:
	v_sub_f32_e32 v17, v17, v16
	s_mov_b32 s16, 0x3fb8aa3b
	v_mul_f32_e32 v19, 0x3fb8aa3b, v17
	v_fma_f32 v21, v17, s16, -v19
	v_rndne_f32_e32 v22, v19
	v_fmamk_f32 v21, v17, 0x32a5705f, v21
	v_sub_f32_e32 v19, v19, v22
	v_add_f32_e32 v19, v19, v21
	v_exp_f32_e32 v19, v19
	v_cvt_i32_f32_e32 v21, v22
	s_mov_b32 s16, 0xc2ce8ed0
	v_cmp_ngt_f32_e64 s[16:17], s16, v17
	s_mov_b32 s20, 0x7f800000
	v_ldexp_f32 v19, v19, v21
	v_cndmask_b32_e64 v19, 0, v19, s[16:17]
	s_mov_b32 s16, 0x42b17218
	v_mov_b32_e32 v21, 0x7f800000
	v_cmp_nlt_f32_e64 s[16:17], s16, v17
	s_nop 1
	v_cndmask_b32_e64 v17, v21, v19, s[16:17]
	v_add_f32_e32 v19, 1.0, v17
	v_add_f32_e32 v22, -1.0, v19
	v_sub_f32_e32 v23, v22, v19
	v_add_f32_e32 v23, 1.0, v23
	v_sub_f32_e32 v22, v17, v22
	v_add_f32_e32 v24, v22, v23
	v_frexp_mant_f32_e32 v25, v19
	s_mov_b32 s16, 0x3f2aaaab
	v_cvt_f64_f32_e32 v[22:23], v19
	v_frexp_exp_i32_f64_e32 v22, v[22:23]
	v_cmp_gt_f32_e64 s[16:17], s16, v25
	s_nop 1
	v_subbrev_co_u32_e64 v30, s[16:17], 0, v22, s[16:17]
	v_sub_u32_e32 v22, 0, v30
	v_ldexp_f32 v19, v19, v22
	v_ldexp_f32 v22, v24, v22
	v_add_f32_e32 v24, -1.0, v19
	v_add_f32_e32 v23, 1.0, v24
	v_sub_f32_e32 v23, v19, v23
	v_add_f32_e32 v25, v22, v23
	v_add_f32_e32 v23, 1.0, v19
	v_add_f32_e32 v26, -1.0, v23
	v_sub_f32_e32 v19, v19, v26
	v_add_f32_e32 v19, v22, v19
	v_add_f32_e32 v31, v23, v19
	v_rcp_f32_e32 v32, v31
	v_sub_f32_e32 v22, v23, v31
	v_add_f32_e32 v23, v24, v25
	v_add_f32_e32 v19, v19, v22
	v_mul_f32_e32 v34, v23, v32
	v_sub_f32_e32 v22, v24, v23
	v_mul_f32_e32 v24, v31, v34
	v_fma_f32 v26, v34, v31, -v24
	v_fmac_f32_e32 v26, v34, v19
	v_add_f32_e32 v33, v25, v22
	v_add_f32_e32 v22, v24, v26
	v_sub_f32_e32 v25, v23, v22
	v_pk_add_f32 v[28:29], v[22:23], v[24:25] neg_lo:[0,1] neg_hi:[0,1]
	v_mov_b32_e32 v27, v22
	v_pk_add_f32 v[22:23], v[28:29], v[26:27] neg_lo:[0,1] neg_hi:[0,1]
	s_mov_b32 s16, 0x3f317218
	v_add_f32_e32 v23, v33, v23
	v_add_f32_e32 v22, v22, v23
	;; [unrolled: 1-line block ×3, first 2 shown]
	v_mul_f32_e32 v33, v32, v23
	v_mul_f32_e32 v24, v31, v33
	v_fma_f32 v26, v33, v31, -v24
	v_fmac_f32_e32 v26, v33, v19
	v_sub_f32_e32 v19, v25, v23
	v_add_f32_e32 v19, v22, v19
	v_add_f32_e32 v22, v24, v26
	v_sub_f32_e32 v25, v23, v22
	v_pk_add_f32 v[28:29], v[22:23], v[24:25] neg_lo:[0,1] neg_hi:[0,1]
	v_mov_b32_e32 v27, v22
	v_pk_add_f32 v[22:23], v[28:29], v[26:27] neg_lo:[0,1] neg_hi:[0,1]
	v_cvt_f32_i32_e32 v24, v30
	v_add_f32_e32 v19, v19, v23
	v_add_f32_e32 v19, v22, v19
	;; [unrolled: 1-line block ×4, first 2 shown]
	v_sub_f32_e32 v23, v22, v34
	v_mul_f32_e32 v19, v32, v19
	v_sub_f32_e32 v23, v33, v23
	v_add_f32_e32 v19, v23, v19
	v_add_f32_e32 v25, v22, v19
	v_mul_f32_e32 v26, v25, v25
	v_mov_b32_e32 v23, 0x3ecc95a3
	v_fmac_f32_e32 v23, 0x3e9b6dac, v26
	v_sub_f32_e32 v22, v25, v22
	v_fmaak_f32 v23, v26, v23, 0x3f2aaada
	v_sub_f32_e32 v19, v19, v22
	v_ldexp_f32 v27, v25, 1
	v_mul_f32_e32 v25, v25, v26
	v_mov_b32_e32 v22, 0x3f317218
	v_pk_mul_f32 v[22:23], v[24:25], v[22:23]
	v_ldexp_f32 v19, v19, 1
	v_fma_f32 v25, v24, s16, -v22
	v_fmamk_f32 v26, v24, 0xb102e308, v25
	v_pk_add_f32 v[24:25], v[22:23], v[26:27]
	v_mov_b32_e32 v28, v22
	v_sub_f32_e32 v27, v25, v27
	v_sub_f32_e32 v27, v23, v27
	v_add_f32_e32 v29, v19, v27
	v_pk_add_f32 v[22:23], v[24:25], v[22:23] neg_lo:[0,1] neg_hi:[0,1]
	v_pk_add_f32 v[30:31], v[24:25], v[28:29]
	v_mov_b32_e32 v27, v24
	v_mov_b32_e32 v23, v31
	v_pk_add_f32 v[32:33], v[26:27], v[22:23] neg_lo:[0,1] neg_hi:[0,1]
	v_pk_add_f32 v[22:23], v[26:27], v[22:23]
	v_mov_b32_e32 v28, v29
	v_pk_add_f32 v[26:27], v[22:23], v[24:25] op_sel:[1,0] op_sel_hi:[0,1] neg_lo:[0,1] neg_hi:[0,1]
	v_pk_add_f32 v[34:35], v[30:31], v[26:27] op_sel_hi:[1,0] neg_lo:[0,1] neg_hi:[0,1]
	v_mov_b32_e32 v30, v31
	v_mov_b32_e32 v31, v23
	v_pk_mov_b32 v[26:27], v[24:25], v[26:27] op_sel:[1,0]
	v_mov_b32_e32 v29, v24
	v_pk_add_f32 v[26:27], v[30:31], v[26:27] neg_lo:[0,1] neg_hi:[0,1]
	v_mov_b32_e32 v34, v32
	v_pk_add_f32 v[24:25], v[28:29], v[26:27] neg_lo:[0,1] neg_hi:[0,1]
	v_mov_b32_e32 v33, v23
	v_pk_add_f32 v[26:27], v[34:35], v[24:25]
	v_cmp_neq_f32_e64 s[16:17], s20, v17
	v_pk_add_f32 v[28:29], v[26:27], v[26:27] op_sel:[0,1] op_sel_hi:[1,0]
	s_nop 0
	v_pk_add_f32 v[22:23], v[22:23], v[28:29] op_sel:[1,0] op_sel_hi:[0,1]
	v_mov_b32_e32 v27, v22
	v_pk_add_f32 v[30:31], v[26:27], v[32:33] neg_lo:[0,1] neg_hi:[0,1]
	v_mov_b32_e32 v25, v28
	v_sub_f32_e32 v19, v26, v30
	v_pk_add_f32 v[24:25], v[24:25], v[30:31] neg_lo:[0,1] neg_hi:[0,1]
	v_sub_f32_e32 v19, v32, v19
	v_add_f32_e32 v19, v24, v19
	v_add_f32_e32 v19, v19, v25
	;; [unrolled: 1-line block ×3, first 2 shown]
	v_cndmask_b32_e64 v19, v21, v19, s[16:17]
	s_mov_b32 s16, 0x33800000
	v_cmp_lt_f32_e64 s[16:17], |v17|, s16
	s_nop 1
	v_cndmask_b32_e64 v17, v19, v17, s[16:17]
	v_add_f32_e32 v16, v16, v17
	v_cvt_f16_f32_e32 v21, v16
	v_cvt_f32_f16_e32 v22, v21
.LBB351_220:
	s_or_b64 exec, exec, s[18:19]
	v_cvt_f32_f16_sdwa v16, v4 dst_sel:DWORD dst_unused:UNUSED_PAD src0_sel:WORD_1
	v_max_f32_e32 v19, v22, v22
	v_cmp_u_f16_e64 s[18:19], v21, v21
	v_cmp_u_f16_sdwa s[16:17], v4, v4 src0_sel:WORD_1 src1_sel:WORD_1
	v_min_f32_e32 v17, v19, v16
	v_max_f32_e32 v4, v19, v16
	v_cndmask_b32_e64 v17, v17, v22, s[18:19]
	v_cndmask_b32_e64 v4, v4, v22, s[18:19]
	;; [unrolled: 1-line block ×4, first 2 shown]
	s_movk_i32 s22, 0x1f8
	v_cmp_neq_f32_e64 s[18:19], v17, v4
	v_cmp_class_f32_e64 s[20:21], v17, s22
	s_or_b64 s[18:19], s[18:19], s[20:21]
	s_and_saveexec_b64 s[20:21], s[18:19]
	s_cbranch_execz .LBB351_222
; %bb.221:
	v_sub_f32_e32 v17, v17, v4
	s_mov_b32 s18, 0x3fb8aa3b
	v_mul_f32_e32 v19, 0x3fb8aa3b, v17
	v_fma_f32 v21, v17, s18, -v19
	v_rndne_f32_e32 v22, v19
	v_fmamk_f32 v21, v17, 0x32a5705f, v21
	v_sub_f32_e32 v19, v19, v22
	v_add_f32_e32 v19, v19, v21
	v_exp_f32_e32 v19, v19
	v_cvt_i32_f32_e32 v21, v22
	s_mov_b32 s18, 0xc2ce8ed0
	v_cmp_ngt_f32_e64 s[18:19], s18, v17
	s_mov_b32 s23, 0x7f800000
	v_ldexp_f32 v19, v19, v21
	v_cndmask_b32_e64 v19, 0, v19, s[18:19]
	s_mov_b32 s18, 0x42b17218
	v_mov_b32_e32 v21, 0x7f800000
	v_cmp_nlt_f32_e64 s[18:19], s18, v17
	s_nop 1
	v_cndmask_b32_e64 v17, v21, v19, s[18:19]
	v_add_f32_e32 v19, 1.0, v17
	v_add_f32_e32 v22, -1.0, v19
	v_sub_f32_e32 v23, v22, v19
	v_add_f32_e32 v23, 1.0, v23
	v_sub_f32_e32 v22, v17, v22
	v_add_f32_e32 v24, v22, v23
	v_frexp_mant_f32_e32 v25, v19
	s_mov_b32 s18, 0x3f2aaaab
	v_cvt_f64_f32_e32 v[22:23], v19
	v_frexp_exp_i32_f64_e32 v22, v[22:23]
	v_cmp_gt_f32_e64 s[18:19], s18, v25
	s_nop 1
	v_subbrev_co_u32_e64 v30, s[18:19], 0, v22, s[18:19]
	v_sub_u32_e32 v22, 0, v30
	v_ldexp_f32 v19, v19, v22
	v_ldexp_f32 v22, v24, v22
	v_add_f32_e32 v24, -1.0, v19
	v_add_f32_e32 v23, 1.0, v24
	v_sub_f32_e32 v23, v19, v23
	v_add_f32_e32 v25, v22, v23
	v_add_f32_e32 v23, 1.0, v19
	v_add_f32_e32 v26, -1.0, v23
	v_sub_f32_e32 v19, v19, v26
	v_add_f32_e32 v19, v22, v19
	v_add_f32_e32 v31, v23, v19
	v_rcp_f32_e32 v32, v31
	v_sub_f32_e32 v22, v23, v31
	v_add_f32_e32 v23, v24, v25
	v_add_f32_e32 v19, v19, v22
	v_mul_f32_e32 v34, v23, v32
	v_sub_f32_e32 v22, v24, v23
	v_mul_f32_e32 v24, v31, v34
	v_fma_f32 v26, v34, v31, -v24
	v_fmac_f32_e32 v26, v34, v19
	v_add_f32_e32 v33, v25, v22
	v_add_f32_e32 v22, v24, v26
	v_sub_f32_e32 v25, v23, v22
	v_pk_add_f32 v[28:29], v[22:23], v[24:25] neg_lo:[0,1] neg_hi:[0,1]
	v_mov_b32_e32 v27, v22
	v_pk_add_f32 v[22:23], v[28:29], v[26:27] neg_lo:[0,1] neg_hi:[0,1]
	s_mov_b32 s18, 0x3f317218
	v_add_f32_e32 v23, v33, v23
	v_add_f32_e32 v22, v22, v23
	;; [unrolled: 1-line block ×3, first 2 shown]
	v_mul_f32_e32 v33, v32, v23
	v_mul_f32_e32 v24, v31, v33
	v_fma_f32 v26, v33, v31, -v24
	v_fmac_f32_e32 v26, v33, v19
	v_sub_f32_e32 v19, v25, v23
	v_add_f32_e32 v19, v22, v19
	v_add_f32_e32 v22, v24, v26
	v_sub_f32_e32 v25, v23, v22
	v_pk_add_f32 v[28:29], v[22:23], v[24:25] neg_lo:[0,1] neg_hi:[0,1]
	v_mov_b32_e32 v27, v22
	v_pk_add_f32 v[22:23], v[28:29], v[26:27] neg_lo:[0,1] neg_hi:[0,1]
	v_cvt_f32_i32_e32 v24, v30
	v_add_f32_e32 v19, v19, v23
	v_add_f32_e32 v19, v22, v19
	;; [unrolled: 1-line block ×4, first 2 shown]
	v_sub_f32_e32 v23, v22, v34
	v_mul_f32_e32 v19, v32, v19
	v_sub_f32_e32 v23, v33, v23
	v_add_f32_e32 v19, v23, v19
	v_add_f32_e32 v25, v22, v19
	v_mul_f32_e32 v26, v25, v25
	v_mov_b32_e32 v23, 0x3ecc95a3
	v_fmac_f32_e32 v23, 0x3e9b6dac, v26
	v_sub_f32_e32 v22, v25, v22
	v_fmaak_f32 v23, v26, v23, 0x3f2aaada
	v_sub_f32_e32 v19, v19, v22
	v_ldexp_f32 v27, v25, 1
	v_mul_f32_e32 v25, v25, v26
	v_mov_b32_e32 v22, 0x3f317218
	v_pk_mul_f32 v[22:23], v[24:25], v[22:23]
	v_ldexp_f32 v19, v19, 1
	v_fma_f32 v25, v24, s18, -v22
	v_fmamk_f32 v26, v24, 0xb102e308, v25
	v_pk_add_f32 v[24:25], v[22:23], v[26:27]
	v_mov_b32_e32 v28, v22
	v_sub_f32_e32 v27, v25, v27
	v_sub_f32_e32 v27, v23, v27
	v_add_f32_e32 v29, v19, v27
	v_pk_add_f32 v[22:23], v[24:25], v[22:23] neg_lo:[0,1] neg_hi:[0,1]
	v_pk_add_f32 v[30:31], v[24:25], v[28:29]
	v_mov_b32_e32 v27, v24
	v_mov_b32_e32 v23, v31
	v_pk_add_f32 v[32:33], v[26:27], v[22:23] neg_lo:[0,1] neg_hi:[0,1]
	v_pk_add_f32 v[22:23], v[26:27], v[22:23]
	v_mov_b32_e32 v28, v29
	v_pk_add_f32 v[26:27], v[22:23], v[24:25] op_sel:[1,0] op_sel_hi:[0,1] neg_lo:[0,1] neg_hi:[0,1]
	v_pk_add_f32 v[34:35], v[30:31], v[26:27] op_sel_hi:[1,0] neg_lo:[0,1] neg_hi:[0,1]
	v_mov_b32_e32 v30, v31
	v_mov_b32_e32 v31, v23
	v_pk_mov_b32 v[26:27], v[24:25], v[26:27] op_sel:[1,0]
	v_mov_b32_e32 v29, v24
	v_pk_add_f32 v[26:27], v[30:31], v[26:27] neg_lo:[0,1] neg_hi:[0,1]
	v_mov_b32_e32 v34, v32
	v_pk_add_f32 v[24:25], v[28:29], v[26:27] neg_lo:[0,1] neg_hi:[0,1]
	v_mov_b32_e32 v33, v23
	v_pk_add_f32 v[26:27], v[34:35], v[24:25]
	v_cmp_neq_f32_e64 s[18:19], s23, v17
	v_pk_add_f32 v[28:29], v[26:27], v[26:27] op_sel:[0,1] op_sel_hi:[1,0]
	s_nop 0
	v_pk_add_f32 v[22:23], v[22:23], v[28:29] op_sel:[1,0] op_sel_hi:[0,1]
	v_mov_b32_e32 v27, v22
	v_pk_add_f32 v[30:31], v[26:27], v[32:33] neg_lo:[0,1] neg_hi:[0,1]
	v_mov_b32_e32 v25, v28
	v_sub_f32_e32 v19, v26, v30
	v_pk_add_f32 v[24:25], v[24:25], v[30:31] neg_lo:[0,1] neg_hi:[0,1]
	v_sub_f32_e32 v19, v32, v19
	v_add_f32_e32 v19, v24, v19
	v_add_f32_e32 v19, v19, v25
	;; [unrolled: 1-line block ×3, first 2 shown]
	v_cndmask_b32_e64 v19, v21, v19, s[18:19]
	s_mov_b32 s18, 0x33800000
	v_cmp_lt_f32_e64 s[18:19], |v17|, s18
	s_nop 1
	v_cndmask_b32_e64 v17, v19, v17, s[18:19]
	v_add_f32_e32 v4, v4, v17
	v_cvt_f16_f32_e32 v21, v4
	v_cvt_f32_f16_e32 v22, v21
.LBB351_222:
	s_or_b64 exec, exec, s[20:21]
	v_cvt_f32_f16_e32 v4, v5
	v_max_f32_e32 v17, v22, v22
	v_cmp_u_f16_e64 s[20:21], v21, v21
	v_cmp_u_f16_e64 s[18:19], v5, v5
	v_min_f32_e32 v19, v17, v4
	v_max_f32_e32 v17, v17, v4
	v_cndmask_b32_e64 v19, v19, v22, s[20:21]
	v_cndmask_b32_e64 v17, v17, v22, s[20:21]
	;; [unrolled: 1-line block ×4, first 2 shown]
	v_cmp_neq_f32_e64 s[20:21], v19, v17
	v_cmp_class_f32_e64 s[22:23], v19, s22
	s_or_b64 s[20:21], s[20:21], s[22:23]
	s_and_saveexec_b64 s[22:23], s[20:21]
	s_cbranch_execz .LBB351_224
; %bb.223:
	v_sub_f32_e32 v19, v19, v17
	s_mov_b32 s20, 0x3fb8aa3b
	v_mul_f32_e32 v21, 0x3fb8aa3b, v19
	v_fma_f32 v22, v19, s20, -v21
	v_rndne_f32_e32 v23, v21
	v_fmamk_f32 v22, v19, 0x32a5705f, v22
	v_sub_f32_e32 v21, v21, v23
	v_add_f32_e32 v21, v21, v22
	v_exp_f32_e32 v21, v21
	v_cvt_i32_f32_e32 v22, v23
	s_mov_b32 s20, 0xc2ce8ed0
	v_cmp_ngt_f32_e64 s[20:21], s20, v19
	v_mov_b32_e32 v36, 0x7f800000
	v_ldexp_f32 v21, v21, v22
	v_cndmask_b32_e64 v21, 0, v21, s[20:21]
	s_mov_b32 s20, 0x42b17218
	v_cmp_nlt_f32_e64 s[20:21], s20, v19
	s_mov_b32 s24, 0x7f800000
	s_nop 0
	v_cndmask_b32_e64 v19, v36, v21, s[20:21]
	v_add_f32_e32 v21, 1.0, v19
	v_add_f32_e32 v22, -1.0, v21
	v_sub_f32_e32 v23, v22, v21
	v_add_f32_e32 v23, 1.0, v23
	v_sub_f32_e32 v22, v19, v22
	v_add_f32_e32 v24, v22, v23
	v_frexp_mant_f32_e32 v25, v21
	s_mov_b32 s20, 0x3f2aaaab
	v_cvt_f64_f32_e32 v[22:23], v21
	v_frexp_exp_i32_f64_e32 v22, v[22:23]
	v_cmp_gt_f32_e64 s[20:21], s20, v25
	s_nop 1
	v_subbrev_co_u32_e64 v30, s[20:21], 0, v22, s[20:21]
	v_sub_u32_e32 v22, 0, v30
	v_ldexp_f32 v21, v21, v22
	v_ldexp_f32 v22, v24, v22
	v_add_f32_e32 v24, -1.0, v21
	v_add_f32_e32 v23, 1.0, v24
	v_sub_f32_e32 v23, v21, v23
	v_add_f32_e32 v25, v22, v23
	v_add_f32_e32 v23, 1.0, v21
	v_add_f32_e32 v26, -1.0, v23
	v_sub_f32_e32 v21, v21, v26
	v_add_f32_e32 v21, v22, v21
	v_add_f32_e32 v31, v23, v21
	v_rcp_f32_e32 v32, v31
	v_sub_f32_e32 v22, v23, v31
	v_add_f32_e32 v23, v24, v25
	v_add_f32_e32 v21, v21, v22
	v_mul_f32_e32 v34, v23, v32
	v_sub_f32_e32 v22, v24, v23
	v_mul_f32_e32 v24, v31, v34
	v_fma_f32 v26, v34, v31, -v24
	v_fmac_f32_e32 v26, v34, v21
	v_add_f32_e32 v33, v25, v22
	v_add_f32_e32 v22, v24, v26
	v_sub_f32_e32 v25, v23, v22
	v_pk_add_f32 v[28:29], v[22:23], v[24:25] neg_lo:[0,1] neg_hi:[0,1]
	v_mov_b32_e32 v27, v22
	v_pk_add_f32 v[22:23], v[28:29], v[26:27] neg_lo:[0,1] neg_hi:[0,1]
	s_mov_b32 s20, 0x3f317218
	v_add_f32_e32 v23, v33, v23
	v_add_f32_e32 v22, v22, v23
	;; [unrolled: 1-line block ×3, first 2 shown]
	v_mul_f32_e32 v33, v32, v23
	v_mul_f32_e32 v24, v31, v33
	v_fma_f32 v26, v33, v31, -v24
	v_fmac_f32_e32 v26, v33, v21
	v_sub_f32_e32 v21, v25, v23
	v_add_f32_e32 v21, v22, v21
	v_add_f32_e32 v22, v24, v26
	v_sub_f32_e32 v25, v23, v22
	v_pk_add_f32 v[28:29], v[22:23], v[24:25] neg_lo:[0,1] neg_hi:[0,1]
	v_mov_b32_e32 v27, v22
	v_pk_add_f32 v[22:23], v[28:29], v[26:27] neg_lo:[0,1] neg_hi:[0,1]
	v_cvt_f32_i32_e32 v24, v30
	v_add_f32_e32 v21, v21, v23
	v_add_f32_e32 v21, v22, v21
	;; [unrolled: 1-line block ×4, first 2 shown]
	v_sub_f32_e32 v23, v22, v34
	v_mul_f32_e32 v21, v32, v21
	v_sub_f32_e32 v23, v33, v23
	v_add_f32_e32 v21, v23, v21
	v_add_f32_e32 v25, v22, v21
	v_mul_f32_e32 v26, v25, v25
	v_mov_b32_e32 v23, 0x3ecc95a3
	v_fmac_f32_e32 v23, 0x3e9b6dac, v26
	v_sub_f32_e32 v22, v25, v22
	v_fmaak_f32 v23, v26, v23, 0x3f2aaada
	v_sub_f32_e32 v21, v21, v22
	v_ldexp_f32 v27, v25, 1
	v_mul_f32_e32 v25, v25, v26
	v_mov_b32_e32 v22, 0x3f317218
	v_pk_mul_f32 v[22:23], v[24:25], v[22:23]
	v_ldexp_f32 v21, v21, 1
	v_fma_f32 v25, v24, s20, -v22
	v_fmamk_f32 v26, v24, 0xb102e308, v25
	v_pk_add_f32 v[24:25], v[22:23], v[26:27]
	v_mov_b32_e32 v28, v22
	v_sub_f32_e32 v27, v25, v27
	v_sub_f32_e32 v27, v23, v27
	v_add_f32_e32 v29, v21, v27
	v_pk_add_f32 v[22:23], v[24:25], v[22:23] neg_lo:[0,1] neg_hi:[0,1]
	v_pk_add_f32 v[30:31], v[24:25], v[28:29]
	v_mov_b32_e32 v27, v24
	v_mov_b32_e32 v23, v31
	v_pk_add_f32 v[32:33], v[26:27], v[22:23] neg_lo:[0,1] neg_hi:[0,1]
	v_pk_add_f32 v[22:23], v[26:27], v[22:23]
	v_mov_b32_e32 v28, v29
	v_pk_add_f32 v[26:27], v[22:23], v[24:25] op_sel:[1,0] op_sel_hi:[0,1] neg_lo:[0,1] neg_hi:[0,1]
	v_pk_add_f32 v[34:35], v[30:31], v[26:27] op_sel_hi:[1,0] neg_lo:[0,1] neg_hi:[0,1]
	v_mov_b32_e32 v30, v31
	v_mov_b32_e32 v31, v23
	v_pk_mov_b32 v[26:27], v[24:25], v[26:27] op_sel:[1,0]
	v_mov_b32_e32 v29, v24
	v_pk_add_f32 v[26:27], v[30:31], v[26:27] neg_lo:[0,1] neg_hi:[0,1]
	v_mov_b32_e32 v34, v32
	v_pk_add_f32 v[24:25], v[28:29], v[26:27] neg_lo:[0,1] neg_hi:[0,1]
	v_mov_b32_e32 v33, v23
	v_pk_add_f32 v[26:27], v[34:35], v[24:25]
	v_cmp_neq_f32_e64 s[20:21], s24, v19
	v_pk_add_f32 v[28:29], v[26:27], v[26:27] op_sel:[0,1] op_sel_hi:[1,0]
	s_nop 0
	v_pk_add_f32 v[22:23], v[22:23], v[28:29] op_sel:[1,0] op_sel_hi:[0,1]
	v_mov_b32_e32 v27, v22
	v_pk_add_f32 v[30:31], v[26:27], v[32:33] neg_lo:[0,1] neg_hi:[0,1]
	v_mov_b32_e32 v25, v28
	v_sub_f32_e32 v21, v26, v30
	v_pk_add_f32 v[24:25], v[24:25], v[30:31] neg_lo:[0,1] neg_hi:[0,1]
	v_sub_f32_e32 v21, v32, v21
	v_add_f32_e32 v21, v24, v21
	v_add_f32_e32 v21, v21, v25
	;; [unrolled: 1-line block ×3, first 2 shown]
	v_cndmask_b32_e64 v21, v36, v21, s[20:21]
	s_mov_b32 s20, 0x33800000
	v_cmp_lt_f32_e64 s[20:21], |v19|, s20
	s_nop 1
	v_cndmask_b32_e64 v19, v21, v19, s[20:21]
	v_add_f32_e32 v17, v17, v19
	v_cvt_f16_f32_e32 v21, v17
	v_cvt_f32_f16_e32 v22, v21
.LBB351_224:
	s_or_b64 exec, exec, s[22:23]
	v_cvt_f32_f16_sdwa v17, v5 dst_sel:DWORD dst_unused:UNUSED_PAD src0_sel:WORD_1
	v_max_f32_e32 v23, v22, v22
	v_cmp_u_f16_e64 s[22:23], v21, v21
	v_cmp_u_f16_sdwa s[20:21], v5, v5 src0_sel:WORD_1 src1_sel:WORD_1
	v_min_f32_e32 v19, v23, v17
	v_max_f32_e32 v5, v23, v17
	v_cndmask_b32_e64 v19, v19, v22, s[22:23]
	v_cndmask_b32_e64 v5, v5, v22, s[22:23]
	;; [unrolled: 1-line block ×4, first 2 shown]
	s_movk_i32 s28, 0x1f8
	v_cmp_neq_f32_e64 s[22:23], v19, v5
	v_cmp_class_f32_e64 s[24:25], v19, s28
	s_or_b64 s[22:23], s[22:23], s[24:25]
	s_and_saveexec_b64 s[24:25], s[22:23]
	s_cbranch_execz .LBB351_226
; %bb.225:
	v_sub_f32_e32 v19, v19, v5
	s_mov_b32 s22, 0x3fb8aa3b
	v_mul_f32_e32 v21, 0x3fb8aa3b, v19
	v_fma_f32 v22, v19, s22, -v21
	v_rndne_f32_e32 v23, v21
	v_fmamk_f32 v22, v19, 0x32a5705f, v22
	v_sub_f32_e32 v21, v21, v23
	v_add_f32_e32 v21, v21, v22
	v_exp_f32_e32 v21, v21
	v_cvt_i32_f32_e32 v22, v23
	s_mov_b32 s22, 0xc2ce8ed0
	v_cmp_ngt_f32_e64 s[22:23], s22, v19
	v_mov_b32_e32 v36, 0x7f800000
	v_ldexp_f32 v21, v21, v22
	v_cndmask_b32_e64 v21, 0, v21, s[22:23]
	s_mov_b32 s22, 0x42b17218
	v_cmp_nlt_f32_e64 s[22:23], s22, v19
	s_mov_b32 s29, 0x7f800000
	s_nop 0
	v_cndmask_b32_e64 v19, v36, v21, s[22:23]
	v_add_f32_e32 v21, 1.0, v19
	v_add_f32_e32 v22, -1.0, v21
	v_sub_f32_e32 v23, v22, v21
	v_add_f32_e32 v23, 1.0, v23
	v_sub_f32_e32 v22, v19, v22
	v_add_f32_e32 v24, v22, v23
	v_frexp_mant_f32_e32 v25, v21
	s_mov_b32 s22, 0x3f2aaaab
	v_cvt_f64_f32_e32 v[22:23], v21
	v_frexp_exp_i32_f64_e32 v22, v[22:23]
	v_cmp_gt_f32_e64 s[22:23], s22, v25
	s_nop 1
	v_subbrev_co_u32_e64 v30, s[22:23], 0, v22, s[22:23]
	v_sub_u32_e32 v22, 0, v30
	v_ldexp_f32 v21, v21, v22
	v_ldexp_f32 v22, v24, v22
	v_add_f32_e32 v24, -1.0, v21
	v_add_f32_e32 v23, 1.0, v24
	v_sub_f32_e32 v23, v21, v23
	v_add_f32_e32 v25, v22, v23
	v_add_f32_e32 v23, 1.0, v21
	v_add_f32_e32 v26, -1.0, v23
	v_sub_f32_e32 v21, v21, v26
	v_add_f32_e32 v21, v22, v21
	v_add_f32_e32 v31, v23, v21
	v_rcp_f32_e32 v32, v31
	v_sub_f32_e32 v22, v23, v31
	v_add_f32_e32 v23, v24, v25
	v_add_f32_e32 v21, v21, v22
	v_mul_f32_e32 v34, v23, v32
	v_sub_f32_e32 v22, v24, v23
	v_mul_f32_e32 v24, v31, v34
	v_fma_f32 v26, v34, v31, -v24
	v_fmac_f32_e32 v26, v34, v21
	v_add_f32_e32 v33, v25, v22
	v_add_f32_e32 v22, v24, v26
	v_sub_f32_e32 v25, v23, v22
	v_pk_add_f32 v[28:29], v[22:23], v[24:25] neg_lo:[0,1] neg_hi:[0,1]
	v_mov_b32_e32 v27, v22
	v_pk_add_f32 v[22:23], v[28:29], v[26:27] neg_lo:[0,1] neg_hi:[0,1]
	s_mov_b32 s22, 0x3f317218
	v_add_f32_e32 v23, v33, v23
	v_add_f32_e32 v22, v22, v23
	;; [unrolled: 1-line block ×3, first 2 shown]
	v_mul_f32_e32 v33, v32, v23
	v_mul_f32_e32 v24, v31, v33
	v_fma_f32 v26, v33, v31, -v24
	v_fmac_f32_e32 v26, v33, v21
	v_sub_f32_e32 v21, v25, v23
	v_add_f32_e32 v21, v22, v21
	v_add_f32_e32 v22, v24, v26
	v_sub_f32_e32 v25, v23, v22
	v_pk_add_f32 v[28:29], v[22:23], v[24:25] neg_lo:[0,1] neg_hi:[0,1]
	v_mov_b32_e32 v27, v22
	v_pk_add_f32 v[22:23], v[28:29], v[26:27] neg_lo:[0,1] neg_hi:[0,1]
	v_cvt_f32_i32_e32 v24, v30
	v_add_f32_e32 v21, v21, v23
	v_add_f32_e32 v21, v22, v21
	;; [unrolled: 1-line block ×4, first 2 shown]
	v_sub_f32_e32 v23, v22, v34
	v_mul_f32_e32 v21, v32, v21
	v_sub_f32_e32 v23, v33, v23
	v_add_f32_e32 v21, v23, v21
	v_add_f32_e32 v25, v22, v21
	v_mul_f32_e32 v26, v25, v25
	v_mov_b32_e32 v23, 0x3ecc95a3
	v_fmac_f32_e32 v23, 0x3e9b6dac, v26
	v_sub_f32_e32 v22, v25, v22
	v_fmaak_f32 v23, v26, v23, 0x3f2aaada
	v_sub_f32_e32 v21, v21, v22
	v_ldexp_f32 v27, v25, 1
	v_mul_f32_e32 v25, v25, v26
	v_mov_b32_e32 v22, 0x3f317218
	v_pk_mul_f32 v[22:23], v[24:25], v[22:23]
	v_ldexp_f32 v21, v21, 1
	v_fma_f32 v25, v24, s22, -v22
	v_fmamk_f32 v26, v24, 0xb102e308, v25
	v_pk_add_f32 v[24:25], v[22:23], v[26:27]
	v_mov_b32_e32 v28, v22
	v_sub_f32_e32 v27, v25, v27
	v_sub_f32_e32 v27, v23, v27
	v_add_f32_e32 v29, v21, v27
	v_pk_add_f32 v[22:23], v[24:25], v[22:23] neg_lo:[0,1] neg_hi:[0,1]
	v_pk_add_f32 v[30:31], v[24:25], v[28:29]
	v_mov_b32_e32 v27, v24
	v_mov_b32_e32 v23, v31
	v_pk_add_f32 v[32:33], v[26:27], v[22:23] neg_lo:[0,1] neg_hi:[0,1]
	v_pk_add_f32 v[22:23], v[26:27], v[22:23]
	v_mov_b32_e32 v28, v29
	v_pk_add_f32 v[26:27], v[22:23], v[24:25] op_sel:[1,0] op_sel_hi:[0,1] neg_lo:[0,1] neg_hi:[0,1]
	v_pk_add_f32 v[34:35], v[30:31], v[26:27] op_sel_hi:[1,0] neg_lo:[0,1] neg_hi:[0,1]
	v_mov_b32_e32 v30, v31
	v_mov_b32_e32 v31, v23
	v_pk_mov_b32 v[26:27], v[24:25], v[26:27] op_sel:[1,0]
	v_mov_b32_e32 v29, v24
	v_pk_add_f32 v[26:27], v[30:31], v[26:27] neg_lo:[0,1] neg_hi:[0,1]
	v_mov_b32_e32 v34, v32
	v_pk_add_f32 v[24:25], v[28:29], v[26:27] neg_lo:[0,1] neg_hi:[0,1]
	v_mov_b32_e32 v33, v23
	v_pk_add_f32 v[26:27], v[34:35], v[24:25]
	v_cmp_neq_f32_e64 s[22:23], s29, v19
	v_pk_add_f32 v[28:29], v[26:27], v[26:27] op_sel:[0,1] op_sel_hi:[1,0]
	s_nop 0
	v_pk_add_f32 v[22:23], v[22:23], v[28:29] op_sel:[1,0] op_sel_hi:[0,1]
	v_mov_b32_e32 v27, v22
	v_pk_add_f32 v[30:31], v[26:27], v[32:33] neg_lo:[0,1] neg_hi:[0,1]
	v_mov_b32_e32 v25, v28
	v_sub_f32_e32 v21, v26, v30
	v_pk_add_f32 v[24:25], v[24:25], v[30:31] neg_lo:[0,1] neg_hi:[0,1]
	v_sub_f32_e32 v21, v32, v21
	v_add_f32_e32 v21, v24, v21
	v_add_f32_e32 v21, v21, v25
	;; [unrolled: 1-line block ×3, first 2 shown]
	v_cndmask_b32_e64 v21, v36, v21, s[22:23]
	s_mov_b32 s22, 0x33800000
	v_cmp_lt_f32_e64 s[22:23], |v19|, s22
	s_nop 1
	v_cndmask_b32_e64 v19, v21, v19, s[22:23]
	v_add_f32_e32 v5, v5, v19
	v_cvt_f16_f32_e32 v21, v5
	v_cvt_f32_f16_e32 v22, v21
.LBB351_226:
	s_or_b64 exec, exec, s[24:25]
	v_cvt_f32_f16_e32 v5, v18
	v_max_f32_e32 v19, v22, v22
	v_cmp_u_f16_e64 s[24:25], v21, v21
	v_cmp_u_f16_e64 s[22:23], v18, v18
	v_min_f32_e32 v23, v19, v5
	v_max_f32_e32 v19, v19, v5
	v_cndmask_b32_e64 v23, v23, v22, s[24:25]
	v_cndmask_b32_e64 v19, v19, v22, s[24:25]
	v_cndmask_b32_e64 v23, v23, v5, s[22:23]
	v_cndmask_b32_e64 v19, v19, v5, s[22:23]
	v_cmp_neq_f32_e64 s[24:25], v23, v19
	v_cmp_class_f32_e64 s[28:29], v23, s28
	s_or_b64 s[24:25], s[24:25], s[28:29]
	s_and_saveexec_b64 s[28:29], s[24:25]
	s_cbranch_execz .LBB351_228
; %bb.227:
	v_sub_f32_e32 v21, v23, v19
	s_mov_b32 s24, 0x3fb8aa3b
	v_mul_f32_e32 v22, 0x3fb8aa3b, v21
	v_fma_f32 v23, v21, s24, -v22
	v_rndne_f32_e32 v24, v22
	v_fmamk_f32 v23, v21, 0x32a5705f, v23
	v_sub_f32_e32 v22, v22, v24
	v_add_f32_e32 v22, v22, v23
	v_exp_f32_e32 v22, v22
	v_cvt_i32_f32_e32 v23, v24
	s_mov_b32 s24, 0xc2ce8ed0
	v_cmp_ngt_f32_e64 s[24:25], s24, v21
	v_mov_b32_e32 v36, 0x7f800000
	v_ldexp_f32 v22, v22, v23
	v_cndmask_b32_e64 v22, 0, v22, s[24:25]
	s_mov_b32 s24, 0x42b17218
	v_cmp_nlt_f32_e64 s[24:25], s24, v21
	s_mov_b32 s30, 0x7f800000
	s_nop 0
	v_cndmask_b32_e64 v21, v36, v22, s[24:25]
	v_add_f32_e32 v24, 1.0, v21
	v_add_f32_e32 v22, -1.0, v24
	v_sub_f32_e32 v23, v22, v24
	v_add_f32_e32 v23, 1.0, v23
	v_sub_f32_e32 v22, v21, v22
	v_add_f32_e32 v25, v22, v23
	v_frexp_mant_f32_e32 v26, v24
	s_mov_b32 s24, 0x3f2aaaab
	v_cvt_f64_f32_e32 v[22:23], v24
	v_frexp_exp_i32_f64_e32 v22, v[22:23]
	v_cmp_gt_f32_e64 s[24:25], s24, v26
	s_nop 1
	v_subbrev_co_u32_e64 v30, s[24:25], 0, v22, s[24:25]
	v_sub_u32_e32 v22, 0, v30
	v_ldexp_f32 v23, v24, v22
	v_add_f32_e32 v24, -1.0, v23
	v_add_f32_e32 v26, 1.0, v23
	v_ldexp_f32 v22, v25, v22
	v_add_f32_e32 v25, 1.0, v24
	v_add_f32_e32 v27, -1.0, v26
	v_sub_f32_e32 v25, v23, v25
	v_sub_f32_e32 v23, v23, v27
	v_add_f32_e32 v25, v22, v25
	v_add_f32_e32 v22, v22, v23
	;; [unrolled: 1-line block ×3, first 2 shown]
	v_rcp_f32_e32 v33, v31
	v_sub_f32_e32 v23, v26, v31
	v_add_f32_e32 v32, v22, v23
	v_add_f32_e32 v23, v24, v25
	v_mul_f32_e32 v35, v23, v33
	v_sub_f32_e32 v22, v24, v23
	v_mul_f32_e32 v24, v31, v35
	v_fma_f32 v26, v35, v31, -v24
	v_fmac_f32_e32 v26, v35, v32
	v_add_f32_e32 v34, v25, v22
	v_add_f32_e32 v22, v24, v26
	v_sub_f32_e32 v25, v23, v22
	v_pk_add_f32 v[28:29], v[22:23], v[24:25] neg_lo:[0,1] neg_hi:[0,1]
	v_mov_b32_e32 v27, v22
	v_pk_add_f32 v[22:23], v[28:29], v[26:27] neg_lo:[0,1] neg_hi:[0,1]
	s_mov_b32 s24, 0x3f317218
	v_add_f32_e32 v23, v34, v23
	v_add_f32_e32 v22, v22, v23
	;; [unrolled: 1-line block ×3, first 2 shown]
	v_mul_f32_e32 v34, v33, v23
	v_mul_f32_e32 v24, v31, v34
	v_fma_f32 v26, v34, v31, -v24
	v_fmac_f32_e32 v26, v34, v32
	v_sub_f32_e32 v25, v25, v23
	v_add_f32_e32 v31, v22, v25
	v_add_f32_e32 v22, v24, v26
	v_sub_f32_e32 v25, v23, v22
	v_pk_add_f32 v[28:29], v[22:23], v[24:25] neg_lo:[0,1] neg_hi:[0,1]
	v_mov_b32_e32 v27, v22
	v_pk_add_f32 v[22:23], v[28:29], v[26:27] neg_lo:[0,1] neg_hi:[0,1]
	v_cvt_f32_i32_e32 v24, v30
	v_add_f32_e32 v23, v31, v23
	v_add_f32_e32 v22, v22, v23
	;; [unrolled: 1-line block ×4, first 2 shown]
	v_sub_f32_e32 v23, v25, v35
	v_mul_f32_e32 v22, v33, v22
	v_sub_f32_e32 v23, v34, v23
	v_add_f32_e32 v22, v23, v22
	v_add_f32_e32 v26, v25, v22
	v_mul_f32_e32 v28, v26, v26
	v_mov_b32_e32 v23, 0x3ecc95a3
	v_sub_f32_e32 v25, v26, v25
	v_fmac_f32_e32 v23, 0x3e9b6dac, v28
	v_sub_f32_e32 v22, v22, v25
	v_fmaak_f32 v23, v28, v23, 0x3f2aaada
	v_ldexp_f32 v29, v22, 1
	v_mul_f32_e32 v25, v26, v28
	v_mov_b32_e32 v22, 0x3f317218
	v_pk_mul_f32 v[22:23], v[24:25], v[22:23]
	v_ldexp_f32 v27, v26, 1
	v_fma_f32 v25, v24, s24, -v22
	v_fmamk_f32 v26, v24, 0xb102e308, v25
	v_pk_add_f32 v[24:25], v[22:23], v[26:27]
	v_mov_b32_e32 v28, v22
	v_sub_f32_e32 v27, v25, v27
	v_sub_f32_e32 v27, v23, v27
	v_add_f32_e32 v29, v29, v27
	v_pk_add_f32 v[22:23], v[24:25], v[22:23] neg_lo:[0,1] neg_hi:[0,1]
	v_pk_add_f32 v[30:31], v[24:25], v[28:29]
	v_mov_b32_e32 v27, v24
	v_mov_b32_e32 v23, v31
	v_pk_add_f32 v[32:33], v[26:27], v[22:23] neg_lo:[0,1] neg_hi:[0,1]
	v_pk_add_f32 v[22:23], v[26:27], v[22:23]
	v_mov_b32_e32 v28, v29
	v_pk_add_f32 v[26:27], v[22:23], v[24:25] op_sel:[1,0] op_sel_hi:[0,1] neg_lo:[0,1] neg_hi:[0,1]
	v_pk_add_f32 v[34:35], v[30:31], v[26:27] op_sel_hi:[1,0] neg_lo:[0,1] neg_hi:[0,1]
	v_mov_b32_e32 v30, v31
	v_mov_b32_e32 v31, v23
	v_pk_mov_b32 v[26:27], v[24:25], v[26:27] op_sel:[1,0]
	v_mov_b32_e32 v29, v24
	v_pk_add_f32 v[26:27], v[30:31], v[26:27] neg_lo:[0,1] neg_hi:[0,1]
	v_mov_b32_e32 v34, v32
	v_pk_add_f32 v[24:25], v[28:29], v[26:27] neg_lo:[0,1] neg_hi:[0,1]
	v_mov_b32_e32 v33, v23
	v_pk_add_f32 v[26:27], v[34:35], v[24:25]
	v_cmp_neq_f32_e64 s[24:25], s30, v21
	v_pk_add_f32 v[28:29], v[26:27], v[26:27] op_sel:[0,1] op_sel_hi:[1,0]
	s_nop 0
	v_pk_add_f32 v[22:23], v[22:23], v[28:29] op_sel:[1,0] op_sel_hi:[0,1]
	v_mov_b32_e32 v27, v22
	v_pk_add_f32 v[30:31], v[26:27], v[32:33] neg_lo:[0,1] neg_hi:[0,1]
	v_mov_b32_e32 v25, v28
	v_sub_f32_e32 v23, v26, v30
	v_pk_add_f32 v[24:25], v[24:25], v[30:31] neg_lo:[0,1] neg_hi:[0,1]
	v_sub_f32_e32 v23, v32, v23
	v_add_f32_e32 v23, v24, v23
	v_add_f32_e32 v23, v23, v25
	;; [unrolled: 1-line block ×3, first 2 shown]
	v_cndmask_b32_e64 v22, v36, v22, s[24:25]
	s_mov_b32 s24, 0x33800000
	v_cmp_lt_f32_e64 s[24:25], |v21|, s24
	s_nop 1
	v_cndmask_b32_e64 v21, v22, v21, s[24:25]
	v_add_f32_e32 v19, v19, v21
	v_cvt_f16_f32_e32 v21, v19
	v_cvt_f32_f16_e32 v22, v21
.LBB351_228:
	s_or_b64 exec, exec, s[28:29]
	v_cvt_f32_f16_sdwa v19, v18 dst_sel:DWORD dst_unused:UNUSED_PAD src0_sel:WORD_1
	v_max_f32_e32 v24, v22, v22
	v_cmp_u_f16_e64 s[28:29], v21, v21
	v_cmp_u_f16_sdwa s[24:25], v18, v18 src0_sel:WORD_1 src1_sel:WORD_1
	v_min_f32_e32 v23, v24, v19
	v_max_f32_e32 v18, v24, v19
	v_cndmask_b32_e64 v23, v23, v22, s[28:29]
	v_cndmask_b32_e64 v18, v18, v22, s[28:29]
	;; [unrolled: 1-line block ×4, first 2 shown]
	s_movk_i32 s30, 0x1f8
	v_cmp_neq_f32_e64 s[28:29], v23, v18
	v_cmp_class_f32_e64 s[30:31], v23, s30
	s_or_b64 s[28:29], s[28:29], s[30:31]
	s_and_saveexec_b64 s[30:31], s[28:29]
	s_cbranch_execz .LBB351_230
; %bb.229:
	v_sub_f32_e32 v21, v23, v18
	s_mov_b32 s28, 0x3fb8aa3b
	v_mul_f32_e32 v22, 0x3fb8aa3b, v21
	v_fma_f32 v23, v21, s28, -v22
	v_rndne_f32_e32 v24, v22
	v_fmamk_f32 v23, v21, 0x32a5705f, v23
	v_sub_f32_e32 v22, v22, v24
	v_add_f32_e32 v22, v22, v23
	v_exp_f32_e32 v22, v22
	v_cvt_i32_f32_e32 v23, v24
	s_mov_b32 s28, 0xc2ce8ed0
	v_cmp_ngt_f32_e64 s[28:29], s28, v21
	v_mov_b32_e32 v36, 0x7f800000
	v_ldexp_f32 v22, v22, v23
	v_cndmask_b32_e64 v22, 0, v22, s[28:29]
	s_mov_b32 s28, 0x42b17218
	v_cmp_nlt_f32_e64 s[28:29], s28, v21
	s_mov_b32 s34, 0x7f800000
	s_nop 0
	v_cndmask_b32_e64 v21, v36, v22, s[28:29]
	v_add_f32_e32 v24, 1.0, v21
	v_add_f32_e32 v22, -1.0, v24
	v_sub_f32_e32 v23, v22, v24
	v_add_f32_e32 v23, 1.0, v23
	v_sub_f32_e32 v22, v21, v22
	v_add_f32_e32 v25, v22, v23
	v_frexp_mant_f32_e32 v26, v24
	s_mov_b32 s28, 0x3f2aaaab
	v_cvt_f64_f32_e32 v[22:23], v24
	v_frexp_exp_i32_f64_e32 v22, v[22:23]
	v_cmp_gt_f32_e64 s[28:29], s28, v26
	s_nop 1
	v_subbrev_co_u32_e64 v30, s[28:29], 0, v22, s[28:29]
	v_sub_u32_e32 v22, 0, v30
	v_ldexp_f32 v23, v24, v22
	v_add_f32_e32 v24, -1.0, v23
	v_add_f32_e32 v26, 1.0, v23
	v_ldexp_f32 v22, v25, v22
	v_add_f32_e32 v25, 1.0, v24
	v_add_f32_e32 v27, -1.0, v26
	v_sub_f32_e32 v25, v23, v25
	v_sub_f32_e32 v23, v23, v27
	v_add_f32_e32 v25, v22, v25
	v_add_f32_e32 v22, v22, v23
	;; [unrolled: 1-line block ×3, first 2 shown]
	v_rcp_f32_e32 v33, v31
	v_sub_f32_e32 v23, v26, v31
	v_add_f32_e32 v32, v22, v23
	v_add_f32_e32 v23, v24, v25
	v_mul_f32_e32 v35, v23, v33
	v_sub_f32_e32 v22, v24, v23
	v_mul_f32_e32 v24, v31, v35
	v_fma_f32 v26, v35, v31, -v24
	v_fmac_f32_e32 v26, v35, v32
	v_add_f32_e32 v34, v25, v22
	v_add_f32_e32 v22, v24, v26
	v_sub_f32_e32 v25, v23, v22
	v_pk_add_f32 v[28:29], v[22:23], v[24:25] neg_lo:[0,1] neg_hi:[0,1]
	v_mov_b32_e32 v27, v22
	v_pk_add_f32 v[22:23], v[28:29], v[26:27] neg_lo:[0,1] neg_hi:[0,1]
	s_mov_b32 s28, 0x3f317218
	v_add_f32_e32 v23, v34, v23
	v_add_f32_e32 v22, v22, v23
	;; [unrolled: 1-line block ×3, first 2 shown]
	v_mul_f32_e32 v34, v33, v23
	v_mul_f32_e32 v24, v31, v34
	v_fma_f32 v26, v34, v31, -v24
	v_fmac_f32_e32 v26, v34, v32
	v_sub_f32_e32 v25, v25, v23
	v_add_f32_e32 v31, v22, v25
	v_add_f32_e32 v22, v24, v26
	v_sub_f32_e32 v25, v23, v22
	v_pk_add_f32 v[28:29], v[22:23], v[24:25] neg_lo:[0,1] neg_hi:[0,1]
	v_mov_b32_e32 v27, v22
	v_pk_add_f32 v[22:23], v[28:29], v[26:27] neg_lo:[0,1] neg_hi:[0,1]
	v_cvt_f32_i32_e32 v24, v30
	v_add_f32_e32 v23, v31, v23
	v_add_f32_e32 v22, v22, v23
	;; [unrolled: 1-line block ×4, first 2 shown]
	v_sub_f32_e32 v23, v25, v35
	v_mul_f32_e32 v22, v33, v22
	v_sub_f32_e32 v23, v34, v23
	v_add_f32_e32 v22, v23, v22
	v_add_f32_e32 v26, v25, v22
	v_mul_f32_e32 v28, v26, v26
	v_mov_b32_e32 v23, 0x3ecc95a3
	v_sub_f32_e32 v25, v26, v25
	v_fmac_f32_e32 v23, 0x3e9b6dac, v28
	v_sub_f32_e32 v22, v22, v25
	v_fmaak_f32 v23, v28, v23, 0x3f2aaada
	v_ldexp_f32 v29, v22, 1
	v_mul_f32_e32 v25, v26, v28
	v_mov_b32_e32 v22, 0x3f317218
	v_pk_mul_f32 v[22:23], v[24:25], v[22:23]
	v_ldexp_f32 v27, v26, 1
	v_fma_f32 v25, v24, s28, -v22
	v_fmamk_f32 v26, v24, 0xb102e308, v25
	v_pk_add_f32 v[24:25], v[22:23], v[26:27]
	v_mov_b32_e32 v28, v22
	v_sub_f32_e32 v27, v25, v27
	v_sub_f32_e32 v27, v23, v27
	v_add_f32_e32 v29, v29, v27
	v_pk_add_f32 v[22:23], v[24:25], v[22:23] neg_lo:[0,1] neg_hi:[0,1]
	v_pk_add_f32 v[30:31], v[24:25], v[28:29]
	v_mov_b32_e32 v27, v24
	v_mov_b32_e32 v23, v31
	v_pk_add_f32 v[32:33], v[26:27], v[22:23] neg_lo:[0,1] neg_hi:[0,1]
	v_pk_add_f32 v[22:23], v[26:27], v[22:23]
	v_mov_b32_e32 v28, v29
	v_pk_add_f32 v[26:27], v[22:23], v[24:25] op_sel:[1,0] op_sel_hi:[0,1] neg_lo:[0,1] neg_hi:[0,1]
	v_pk_add_f32 v[34:35], v[30:31], v[26:27] op_sel_hi:[1,0] neg_lo:[0,1] neg_hi:[0,1]
	v_mov_b32_e32 v30, v31
	v_mov_b32_e32 v31, v23
	v_pk_mov_b32 v[26:27], v[24:25], v[26:27] op_sel:[1,0]
	v_mov_b32_e32 v29, v24
	v_pk_add_f32 v[26:27], v[30:31], v[26:27] neg_lo:[0,1] neg_hi:[0,1]
	v_mov_b32_e32 v34, v32
	v_pk_add_f32 v[24:25], v[28:29], v[26:27] neg_lo:[0,1] neg_hi:[0,1]
	v_mov_b32_e32 v33, v23
	v_pk_add_f32 v[26:27], v[34:35], v[24:25]
	v_cmp_neq_f32_e64 s[28:29], s34, v21
	v_pk_add_f32 v[28:29], v[26:27], v[26:27] op_sel:[0,1] op_sel_hi:[1,0]
	s_nop 0
	v_pk_add_f32 v[22:23], v[22:23], v[28:29] op_sel:[1,0] op_sel_hi:[0,1]
	v_mov_b32_e32 v27, v22
	v_pk_add_f32 v[30:31], v[26:27], v[32:33] neg_lo:[0,1] neg_hi:[0,1]
	v_mov_b32_e32 v25, v28
	v_sub_f32_e32 v23, v26, v30
	v_pk_add_f32 v[24:25], v[24:25], v[30:31] neg_lo:[0,1] neg_hi:[0,1]
	v_sub_f32_e32 v23, v32, v23
	v_add_f32_e32 v23, v24, v23
	v_add_f32_e32 v23, v23, v25
	v_add_f32_e32 v22, v22, v23
	v_cndmask_b32_e64 v22, v36, v22, s[28:29]
	s_mov_b32 s28, 0x33800000
	v_cmp_lt_f32_e64 s[28:29], |v21|, s28
	s_nop 1
	v_cndmask_b32_e64 v21, v22, v21, s[28:29]
	v_add_f32_e32 v18, v18, v21
	v_cvt_f16_f32_e32 v21, v18
.LBB351_230:
	s_or_b64 exec, exec, s[30:31]
	v_mbcnt_lo_u32_b32 v18, -1, 0
	v_mbcnt_hi_u32_b32 v18, -1, v18
	v_and_b32_e32 v22, 15, v18
	v_and_b32_e32 v23, 0xffff, v21
	v_cmp_ne_u32_e64 s[28:29], 0, v22
	s_nop 0
	v_mov_b32_dpp v24, v23 row_shr:1 row_mask:0xf bank_mask:0xf
	s_and_saveexec_b64 s[34:35], s[28:29]
	s_cbranch_execz .LBB351_234
; %bb.231:
	v_cvt_f32_f16_e32 v25, v24
	v_cvt_f32_f16_e32 v26, v21
	v_cmp_u_f16_e64 s[28:29], v24, v24
	v_cmp_u_f16_e64 s[30:31], v21, v21
	v_min_f32_e32 v23, v25, v26
	v_max_f32_e32 v21, v25, v26
	v_cndmask_b32_e64 v23, v23, v25, s[28:29]
	v_cndmask_b32_e64 v21, v21, v25, s[28:29]
	;; [unrolled: 1-line block ×4, first 2 shown]
	s_movk_i32 s30, 0x1f8
	v_cmp_neq_f32_e64 s[28:29], v23, v21
	v_cmp_class_f32_e64 s[30:31], v23, s30
	s_or_b64 s[28:29], s[28:29], s[30:31]
	s_and_saveexec_b64 s[30:31], s[28:29]
	s_cbranch_execz .LBB351_233
; %bb.232:
	v_sub_f32_e32 v23, v23, v21
	s_mov_b32 s28, 0x3fb8aa3b
	v_mul_f32_e32 v24, 0x3fb8aa3b, v23
	v_fma_f32 v25, v23, s28, -v24
	v_rndne_f32_e32 v26, v24
	v_fmamk_f32 v25, v23, 0x32a5705f, v25
	v_sub_f32_e32 v24, v24, v26
	v_add_f32_e32 v24, v24, v25
	v_exp_f32_e32 v24, v24
	v_cvt_i32_f32_e32 v25, v26
	s_mov_b32 s28, 0xc2ce8ed0
	v_cmp_ngt_f32_e64 s[28:29], s28, v23
	v_mov_b32_e32 v38, 0x7f800000
	v_ldexp_f32 v24, v24, v25
	v_cndmask_b32_e64 v24, 0, v24, s[28:29]
	s_mov_b32 s28, 0x42b17218
	v_cmp_nlt_f32_e64 s[28:29], s28, v23
	s_mov_b32 s36, 0x7f800000
	s_nop 0
	v_cndmask_b32_e64 v23, v38, v24, s[28:29]
	v_add_f32_e32 v26, 1.0, v23
	v_add_f32_e32 v24, -1.0, v26
	v_sub_f32_e32 v25, v24, v26
	v_add_f32_e32 v25, 1.0, v25
	v_sub_f32_e32 v24, v23, v24
	v_add_f32_e32 v27, v24, v25
	v_frexp_mant_f32_e32 v28, v26
	s_mov_b32 s28, 0x3f2aaaab
	v_cvt_f64_f32_e32 v[24:25], v26
	v_frexp_exp_i32_f64_e32 v24, v[24:25]
	v_cmp_gt_f32_e64 s[28:29], s28, v28
	s_nop 1
	v_subbrev_co_u32_e64 v32, s[28:29], 0, v24, s[28:29]
	v_sub_u32_e32 v24, 0, v32
	v_ldexp_f32 v25, v26, v24
	v_add_f32_e32 v26, -1.0, v25
	v_add_f32_e32 v28, 1.0, v25
	v_ldexp_f32 v24, v27, v24
	v_add_f32_e32 v27, 1.0, v26
	v_add_f32_e32 v29, -1.0, v28
	v_sub_f32_e32 v27, v25, v27
	v_sub_f32_e32 v25, v25, v29
	v_add_f32_e32 v27, v24, v27
	v_add_f32_e32 v24, v24, v25
	;; [unrolled: 1-line block ×3, first 2 shown]
	v_rcp_f32_e32 v35, v33
	v_sub_f32_e32 v25, v28, v33
	v_add_f32_e32 v34, v24, v25
	v_add_f32_e32 v25, v26, v27
	v_mul_f32_e32 v37, v25, v35
	v_sub_f32_e32 v24, v26, v25
	v_mul_f32_e32 v26, v33, v37
	v_fma_f32 v28, v37, v33, -v26
	v_fmac_f32_e32 v28, v37, v34
	v_add_f32_e32 v36, v27, v24
	v_add_f32_e32 v24, v26, v28
	v_sub_f32_e32 v27, v25, v24
	v_pk_add_f32 v[30:31], v[24:25], v[26:27] neg_lo:[0,1] neg_hi:[0,1]
	v_mov_b32_e32 v29, v24
	v_pk_add_f32 v[24:25], v[30:31], v[28:29] neg_lo:[0,1] neg_hi:[0,1]
	s_mov_b32 s28, 0x3f317218
	v_add_f32_e32 v25, v36, v25
	v_add_f32_e32 v24, v24, v25
	;; [unrolled: 1-line block ×3, first 2 shown]
	v_mul_f32_e32 v36, v35, v25
	v_mul_f32_e32 v26, v33, v36
	v_fma_f32 v28, v36, v33, -v26
	v_fmac_f32_e32 v28, v36, v34
	v_sub_f32_e32 v27, v27, v25
	v_add_f32_e32 v33, v24, v27
	v_add_f32_e32 v24, v26, v28
	v_sub_f32_e32 v27, v25, v24
	v_pk_add_f32 v[30:31], v[24:25], v[26:27] neg_lo:[0,1] neg_hi:[0,1]
	v_mov_b32_e32 v29, v24
	v_pk_add_f32 v[24:25], v[30:31], v[28:29] neg_lo:[0,1] neg_hi:[0,1]
	v_cvt_f32_i32_e32 v26, v32
	v_add_f32_e32 v25, v33, v25
	v_add_f32_e32 v24, v24, v25
	;; [unrolled: 1-line block ×4, first 2 shown]
	v_sub_f32_e32 v25, v27, v37
	v_mul_f32_e32 v24, v35, v24
	v_sub_f32_e32 v25, v36, v25
	v_add_f32_e32 v24, v25, v24
	v_add_f32_e32 v28, v27, v24
	v_mul_f32_e32 v30, v28, v28
	v_mov_b32_e32 v25, 0x3ecc95a3
	v_sub_f32_e32 v27, v28, v27
	v_fmac_f32_e32 v25, 0x3e9b6dac, v30
	v_sub_f32_e32 v24, v24, v27
	v_fmaak_f32 v25, v30, v25, 0x3f2aaada
	v_ldexp_f32 v31, v24, 1
	v_mul_f32_e32 v27, v28, v30
	v_mov_b32_e32 v24, 0x3f317218
	v_pk_mul_f32 v[24:25], v[26:27], v[24:25]
	v_ldexp_f32 v29, v28, 1
	v_fma_f32 v27, v26, s28, -v24
	v_fmamk_f32 v28, v26, 0xb102e308, v27
	v_pk_add_f32 v[26:27], v[24:25], v[28:29]
	v_mov_b32_e32 v30, v24
	v_sub_f32_e32 v29, v27, v29
	v_sub_f32_e32 v29, v25, v29
	v_add_f32_e32 v31, v31, v29
	v_pk_add_f32 v[24:25], v[26:27], v[24:25] neg_lo:[0,1] neg_hi:[0,1]
	v_pk_add_f32 v[32:33], v[26:27], v[30:31]
	v_mov_b32_e32 v29, v26
	v_mov_b32_e32 v25, v33
	v_pk_add_f32 v[34:35], v[28:29], v[24:25] neg_lo:[0,1] neg_hi:[0,1]
	v_pk_add_f32 v[24:25], v[28:29], v[24:25]
	v_mov_b32_e32 v30, v31
	v_pk_add_f32 v[28:29], v[24:25], v[26:27] op_sel:[1,0] op_sel_hi:[0,1] neg_lo:[0,1] neg_hi:[0,1]
	v_pk_add_f32 v[36:37], v[32:33], v[28:29] op_sel_hi:[1,0] neg_lo:[0,1] neg_hi:[0,1]
	v_mov_b32_e32 v32, v33
	v_mov_b32_e32 v33, v25
	v_pk_mov_b32 v[28:29], v[26:27], v[28:29] op_sel:[1,0]
	v_mov_b32_e32 v31, v26
	v_pk_add_f32 v[28:29], v[32:33], v[28:29] neg_lo:[0,1] neg_hi:[0,1]
	v_mov_b32_e32 v36, v34
	v_pk_add_f32 v[26:27], v[30:31], v[28:29] neg_lo:[0,1] neg_hi:[0,1]
	v_mov_b32_e32 v35, v25
	v_pk_add_f32 v[28:29], v[36:37], v[26:27]
	v_cmp_neq_f32_e64 s[28:29], s36, v23
	v_pk_add_f32 v[30:31], v[28:29], v[28:29] op_sel:[0,1] op_sel_hi:[1,0]
	s_nop 0
	v_pk_add_f32 v[24:25], v[24:25], v[30:31] op_sel:[1,0] op_sel_hi:[0,1]
	v_mov_b32_e32 v29, v24
	v_pk_add_f32 v[32:33], v[28:29], v[34:35] neg_lo:[0,1] neg_hi:[0,1]
	v_mov_b32_e32 v27, v30
	v_sub_f32_e32 v25, v28, v32
	v_pk_add_f32 v[26:27], v[26:27], v[32:33] neg_lo:[0,1] neg_hi:[0,1]
	v_sub_f32_e32 v25, v34, v25
	v_add_f32_e32 v25, v26, v25
	v_add_f32_e32 v25, v25, v27
	;; [unrolled: 1-line block ×3, first 2 shown]
	v_cndmask_b32_e64 v24, v38, v24, s[28:29]
	s_mov_b32 s28, 0x33800000
	v_cmp_lt_f32_e64 s[28:29], |v23|, s28
	s_nop 1
	v_cndmask_b32_e64 v23, v24, v23, s[28:29]
	v_add_f32_e32 v21, v21, v23
	v_cvt_f16_f32_e32 v24, v21
.LBB351_233:
	s_or_b64 exec, exec, s[30:31]
	v_and_b32_e32 v23, 0xffff, v24
	v_mov_b32_e32 v21, v24
.LBB351_234:
	s_or_b64 exec, exec, s[34:35]
	v_mov_b32_dpp v24, v23 row_shr:2 row_mask:0xf bank_mask:0xf
	v_cmp_lt_u32_e64 s[28:29], 1, v22
	s_and_saveexec_b64 s[34:35], s[28:29]
	s_cbranch_execz .LBB351_238
; %bb.235:
	v_cvt_f32_f16_e32 v25, v24
	v_cvt_f32_f16_e32 v26, v21
	v_cmp_u_f16_e64 s[28:29], v24, v24
	v_cmp_u_f16_e64 s[30:31], v21, v21
	v_min_f32_e32 v23, v25, v26
	v_max_f32_e32 v21, v25, v26
	v_cndmask_b32_e64 v23, v23, v25, s[28:29]
	v_cndmask_b32_e64 v21, v21, v25, s[28:29]
	;; [unrolled: 1-line block ×4, first 2 shown]
	s_movk_i32 s30, 0x1f8
	v_cmp_neq_f32_e64 s[28:29], v23, v21
	v_cmp_class_f32_e64 s[30:31], v23, s30
	s_or_b64 s[28:29], s[28:29], s[30:31]
	s_and_saveexec_b64 s[30:31], s[28:29]
	s_cbranch_execz .LBB351_237
; %bb.236:
	v_sub_f32_e32 v23, v23, v21
	s_mov_b32 s28, 0x3fb8aa3b
	v_mul_f32_e32 v24, 0x3fb8aa3b, v23
	v_fma_f32 v25, v23, s28, -v24
	v_rndne_f32_e32 v26, v24
	v_fmamk_f32 v25, v23, 0x32a5705f, v25
	v_sub_f32_e32 v24, v24, v26
	v_add_f32_e32 v24, v24, v25
	v_exp_f32_e32 v24, v24
	v_cvt_i32_f32_e32 v25, v26
	s_mov_b32 s28, 0xc2ce8ed0
	v_cmp_ngt_f32_e64 s[28:29], s28, v23
	v_mov_b32_e32 v38, 0x7f800000
	v_ldexp_f32 v24, v24, v25
	v_cndmask_b32_e64 v24, 0, v24, s[28:29]
	s_mov_b32 s28, 0x42b17218
	v_cmp_nlt_f32_e64 s[28:29], s28, v23
	s_mov_b32 s36, 0x7f800000
	s_nop 0
	v_cndmask_b32_e64 v23, v38, v24, s[28:29]
	v_add_f32_e32 v26, 1.0, v23
	v_add_f32_e32 v24, -1.0, v26
	v_sub_f32_e32 v25, v24, v26
	v_add_f32_e32 v25, 1.0, v25
	v_sub_f32_e32 v24, v23, v24
	v_add_f32_e32 v27, v24, v25
	v_frexp_mant_f32_e32 v28, v26
	s_mov_b32 s28, 0x3f2aaaab
	v_cvt_f64_f32_e32 v[24:25], v26
	v_frexp_exp_i32_f64_e32 v24, v[24:25]
	v_cmp_gt_f32_e64 s[28:29], s28, v28
	s_nop 1
	v_subbrev_co_u32_e64 v32, s[28:29], 0, v24, s[28:29]
	v_sub_u32_e32 v24, 0, v32
	v_ldexp_f32 v25, v26, v24
	v_add_f32_e32 v26, -1.0, v25
	v_add_f32_e32 v28, 1.0, v25
	v_ldexp_f32 v24, v27, v24
	v_add_f32_e32 v27, 1.0, v26
	v_add_f32_e32 v29, -1.0, v28
	v_sub_f32_e32 v27, v25, v27
	v_sub_f32_e32 v25, v25, v29
	v_add_f32_e32 v27, v24, v27
	v_add_f32_e32 v24, v24, v25
	;; [unrolled: 1-line block ×3, first 2 shown]
	v_rcp_f32_e32 v35, v33
	v_sub_f32_e32 v25, v28, v33
	v_add_f32_e32 v34, v24, v25
	v_add_f32_e32 v25, v26, v27
	v_mul_f32_e32 v37, v25, v35
	v_sub_f32_e32 v24, v26, v25
	v_mul_f32_e32 v26, v33, v37
	v_fma_f32 v28, v37, v33, -v26
	v_fmac_f32_e32 v28, v37, v34
	v_add_f32_e32 v36, v27, v24
	v_add_f32_e32 v24, v26, v28
	v_sub_f32_e32 v27, v25, v24
	v_pk_add_f32 v[30:31], v[24:25], v[26:27] neg_lo:[0,1] neg_hi:[0,1]
	v_mov_b32_e32 v29, v24
	v_pk_add_f32 v[24:25], v[30:31], v[28:29] neg_lo:[0,1] neg_hi:[0,1]
	s_mov_b32 s28, 0x3f317218
	v_add_f32_e32 v25, v36, v25
	v_add_f32_e32 v24, v24, v25
	;; [unrolled: 1-line block ×3, first 2 shown]
	v_mul_f32_e32 v36, v35, v25
	v_mul_f32_e32 v26, v33, v36
	v_fma_f32 v28, v36, v33, -v26
	v_fmac_f32_e32 v28, v36, v34
	v_sub_f32_e32 v27, v27, v25
	v_add_f32_e32 v33, v24, v27
	v_add_f32_e32 v24, v26, v28
	v_sub_f32_e32 v27, v25, v24
	v_pk_add_f32 v[30:31], v[24:25], v[26:27] neg_lo:[0,1] neg_hi:[0,1]
	v_mov_b32_e32 v29, v24
	v_pk_add_f32 v[24:25], v[30:31], v[28:29] neg_lo:[0,1] neg_hi:[0,1]
	v_cvt_f32_i32_e32 v26, v32
	v_add_f32_e32 v25, v33, v25
	v_add_f32_e32 v24, v24, v25
	;; [unrolled: 1-line block ×4, first 2 shown]
	v_sub_f32_e32 v25, v27, v37
	v_mul_f32_e32 v24, v35, v24
	v_sub_f32_e32 v25, v36, v25
	v_add_f32_e32 v24, v25, v24
	v_add_f32_e32 v28, v27, v24
	v_mul_f32_e32 v30, v28, v28
	v_mov_b32_e32 v25, 0x3ecc95a3
	v_sub_f32_e32 v27, v28, v27
	v_fmac_f32_e32 v25, 0x3e9b6dac, v30
	v_sub_f32_e32 v24, v24, v27
	v_fmaak_f32 v25, v30, v25, 0x3f2aaada
	v_ldexp_f32 v31, v24, 1
	v_mul_f32_e32 v27, v28, v30
	v_mov_b32_e32 v24, 0x3f317218
	v_pk_mul_f32 v[24:25], v[26:27], v[24:25]
	v_ldexp_f32 v29, v28, 1
	v_fma_f32 v27, v26, s28, -v24
	v_fmamk_f32 v28, v26, 0xb102e308, v27
	v_pk_add_f32 v[26:27], v[24:25], v[28:29]
	v_mov_b32_e32 v30, v24
	v_sub_f32_e32 v29, v27, v29
	v_sub_f32_e32 v29, v25, v29
	v_add_f32_e32 v31, v31, v29
	v_pk_add_f32 v[24:25], v[26:27], v[24:25] neg_lo:[0,1] neg_hi:[0,1]
	v_pk_add_f32 v[32:33], v[26:27], v[30:31]
	v_mov_b32_e32 v29, v26
	v_mov_b32_e32 v25, v33
	v_pk_add_f32 v[34:35], v[28:29], v[24:25] neg_lo:[0,1] neg_hi:[0,1]
	v_pk_add_f32 v[24:25], v[28:29], v[24:25]
	v_mov_b32_e32 v30, v31
	v_pk_add_f32 v[28:29], v[24:25], v[26:27] op_sel:[1,0] op_sel_hi:[0,1] neg_lo:[0,1] neg_hi:[0,1]
	v_pk_add_f32 v[36:37], v[32:33], v[28:29] op_sel_hi:[1,0] neg_lo:[0,1] neg_hi:[0,1]
	v_mov_b32_e32 v32, v33
	v_mov_b32_e32 v33, v25
	v_pk_mov_b32 v[28:29], v[26:27], v[28:29] op_sel:[1,0]
	v_mov_b32_e32 v31, v26
	v_pk_add_f32 v[28:29], v[32:33], v[28:29] neg_lo:[0,1] neg_hi:[0,1]
	v_mov_b32_e32 v36, v34
	v_pk_add_f32 v[26:27], v[30:31], v[28:29] neg_lo:[0,1] neg_hi:[0,1]
	v_mov_b32_e32 v35, v25
	v_pk_add_f32 v[28:29], v[36:37], v[26:27]
	v_cmp_neq_f32_e64 s[28:29], s36, v23
	v_pk_add_f32 v[30:31], v[28:29], v[28:29] op_sel:[0,1] op_sel_hi:[1,0]
	s_nop 0
	v_pk_add_f32 v[24:25], v[24:25], v[30:31] op_sel:[1,0] op_sel_hi:[0,1]
	v_mov_b32_e32 v29, v24
	v_pk_add_f32 v[32:33], v[28:29], v[34:35] neg_lo:[0,1] neg_hi:[0,1]
	v_mov_b32_e32 v27, v30
	v_sub_f32_e32 v25, v28, v32
	v_pk_add_f32 v[26:27], v[26:27], v[32:33] neg_lo:[0,1] neg_hi:[0,1]
	v_sub_f32_e32 v25, v34, v25
	v_add_f32_e32 v25, v26, v25
	v_add_f32_e32 v25, v25, v27
	;; [unrolled: 1-line block ×3, first 2 shown]
	v_cndmask_b32_e64 v24, v38, v24, s[28:29]
	s_mov_b32 s28, 0x33800000
	v_cmp_lt_f32_e64 s[28:29], |v23|, s28
	s_nop 1
	v_cndmask_b32_e64 v23, v24, v23, s[28:29]
	v_add_f32_e32 v21, v21, v23
	v_cvt_f16_f32_e32 v24, v21
.LBB351_237:
	s_or_b64 exec, exec, s[30:31]
	v_and_b32_e32 v23, 0xffff, v24
	v_mov_b32_e32 v21, v24
.LBB351_238:
	s_or_b64 exec, exec, s[34:35]
	v_mov_b32_dpp v24, v23 row_shr:4 row_mask:0xf bank_mask:0xf
	v_cmp_lt_u32_e64 s[28:29], 3, v22
	s_and_saveexec_b64 s[34:35], s[28:29]
	s_cbranch_execz .LBB351_242
; %bb.239:
	v_cvt_f32_f16_e32 v25, v24
	v_cvt_f32_f16_e32 v26, v21
	v_cmp_u_f16_e64 s[28:29], v24, v24
	v_cmp_u_f16_e64 s[30:31], v21, v21
	v_min_f32_e32 v23, v25, v26
	v_max_f32_e32 v21, v25, v26
	v_cndmask_b32_e64 v23, v23, v25, s[28:29]
	v_cndmask_b32_e64 v21, v21, v25, s[28:29]
	;; [unrolled: 1-line block ×4, first 2 shown]
	s_movk_i32 s30, 0x1f8
	v_cmp_neq_f32_e64 s[28:29], v23, v21
	v_cmp_class_f32_e64 s[30:31], v23, s30
	s_or_b64 s[28:29], s[28:29], s[30:31]
	s_and_saveexec_b64 s[30:31], s[28:29]
	s_cbranch_execz .LBB351_241
; %bb.240:
	v_sub_f32_e32 v23, v23, v21
	s_mov_b32 s28, 0x3fb8aa3b
	v_mul_f32_e32 v24, 0x3fb8aa3b, v23
	v_fma_f32 v25, v23, s28, -v24
	v_rndne_f32_e32 v26, v24
	v_fmamk_f32 v25, v23, 0x32a5705f, v25
	v_sub_f32_e32 v24, v24, v26
	v_add_f32_e32 v24, v24, v25
	v_exp_f32_e32 v24, v24
	v_cvt_i32_f32_e32 v25, v26
	s_mov_b32 s28, 0xc2ce8ed0
	v_cmp_ngt_f32_e64 s[28:29], s28, v23
	v_mov_b32_e32 v38, 0x7f800000
	v_ldexp_f32 v24, v24, v25
	v_cndmask_b32_e64 v24, 0, v24, s[28:29]
	s_mov_b32 s28, 0x42b17218
	v_cmp_nlt_f32_e64 s[28:29], s28, v23
	s_mov_b32 s36, 0x7f800000
	s_nop 0
	v_cndmask_b32_e64 v23, v38, v24, s[28:29]
	v_add_f32_e32 v26, 1.0, v23
	v_add_f32_e32 v24, -1.0, v26
	v_sub_f32_e32 v25, v24, v26
	v_add_f32_e32 v25, 1.0, v25
	v_sub_f32_e32 v24, v23, v24
	v_add_f32_e32 v27, v24, v25
	v_frexp_mant_f32_e32 v28, v26
	s_mov_b32 s28, 0x3f2aaaab
	v_cvt_f64_f32_e32 v[24:25], v26
	v_frexp_exp_i32_f64_e32 v24, v[24:25]
	v_cmp_gt_f32_e64 s[28:29], s28, v28
	s_nop 1
	v_subbrev_co_u32_e64 v32, s[28:29], 0, v24, s[28:29]
	v_sub_u32_e32 v24, 0, v32
	v_ldexp_f32 v25, v26, v24
	v_add_f32_e32 v26, -1.0, v25
	v_add_f32_e32 v28, 1.0, v25
	v_ldexp_f32 v24, v27, v24
	v_add_f32_e32 v27, 1.0, v26
	v_add_f32_e32 v29, -1.0, v28
	v_sub_f32_e32 v27, v25, v27
	v_sub_f32_e32 v25, v25, v29
	v_add_f32_e32 v27, v24, v27
	v_add_f32_e32 v24, v24, v25
	v_add_f32_e32 v33, v28, v24
	v_rcp_f32_e32 v35, v33
	v_sub_f32_e32 v25, v28, v33
	v_add_f32_e32 v34, v24, v25
	v_add_f32_e32 v25, v26, v27
	v_mul_f32_e32 v37, v25, v35
	v_sub_f32_e32 v24, v26, v25
	v_mul_f32_e32 v26, v33, v37
	v_fma_f32 v28, v37, v33, -v26
	v_fmac_f32_e32 v28, v37, v34
	v_add_f32_e32 v36, v27, v24
	v_add_f32_e32 v24, v26, v28
	v_sub_f32_e32 v27, v25, v24
	v_pk_add_f32 v[30:31], v[24:25], v[26:27] neg_lo:[0,1] neg_hi:[0,1]
	v_mov_b32_e32 v29, v24
	v_pk_add_f32 v[24:25], v[30:31], v[28:29] neg_lo:[0,1] neg_hi:[0,1]
	s_mov_b32 s28, 0x3f317218
	v_add_f32_e32 v25, v36, v25
	v_add_f32_e32 v24, v24, v25
	;; [unrolled: 1-line block ×3, first 2 shown]
	v_mul_f32_e32 v36, v35, v25
	v_mul_f32_e32 v26, v33, v36
	v_fma_f32 v28, v36, v33, -v26
	v_fmac_f32_e32 v28, v36, v34
	v_sub_f32_e32 v27, v27, v25
	v_add_f32_e32 v33, v24, v27
	v_add_f32_e32 v24, v26, v28
	v_sub_f32_e32 v27, v25, v24
	v_pk_add_f32 v[30:31], v[24:25], v[26:27] neg_lo:[0,1] neg_hi:[0,1]
	v_mov_b32_e32 v29, v24
	v_pk_add_f32 v[24:25], v[30:31], v[28:29] neg_lo:[0,1] neg_hi:[0,1]
	v_cvt_f32_i32_e32 v26, v32
	v_add_f32_e32 v25, v33, v25
	v_add_f32_e32 v24, v24, v25
	;; [unrolled: 1-line block ×4, first 2 shown]
	v_sub_f32_e32 v25, v27, v37
	v_mul_f32_e32 v24, v35, v24
	v_sub_f32_e32 v25, v36, v25
	v_add_f32_e32 v24, v25, v24
	v_add_f32_e32 v28, v27, v24
	v_mul_f32_e32 v30, v28, v28
	v_mov_b32_e32 v25, 0x3ecc95a3
	v_sub_f32_e32 v27, v28, v27
	v_fmac_f32_e32 v25, 0x3e9b6dac, v30
	v_sub_f32_e32 v24, v24, v27
	v_fmaak_f32 v25, v30, v25, 0x3f2aaada
	v_ldexp_f32 v31, v24, 1
	v_mul_f32_e32 v27, v28, v30
	v_mov_b32_e32 v24, 0x3f317218
	v_pk_mul_f32 v[24:25], v[26:27], v[24:25]
	v_ldexp_f32 v29, v28, 1
	v_fma_f32 v27, v26, s28, -v24
	v_fmamk_f32 v28, v26, 0xb102e308, v27
	v_pk_add_f32 v[26:27], v[24:25], v[28:29]
	v_mov_b32_e32 v30, v24
	v_sub_f32_e32 v29, v27, v29
	v_sub_f32_e32 v29, v25, v29
	v_add_f32_e32 v31, v31, v29
	v_pk_add_f32 v[24:25], v[26:27], v[24:25] neg_lo:[0,1] neg_hi:[0,1]
	v_pk_add_f32 v[32:33], v[26:27], v[30:31]
	v_mov_b32_e32 v29, v26
	v_mov_b32_e32 v25, v33
	v_pk_add_f32 v[34:35], v[28:29], v[24:25] neg_lo:[0,1] neg_hi:[0,1]
	v_pk_add_f32 v[24:25], v[28:29], v[24:25]
	v_mov_b32_e32 v30, v31
	v_pk_add_f32 v[28:29], v[24:25], v[26:27] op_sel:[1,0] op_sel_hi:[0,1] neg_lo:[0,1] neg_hi:[0,1]
	v_pk_add_f32 v[36:37], v[32:33], v[28:29] op_sel_hi:[1,0] neg_lo:[0,1] neg_hi:[0,1]
	v_mov_b32_e32 v32, v33
	v_mov_b32_e32 v33, v25
	v_pk_mov_b32 v[28:29], v[26:27], v[28:29] op_sel:[1,0]
	v_mov_b32_e32 v31, v26
	v_pk_add_f32 v[28:29], v[32:33], v[28:29] neg_lo:[0,1] neg_hi:[0,1]
	v_mov_b32_e32 v36, v34
	v_pk_add_f32 v[26:27], v[30:31], v[28:29] neg_lo:[0,1] neg_hi:[0,1]
	v_mov_b32_e32 v35, v25
	v_pk_add_f32 v[28:29], v[36:37], v[26:27]
	v_cmp_neq_f32_e64 s[28:29], s36, v23
	v_pk_add_f32 v[30:31], v[28:29], v[28:29] op_sel:[0,1] op_sel_hi:[1,0]
	s_nop 0
	v_pk_add_f32 v[24:25], v[24:25], v[30:31] op_sel:[1,0] op_sel_hi:[0,1]
	v_mov_b32_e32 v29, v24
	v_pk_add_f32 v[32:33], v[28:29], v[34:35] neg_lo:[0,1] neg_hi:[0,1]
	v_mov_b32_e32 v27, v30
	v_sub_f32_e32 v25, v28, v32
	v_pk_add_f32 v[26:27], v[26:27], v[32:33] neg_lo:[0,1] neg_hi:[0,1]
	v_sub_f32_e32 v25, v34, v25
	v_add_f32_e32 v25, v26, v25
	v_add_f32_e32 v25, v25, v27
	;; [unrolled: 1-line block ×3, first 2 shown]
	v_cndmask_b32_e64 v24, v38, v24, s[28:29]
	s_mov_b32 s28, 0x33800000
	v_cmp_lt_f32_e64 s[28:29], |v23|, s28
	s_nop 1
	v_cndmask_b32_e64 v23, v24, v23, s[28:29]
	v_add_f32_e32 v21, v21, v23
	v_cvt_f16_f32_e32 v24, v21
.LBB351_241:
	s_or_b64 exec, exec, s[30:31]
	v_and_b32_e32 v23, 0xffff, v24
	v_mov_b32_e32 v21, v24
.LBB351_242:
	s_or_b64 exec, exec, s[34:35]
	v_mov_b32_dpp v24, v23 row_shr:8 row_mask:0xf bank_mask:0xf
	v_cmp_lt_u32_e64 s[28:29], 7, v22
	s_and_saveexec_b64 s[34:35], s[28:29]
	s_cbranch_execz .LBB351_246
; %bb.243:
	v_cvt_f32_f16_e32 v23, v24
	v_cvt_f32_f16_e32 v25, v21
	v_cmp_u_f16_e64 s[28:29], v24, v24
	v_cmp_u_f16_e64 s[30:31], v21, v21
	v_min_f32_e32 v22, v23, v25
	v_max_f32_e32 v21, v23, v25
	v_cndmask_b32_e64 v22, v22, v23, s[28:29]
	v_cndmask_b32_e64 v21, v21, v23, s[28:29]
	;; [unrolled: 1-line block ×4, first 2 shown]
	s_movk_i32 s30, 0x1f8
	v_cmp_neq_f32_e64 s[28:29], v22, v21
	v_cmp_class_f32_e64 s[30:31], v22, s30
	s_or_b64 s[28:29], s[28:29], s[30:31]
	s_and_saveexec_b64 s[30:31], s[28:29]
	s_cbranch_execz .LBB351_245
; %bb.244:
	v_sub_f32_e32 v22, v22, v21
	s_mov_b32 s28, 0x3fb8aa3b
	v_mul_f32_e32 v23, 0x3fb8aa3b, v22
	v_fma_f32 v24, v22, s28, -v23
	v_rndne_f32_e32 v25, v23
	v_fmamk_f32 v24, v22, 0x32a5705f, v24
	v_sub_f32_e32 v23, v23, v25
	v_add_f32_e32 v23, v23, v24
	v_exp_f32_e32 v23, v23
	v_cvt_i32_f32_e32 v24, v25
	s_mov_b32 s28, 0xc2ce8ed0
	v_cmp_ngt_f32_e64 s[28:29], s28, v22
	v_mov_b32_e32 v36, 0x7f800000
	v_ldexp_f32 v23, v23, v24
	v_cndmask_b32_e64 v23, 0, v23, s[28:29]
	s_mov_b32 s28, 0x42b17218
	v_cmp_nlt_f32_e64 s[28:29], s28, v22
	s_mov_b32 s36, 0x7f800000
	s_nop 0
	v_cndmask_b32_e64 v37, v36, v23, s[28:29]
	v_add_f32_e32 v24, 1.0, v37
	v_add_f32_e32 v22, -1.0, v24
	v_sub_f32_e32 v23, v22, v24
	v_add_f32_e32 v23, 1.0, v23
	v_sub_f32_e32 v22, v37, v22
	v_add_f32_e32 v25, v22, v23
	v_frexp_mant_f32_e32 v26, v24
	s_mov_b32 s28, 0x3f2aaaab
	v_cvt_f64_f32_e32 v[22:23], v24
	v_frexp_exp_i32_f64_e32 v22, v[22:23]
	v_cmp_gt_f32_e64 s[28:29], s28, v26
	s_nop 1
	v_subbrev_co_u32_e64 v30, s[28:29], 0, v22, s[28:29]
	v_sub_u32_e32 v22, 0, v30
	v_ldexp_f32 v23, v24, v22
	v_add_f32_e32 v24, -1.0, v23
	v_add_f32_e32 v26, 1.0, v23
	v_ldexp_f32 v22, v25, v22
	v_add_f32_e32 v25, 1.0, v24
	v_add_f32_e32 v27, -1.0, v26
	v_sub_f32_e32 v25, v23, v25
	v_sub_f32_e32 v23, v23, v27
	v_add_f32_e32 v25, v22, v25
	v_add_f32_e32 v22, v22, v23
	;; [unrolled: 1-line block ×3, first 2 shown]
	v_rcp_f32_e32 v33, v31
	v_sub_f32_e32 v23, v26, v31
	v_add_f32_e32 v32, v22, v23
	v_add_f32_e32 v23, v24, v25
	v_mul_f32_e32 v35, v23, v33
	v_sub_f32_e32 v22, v24, v23
	v_mul_f32_e32 v24, v31, v35
	v_fma_f32 v26, v35, v31, -v24
	v_fmac_f32_e32 v26, v35, v32
	v_add_f32_e32 v34, v25, v22
	v_add_f32_e32 v22, v24, v26
	v_sub_f32_e32 v25, v23, v22
	v_pk_add_f32 v[28:29], v[22:23], v[24:25] neg_lo:[0,1] neg_hi:[0,1]
	v_mov_b32_e32 v27, v22
	v_pk_add_f32 v[22:23], v[28:29], v[26:27] neg_lo:[0,1] neg_hi:[0,1]
	s_mov_b32 s28, 0x3f317218
	v_add_f32_e32 v23, v34, v23
	v_add_f32_e32 v22, v22, v23
	;; [unrolled: 1-line block ×3, first 2 shown]
	v_mul_f32_e32 v34, v33, v23
	v_mul_f32_e32 v24, v31, v34
	v_fma_f32 v26, v34, v31, -v24
	v_fmac_f32_e32 v26, v34, v32
	v_sub_f32_e32 v25, v25, v23
	v_add_f32_e32 v31, v22, v25
	v_add_f32_e32 v22, v24, v26
	v_sub_f32_e32 v25, v23, v22
	v_pk_add_f32 v[28:29], v[22:23], v[24:25] neg_lo:[0,1] neg_hi:[0,1]
	v_mov_b32_e32 v27, v22
	v_pk_add_f32 v[22:23], v[28:29], v[26:27] neg_lo:[0,1] neg_hi:[0,1]
	v_cvt_f32_i32_e32 v24, v30
	v_add_f32_e32 v23, v31, v23
	v_add_f32_e32 v22, v22, v23
	;; [unrolled: 1-line block ×4, first 2 shown]
	v_sub_f32_e32 v23, v25, v35
	v_mul_f32_e32 v22, v33, v22
	v_sub_f32_e32 v23, v34, v23
	v_add_f32_e32 v22, v23, v22
	v_add_f32_e32 v26, v25, v22
	v_mul_f32_e32 v28, v26, v26
	v_mov_b32_e32 v23, 0x3ecc95a3
	v_sub_f32_e32 v25, v26, v25
	v_fmac_f32_e32 v23, 0x3e9b6dac, v28
	v_sub_f32_e32 v22, v22, v25
	v_fmaak_f32 v23, v28, v23, 0x3f2aaada
	v_ldexp_f32 v29, v22, 1
	v_mul_f32_e32 v25, v26, v28
	v_mov_b32_e32 v22, 0x3f317218
	v_pk_mul_f32 v[22:23], v[24:25], v[22:23]
	v_ldexp_f32 v27, v26, 1
	v_fma_f32 v25, v24, s28, -v22
	v_fmamk_f32 v26, v24, 0xb102e308, v25
	v_pk_add_f32 v[24:25], v[22:23], v[26:27]
	v_mov_b32_e32 v28, v22
	v_sub_f32_e32 v27, v25, v27
	v_sub_f32_e32 v27, v23, v27
	v_add_f32_e32 v29, v29, v27
	v_pk_add_f32 v[22:23], v[24:25], v[22:23] neg_lo:[0,1] neg_hi:[0,1]
	v_pk_add_f32 v[30:31], v[24:25], v[28:29]
	v_mov_b32_e32 v27, v24
	v_mov_b32_e32 v23, v31
	v_pk_add_f32 v[32:33], v[26:27], v[22:23] neg_lo:[0,1] neg_hi:[0,1]
	v_pk_add_f32 v[22:23], v[26:27], v[22:23]
	v_mov_b32_e32 v28, v29
	v_pk_add_f32 v[26:27], v[22:23], v[24:25] op_sel:[1,0] op_sel_hi:[0,1] neg_lo:[0,1] neg_hi:[0,1]
	v_pk_add_f32 v[34:35], v[30:31], v[26:27] op_sel_hi:[1,0] neg_lo:[0,1] neg_hi:[0,1]
	v_mov_b32_e32 v30, v31
	v_mov_b32_e32 v31, v23
	v_pk_mov_b32 v[26:27], v[24:25], v[26:27] op_sel:[1,0]
	v_mov_b32_e32 v29, v24
	v_pk_add_f32 v[26:27], v[30:31], v[26:27] neg_lo:[0,1] neg_hi:[0,1]
	v_mov_b32_e32 v34, v32
	v_pk_add_f32 v[24:25], v[28:29], v[26:27] neg_lo:[0,1] neg_hi:[0,1]
	v_mov_b32_e32 v33, v23
	v_pk_add_f32 v[26:27], v[34:35], v[24:25]
	v_cmp_neq_f32_e64 s[28:29], s36, v37
	v_pk_add_f32 v[28:29], v[26:27], v[26:27] op_sel:[0,1] op_sel_hi:[1,0]
	s_nop 0
	v_pk_add_f32 v[22:23], v[22:23], v[28:29] op_sel:[1,0] op_sel_hi:[0,1]
	v_mov_b32_e32 v27, v22
	v_pk_add_f32 v[30:31], v[26:27], v[32:33] neg_lo:[0,1] neg_hi:[0,1]
	v_mov_b32_e32 v25, v28
	v_sub_f32_e32 v23, v26, v30
	v_pk_add_f32 v[24:25], v[24:25], v[30:31] neg_lo:[0,1] neg_hi:[0,1]
	v_sub_f32_e32 v23, v32, v23
	v_add_f32_e32 v23, v24, v23
	v_add_f32_e32 v23, v23, v25
	;; [unrolled: 1-line block ×3, first 2 shown]
	v_cndmask_b32_e64 v22, v36, v22, s[28:29]
	s_mov_b32 s28, 0x33800000
	v_cmp_lt_f32_e64 s[28:29], |v37|, s28
	s_nop 1
	v_cndmask_b32_e64 v22, v22, v37, s[28:29]
	v_add_f32_e32 v21, v21, v22
	v_cvt_f16_f32_e32 v24, v21
.LBB351_245:
	s_or_b64 exec, exec, s[30:31]
	v_and_b32_e32 v23, 0xffff, v24
	v_mov_b32_e32 v21, v24
.LBB351_246:
	s_or_b64 exec, exec, s[34:35]
	v_and_b32_e32 v24, 16, v18
	v_mov_b32_dpp v22, v23 row_bcast:15 row_mask:0xf bank_mask:0xf
	v_cmp_ne_u32_e64 s[28:29], 0, v24
	s_and_saveexec_b64 s[34:35], s[28:29]
	s_cbranch_execz .LBB351_250
; %bb.247:
	v_cvt_f32_f16_e32 v24, v22
	v_cvt_f32_f16_e32 v25, v21
	v_cmp_u_f16_e64 s[28:29], v22, v22
	v_cmp_u_f16_e64 s[30:31], v21, v21
	v_min_f32_e32 v23, v24, v25
	v_max_f32_e32 v21, v24, v25
	v_cndmask_b32_e64 v23, v23, v24, s[28:29]
	v_cndmask_b32_e64 v21, v21, v24, s[28:29]
	;; [unrolled: 1-line block ×4, first 2 shown]
	s_movk_i32 s30, 0x1f8
	v_cmp_neq_f32_e64 s[28:29], v23, v21
	v_cmp_class_f32_e64 s[30:31], v23, s30
	s_or_b64 s[28:29], s[28:29], s[30:31]
	s_and_saveexec_b64 s[30:31], s[28:29]
	s_cbranch_execz .LBB351_249
; %bb.248:
	v_sub_f32_e32 v22, v23, v21
	s_mov_b32 s28, 0x3fb8aa3b
	v_mul_f32_e32 v23, 0x3fb8aa3b, v22
	v_fma_f32 v24, v22, s28, -v23
	v_rndne_f32_e32 v25, v23
	v_fmamk_f32 v24, v22, 0x32a5705f, v24
	v_sub_f32_e32 v23, v23, v25
	v_add_f32_e32 v23, v23, v24
	v_exp_f32_e32 v23, v23
	v_cvt_i32_f32_e32 v24, v25
	s_mov_b32 s28, 0xc2ce8ed0
	v_cmp_ngt_f32_e64 s[28:29], s28, v22
	v_mov_b32_e32 v36, 0x7f800000
	v_ldexp_f32 v23, v23, v24
	v_cndmask_b32_e64 v23, 0, v23, s[28:29]
	s_mov_b32 s28, 0x42b17218
	v_cmp_nlt_f32_e64 s[28:29], s28, v22
	s_mov_b32 s36, 0x7f800000
	s_nop 0
	v_cndmask_b32_e64 v37, v36, v23, s[28:29]
	v_add_f32_e32 v24, 1.0, v37
	v_add_f32_e32 v22, -1.0, v24
	v_sub_f32_e32 v23, v22, v24
	v_add_f32_e32 v23, 1.0, v23
	v_sub_f32_e32 v22, v37, v22
	v_add_f32_e32 v25, v22, v23
	v_frexp_mant_f32_e32 v26, v24
	s_mov_b32 s28, 0x3f2aaaab
	v_cvt_f64_f32_e32 v[22:23], v24
	v_frexp_exp_i32_f64_e32 v22, v[22:23]
	v_cmp_gt_f32_e64 s[28:29], s28, v26
	s_nop 1
	v_subbrev_co_u32_e64 v30, s[28:29], 0, v22, s[28:29]
	v_sub_u32_e32 v22, 0, v30
	v_ldexp_f32 v23, v24, v22
	v_add_f32_e32 v24, -1.0, v23
	v_add_f32_e32 v26, 1.0, v23
	v_ldexp_f32 v22, v25, v22
	v_add_f32_e32 v25, 1.0, v24
	v_add_f32_e32 v27, -1.0, v26
	v_sub_f32_e32 v25, v23, v25
	v_sub_f32_e32 v23, v23, v27
	v_add_f32_e32 v25, v22, v25
	v_add_f32_e32 v22, v22, v23
	;; [unrolled: 1-line block ×3, first 2 shown]
	v_rcp_f32_e32 v33, v31
	v_sub_f32_e32 v23, v26, v31
	v_add_f32_e32 v32, v22, v23
	v_add_f32_e32 v23, v24, v25
	v_mul_f32_e32 v35, v23, v33
	v_sub_f32_e32 v22, v24, v23
	v_mul_f32_e32 v24, v31, v35
	v_fma_f32 v26, v35, v31, -v24
	v_fmac_f32_e32 v26, v35, v32
	v_add_f32_e32 v34, v25, v22
	v_add_f32_e32 v22, v24, v26
	v_sub_f32_e32 v25, v23, v22
	v_pk_add_f32 v[28:29], v[22:23], v[24:25] neg_lo:[0,1] neg_hi:[0,1]
	v_mov_b32_e32 v27, v22
	v_pk_add_f32 v[22:23], v[28:29], v[26:27] neg_lo:[0,1] neg_hi:[0,1]
	s_mov_b32 s28, 0x3f317218
	v_add_f32_e32 v23, v34, v23
	v_add_f32_e32 v22, v22, v23
	;; [unrolled: 1-line block ×3, first 2 shown]
	v_mul_f32_e32 v34, v33, v23
	v_mul_f32_e32 v24, v31, v34
	v_fma_f32 v26, v34, v31, -v24
	v_fmac_f32_e32 v26, v34, v32
	v_sub_f32_e32 v25, v25, v23
	v_add_f32_e32 v31, v22, v25
	v_add_f32_e32 v22, v24, v26
	v_sub_f32_e32 v25, v23, v22
	v_pk_add_f32 v[28:29], v[22:23], v[24:25] neg_lo:[0,1] neg_hi:[0,1]
	v_mov_b32_e32 v27, v22
	v_pk_add_f32 v[22:23], v[28:29], v[26:27] neg_lo:[0,1] neg_hi:[0,1]
	v_cvt_f32_i32_e32 v24, v30
	v_add_f32_e32 v23, v31, v23
	v_add_f32_e32 v22, v22, v23
	;; [unrolled: 1-line block ×4, first 2 shown]
	v_sub_f32_e32 v23, v25, v35
	v_mul_f32_e32 v22, v33, v22
	v_sub_f32_e32 v23, v34, v23
	v_add_f32_e32 v22, v23, v22
	v_add_f32_e32 v26, v25, v22
	v_mul_f32_e32 v28, v26, v26
	v_mov_b32_e32 v23, 0x3ecc95a3
	v_sub_f32_e32 v25, v26, v25
	v_fmac_f32_e32 v23, 0x3e9b6dac, v28
	v_sub_f32_e32 v22, v22, v25
	v_fmaak_f32 v23, v28, v23, 0x3f2aaada
	v_ldexp_f32 v29, v22, 1
	v_mul_f32_e32 v25, v26, v28
	v_mov_b32_e32 v22, 0x3f317218
	v_pk_mul_f32 v[22:23], v[24:25], v[22:23]
	v_ldexp_f32 v27, v26, 1
	v_fma_f32 v25, v24, s28, -v22
	v_fmamk_f32 v26, v24, 0xb102e308, v25
	v_pk_add_f32 v[24:25], v[22:23], v[26:27]
	v_mov_b32_e32 v28, v22
	v_sub_f32_e32 v27, v25, v27
	v_sub_f32_e32 v27, v23, v27
	v_add_f32_e32 v29, v29, v27
	v_pk_add_f32 v[22:23], v[24:25], v[22:23] neg_lo:[0,1] neg_hi:[0,1]
	v_pk_add_f32 v[30:31], v[24:25], v[28:29]
	v_mov_b32_e32 v27, v24
	v_mov_b32_e32 v23, v31
	v_pk_add_f32 v[32:33], v[26:27], v[22:23] neg_lo:[0,1] neg_hi:[0,1]
	v_pk_add_f32 v[22:23], v[26:27], v[22:23]
	v_mov_b32_e32 v28, v29
	v_pk_add_f32 v[26:27], v[22:23], v[24:25] op_sel:[1,0] op_sel_hi:[0,1] neg_lo:[0,1] neg_hi:[0,1]
	v_pk_add_f32 v[34:35], v[30:31], v[26:27] op_sel_hi:[1,0] neg_lo:[0,1] neg_hi:[0,1]
	v_mov_b32_e32 v30, v31
	v_mov_b32_e32 v31, v23
	v_pk_mov_b32 v[26:27], v[24:25], v[26:27] op_sel:[1,0]
	v_mov_b32_e32 v29, v24
	v_pk_add_f32 v[26:27], v[30:31], v[26:27] neg_lo:[0,1] neg_hi:[0,1]
	v_mov_b32_e32 v34, v32
	v_pk_add_f32 v[24:25], v[28:29], v[26:27] neg_lo:[0,1] neg_hi:[0,1]
	v_mov_b32_e32 v33, v23
	v_pk_add_f32 v[26:27], v[34:35], v[24:25]
	v_cmp_neq_f32_e64 s[28:29], s36, v37
	v_pk_add_f32 v[28:29], v[26:27], v[26:27] op_sel:[0,1] op_sel_hi:[1,0]
	s_nop 0
	v_pk_add_f32 v[22:23], v[22:23], v[28:29] op_sel:[1,0] op_sel_hi:[0,1]
	v_mov_b32_e32 v27, v22
	v_pk_add_f32 v[30:31], v[26:27], v[32:33] neg_lo:[0,1] neg_hi:[0,1]
	v_mov_b32_e32 v25, v28
	v_sub_f32_e32 v23, v26, v30
	v_pk_add_f32 v[24:25], v[24:25], v[30:31] neg_lo:[0,1] neg_hi:[0,1]
	v_sub_f32_e32 v23, v32, v23
	v_add_f32_e32 v23, v24, v23
	v_add_f32_e32 v23, v23, v25
	;; [unrolled: 1-line block ×3, first 2 shown]
	v_cndmask_b32_e64 v22, v36, v22, s[28:29]
	s_mov_b32 s28, 0x33800000
	v_cmp_lt_f32_e64 s[28:29], |v37|, s28
	s_nop 1
	v_cndmask_b32_e64 v22, v22, v37, s[28:29]
	v_add_f32_e32 v21, v21, v22
	v_cvt_f16_f32_e32 v22, v21
.LBB351_249:
	s_or_b64 exec, exec, s[30:31]
	v_and_b32_e32 v23, 0xffff, v22
	v_mov_b32_e32 v21, v22
.LBB351_250:
	s_or_b64 exec, exec, s[34:35]
	v_mov_b32_dpp v22, v23 row_bcast:31 row_mask:0xf bank_mask:0xf
	v_cmp_lt_u32_e64 s[28:29], 31, v18
	s_and_saveexec_b64 s[34:35], s[28:29]
	s_cbranch_execz .LBB351_254
; %bb.251:
	v_cvt_f32_f16_e32 v24, v22
	v_cvt_f32_f16_e32 v25, v21
	v_cmp_u_f16_e64 s[28:29], v22, v22
	v_cmp_u_f16_e64 s[30:31], v21, v21
	v_min_f32_e32 v23, v24, v25
	v_max_f32_e32 v21, v24, v25
	v_cndmask_b32_e64 v23, v23, v24, s[28:29]
	v_cndmask_b32_e64 v21, v21, v24, s[28:29]
	;; [unrolled: 1-line block ×4, first 2 shown]
	s_movk_i32 s30, 0x1f8
	v_cmp_neq_f32_e64 s[28:29], v23, v21
	v_cmp_class_f32_e64 s[30:31], v23, s30
	s_or_b64 s[28:29], s[28:29], s[30:31]
	s_and_saveexec_b64 s[30:31], s[28:29]
	s_cbranch_execz .LBB351_253
; %bb.252:
	v_sub_f32_e32 v22, v23, v21
	s_mov_b32 s28, 0x3fb8aa3b
	v_mul_f32_e32 v23, 0x3fb8aa3b, v22
	v_fma_f32 v24, v22, s28, -v23
	v_rndne_f32_e32 v25, v23
	v_fmamk_f32 v24, v22, 0x32a5705f, v24
	v_sub_f32_e32 v23, v23, v25
	v_add_f32_e32 v23, v23, v24
	v_exp_f32_e32 v23, v23
	v_cvt_i32_f32_e32 v24, v25
	s_mov_b32 s28, 0xc2ce8ed0
	v_cmp_ngt_f32_e64 s[28:29], s28, v22
	v_mov_b32_e32 v36, 0x7f800000
	v_ldexp_f32 v23, v23, v24
	v_cndmask_b32_e64 v23, 0, v23, s[28:29]
	s_mov_b32 s28, 0x42b17218
	v_cmp_nlt_f32_e64 s[28:29], s28, v22
	s_mov_b32 s36, 0x7f800000
	s_nop 0
	v_cndmask_b32_e64 v37, v36, v23, s[28:29]
	v_add_f32_e32 v24, 1.0, v37
	v_add_f32_e32 v22, -1.0, v24
	v_sub_f32_e32 v23, v22, v24
	v_add_f32_e32 v23, 1.0, v23
	v_sub_f32_e32 v22, v37, v22
	v_add_f32_e32 v25, v22, v23
	v_frexp_mant_f32_e32 v26, v24
	s_mov_b32 s28, 0x3f2aaaab
	v_cvt_f64_f32_e32 v[22:23], v24
	v_frexp_exp_i32_f64_e32 v22, v[22:23]
	v_cmp_gt_f32_e64 s[28:29], s28, v26
	s_nop 1
	v_subbrev_co_u32_e64 v30, s[28:29], 0, v22, s[28:29]
	v_sub_u32_e32 v22, 0, v30
	v_ldexp_f32 v23, v24, v22
	v_add_f32_e32 v24, -1.0, v23
	v_add_f32_e32 v26, 1.0, v23
	v_ldexp_f32 v22, v25, v22
	v_add_f32_e32 v25, 1.0, v24
	v_add_f32_e32 v27, -1.0, v26
	v_sub_f32_e32 v25, v23, v25
	v_sub_f32_e32 v23, v23, v27
	v_add_f32_e32 v25, v22, v25
	v_add_f32_e32 v22, v22, v23
	;; [unrolled: 1-line block ×3, first 2 shown]
	v_rcp_f32_e32 v33, v31
	v_sub_f32_e32 v23, v26, v31
	v_add_f32_e32 v32, v22, v23
	v_add_f32_e32 v23, v24, v25
	v_mul_f32_e32 v35, v23, v33
	v_sub_f32_e32 v22, v24, v23
	v_mul_f32_e32 v24, v31, v35
	v_fma_f32 v26, v35, v31, -v24
	v_fmac_f32_e32 v26, v35, v32
	v_add_f32_e32 v34, v25, v22
	v_add_f32_e32 v22, v24, v26
	v_sub_f32_e32 v25, v23, v22
	v_pk_add_f32 v[28:29], v[22:23], v[24:25] neg_lo:[0,1] neg_hi:[0,1]
	v_mov_b32_e32 v27, v22
	v_pk_add_f32 v[22:23], v[28:29], v[26:27] neg_lo:[0,1] neg_hi:[0,1]
	s_mov_b32 s28, 0x3f317218
	v_add_f32_e32 v23, v34, v23
	v_add_f32_e32 v22, v22, v23
	;; [unrolled: 1-line block ×3, first 2 shown]
	v_mul_f32_e32 v34, v33, v23
	v_mul_f32_e32 v24, v31, v34
	v_fma_f32 v26, v34, v31, -v24
	v_fmac_f32_e32 v26, v34, v32
	v_sub_f32_e32 v25, v25, v23
	v_add_f32_e32 v31, v22, v25
	v_add_f32_e32 v22, v24, v26
	v_sub_f32_e32 v25, v23, v22
	v_pk_add_f32 v[28:29], v[22:23], v[24:25] neg_lo:[0,1] neg_hi:[0,1]
	v_mov_b32_e32 v27, v22
	v_pk_add_f32 v[22:23], v[28:29], v[26:27] neg_lo:[0,1] neg_hi:[0,1]
	v_cvt_f32_i32_e32 v24, v30
	v_add_f32_e32 v23, v31, v23
	v_add_f32_e32 v22, v22, v23
	;; [unrolled: 1-line block ×4, first 2 shown]
	v_sub_f32_e32 v23, v25, v35
	v_mul_f32_e32 v22, v33, v22
	v_sub_f32_e32 v23, v34, v23
	v_add_f32_e32 v22, v23, v22
	v_add_f32_e32 v26, v25, v22
	v_mul_f32_e32 v28, v26, v26
	v_mov_b32_e32 v23, 0x3ecc95a3
	v_sub_f32_e32 v25, v26, v25
	v_fmac_f32_e32 v23, 0x3e9b6dac, v28
	v_sub_f32_e32 v22, v22, v25
	v_fmaak_f32 v23, v28, v23, 0x3f2aaada
	v_ldexp_f32 v29, v22, 1
	v_mul_f32_e32 v25, v26, v28
	v_mov_b32_e32 v22, 0x3f317218
	v_pk_mul_f32 v[22:23], v[24:25], v[22:23]
	v_ldexp_f32 v27, v26, 1
	v_fma_f32 v25, v24, s28, -v22
	v_fmamk_f32 v26, v24, 0xb102e308, v25
	v_pk_add_f32 v[24:25], v[22:23], v[26:27]
	v_mov_b32_e32 v28, v22
	v_sub_f32_e32 v27, v25, v27
	v_sub_f32_e32 v27, v23, v27
	v_add_f32_e32 v29, v29, v27
	v_pk_add_f32 v[22:23], v[24:25], v[22:23] neg_lo:[0,1] neg_hi:[0,1]
	v_pk_add_f32 v[30:31], v[24:25], v[28:29]
	v_mov_b32_e32 v27, v24
	v_mov_b32_e32 v23, v31
	v_pk_add_f32 v[32:33], v[26:27], v[22:23] neg_lo:[0,1] neg_hi:[0,1]
	v_pk_add_f32 v[22:23], v[26:27], v[22:23]
	v_mov_b32_e32 v28, v29
	v_pk_add_f32 v[26:27], v[22:23], v[24:25] op_sel:[1,0] op_sel_hi:[0,1] neg_lo:[0,1] neg_hi:[0,1]
	v_pk_add_f32 v[34:35], v[30:31], v[26:27] op_sel_hi:[1,0] neg_lo:[0,1] neg_hi:[0,1]
	v_mov_b32_e32 v30, v31
	v_mov_b32_e32 v31, v23
	v_pk_mov_b32 v[26:27], v[24:25], v[26:27] op_sel:[1,0]
	v_mov_b32_e32 v29, v24
	v_pk_add_f32 v[26:27], v[30:31], v[26:27] neg_lo:[0,1] neg_hi:[0,1]
	v_mov_b32_e32 v34, v32
	v_pk_add_f32 v[24:25], v[28:29], v[26:27] neg_lo:[0,1] neg_hi:[0,1]
	v_mov_b32_e32 v33, v23
	v_pk_add_f32 v[26:27], v[34:35], v[24:25]
	v_cmp_neq_f32_e64 s[28:29], s36, v37
	v_pk_add_f32 v[28:29], v[26:27], v[26:27] op_sel:[0,1] op_sel_hi:[1,0]
	s_nop 0
	v_pk_add_f32 v[22:23], v[22:23], v[28:29] op_sel:[1,0] op_sel_hi:[0,1]
	v_mov_b32_e32 v27, v22
	v_pk_add_f32 v[30:31], v[26:27], v[32:33] neg_lo:[0,1] neg_hi:[0,1]
	v_mov_b32_e32 v25, v28
	v_sub_f32_e32 v23, v26, v30
	v_pk_add_f32 v[24:25], v[24:25], v[30:31] neg_lo:[0,1] neg_hi:[0,1]
	v_sub_f32_e32 v23, v32, v23
	v_add_f32_e32 v23, v24, v23
	v_add_f32_e32 v23, v23, v25
	;; [unrolled: 1-line block ×3, first 2 shown]
	v_cndmask_b32_e64 v22, v36, v22, s[28:29]
	s_mov_b32 s28, 0x33800000
	v_cmp_lt_f32_e64 s[28:29], |v37|, s28
	s_nop 1
	v_cndmask_b32_e64 v22, v22, v37, s[28:29]
	v_add_f32_e32 v21, v21, v22
	v_cvt_f16_f32_e32 v22, v21
.LBB351_253:
	s_or_b64 exec, exec, s[30:31]
	v_mov_b32_e32 v21, v22
.LBB351_254:
	s_or_b64 exec, exec, s[34:35]
	v_or_b32_e32 v23, 63, v0
	v_lshrrev_b32_e32 v22, 6, v0
	v_cmp_eq_u32_e64 s[28:29], v0, v23
	s_and_saveexec_b64 s[30:31], s[28:29]
; %bb.255:
	v_lshlrev_b32_e32 v23, 1, v22
	ds_write_b16 v23, v21
; %bb.256:
	s_or_b64 exec, exec, s[30:31]
	v_cmp_gt_u32_e64 s[28:29], 2, v0
	s_waitcnt lgkmcnt(0)
	s_barrier
	s_and_saveexec_b64 s[34:35], s[28:29]
	s_cbranch_execz .LBB351_262
; %bb.257:
	ds_read_u16 v23, v2
	v_and_b32_e32 v25, 1, v18
	v_cmp_eq_u32_e64 s[28:29], 1, v25
	s_waitcnt lgkmcnt(0)
	v_and_b32_e32 v24, 0xffff, v23
	s_nop 1
	v_mov_b32_dpp v24, v24 row_shr:1 row_mask:0xf bank_mask:0xf
	s_and_saveexec_b64 s[36:37], s[28:29]
	s_cbranch_execz .LBB351_261
; %bb.258:
	v_cvt_f32_f16_e32 v26, v24
	v_cvt_f32_f16_e32 v27, v23
	v_cmp_u_f16_e64 s[28:29], v24, v24
	v_cmp_u_f16_e64 s[30:31], v23, v23
	v_min_f32_e32 v25, v26, v27
	v_max_f32_e32 v23, v26, v27
	v_cndmask_b32_e64 v25, v25, v26, s[28:29]
	v_cndmask_b32_e64 v23, v23, v26, s[28:29]
	v_cndmask_b32_e64 v25, v25, v27, s[30:31]
	v_cndmask_b32_e64 v23, v23, v27, s[30:31]
	s_movk_i32 s30, 0x1f8
	v_cmp_neq_f32_e64 s[28:29], v25, v23
	v_cmp_class_f32_e64 s[30:31], v25, s30
	s_or_b64 s[28:29], s[28:29], s[30:31]
	s_and_saveexec_b64 s[30:31], s[28:29]
	s_cbranch_execz .LBB351_260
; %bb.259:
	v_sub_f32_e32 v24, v25, v23
	s_mov_b32 s28, 0x3fb8aa3b
	v_mul_f32_e32 v25, 0x3fb8aa3b, v24
	v_fma_f32 v26, v24, s28, -v25
	v_rndne_f32_e32 v27, v25
	v_fmamk_f32 v26, v24, 0x32a5705f, v26
	v_sub_f32_e32 v25, v25, v27
	v_add_f32_e32 v25, v25, v26
	v_exp_f32_e32 v25, v25
	v_cvt_i32_f32_e32 v26, v27
	s_mov_b32 s28, 0xc2ce8ed0
	v_cmp_ngt_f32_e64 s[28:29], s28, v24
	v_mov_b32_e32 v38, 0x7f800000
	v_ldexp_f32 v25, v25, v26
	v_cndmask_b32_e64 v25, 0, v25, s[28:29]
	s_mov_b32 s28, 0x42b17218
	v_cmp_nlt_f32_e64 s[28:29], s28, v24
	s_mov_b32 s44, 0x7f800000
	s_nop 0
	v_cndmask_b32_e64 v39, v38, v25, s[28:29]
	v_add_f32_e32 v26, 1.0, v39
	v_add_f32_e32 v24, -1.0, v26
	v_sub_f32_e32 v25, v24, v26
	v_add_f32_e32 v25, 1.0, v25
	v_sub_f32_e32 v24, v39, v24
	v_add_f32_e32 v27, v24, v25
	v_frexp_mant_f32_e32 v28, v26
	s_mov_b32 s28, 0x3f2aaaab
	v_cvt_f64_f32_e32 v[24:25], v26
	v_frexp_exp_i32_f64_e32 v24, v[24:25]
	v_cmp_gt_f32_e64 s[28:29], s28, v28
	s_nop 1
	v_subbrev_co_u32_e64 v32, s[28:29], 0, v24, s[28:29]
	v_sub_u32_e32 v24, 0, v32
	v_ldexp_f32 v25, v26, v24
	v_add_f32_e32 v26, -1.0, v25
	v_add_f32_e32 v28, 1.0, v25
	v_ldexp_f32 v24, v27, v24
	v_add_f32_e32 v27, 1.0, v26
	v_add_f32_e32 v29, -1.0, v28
	v_sub_f32_e32 v27, v25, v27
	v_sub_f32_e32 v25, v25, v29
	v_add_f32_e32 v27, v24, v27
	v_add_f32_e32 v24, v24, v25
	;; [unrolled: 1-line block ×3, first 2 shown]
	v_rcp_f32_e32 v35, v33
	v_sub_f32_e32 v25, v28, v33
	v_add_f32_e32 v34, v24, v25
	v_add_f32_e32 v25, v26, v27
	v_mul_f32_e32 v37, v25, v35
	v_sub_f32_e32 v24, v26, v25
	v_mul_f32_e32 v26, v33, v37
	v_fma_f32 v28, v37, v33, -v26
	v_fmac_f32_e32 v28, v37, v34
	v_add_f32_e32 v36, v27, v24
	v_add_f32_e32 v24, v26, v28
	v_sub_f32_e32 v27, v25, v24
	v_pk_add_f32 v[30:31], v[24:25], v[26:27] neg_lo:[0,1] neg_hi:[0,1]
	v_mov_b32_e32 v29, v24
	v_pk_add_f32 v[24:25], v[30:31], v[28:29] neg_lo:[0,1] neg_hi:[0,1]
	s_mov_b32 s28, 0x3f317218
	v_add_f32_e32 v25, v36, v25
	v_add_f32_e32 v24, v24, v25
	;; [unrolled: 1-line block ×3, first 2 shown]
	v_mul_f32_e32 v36, v35, v25
	v_mul_f32_e32 v26, v33, v36
	v_fma_f32 v28, v36, v33, -v26
	v_fmac_f32_e32 v28, v36, v34
	v_sub_f32_e32 v27, v27, v25
	v_add_f32_e32 v33, v24, v27
	v_add_f32_e32 v24, v26, v28
	v_sub_f32_e32 v27, v25, v24
	v_pk_add_f32 v[30:31], v[24:25], v[26:27] neg_lo:[0,1] neg_hi:[0,1]
	v_mov_b32_e32 v29, v24
	v_pk_add_f32 v[24:25], v[30:31], v[28:29] neg_lo:[0,1] neg_hi:[0,1]
	v_cvt_f32_i32_e32 v26, v32
	v_add_f32_e32 v25, v33, v25
	v_add_f32_e32 v24, v24, v25
	;; [unrolled: 1-line block ×4, first 2 shown]
	v_sub_f32_e32 v25, v27, v37
	v_mul_f32_e32 v24, v35, v24
	v_sub_f32_e32 v25, v36, v25
	v_add_f32_e32 v24, v25, v24
	v_add_f32_e32 v28, v27, v24
	v_mul_f32_e32 v30, v28, v28
	v_mov_b32_e32 v25, 0x3ecc95a3
	v_sub_f32_e32 v27, v28, v27
	v_fmac_f32_e32 v25, 0x3e9b6dac, v30
	v_sub_f32_e32 v24, v24, v27
	v_fmaak_f32 v25, v30, v25, 0x3f2aaada
	v_ldexp_f32 v31, v24, 1
	v_mul_f32_e32 v27, v28, v30
	v_mov_b32_e32 v24, 0x3f317218
	v_pk_mul_f32 v[24:25], v[26:27], v[24:25]
	v_ldexp_f32 v29, v28, 1
	v_fma_f32 v27, v26, s28, -v24
	v_fmamk_f32 v28, v26, 0xb102e308, v27
	v_pk_add_f32 v[26:27], v[24:25], v[28:29]
	v_mov_b32_e32 v30, v24
	v_sub_f32_e32 v29, v27, v29
	v_sub_f32_e32 v29, v25, v29
	v_add_f32_e32 v31, v31, v29
	v_pk_add_f32 v[24:25], v[26:27], v[24:25] neg_lo:[0,1] neg_hi:[0,1]
	v_pk_add_f32 v[32:33], v[26:27], v[30:31]
	v_mov_b32_e32 v29, v26
	v_mov_b32_e32 v25, v33
	v_pk_add_f32 v[34:35], v[28:29], v[24:25] neg_lo:[0,1] neg_hi:[0,1]
	v_pk_add_f32 v[24:25], v[28:29], v[24:25]
	v_mov_b32_e32 v30, v31
	v_pk_add_f32 v[28:29], v[24:25], v[26:27] op_sel:[1,0] op_sel_hi:[0,1] neg_lo:[0,1] neg_hi:[0,1]
	v_pk_add_f32 v[36:37], v[32:33], v[28:29] op_sel_hi:[1,0] neg_lo:[0,1] neg_hi:[0,1]
	v_mov_b32_e32 v32, v33
	v_mov_b32_e32 v33, v25
	v_pk_mov_b32 v[28:29], v[26:27], v[28:29] op_sel:[1,0]
	v_mov_b32_e32 v31, v26
	v_pk_add_f32 v[28:29], v[32:33], v[28:29] neg_lo:[0,1] neg_hi:[0,1]
	v_mov_b32_e32 v36, v34
	v_pk_add_f32 v[26:27], v[30:31], v[28:29] neg_lo:[0,1] neg_hi:[0,1]
	v_mov_b32_e32 v35, v25
	v_pk_add_f32 v[28:29], v[36:37], v[26:27]
	v_cmp_neq_f32_e64 s[28:29], s44, v39
	v_pk_add_f32 v[30:31], v[28:29], v[28:29] op_sel:[0,1] op_sel_hi:[1,0]
	s_nop 0
	v_pk_add_f32 v[24:25], v[24:25], v[30:31] op_sel:[1,0] op_sel_hi:[0,1]
	v_mov_b32_e32 v29, v24
	v_pk_add_f32 v[32:33], v[28:29], v[34:35] neg_lo:[0,1] neg_hi:[0,1]
	v_mov_b32_e32 v27, v30
	v_sub_f32_e32 v25, v28, v32
	v_pk_add_f32 v[26:27], v[26:27], v[32:33] neg_lo:[0,1] neg_hi:[0,1]
	v_sub_f32_e32 v25, v34, v25
	v_add_f32_e32 v25, v26, v25
	v_add_f32_e32 v25, v25, v27
	;; [unrolled: 1-line block ×3, first 2 shown]
	v_cndmask_b32_e64 v24, v38, v24, s[28:29]
	s_mov_b32 s28, 0x33800000
	v_cmp_lt_f32_e64 s[28:29], |v39|, s28
	s_nop 1
	v_cndmask_b32_e64 v24, v24, v39, s[28:29]
	v_add_f32_e32 v23, v23, v24
	v_cvt_f16_f32_e32 v24, v23
.LBB351_260:
	s_or_b64 exec, exec, s[30:31]
	v_mov_b32_e32 v23, v24
.LBB351_261:
	s_or_b64 exec, exec, s[36:37]
	ds_write_b16 v2, v23
.LBB351_262:
	s_or_b64 exec, exec, s[34:35]
	v_cmp_lt_u32_e64 s[28:29], 63, v0
	s_waitcnt lgkmcnt(0)
	s_barrier
                                        ; implicit-def: $vgpr23
	s_and_saveexec_b64 s[30:31], s[28:29]
	s_cbranch_execz .LBB351_266
; %bb.263:
	v_lshl_add_u32 v22, v22, 1, -2
	ds_read_u16 v23, v22
	v_cvt_f32_f16_e32 v22, v21
	s_movk_i32 s34, 0x1f8
	s_waitcnt lgkmcnt(0)
	v_cvt_f32_f16_e32 v24, v23
	v_cmp_u_f16_e64 s[28:29], v23, v23
	v_min_f32_e32 v25, v24, v22
	v_max_f32_e32 v26, v24, v22
	v_cndmask_b32_e64 v25, v25, v24, s[28:29]
	v_cndmask_b32_e64 v26, v26, v24, s[28:29]
	v_cmp_u_f16_e64 s[28:29], v21, v21
	v_mov_b32_e32 v21, v23
	s_nop 0
	v_cndmask_b32_e64 v24, v25, v22, s[28:29]
	v_cndmask_b32_e64 v22, v26, v22, s[28:29]
	v_cmp_neq_f32_e64 s[28:29], v24, v22
	v_cmp_class_f32_e64 s[34:35], v24, s34
	s_or_b64 s[28:29], s[28:29], s[34:35]
	s_and_saveexec_b64 s[34:35], s[28:29]
	s_cbranch_execz .LBB351_265
; %bb.264:
	v_sub_f32_e32 v21, v24, v22
	s_mov_b32 s28, 0x3fb8aa3b
	v_mul_f32_e32 v24, 0x3fb8aa3b, v21
	v_fma_f32 v25, v21, s28, -v24
	v_rndne_f32_e32 v26, v24
	v_fmamk_f32 v25, v21, 0x32a5705f, v25
	v_sub_f32_e32 v24, v24, v26
	v_add_f32_e32 v24, v24, v25
	v_exp_f32_e32 v24, v24
	v_cvt_i32_f32_e32 v25, v26
	s_mov_b32 s28, 0xc2ce8ed0
	v_cmp_ngt_f32_e64 s[28:29], s28, v21
	v_mov_b32_e32 v38, 0x7f800000
	v_ldexp_f32 v24, v24, v25
	v_cndmask_b32_e64 v24, 0, v24, s[28:29]
	s_mov_b32 s28, 0x42b17218
	v_cmp_nlt_f32_e64 s[28:29], s28, v21
	s_mov_b32 s36, 0x7f800000
	s_nop 0
	v_cndmask_b32_e64 v21, v38, v24, s[28:29]
	v_add_f32_e32 v26, 1.0, v21
	v_add_f32_e32 v24, -1.0, v26
	v_sub_f32_e32 v25, v24, v26
	v_add_f32_e32 v25, 1.0, v25
	v_sub_f32_e32 v24, v21, v24
	v_add_f32_e32 v27, v24, v25
	v_frexp_mant_f32_e32 v28, v26
	s_mov_b32 s28, 0x3f2aaaab
	v_cvt_f64_f32_e32 v[24:25], v26
	v_frexp_exp_i32_f64_e32 v24, v[24:25]
	v_cmp_gt_f32_e64 s[28:29], s28, v28
	s_nop 1
	v_subbrev_co_u32_e64 v32, s[28:29], 0, v24, s[28:29]
	v_sub_u32_e32 v24, 0, v32
	v_ldexp_f32 v25, v26, v24
	v_add_f32_e32 v26, -1.0, v25
	v_add_f32_e32 v28, 1.0, v25
	v_ldexp_f32 v24, v27, v24
	v_add_f32_e32 v27, 1.0, v26
	v_add_f32_e32 v29, -1.0, v28
	v_sub_f32_e32 v27, v25, v27
	v_sub_f32_e32 v25, v25, v29
	v_add_f32_e32 v27, v24, v27
	v_add_f32_e32 v24, v24, v25
	;; [unrolled: 1-line block ×3, first 2 shown]
	v_rcp_f32_e32 v35, v33
	v_sub_f32_e32 v25, v28, v33
	v_add_f32_e32 v34, v24, v25
	v_add_f32_e32 v25, v26, v27
	v_mul_f32_e32 v37, v25, v35
	v_sub_f32_e32 v24, v26, v25
	v_mul_f32_e32 v26, v33, v37
	v_fma_f32 v28, v37, v33, -v26
	v_fmac_f32_e32 v28, v37, v34
	v_add_f32_e32 v36, v27, v24
	v_add_f32_e32 v24, v26, v28
	v_sub_f32_e32 v27, v25, v24
	v_pk_add_f32 v[30:31], v[24:25], v[26:27] neg_lo:[0,1] neg_hi:[0,1]
	v_mov_b32_e32 v29, v24
	v_pk_add_f32 v[24:25], v[30:31], v[28:29] neg_lo:[0,1] neg_hi:[0,1]
	s_mov_b32 s28, 0x3f317218
	v_add_f32_e32 v25, v36, v25
	v_add_f32_e32 v24, v24, v25
	;; [unrolled: 1-line block ×3, first 2 shown]
	v_mul_f32_e32 v36, v35, v25
	v_mul_f32_e32 v26, v33, v36
	v_fma_f32 v28, v36, v33, -v26
	v_fmac_f32_e32 v28, v36, v34
	v_sub_f32_e32 v27, v27, v25
	v_add_f32_e32 v33, v24, v27
	v_add_f32_e32 v24, v26, v28
	v_sub_f32_e32 v27, v25, v24
	v_pk_add_f32 v[30:31], v[24:25], v[26:27] neg_lo:[0,1] neg_hi:[0,1]
	v_mov_b32_e32 v29, v24
	v_pk_add_f32 v[24:25], v[30:31], v[28:29] neg_lo:[0,1] neg_hi:[0,1]
	v_cvt_f32_i32_e32 v26, v32
	v_add_f32_e32 v25, v33, v25
	v_add_f32_e32 v24, v24, v25
	;; [unrolled: 1-line block ×4, first 2 shown]
	v_sub_f32_e32 v25, v27, v37
	v_mul_f32_e32 v24, v35, v24
	v_sub_f32_e32 v25, v36, v25
	v_add_f32_e32 v24, v25, v24
	v_add_f32_e32 v28, v27, v24
	v_mul_f32_e32 v30, v28, v28
	v_mov_b32_e32 v25, 0x3ecc95a3
	v_sub_f32_e32 v27, v28, v27
	v_fmac_f32_e32 v25, 0x3e9b6dac, v30
	v_sub_f32_e32 v24, v24, v27
	v_fmaak_f32 v25, v30, v25, 0x3f2aaada
	v_ldexp_f32 v31, v24, 1
	v_mul_f32_e32 v27, v28, v30
	v_mov_b32_e32 v24, 0x3f317218
	v_pk_mul_f32 v[24:25], v[26:27], v[24:25]
	v_ldexp_f32 v29, v28, 1
	v_fma_f32 v27, v26, s28, -v24
	v_fmamk_f32 v28, v26, 0xb102e308, v27
	v_pk_add_f32 v[26:27], v[24:25], v[28:29]
	v_mov_b32_e32 v30, v24
	v_sub_f32_e32 v29, v27, v29
	v_sub_f32_e32 v29, v25, v29
	v_add_f32_e32 v31, v31, v29
	v_pk_add_f32 v[24:25], v[26:27], v[24:25] neg_lo:[0,1] neg_hi:[0,1]
	v_pk_add_f32 v[32:33], v[26:27], v[30:31]
	v_mov_b32_e32 v29, v26
	v_mov_b32_e32 v25, v33
	v_pk_add_f32 v[34:35], v[28:29], v[24:25] neg_lo:[0,1] neg_hi:[0,1]
	v_pk_add_f32 v[24:25], v[28:29], v[24:25]
	v_mov_b32_e32 v30, v31
	v_pk_add_f32 v[28:29], v[24:25], v[26:27] op_sel:[1,0] op_sel_hi:[0,1] neg_lo:[0,1] neg_hi:[0,1]
	v_pk_add_f32 v[36:37], v[32:33], v[28:29] op_sel_hi:[1,0] neg_lo:[0,1] neg_hi:[0,1]
	v_mov_b32_e32 v32, v33
	v_mov_b32_e32 v33, v25
	v_pk_mov_b32 v[28:29], v[26:27], v[28:29] op_sel:[1,0]
	v_mov_b32_e32 v31, v26
	v_pk_add_f32 v[28:29], v[32:33], v[28:29] neg_lo:[0,1] neg_hi:[0,1]
	v_mov_b32_e32 v36, v34
	v_pk_add_f32 v[26:27], v[30:31], v[28:29] neg_lo:[0,1] neg_hi:[0,1]
	v_mov_b32_e32 v35, v25
	v_pk_add_f32 v[28:29], v[36:37], v[26:27]
	v_cmp_neq_f32_e64 s[28:29], s36, v21
	v_pk_add_f32 v[30:31], v[28:29], v[28:29] op_sel:[0,1] op_sel_hi:[1,0]
	s_nop 0
	v_pk_add_f32 v[24:25], v[24:25], v[30:31] op_sel:[1,0] op_sel_hi:[0,1]
	v_mov_b32_e32 v29, v24
	v_pk_add_f32 v[32:33], v[28:29], v[34:35] neg_lo:[0,1] neg_hi:[0,1]
	v_mov_b32_e32 v27, v30
	v_sub_f32_e32 v25, v28, v32
	v_pk_add_f32 v[26:27], v[26:27], v[32:33] neg_lo:[0,1] neg_hi:[0,1]
	v_sub_f32_e32 v25, v34, v25
	v_add_f32_e32 v25, v26, v25
	v_add_f32_e32 v25, v25, v27
	;; [unrolled: 1-line block ×3, first 2 shown]
	v_cndmask_b32_e64 v24, v38, v24, s[28:29]
	s_mov_b32 s28, 0x33800000
	v_cmp_lt_f32_e64 s[28:29], |v21|, s28
	s_nop 1
	v_cndmask_b32_e64 v21, v24, v21, s[28:29]
	v_add_f32_e32 v21, v22, v21
	v_cvt_f16_f32_e32 v21, v21
.LBB351_265:
	s_or_b64 exec, exec, s[34:35]
.LBB351_266:
	s_or_b64 exec, exec, s[30:31]
	v_add_u32_e32 v22, -1, v18
	v_and_b32_e32 v24, 64, v18
	v_cmp_lt_i32_e64 s[28:29], v22, v24
	v_and_b32_e32 v21, 0xffff, v21
	v_mov_b32_e32 v25, v10
	v_cndmask_b32_e64 v22, v22, v18, s[28:29]
	v_lshlrev_b32_e32 v22, 2, v22
	ds_bpermute_b32 v21, v22, v21
	s_and_saveexec_b64 s[28:29], s[2:3]
	s_cbranch_execz .LBB351_270
; %bb.267:
	v_cmp_eq_u32_e64 s[2:3], 0, v18
	v_max_f32_e32 v11, v12, v12
	s_waitcnt lgkmcnt(0)
	v_cndmask_b32_e64 v10, v21, v23, s[2:3]
	v_cvt_f32_f16_e32 v18, v10
	v_cmp_u_f16_e64 s[2:3], v10, v10
	v_min_f32_e32 v20, v18, v11
	v_max_f32_e32 v11, v18, v11
	v_cndmask_b32_e64 v20, v20, v18, s[2:3]
	v_cndmask_b32_e64 v11, v11, v18, s[2:3]
	;; [unrolled: 1-line block ×4, first 2 shown]
	s_movk_i32 s26, 0x1f8
	v_cmp_neq_f32_e64 s[2:3], v20, v11
	v_cmp_class_f32_e64 s[26:27], v20, s26
	s_or_b64 s[2:3], s[2:3], s[26:27]
	s_and_saveexec_b64 s[26:27], s[2:3]
	s_cbranch_execz .LBB351_269
; %bb.268:
	v_sub_f32_e32 v10, v20, v11
	s_mov_b32 s2, 0x3fb8aa3b
	v_mul_f32_e32 v12, 0x3fb8aa3b, v10
	v_fma_f32 v18, v10, s2, -v12
	v_rndne_f32_e32 v20, v12
	v_fmamk_f32 v18, v10, 0x32a5705f, v18
	v_sub_f32_e32 v12, v12, v20
	v_add_f32_e32 v12, v12, v18
	v_exp_f32_e32 v12, v12
	v_cvt_i32_f32_e32 v18, v20
	s_mov_b32 s2, 0xc2ce8ed0
	v_cmp_ngt_f32_e64 s[2:3], s2, v10
	s_mov_b32 s30, 0x7f800000
	v_ldexp_f32 v12, v12, v18
	v_cndmask_b32_e64 v12, 0, v12, s[2:3]
	s_mov_b32 s2, 0x42b17218
	v_mov_b32_e32 v18, 0x7f800000
	v_cmp_nlt_f32_e64 s[2:3], s2, v10
	s_nop 1
	v_cndmask_b32_e64 v10, v18, v12, s[2:3]
	v_add_f32_e32 v12, 1.0, v10
	v_add_f32_e32 v20, -1.0, v12
	v_sub_f32_e32 v21, v20, v12
	v_add_f32_e32 v21, 1.0, v21
	v_sub_f32_e32 v20, v10, v20
	v_add_f32_e32 v22, v20, v21
	v_frexp_mant_f32_e32 v23, v12
	s_mov_b32 s2, 0x3f2aaaab
	v_cvt_f64_f32_e32 v[20:21], v12
	v_frexp_exp_i32_f64_e32 v20, v[20:21]
	v_cmp_gt_f32_e64 s[2:3], s2, v23
	s_nop 1
	v_subbrev_co_u32_e64 v28, s[2:3], 0, v20, s[2:3]
	v_sub_u32_e32 v20, 0, v28
	v_ldexp_f32 v12, v12, v20
	v_ldexp_f32 v20, v22, v20
	v_add_f32_e32 v22, -1.0, v12
	v_add_f32_e32 v21, 1.0, v22
	v_sub_f32_e32 v21, v12, v21
	v_add_f32_e32 v23, v20, v21
	v_add_f32_e32 v21, 1.0, v12
	v_add_f32_e32 v24, -1.0, v21
	v_sub_f32_e32 v12, v12, v24
	v_add_f32_e32 v12, v20, v12
	v_add_f32_e32 v29, v21, v12
	v_rcp_f32_e32 v30, v29
	v_sub_f32_e32 v20, v21, v29
	v_add_f32_e32 v21, v22, v23
	v_add_f32_e32 v12, v12, v20
	v_mul_f32_e32 v32, v21, v30
	v_sub_f32_e32 v20, v22, v21
	v_mul_f32_e32 v22, v29, v32
	v_fma_f32 v24, v32, v29, -v22
	v_fmac_f32_e32 v24, v32, v12
	v_add_f32_e32 v31, v23, v20
	v_add_f32_e32 v20, v22, v24
	v_sub_f32_e32 v23, v21, v20
	v_pk_add_f32 v[26:27], v[20:21], v[22:23] neg_lo:[0,1] neg_hi:[0,1]
	v_mov_b32_e32 v25, v20
	v_pk_add_f32 v[20:21], v[26:27], v[24:25] neg_lo:[0,1] neg_hi:[0,1]
	s_mov_b32 s2, 0x3f317218
	v_add_f32_e32 v21, v31, v21
	v_add_f32_e32 v20, v20, v21
	;; [unrolled: 1-line block ×3, first 2 shown]
	v_mul_f32_e32 v31, v30, v21
	v_mul_f32_e32 v22, v29, v31
	v_fma_f32 v24, v31, v29, -v22
	v_fmac_f32_e32 v24, v31, v12
	v_sub_f32_e32 v12, v23, v21
	v_add_f32_e32 v12, v20, v12
	v_add_f32_e32 v20, v22, v24
	v_sub_f32_e32 v23, v21, v20
	v_pk_add_f32 v[26:27], v[20:21], v[22:23] neg_lo:[0,1] neg_hi:[0,1]
	v_mov_b32_e32 v25, v20
	v_pk_add_f32 v[20:21], v[26:27], v[24:25] neg_lo:[0,1] neg_hi:[0,1]
	v_cvt_f32_i32_e32 v22, v28
	v_add_f32_e32 v12, v12, v21
	v_add_f32_e32 v12, v20, v12
	;; [unrolled: 1-line block ×4, first 2 shown]
	v_sub_f32_e32 v21, v20, v32
	v_mul_f32_e32 v12, v30, v12
	v_sub_f32_e32 v21, v31, v21
	v_add_f32_e32 v12, v21, v12
	v_add_f32_e32 v23, v20, v12
	v_mul_f32_e32 v24, v23, v23
	v_mov_b32_e32 v21, 0x3ecc95a3
	v_fmac_f32_e32 v21, 0x3e9b6dac, v24
	v_sub_f32_e32 v20, v23, v20
	v_fmaak_f32 v21, v24, v21, 0x3f2aaada
	v_sub_f32_e32 v12, v12, v20
	v_ldexp_f32 v25, v23, 1
	v_mul_f32_e32 v23, v23, v24
	v_mov_b32_e32 v20, 0x3f317218
	v_pk_mul_f32 v[20:21], v[22:23], v[20:21]
	v_ldexp_f32 v12, v12, 1
	v_fma_f32 v23, v22, s2, -v20
	v_fmamk_f32 v24, v22, 0xb102e308, v23
	v_pk_add_f32 v[22:23], v[20:21], v[24:25]
	v_mov_b32_e32 v26, v20
	v_sub_f32_e32 v25, v23, v25
	v_sub_f32_e32 v25, v21, v25
	v_add_f32_e32 v27, v12, v25
	v_pk_add_f32 v[20:21], v[22:23], v[20:21] neg_lo:[0,1] neg_hi:[0,1]
	v_pk_add_f32 v[28:29], v[22:23], v[26:27]
	v_mov_b32_e32 v25, v22
	v_mov_b32_e32 v21, v29
	v_pk_add_f32 v[30:31], v[24:25], v[20:21] neg_lo:[0,1] neg_hi:[0,1]
	v_pk_add_f32 v[20:21], v[24:25], v[20:21]
	v_mov_b32_e32 v26, v27
	v_pk_add_f32 v[24:25], v[20:21], v[22:23] op_sel:[1,0] op_sel_hi:[0,1] neg_lo:[0,1] neg_hi:[0,1]
	v_pk_add_f32 v[32:33], v[28:29], v[24:25] op_sel_hi:[1,0] neg_lo:[0,1] neg_hi:[0,1]
	v_mov_b32_e32 v28, v29
	v_mov_b32_e32 v29, v21
	v_pk_mov_b32 v[24:25], v[22:23], v[24:25] op_sel:[1,0]
	v_mov_b32_e32 v27, v22
	v_pk_add_f32 v[24:25], v[28:29], v[24:25] neg_lo:[0,1] neg_hi:[0,1]
	v_mov_b32_e32 v32, v30
	v_pk_add_f32 v[22:23], v[26:27], v[24:25] neg_lo:[0,1] neg_hi:[0,1]
	v_mov_b32_e32 v31, v21
	v_pk_add_f32 v[24:25], v[32:33], v[22:23]
	v_cmp_neq_f32_e64 s[2:3], s30, v10
	v_pk_add_f32 v[26:27], v[24:25], v[24:25] op_sel:[0,1] op_sel_hi:[1,0]
	s_nop 0
	v_pk_add_f32 v[20:21], v[20:21], v[26:27] op_sel:[1,0] op_sel_hi:[0,1]
	v_mov_b32_e32 v25, v20
	v_pk_add_f32 v[28:29], v[24:25], v[30:31] neg_lo:[0,1] neg_hi:[0,1]
	v_mov_b32_e32 v23, v26
	v_sub_f32_e32 v12, v24, v28
	v_pk_add_f32 v[22:23], v[22:23], v[28:29] neg_lo:[0,1] neg_hi:[0,1]
	v_sub_f32_e32 v12, v30, v12
	v_add_f32_e32 v12, v22, v12
	v_add_f32_e32 v12, v12, v23
	;; [unrolled: 1-line block ×3, first 2 shown]
	v_cndmask_b32_e64 v12, v18, v12, s[2:3]
	s_mov_b32 s2, 0x33800000
	v_cmp_lt_f32_e64 s[2:3], |v10|, s2
	s_nop 1
	v_cndmask_b32_e64 v10, v12, v10, s[2:3]
	v_add_f32_e32 v10, v11, v10
	v_cvt_f16_f32_e32 v10, v10
	v_cvt_f32_f16_e32 v18, v10
.LBB351_269:
	s_or_b64 exec, exec, s[26:27]
	v_max_f32_e32 v12, v3, v3
	v_max_f32_e32 v20, v18, v18
	v_min_f32_e32 v11, v20, v12
	v_max_f32_e32 v20, v20, v12
	v_mov_b32_e32 v25, v10
	v_mov_b32_e32 v12, v18
	;;#ASMSTART
	;;#ASMEND
.LBB351_270:
	s_or_b64 exec, exec, s[28:29]
	v_cmp_u_f16_e64 s[2:3], v25, v25
	s_movk_i32 s26, 0x1f8
	s_nop 0
	v_cndmask_b32_e64 v11, v11, v12, s[2:3]
	v_cndmask_b32_e32 v18, v11, v3, vcc
	v_cndmask_b32_e64 v11, v20, v12, s[2:3]
	v_cndmask_b32_e32 v3, v11, v3, vcc
	v_cmp_neq_f32_e32 vcc, v18, v3
	v_cmp_class_f32_e64 s[2:3], v18, s26
	s_or_b64 s[28:29], vcc, s[2:3]
	v_mov_b32_e32 v11, v10
	s_and_saveexec_b64 s[2:3], s[28:29]
	s_cbranch_execz .LBB351_272
; %bb.271:
	v_sub_f32_e32 v11, v18, v3
	s_mov_b32 s27, 0x3fb8aa3b
	v_mul_f32_e32 v12, 0x3fb8aa3b, v11
	v_fma_f32 v18, v11, s27, -v12
	v_rndne_f32_e32 v20, v12
	v_fmamk_f32 v18, v11, 0x32a5705f, v18
	v_sub_f32_e32 v12, v12, v20
	v_add_f32_e32 v12, v12, v18
	v_exp_f32_e32 v12, v12
	v_cvt_i32_f32_e32 v18, v20
	s_mov_b32 s27, 0xc2ce8ed0
	v_cmp_ngt_f32_e32 vcc, s27, v11
	s_mov_b32 s27, 0x42b17218
	v_ldexp_f32 v12, v12, v18
	v_cndmask_b32_e32 v12, 0, v12, vcc
	v_mov_b32_e32 v18, 0x7f800000
	v_cmp_nlt_f32_e32 vcc, s27, v11
	s_mov_b32 s27, 0x3f2aaaab
	s_mov_b32 s28, 0x7f800000
	v_cndmask_b32_e32 v11, v18, v12, vcc
	v_add_f32_e32 v12, 1.0, v11
	v_add_f32_e32 v20, -1.0, v12
	s_waitcnt lgkmcnt(0)
	v_sub_f32_e32 v21, v20, v12
	v_add_f32_e32 v21, 1.0, v21
	v_sub_f32_e32 v20, v11, v20
	v_add_f32_e32 v22, v20, v21
	v_frexp_mant_f32_e32 v23, v12
	v_cvt_f64_f32_e32 v[20:21], v12
	v_frexp_exp_i32_f64_e32 v20, v[20:21]
	v_cmp_gt_f32_e32 vcc, s27, v23
	s_mov_b32 s27, 0x3f317218
	s_nop 0
	v_subbrev_co_u32_e32 v28, vcc, 0, v20, vcc
	v_sub_u32_e32 v20, 0, v28
	v_ldexp_f32 v12, v12, v20
	v_ldexp_f32 v20, v22, v20
	v_add_f32_e32 v22, -1.0, v12
	v_add_f32_e32 v21, 1.0, v22
	v_sub_f32_e32 v21, v12, v21
	v_add_f32_e32 v23, v20, v21
	v_add_f32_e32 v21, 1.0, v12
	v_add_f32_e32 v24, -1.0, v21
	v_sub_f32_e32 v12, v12, v24
	v_add_f32_e32 v12, v20, v12
	v_add_f32_e32 v29, v21, v12
	v_rcp_f32_e32 v30, v29
	v_sub_f32_e32 v20, v21, v29
	v_add_f32_e32 v21, v22, v23
	v_add_f32_e32 v12, v12, v20
	v_mul_f32_e32 v32, v21, v30
	v_sub_f32_e32 v20, v22, v21
	v_mul_f32_e32 v22, v29, v32
	v_fma_f32 v24, v32, v29, -v22
	v_fmac_f32_e32 v24, v32, v12
	v_add_f32_e32 v31, v23, v20
	v_add_f32_e32 v20, v22, v24
	v_sub_f32_e32 v23, v21, v20
	v_pk_add_f32 v[26:27], v[20:21], v[22:23] neg_lo:[0,1] neg_hi:[0,1]
	v_mov_b32_e32 v25, v20
	v_pk_add_f32 v[20:21], v[26:27], v[24:25] neg_lo:[0,1] neg_hi:[0,1]
	v_cmp_neq_f32_e32 vcc, s28, v11
	v_add_f32_e32 v21, v31, v21
	v_add_f32_e32 v20, v20, v21
	v_add_f32_e32 v21, v23, v20
	v_mul_f32_e32 v31, v30, v21
	v_mul_f32_e32 v22, v29, v31
	v_fma_f32 v24, v31, v29, -v22
	v_fmac_f32_e32 v24, v31, v12
	v_sub_f32_e32 v12, v23, v21
	v_add_f32_e32 v12, v20, v12
	v_add_f32_e32 v20, v22, v24
	v_sub_f32_e32 v23, v21, v20
	v_pk_add_f32 v[26:27], v[20:21], v[22:23] neg_lo:[0,1] neg_hi:[0,1]
	v_mov_b32_e32 v25, v20
	v_pk_add_f32 v[20:21], v[26:27], v[24:25] neg_lo:[0,1] neg_hi:[0,1]
	v_cvt_f32_i32_e32 v22, v28
	v_add_f32_e32 v12, v12, v21
	v_add_f32_e32 v12, v20, v12
	;; [unrolled: 1-line block ×4, first 2 shown]
	v_sub_f32_e32 v21, v20, v32
	v_mul_f32_e32 v12, v30, v12
	v_sub_f32_e32 v21, v31, v21
	v_add_f32_e32 v12, v21, v12
	v_add_f32_e32 v23, v20, v12
	v_mul_f32_e32 v24, v23, v23
	v_mov_b32_e32 v21, 0x3ecc95a3
	v_fmac_f32_e32 v21, 0x3e9b6dac, v24
	v_sub_f32_e32 v20, v23, v20
	v_fmaak_f32 v21, v24, v21, 0x3f2aaada
	v_sub_f32_e32 v12, v12, v20
	v_ldexp_f32 v25, v23, 1
	v_mul_f32_e32 v23, v23, v24
	v_mov_b32_e32 v20, 0x3f317218
	v_pk_mul_f32 v[20:21], v[22:23], v[20:21]
	v_ldexp_f32 v12, v12, 1
	v_fma_f32 v23, v22, s27, -v20
	v_fmamk_f32 v24, v22, 0xb102e308, v23
	v_pk_add_f32 v[22:23], v[20:21], v[24:25]
	v_mov_b32_e32 v26, v20
	v_sub_f32_e32 v25, v23, v25
	v_sub_f32_e32 v25, v21, v25
	v_add_f32_e32 v27, v12, v25
	v_pk_add_f32 v[20:21], v[22:23], v[20:21] neg_lo:[0,1] neg_hi:[0,1]
	v_pk_add_f32 v[28:29], v[22:23], v[26:27]
	v_mov_b32_e32 v25, v22
	v_mov_b32_e32 v21, v29
	v_pk_add_f32 v[30:31], v[24:25], v[20:21] neg_lo:[0,1] neg_hi:[0,1]
	v_pk_add_f32 v[20:21], v[24:25], v[20:21]
	v_mov_b32_e32 v26, v27
	v_pk_add_f32 v[24:25], v[20:21], v[22:23] op_sel:[1,0] op_sel_hi:[0,1] neg_lo:[0,1] neg_hi:[0,1]
	v_pk_add_f32 v[32:33], v[28:29], v[24:25] op_sel_hi:[1,0] neg_lo:[0,1] neg_hi:[0,1]
	v_mov_b32_e32 v28, v29
	v_mov_b32_e32 v29, v21
	v_pk_mov_b32 v[24:25], v[22:23], v[24:25] op_sel:[1,0]
	v_mov_b32_e32 v27, v22
	v_pk_add_f32 v[24:25], v[28:29], v[24:25] neg_lo:[0,1] neg_hi:[0,1]
	v_mov_b32_e32 v32, v30
	v_pk_add_f32 v[22:23], v[26:27], v[24:25] neg_lo:[0,1] neg_hi:[0,1]
	v_mov_b32_e32 v31, v21
	v_pk_add_f32 v[24:25], v[32:33], v[22:23]
	s_mov_b32 s27, 0x33800000
	v_pk_add_f32 v[26:27], v[24:25], v[24:25] op_sel:[0,1] op_sel_hi:[1,0]
	s_nop 0
	v_pk_add_f32 v[20:21], v[20:21], v[26:27] op_sel:[1,0] op_sel_hi:[0,1]
	v_mov_b32_e32 v25, v20
	v_pk_add_f32 v[28:29], v[24:25], v[30:31] neg_lo:[0,1] neg_hi:[0,1]
	v_mov_b32_e32 v23, v26
	v_sub_f32_e32 v12, v24, v28
	v_pk_add_f32 v[22:23], v[22:23], v[28:29] neg_lo:[0,1] neg_hi:[0,1]
	v_sub_f32_e32 v12, v30, v12
	v_add_f32_e32 v12, v22, v12
	v_add_f32_e32 v12, v12, v23
	;; [unrolled: 1-line block ×3, first 2 shown]
	v_cndmask_b32_e32 v12, v18, v12, vcc
	v_cmp_lt_f32_e64 vcc, |v11|, s27
	s_nop 1
	v_cndmask_b32_e32 v11, v12, v11, vcc
	v_add_f32_e32 v3, v3, v11
	v_cvt_f16_f32_e32 v25, v3
	v_cvt_f32_f16_e32 v12, v25
	v_mov_b32_e32 v11, v25
.LBB351_272:
	s_or_b64 exec, exec, s[2:3]
	v_max_f32_e32 v3, v8, v8
	v_max_f32_e32 v20, v12, v12
	v_min_f32_e32 v18, v20, v3
	v_cmp_u_f16_e32 vcc, v25, v25
	v_max_f32_e32 v3, v20, v3
	v_mov_b32_e32 v31, v11
	v_cndmask_b32_e32 v18, v18, v12, vcc
	v_cndmask_b32_e32 v3, v3, v12, vcc
	v_cndmask_b32_e64 v18, v18, v8, s[0:1]
	v_cndmask_b32_e64 v3, v3, v8, s[0:1]
	v_cmp_neq_f32_e32 vcc, v18, v3
	v_cmp_class_f32_e64 s[0:1], v18, s26
	s_or_b64 s[2:3], vcc, s[0:1]
	s_and_saveexec_b64 s[0:1], s[2:3]
	s_cbranch_execz .LBB351_274
; %bb.273:
	v_sub_f32_e32 v8, v18, v3
	s_mov_b32 s2, 0x3fb8aa3b
	v_mul_f32_e32 v12, 0x3fb8aa3b, v8
	v_fma_f32 v18, v8, s2, -v12
	v_rndne_f32_e32 v20, v12
	v_fmamk_f32 v18, v8, 0x32a5705f, v18
	v_sub_f32_e32 v12, v12, v20
	v_add_f32_e32 v12, v12, v18
	v_exp_f32_e32 v12, v12
	v_cvt_i32_f32_e32 v18, v20
	s_mov_b32 s2, 0xc2ce8ed0
	v_cmp_ngt_f32_e32 vcc, s2, v8
	s_mov_b32 s2, 0x42b17218
	v_ldexp_f32 v12, v12, v18
	v_cndmask_b32_e32 v12, 0, v12, vcc
	v_mov_b32_e32 v18, 0x7f800000
	v_cmp_nlt_f32_e32 vcc, s2, v8
	s_mov_b32 s2, 0x3f2aaaab
	s_mov_b32 s3, 0x7f800000
	v_cndmask_b32_e32 v8, v18, v12, vcc
	v_add_f32_e32 v12, 1.0, v8
	v_add_f32_e32 v20, -1.0, v12
	s_waitcnt lgkmcnt(0)
	v_sub_f32_e32 v21, v20, v12
	v_add_f32_e32 v21, 1.0, v21
	v_sub_f32_e32 v20, v8, v20
	v_add_f32_e32 v22, v20, v21
	v_frexp_mant_f32_e32 v23, v12
	v_cvt_f64_f32_e32 v[20:21], v12
	v_frexp_exp_i32_f64_e32 v20, v[20:21]
	v_cmp_gt_f32_e32 vcc, s2, v23
	s_mov_b32 s2, 0x3f317218
	s_nop 0
	v_subbrev_co_u32_e32 v28, vcc, 0, v20, vcc
	v_sub_u32_e32 v20, 0, v28
	v_ldexp_f32 v12, v12, v20
	v_ldexp_f32 v20, v22, v20
	v_add_f32_e32 v22, -1.0, v12
	v_add_f32_e32 v21, 1.0, v22
	v_sub_f32_e32 v21, v12, v21
	v_add_f32_e32 v23, v20, v21
	v_add_f32_e32 v21, 1.0, v12
	v_add_f32_e32 v24, -1.0, v21
	v_sub_f32_e32 v12, v12, v24
	v_add_f32_e32 v12, v20, v12
	v_add_f32_e32 v29, v21, v12
	v_rcp_f32_e32 v30, v29
	v_sub_f32_e32 v20, v21, v29
	v_add_f32_e32 v21, v22, v23
	v_add_f32_e32 v12, v12, v20
	v_mul_f32_e32 v32, v21, v30
	v_sub_f32_e32 v20, v22, v21
	v_mul_f32_e32 v22, v29, v32
	v_fma_f32 v24, v32, v29, -v22
	v_fmac_f32_e32 v24, v32, v12
	v_add_f32_e32 v31, v23, v20
	v_add_f32_e32 v20, v22, v24
	v_sub_f32_e32 v23, v21, v20
	v_pk_add_f32 v[26:27], v[20:21], v[22:23] neg_lo:[0,1] neg_hi:[0,1]
	v_mov_b32_e32 v25, v20
	v_pk_add_f32 v[20:21], v[26:27], v[24:25] neg_lo:[0,1] neg_hi:[0,1]
	v_cmp_neq_f32_e32 vcc, s3, v8
	v_add_f32_e32 v21, v31, v21
	v_add_f32_e32 v20, v20, v21
	;; [unrolled: 1-line block ×3, first 2 shown]
	v_mul_f32_e32 v31, v30, v21
	v_mul_f32_e32 v22, v29, v31
	v_fma_f32 v24, v31, v29, -v22
	v_fmac_f32_e32 v24, v31, v12
	v_sub_f32_e32 v12, v23, v21
	v_add_f32_e32 v12, v20, v12
	v_add_f32_e32 v20, v22, v24
	v_sub_f32_e32 v23, v21, v20
	v_pk_add_f32 v[26:27], v[20:21], v[22:23] neg_lo:[0,1] neg_hi:[0,1]
	v_mov_b32_e32 v25, v20
	v_pk_add_f32 v[20:21], v[26:27], v[24:25] neg_lo:[0,1] neg_hi:[0,1]
	v_cvt_f32_i32_e32 v22, v28
	v_add_f32_e32 v12, v12, v21
	v_add_f32_e32 v12, v20, v12
	;; [unrolled: 1-line block ×4, first 2 shown]
	v_sub_f32_e32 v21, v20, v32
	v_mul_f32_e32 v12, v30, v12
	v_sub_f32_e32 v21, v31, v21
	v_add_f32_e32 v12, v21, v12
	v_add_f32_e32 v23, v20, v12
	v_mul_f32_e32 v24, v23, v23
	v_mov_b32_e32 v21, 0x3ecc95a3
	v_fmac_f32_e32 v21, 0x3e9b6dac, v24
	v_sub_f32_e32 v20, v23, v20
	v_fmaak_f32 v21, v24, v21, 0x3f2aaada
	v_sub_f32_e32 v12, v12, v20
	v_ldexp_f32 v25, v23, 1
	v_mul_f32_e32 v23, v23, v24
	v_mov_b32_e32 v20, 0x3f317218
	v_pk_mul_f32 v[20:21], v[22:23], v[20:21]
	v_ldexp_f32 v12, v12, 1
	v_fma_f32 v23, v22, s2, -v20
	v_fmamk_f32 v24, v22, 0xb102e308, v23
	v_pk_add_f32 v[22:23], v[20:21], v[24:25]
	v_mov_b32_e32 v26, v20
	v_sub_f32_e32 v25, v23, v25
	v_sub_f32_e32 v25, v21, v25
	v_add_f32_e32 v27, v12, v25
	v_pk_add_f32 v[20:21], v[22:23], v[20:21] neg_lo:[0,1] neg_hi:[0,1]
	v_pk_add_f32 v[28:29], v[22:23], v[26:27]
	v_mov_b32_e32 v25, v22
	v_mov_b32_e32 v21, v29
	v_pk_add_f32 v[30:31], v[24:25], v[20:21] neg_lo:[0,1] neg_hi:[0,1]
	v_pk_add_f32 v[20:21], v[24:25], v[20:21]
	v_mov_b32_e32 v26, v27
	v_pk_add_f32 v[24:25], v[20:21], v[22:23] op_sel:[1,0] op_sel_hi:[0,1] neg_lo:[0,1] neg_hi:[0,1]
	v_pk_add_f32 v[32:33], v[28:29], v[24:25] op_sel_hi:[1,0] neg_lo:[0,1] neg_hi:[0,1]
	v_mov_b32_e32 v28, v29
	v_mov_b32_e32 v29, v21
	v_pk_mov_b32 v[24:25], v[22:23], v[24:25] op_sel:[1,0]
	v_mov_b32_e32 v27, v22
	v_pk_add_f32 v[24:25], v[28:29], v[24:25] neg_lo:[0,1] neg_hi:[0,1]
	v_mov_b32_e32 v32, v30
	v_pk_add_f32 v[22:23], v[26:27], v[24:25] neg_lo:[0,1] neg_hi:[0,1]
	v_mov_b32_e32 v31, v21
	v_pk_add_f32 v[24:25], v[32:33], v[22:23]
	s_mov_b32 s2, 0x33800000
	v_pk_add_f32 v[26:27], v[24:25], v[24:25] op_sel:[0,1] op_sel_hi:[1,0]
	s_nop 0
	v_pk_add_f32 v[20:21], v[20:21], v[26:27] op_sel:[1,0] op_sel_hi:[0,1]
	v_mov_b32_e32 v25, v20
	v_pk_add_f32 v[28:29], v[24:25], v[30:31] neg_lo:[0,1] neg_hi:[0,1]
	v_mov_b32_e32 v23, v26
	v_sub_f32_e32 v12, v24, v28
	v_pk_add_f32 v[22:23], v[22:23], v[28:29] neg_lo:[0,1] neg_hi:[0,1]
	v_sub_f32_e32 v12, v30, v12
	v_add_f32_e32 v12, v22, v12
	v_add_f32_e32 v12, v12, v23
	;; [unrolled: 1-line block ×3, first 2 shown]
	v_cndmask_b32_e32 v12, v18, v12, vcc
	v_cmp_lt_f32_e64 vcc, |v8|, s2
	s_nop 1
	v_cndmask_b32_e32 v8, v12, v8, vcc
	v_add_f32_e32 v3, v3, v8
	v_cvt_f16_f32_e32 v25, v3
	v_cvt_f32_f16_e32 v12, v25
	v_mov_b32_e32 v31, v25
.LBB351_274:
	s_or_b64 exec, exec, s[0:1]
	v_max_f32_e32 v3, v13, v13
	v_max_f32_e32 v18, v12, v12
	v_min_f32_e32 v8, v18, v3
	v_cmp_u_f16_e32 vcc, v25, v25
	v_max_f32_e32 v3, v18, v3
	s_movk_i32 s2, 0x1f8
	v_cndmask_b32_e32 v8, v8, v12, vcc
	v_cndmask_b32_e32 v3, v3, v12, vcc
	v_cndmask_b32_e64 v8, v8, v13, s[4:5]
	v_cndmask_b32_e64 v3, v3, v13, s[4:5]
	v_cmp_neq_f32_e32 vcc, v8, v3
	v_cmp_class_f32_e64 s[0:1], v8, s2
	s_or_b64 s[4:5], vcc, s[0:1]
	v_mov_b32_e32 v13, v31
	s_and_saveexec_b64 s[0:1], s[4:5]
	s_cbranch_execz .LBB351_276
; %bb.275:
	v_sub_f32_e32 v8, v8, v3
	s_mov_b32 s3, 0x3fb8aa3b
	v_mul_f32_e32 v12, 0x3fb8aa3b, v8
	v_fma_f32 v13, v8, s3, -v12
	v_rndne_f32_e32 v18, v12
	v_fmamk_f32 v13, v8, 0x32a5705f, v13
	v_sub_f32_e32 v12, v12, v18
	v_add_f32_e32 v12, v12, v13
	v_exp_f32_e32 v12, v12
	v_cvt_i32_f32_e32 v13, v18
	s_mov_b32 s3, 0xc2ce8ed0
	v_cmp_ngt_f32_e32 vcc, s3, v8
	s_mov_b32 s3, 0x42b17218
	v_ldexp_f32 v12, v12, v13
	v_cndmask_b32_e32 v12, 0, v12, vcc
	v_mov_b32_e32 v18, 0x7f800000
	v_cmp_nlt_f32_e32 vcc, s3, v8
	s_mov_b32 s3, 0x3f2aaaab
	s_mov_b32 s4, 0x7f800000
	v_cndmask_b32_e32 v8, v18, v12, vcc
	v_add_f32_e32 v20, 1.0, v8
	v_add_f32_e32 v12, -1.0, v20
	v_sub_f32_e32 v13, v12, v20
	v_add_f32_e32 v13, 1.0, v13
	v_sub_f32_e32 v12, v8, v12
	s_waitcnt lgkmcnt(0)
	v_add_f32_e32 v21, v12, v13
	v_frexp_mant_f32_e32 v22, v20
	v_cvt_f64_f32_e32 v[12:13], v20
	v_frexp_exp_i32_f64_e32 v12, v[12:13]
	v_cmp_gt_f32_e32 vcc, s3, v22
	s_mov_b32 s3, 0x3f317218
	s_nop 0
	v_subbrev_co_u32_e32 v26, vcc, 0, v12, vcc
	v_sub_u32_e32 v12, 0, v26
	v_ldexp_f32 v13, v20, v12
	v_add_f32_e32 v20, -1.0, v13
	v_add_f32_e32 v22, 1.0, v13
	v_ldexp_f32 v12, v21, v12
	v_add_f32_e32 v21, 1.0, v20
	v_add_f32_e32 v23, -1.0, v22
	v_sub_f32_e32 v21, v13, v21
	v_sub_f32_e32 v13, v13, v23
	v_add_f32_e32 v21, v12, v21
	v_add_f32_e32 v12, v12, v13
	;; [unrolled: 1-line block ×3, first 2 shown]
	v_rcp_f32_e32 v29, v27
	v_sub_f32_e32 v13, v22, v27
	v_add_f32_e32 v28, v12, v13
	v_add_f32_e32 v13, v20, v21
	v_mul_f32_e32 v32, v13, v29
	v_sub_f32_e32 v12, v20, v13
	v_mul_f32_e32 v20, v27, v32
	v_fma_f32 v22, v32, v27, -v20
	v_fmac_f32_e32 v22, v32, v28
	v_add_f32_e32 v30, v21, v12
	v_add_f32_e32 v12, v20, v22
	v_sub_f32_e32 v21, v13, v12
	v_pk_add_f32 v[24:25], v[12:13], v[20:21] neg_lo:[0,1] neg_hi:[0,1]
	v_mov_b32_e32 v23, v12
	v_pk_add_f32 v[12:13], v[24:25], v[22:23] neg_lo:[0,1] neg_hi:[0,1]
	v_cmp_neq_f32_e32 vcc, s4, v8
	v_add_f32_e32 v13, v30, v13
	v_add_f32_e32 v12, v12, v13
	;; [unrolled: 1-line block ×3, first 2 shown]
	v_mul_f32_e32 v30, v29, v13
	v_mul_f32_e32 v20, v27, v30
	v_fma_f32 v22, v30, v27, -v20
	v_fmac_f32_e32 v22, v30, v28
	v_sub_f32_e32 v21, v21, v13
	v_add_f32_e32 v27, v12, v21
	v_add_f32_e32 v12, v20, v22
	v_sub_f32_e32 v21, v13, v12
	v_pk_add_f32 v[24:25], v[12:13], v[20:21] neg_lo:[0,1] neg_hi:[0,1]
	v_mov_b32_e32 v23, v12
	v_pk_add_f32 v[12:13], v[24:25], v[22:23] neg_lo:[0,1] neg_hi:[0,1]
	v_cvt_f32_i32_e32 v20, v26
	v_add_f32_e32 v13, v27, v13
	v_add_f32_e32 v12, v12, v13
	;; [unrolled: 1-line block ×4, first 2 shown]
	v_sub_f32_e32 v13, v21, v32
	v_mul_f32_e32 v12, v29, v12
	v_sub_f32_e32 v13, v30, v13
	v_add_f32_e32 v12, v13, v12
	v_add_f32_e32 v22, v21, v12
	v_mul_f32_e32 v24, v22, v22
	v_mov_b32_e32 v13, 0x3ecc95a3
	v_sub_f32_e32 v21, v22, v21
	v_fmac_f32_e32 v13, 0x3e9b6dac, v24
	v_sub_f32_e32 v12, v12, v21
	v_fmaak_f32 v13, v24, v13, 0x3f2aaada
	v_ldexp_f32 v25, v12, 1
	v_mul_f32_e32 v21, v22, v24
	v_mov_b32_e32 v12, 0x3f317218
	v_pk_mul_f32 v[12:13], v[20:21], v[12:13]
	v_ldexp_f32 v23, v22, 1
	v_fma_f32 v21, v20, s3, -v12
	v_fmamk_f32 v22, v20, 0xb102e308, v21
	v_pk_add_f32 v[20:21], v[12:13], v[22:23]
	v_mov_b32_e32 v24, v12
	v_sub_f32_e32 v23, v21, v23
	v_sub_f32_e32 v23, v13, v23
	v_add_f32_e32 v25, v25, v23
	v_pk_add_f32 v[12:13], v[20:21], v[12:13] neg_lo:[0,1] neg_hi:[0,1]
	v_pk_add_f32 v[26:27], v[20:21], v[24:25]
	v_mov_b32_e32 v23, v20
	v_mov_b32_e32 v13, v27
	v_pk_add_f32 v[28:29], v[22:23], v[12:13] neg_lo:[0,1] neg_hi:[0,1]
	v_pk_add_f32 v[12:13], v[22:23], v[12:13]
	v_mov_b32_e32 v24, v25
	v_pk_add_f32 v[22:23], v[12:13], v[20:21] op_sel:[1,0] op_sel_hi:[0,1] neg_lo:[0,1] neg_hi:[0,1]
	v_pk_add_f32 v[32:33], v[26:27], v[22:23] op_sel_hi:[1,0] neg_lo:[0,1] neg_hi:[0,1]
	v_mov_b32_e32 v26, v27
	v_mov_b32_e32 v27, v13
	v_pk_mov_b32 v[22:23], v[20:21], v[22:23] op_sel:[1,0]
	v_mov_b32_e32 v25, v20
	v_pk_add_f32 v[22:23], v[26:27], v[22:23] neg_lo:[0,1] neg_hi:[0,1]
	v_mov_b32_e32 v32, v28
	v_pk_add_f32 v[20:21], v[24:25], v[22:23] neg_lo:[0,1] neg_hi:[0,1]
	v_mov_b32_e32 v29, v13
	v_pk_add_f32 v[22:23], v[32:33], v[20:21]
	s_mov_b32 s3, 0x33800000
	v_pk_add_f32 v[24:25], v[22:23], v[22:23] op_sel:[0,1] op_sel_hi:[1,0]
	s_nop 0
	v_pk_add_f32 v[12:13], v[12:13], v[24:25] op_sel:[1,0] op_sel_hi:[0,1]
	v_mov_b32_e32 v23, v12
	v_pk_add_f32 v[26:27], v[22:23], v[28:29] neg_lo:[0,1] neg_hi:[0,1]
	v_mov_b32_e32 v21, v24
	v_sub_f32_e32 v13, v22, v26
	v_pk_add_f32 v[20:21], v[20:21], v[26:27] neg_lo:[0,1] neg_hi:[0,1]
	v_sub_f32_e32 v13, v28, v13
	v_add_f32_e32 v13, v20, v13
	v_add_f32_e32 v13, v13, v21
	;; [unrolled: 1-line block ×3, first 2 shown]
	v_cndmask_b32_e32 v12, v18, v12, vcc
	v_cmp_lt_f32_e64 vcc, |v8|, s3
	s_nop 1
	v_cndmask_b32_e32 v8, v12, v8, vcc
	v_add_f32_e32 v3, v3, v8
	v_cvt_f16_f32_e32 v25, v3
	v_cvt_f32_f16_e32 v12, v25
	v_mov_b32_e32 v13, v25
.LBB351_276:
	s_or_b64 exec, exec, s[0:1]
	v_max_f32_e32 v3, v9, v9
	v_max_f32_e32 v18, v12, v12
	v_min_f32_e32 v8, v18, v3
	v_cmp_u_f16_e32 vcc, v25, v25
	v_max_f32_e32 v3, v18, v3
	v_mov_b32_e32 v20, v13
	v_cndmask_b32_e32 v8, v8, v12, vcc
	v_cndmask_b32_e32 v3, v3, v12, vcc
	v_cndmask_b32_e64 v8, v8, v9, s[6:7]
	v_cndmask_b32_e64 v3, v3, v9, s[6:7]
	v_cmp_neq_f32_e32 vcc, v8, v3
	v_cmp_class_f32_e64 s[0:1], v8, s2
	s_or_b64 s[2:3], vcc, s[0:1]
	s_and_saveexec_b64 s[0:1], s[2:3]
	s_cbranch_execz .LBB351_278
; %bb.277:
	v_sub_f32_e32 v8, v8, v3
	s_mov_b32 s2, 0x3fb8aa3b
	v_mul_f32_e32 v9, 0x3fb8aa3b, v8
	v_fma_f32 v12, v8, s2, -v9
	v_rndne_f32_e32 v18, v9
	v_fmamk_f32 v12, v8, 0x32a5705f, v12
	v_sub_f32_e32 v9, v9, v18
	v_add_f32_e32 v9, v9, v12
	v_exp_f32_e32 v9, v9
	v_cvt_i32_f32_e32 v12, v18
	s_mov_b32 s2, 0xc2ce8ed0
	v_cmp_ngt_f32_e32 vcc, s2, v8
	s_mov_b32 s2, 0x42b17218
	v_ldexp_f32 v9, v9, v12
	v_cndmask_b32_e32 v9, 0, v9, vcc
	v_mov_b32_e32 v12, 0x7f800000
	v_cmp_nlt_f32_e32 vcc, s2, v8
	s_mov_b32 s2, 0x3f2aaaab
	s_mov_b32 s3, 0x7f800000
	v_cndmask_b32_e32 v18, v12, v9, vcc
	v_add_f32_e32 v20, 1.0, v18
	v_add_f32_e32 v8, -1.0, v20
	v_sub_f32_e32 v9, v8, v20
	v_add_f32_e32 v9, 1.0, v9
	v_sub_f32_e32 v8, v18, v8
	s_waitcnt lgkmcnt(0)
	v_add_f32_e32 v21, v8, v9
	v_frexp_mant_f32_e32 v22, v20
	v_cvt_f64_f32_e32 v[8:9], v20
	v_frexp_exp_i32_f64_e32 v8, v[8:9]
	v_cmp_gt_f32_e32 vcc, s2, v22
	s_mov_b32 s2, 0x3f317218
	s_nop 0
	v_subbrev_co_u32_e32 v26, vcc, 0, v8, vcc
	v_sub_u32_e32 v8, 0, v26
	v_ldexp_f32 v9, v20, v8
	v_add_f32_e32 v20, -1.0, v9
	v_add_f32_e32 v22, 1.0, v9
	v_ldexp_f32 v8, v21, v8
	v_add_f32_e32 v21, 1.0, v20
	v_add_f32_e32 v23, -1.0, v22
	v_sub_f32_e32 v21, v9, v21
	v_sub_f32_e32 v9, v9, v23
	v_add_f32_e32 v21, v8, v21
	v_add_f32_e32 v8, v8, v9
	;; [unrolled: 1-line block ×3, first 2 shown]
	v_rcp_f32_e32 v29, v27
	v_sub_f32_e32 v9, v22, v27
	v_add_f32_e32 v28, v8, v9
	v_add_f32_e32 v9, v20, v21
	v_mul_f32_e32 v32, v9, v29
	v_sub_f32_e32 v8, v20, v9
	v_mul_f32_e32 v20, v27, v32
	v_fma_f32 v22, v32, v27, -v20
	v_fmac_f32_e32 v22, v32, v28
	v_add_f32_e32 v30, v21, v8
	v_add_f32_e32 v8, v20, v22
	v_sub_f32_e32 v21, v9, v8
	v_pk_add_f32 v[24:25], v[8:9], v[20:21] neg_lo:[0,1] neg_hi:[0,1]
	v_mov_b32_e32 v23, v8
	v_pk_add_f32 v[8:9], v[24:25], v[22:23] neg_lo:[0,1] neg_hi:[0,1]
	v_cmp_neq_f32_e32 vcc, s3, v18
	v_add_f32_e32 v9, v30, v9
	v_add_f32_e32 v8, v8, v9
	;; [unrolled: 1-line block ×3, first 2 shown]
	v_mul_f32_e32 v30, v29, v9
	v_mul_f32_e32 v20, v27, v30
	v_fma_f32 v22, v30, v27, -v20
	v_fmac_f32_e32 v22, v30, v28
	v_sub_f32_e32 v21, v21, v9
	v_add_f32_e32 v27, v8, v21
	v_add_f32_e32 v8, v20, v22
	v_sub_f32_e32 v21, v9, v8
	v_pk_add_f32 v[24:25], v[8:9], v[20:21] neg_lo:[0,1] neg_hi:[0,1]
	v_mov_b32_e32 v23, v8
	v_pk_add_f32 v[8:9], v[24:25], v[22:23] neg_lo:[0,1] neg_hi:[0,1]
	v_cvt_f32_i32_e32 v20, v26
	v_add_f32_e32 v9, v27, v9
	v_add_f32_e32 v8, v8, v9
	;; [unrolled: 1-line block ×4, first 2 shown]
	v_sub_f32_e32 v9, v21, v32
	v_mul_f32_e32 v8, v29, v8
	v_sub_f32_e32 v9, v30, v9
	v_add_f32_e32 v8, v9, v8
	v_add_f32_e32 v22, v21, v8
	v_mul_f32_e32 v24, v22, v22
	v_mov_b32_e32 v9, 0x3ecc95a3
	v_sub_f32_e32 v21, v22, v21
	v_fmac_f32_e32 v9, 0x3e9b6dac, v24
	v_sub_f32_e32 v8, v8, v21
	v_fmaak_f32 v9, v24, v9, 0x3f2aaada
	v_ldexp_f32 v25, v8, 1
	v_mul_f32_e32 v21, v22, v24
	v_mov_b32_e32 v8, 0x3f317218
	v_pk_mul_f32 v[8:9], v[20:21], v[8:9]
	v_ldexp_f32 v23, v22, 1
	v_fma_f32 v21, v20, s2, -v8
	v_fmamk_f32 v22, v20, 0xb102e308, v21
	v_pk_add_f32 v[20:21], v[8:9], v[22:23]
	v_mov_b32_e32 v24, v8
	v_sub_f32_e32 v23, v21, v23
	v_sub_f32_e32 v23, v9, v23
	v_add_f32_e32 v25, v25, v23
	v_pk_add_f32 v[8:9], v[20:21], v[8:9] neg_lo:[0,1] neg_hi:[0,1]
	v_pk_add_f32 v[26:27], v[20:21], v[24:25]
	v_mov_b32_e32 v23, v20
	v_mov_b32_e32 v9, v27
	v_pk_add_f32 v[28:29], v[22:23], v[8:9] neg_lo:[0,1] neg_hi:[0,1]
	v_pk_add_f32 v[8:9], v[22:23], v[8:9]
	v_mov_b32_e32 v24, v25
	v_pk_add_f32 v[22:23], v[8:9], v[20:21] op_sel:[1,0] op_sel_hi:[0,1] neg_lo:[0,1] neg_hi:[0,1]
	v_pk_add_f32 v[32:33], v[26:27], v[22:23] op_sel_hi:[1,0] neg_lo:[0,1] neg_hi:[0,1]
	v_mov_b32_e32 v26, v27
	v_mov_b32_e32 v27, v9
	v_pk_mov_b32 v[22:23], v[20:21], v[22:23] op_sel:[1,0]
	v_mov_b32_e32 v25, v20
	v_pk_add_f32 v[22:23], v[26:27], v[22:23] neg_lo:[0,1] neg_hi:[0,1]
	v_mov_b32_e32 v32, v28
	v_pk_add_f32 v[20:21], v[24:25], v[22:23] neg_lo:[0,1] neg_hi:[0,1]
	v_mov_b32_e32 v29, v9
	v_pk_add_f32 v[22:23], v[32:33], v[20:21]
	s_mov_b32 s2, 0x33800000
	v_pk_add_f32 v[24:25], v[22:23], v[22:23] op_sel:[0,1] op_sel_hi:[1,0]
	s_nop 0
	v_pk_add_f32 v[8:9], v[8:9], v[24:25] op_sel:[1,0] op_sel_hi:[0,1]
	v_mov_b32_e32 v23, v8
	v_pk_add_f32 v[26:27], v[22:23], v[28:29] neg_lo:[0,1] neg_hi:[0,1]
	v_mov_b32_e32 v21, v24
	v_sub_f32_e32 v9, v22, v26
	v_pk_add_f32 v[20:21], v[20:21], v[26:27] neg_lo:[0,1] neg_hi:[0,1]
	v_sub_f32_e32 v9, v28, v9
	v_add_f32_e32 v9, v20, v9
	v_add_f32_e32 v9, v9, v21
	;; [unrolled: 1-line block ×3, first 2 shown]
	v_cndmask_b32_e32 v8, v12, v8, vcc
	v_cmp_lt_f32_e64 vcc, |v18|, s2
	s_nop 1
	v_cndmask_b32_e32 v8, v8, v18, vcc
	v_add_f32_e32 v3, v3, v8
	v_cvt_f16_f32_e32 v25, v3
	v_cvt_f32_f16_e32 v12, v25
	v_mov_b32_e32 v20, v25
.LBB351_278:
	s_or_b64 exec, exec, s[0:1]
	v_max_f32_e32 v3, v14, v14
	v_max_f32_e32 v9, v12, v12
	v_min_f32_e32 v8, v9, v3
	v_cmp_u_f16_e32 vcc, v25, v25
	v_max_f32_e32 v3, v9, v3
	s_movk_i32 s2, 0x1f8
	v_cndmask_b32_e32 v8, v8, v12, vcc
	v_cndmask_b32_e32 v3, v3, v12, vcc
	v_cndmask_b32_e64 v8, v8, v14, s[8:9]
	v_cndmask_b32_e64 v3, v3, v14, s[8:9]
	v_cmp_neq_f32_e32 vcc, v8, v3
	v_cmp_class_f32_e64 s[0:1], v8, s2
	s_or_b64 s[4:5], vcc, s[0:1]
	v_mov_b32_e32 v14, v20
	s_and_saveexec_b64 s[0:1], s[4:5]
	s_cbranch_execz .LBB351_280
; %bb.279:
	v_sub_f32_e32 v8, v8, v3
	s_mov_b32 s3, 0x3fb8aa3b
	v_mul_f32_e32 v9, 0x3fb8aa3b, v8
	v_fma_f32 v12, v8, s3, -v9
	v_rndne_f32_e32 v14, v9
	v_fmamk_f32 v12, v8, 0x32a5705f, v12
	v_sub_f32_e32 v9, v9, v14
	v_add_f32_e32 v9, v9, v12
	v_exp_f32_e32 v9, v9
	v_cvt_i32_f32_e32 v12, v14
	s_mov_b32 s3, 0xc2ce8ed0
	v_cmp_ngt_f32_e32 vcc, s3, v8
	s_mov_b32 s3, 0x42b17218
	v_ldexp_f32 v9, v9, v12
	v_cndmask_b32_e32 v9, 0, v9, vcc
	v_mov_b32_e32 v12, 0x7f800000
	v_cmp_nlt_f32_e32 vcc, s3, v8
	s_mov_b32 s3, 0x3f2aaaab
	s_mov_b32 s4, 0x7f800000
	v_cndmask_b32_e32 v14, v12, v9, vcc
	v_add_f32_e32 v18, 1.0, v14
	v_add_f32_e32 v8, -1.0, v18
	v_sub_f32_e32 v9, v8, v18
	v_add_f32_e32 v9, 1.0, v9
	v_sub_f32_e32 v8, v14, v8
	s_waitcnt lgkmcnt(0)
	v_add_f32_e32 v21, v8, v9
	v_frexp_mant_f32_e32 v22, v18
	v_cvt_f64_f32_e32 v[8:9], v18
	v_frexp_exp_i32_f64_e32 v8, v[8:9]
	v_cmp_gt_f32_e32 vcc, s3, v22
	s_mov_b32 s3, 0x3f317218
	s_nop 0
	v_subbrev_co_u32_e32 v28, vcc, 0, v8, vcc
	v_sub_u32_e32 v8, 0, v28
	v_ldexp_f32 v9, v18, v8
	v_add_f32_e32 v18, -1.0, v9
	v_add_f32_e32 v22, 1.0, v9
	v_ldexp_f32 v8, v21, v8
	v_add_f32_e32 v21, 1.0, v18
	v_add_f32_e32 v23, -1.0, v22
	v_sub_f32_e32 v21, v9, v21
	v_sub_f32_e32 v9, v9, v23
	v_add_f32_e32 v21, v8, v21
	v_add_f32_e32 v8, v8, v9
	;; [unrolled: 1-line block ×3, first 2 shown]
	v_rcp_f32_e32 v32, v29
	v_sub_f32_e32 v9, v22, v29
	v_add_f32_e32 v30, v8, v9
	v_add_f32_e32 v9, v18, v21
	v_sub_f32_e32 v8, v18, v9
	v_add_f32_e32 v18, v21, v8
	v_mul_f32_e32 v21, v9, v32
	v_mul_f32_e32 v22, v29, v21
	v_fma_f32 v24, v21, v29, -v22
	v_fmac_f32_e32 v24, v21, v30
	v_add_f32_e32 v8, v22, v24
	v_sub_f32_e32 v23, v9, v8
	v_pk_add_f32 v[26:27], v[8:9], v[22:23] neg_lo:[0,1] neg_hi:[0,1]
	v_mov_b32_e32 v25, v8
	v_pk_add_f32 v[8:9], v[26:27], v[24:25] neg_lo:[0,1] neg_hi:[0,1]
	v_cmp_neq_f32_e32 vcc, s4, v14
	v_add_f32_e32 v9, v18, v9
	v_add_f32_e32 v8, v8, v9
	;; [unrolled: 1-line block ×3, first 2 shown]
	v_mul_f32_e32 v18, v32, v9
	v_mul_f32_e32 v22, v29, v18
	v_fma_f32 v24, v18, v29, -v22
	v_fmac_f32_e32 v24, v18, v30
	v_sub_f32_e32 v23, v23, v9
	v_add_f32_e32 v29, v8, v23
	v_add_f32_e32 v8, v22, v24
	v_sub_f32_e32 v23, v9, v8
	v_pk_add_f32 v[26:27], v[8:9], v[22:23] neg_lo:[0,1] neg_hi:[0,1]
	v_mov_b32_e32 v25, v8
	v_pk_add_f32 v[8:9], v[26:27], v[24:25] neg_lo:[0,1] neg_hi:[0,1]
	v_cvt_f32_i32_e32 v22, v28
	v_add_f32_e32 v9, v29, v9
	v_add_f32_e32 v8, v8, v9
	;; [unrolled: 1-line block ×4, first 2 shown]
	v_sub_f32_e32 v9, v23, v21
	v_mul_f32_e32 v8, v32, v8
	v_sub_f32_e32 v9, v18, v9
	v_add_f32_e32 v8, v9, v8
	v_add_f32_e32 v18, v23, v8
	v_mul_f32_e32 v21, v18, v18
	v_mov_b32_e32 v9, 0x3ecc95a3
	v_sub_f32_e32 v23, v18, v23
	v_fmac_f32_e32 v9, 0x3e9b6dac, v21
	v_sub_f32_e32 v8, v8, v23
	v_fmaak_f32 v9, v21, v9, 0x3f2aaada
	v_ldexp_f32 v26, v8, 1
	v_mul_f32_e32 v23, v18, v21
	v_mov_b32_e32 v8, 0x3f317218
	v_pk_mul_f32 v[8:9], v[22:23], v[8:9]
	v_ldexp_f32 v25, v18, 1
	v_fma_f32 v18, v22, s3, -v8
	v_fmamk_f32 v24, v22, 0xb102e308, v18
	v_pk_add_f32 v[22:23], v[8:9], v[24:25]
	s_mov_b32 s3, 0x33800000
	v_sub_f32_e32 v18, v23, v25
	v_sub_f32_e32 v18, v9, v18
	v_add_f32_e32 v27, v26, v18
	v_mov_b32_e32 v26, v8
	v_pk_add_f32 v[8:9], v[22:23], v[8:9] neg_lo:[0,1] neg_hi:[0,1]
	v_pk_add_f32 v[28:29], v[22:23], v[26:27]
	v_mov_b32_e32 v25, v22
	v_mov_b32_e32 v9, v29
	v_pk_add_f32 v[32:33], v[24:25], v[8:9] neg_lo:[0,1] neg_hi:[0,1]
	v_pk_add_f32 v[8:9], v[24:25], v[8:9]
	v_mov_b32_e32 v26, v27
	v_pk_add_f32 v[24:25], v[8:9], v[22:23] op_sel:[1,0] op_sel_hi:[0,1] neg_lo:[0,1] neg_hi:[0,1]
	v_pk_add_f32 v[34:35], v[28:29], v[24:25] op_sel_hi:[1,0] neg_lo:[0,1] neg_hi:[0,1]
	v_mov_b32_e32 v28, v29
	v_mov_b32_e32 v29, v9
	v_pk_mov_b32 v[24:25], v[22:23], v[24:25] op_sel:[1,0]
	v_mov_b32_e32 v27, v22
	v_pk_add_f32 v[24:25], v[28:29], v[24:25] neg_lo:[0,1] neg_hi:[0,1]
	v_mov_b32_e32 v34, v32
	v_pk_add_f32 v[22:23], v[26:27], v[24:25] neg_lo:[0,1] neg_hi:[0,1]
	v_mov_b32_e32 v33, v9
	v_pk_add_f32 v[24:25], v[34:35], v[22:23]
	s_nop 0
	v_pk_add_f32 v[26:27], v[24:25], v[24:25] op_sel:[0,1] op_sel_hi:[1,0]
	s_nop 0
	v_pk_add_f32 v[8:9], v[8:9], v[26:27] op_sel:[1,0] op_sel_hi:[0,1]
	v_mov_b32_e32 v25, v8
	v_pk_add_f32 v[28:29], v[24:25], v[32:33] neg_lo:[0,1] neg_hi:[0,1]
	v_mov_b32_e32 v23, v26
	v_sub_f32_e32 v9, v24, v28
	v_pk_add_f32 v[22:23], v[22:23], v[28:29] neg_lo:[0,1] neg_hi:[0,1]
	v_sub_f32_e32 v9, v32, v9
	v_add_f32_e32 v9, v22, v9
	v_add_f32_e32 v9, v9, v23
	;; [unrolled: 1-line block ×3, first 2 shown]
	v_cndmask_b32_e32 v8, v12, v8, vcc
	v_cmp_lt_f32_e64 vcc, |v14|, s3
	s_nop 1
	v_cndmask_b32_e32 v8, v8, v14, vcc
	v_add_f32_e32 v3, v3, v8
	v_cvt_f16_f32_e32 v25, v3
	v_cvt_f32_f16_e32 v12, v25
	v_mov_b32_e32 v14, v25
.LBB351_280:
	s_or_b64 exec, exec, s[0:1]
	v_max_f32_e32 v3, v6, v6
	v_max_f32_e32 v9, v12, v12
	v_min_f32_e32 v8, v9, v3
	v_cmp_u_f16_e32 vcc, v25, v25
	v_max_f32_e32 v3, v9, v3
	s_waitcnt lgkmcnt(0)
	v_mov_b32_e32 v21, v14
	v_cndmask_b32_e32 v8, v8, v12, vcc
	v_cndmask_b32_e32 v3, v3, v12, vcc
	v_cndmask_b32_e64 v8, v8, v6, s[10:11]
	v_cndmask_b32_e64 v3, v3, v6, s[10:11]
	v_cmp_neq_f32_e32 vcc, v8, v3
	v_cmp_class_f32_e64 s[0:1], v8, s2
	s_or_b64 s[2:3], vcc, s[0:1]
	s_and_saveexec_b64 s[0:1], s[2:3]
	s_cbranch_execz .LBB351_282
; %bb.281:
	v_sub_f32_e32 v6, v8, v3
	s_mov_b32 s2, 0x3fb8aa3b
	v_mul_f32_e32 v8, 0x3fb8aa3b, v6
	v_fma_f32 v9, v6, s2, -v8
	v_rndne_f32_e32 v12, v8
	v_fmamk_f32 v9, v6, 0x32a5705f, v9
	v_sub_f32_e32 v8, v8, v12
	v_add_f32_e32 v8, v8, v9
	v_exp_f32_e32 v8, v8
	v_cvt_i32_f32_e32 v9, v12
	s_mov_b32 s2, 0xc2ce8ed0
	v_cmp_ngt_f32_e32 vcc, s2, v6
	s_mov_b32 s2, 0x42b17218
	v_ldexp_f32 v8, v8, v9
	v_cndmask_b32_e32 v8, 0, v8, vcc
	v_mov_b32_e32 v12, 0x7f800000
	v_cmp_nlt_f32_e32 vcc, s2, v6
	s_mov_b32 s2, 0x3f2aaaab
	s_mov_b32 s3, 0x7f800000
	v_cndmask_b32_e32 v6, v12, v8, vcc
	v_add_f32_e32 v18, 1.0, v6
	v_add_f32_e32 v8, -1.0, v18
	v_sub_f32_e32 v9, v8, v18
	v_add_f32_e32 v9, 1.0, v9
	v_sub_f32_e32 v8, v6, v8
	v_add_f32_e32 v21, v8, v9
	v_frexp_mant_f32_e32 v22, v18
	v_cvt_f64_f32_e32 v[8:9], v18
	v_frexp_exp_i32_f64_e32 v8, v[8:9]
	v_cmp_gt_f32_e32 vcc, s2, v22
	s_mov_b32 s2, 0x3f317218
	s_nop 0
	v_subbrev_co_u32_e32 v28, vcc, 0, v8, vcc
	v_sub_u32_e32 v8, 0, v28
	v_ldexp_f32 v9, v18, v8
	v_add_f32_e32 v18, -1.0, v9
	v_add_f32_e32 v22, 1.0, v9
	v_ldexp_f32 v8, v21, v8
	v_add_f32_e32 v21, 1.0, v18
	v_add_f32_e32 v23, -1.0, v22
	v_sub_f32_e32 v21, v9, v21
	v_sub_f32_e32 v9, v9, v23
	v_add_f32_e32 v21, v8, v21
	v_add_f32_e32 v8, v8, v9
	;; [unrolled: 1-line block ×3, first 2 shown]
	v_rcp_f32_e32 v32, v29
	v_sub_f32_e32 v9, v22, v29
	v_add_f32_e32 v30, v8, v9
	v_add_f32_e32 v9, v18, v21
	v_sub_f32_e32 v8, v18, v9
	v_add_f32_e32 v18, v21, v8
	v_mul_f32_e32 v21, v9, v32
	v_mul_f32_e32 v22, v29, v21
	v_fma_f32 v24, v21, v29, -v22
	v_fmac_f32_e32 v24, v21, v30
	v_add_f32_e32 v8, v22, v24
	v_sub_f32_e32 v23, v9, v8
	v_pk_add_f32 v[26:27], v[8:9], v[22:23] neg_lo:[0,1] neg_hi:[0,1]
	v_mov_b32_e32 v25, v8
	v_pk_add_f32 v[8:9], v[26:27], v[24:25] neg_lo:[0,1] neg_hi:[0,1]
	v_cmp_neq_f32_e32 vcc, s3, v6
	v_add_f32_e32 v9, v18, v9
	v_add_f32_e32 v8, v8, v9
	;; [unrolled: 1-line block ×3, first 2 shown]
	v_mul_f32_e32 v18, v32, v9
	v_mul_f32_e32 v22, v29, v18
	v_fma_f32 v24, v18, v29, -v22
	v_fmac_f32_e32 v24, v18, v30
	v_sub_f32_e32 v23, v23, v9
	v_add_f32_e32 v29, v8, v23
	v_add_f32_e32 v8, v22, v24
	v_sub_f32_e32 v23, v9, v8
	v_pk_add_f32 v[26:27], v[8:9], v[22:23] neg_lo:[0,1] neg_hi:[0,1]
	v_mov_b32_e32 v25, v8
	v_pk_add_f32 v[8:9], v[26:27], v[24:25] neg_lo:[0,1] neg_hi:[0,1]
	v_cvt_f32_i32_e32 v22, v28
	v_add_f32_e32 v9, v29, v9
	v_add_f32_e32 v8, v8, v9
	;; [unrolled: 1-line block ×4, first 2 shown]
	v_sub_f32_e32 v9, v23, v21
	v_mul_f32_e32 v8, v32, v8
	v_sub_f32_e32 v9, v18, v9
	v_add_f32_e32 v8, v9, v8
	v_add_f32_e32 v18, v23, v8
	v_mul_f32_e32 v21, v18, v18
	v_mov_b32_e32 v9, 0x3ecc95a3
	v_sub_f32_e32 v23, v18, v23
	v_fmac_f32_e32 v9, 0x3e9b6dac, v21
	v_sub_f32_e32 v8, v8, v23
	v_fmaak_f32 v9, v21, v9, 0x3f2aaada
	v_ldexp_f32 v26, v8, 1
	v_mul_f32_e32 v23, v18, v21
	v_mov_b32_e32 v8, 0x3f317218
	v_pk_mul_f32 v[8:9], v[22:23], v[8:9]
	v_ldexp_f32 v25, v18, 1
	v_fma_f32 v18, v22, s2, -v8
	v_fmamk_f32 v24, v22, 0xb102e308, v18
	v_pk_add_f32 v[22:23], v[8:9], v[24:25]
	s_mov_b32 s2, 0x33800000
	v_sub_f32_e32 v18, v23, v25
	v_sub_f32_e32 v18, v9, v18
	v_add_f32_e32 v27, v26, v18
	v_mov_b32_e32 v26, v8
	v_pk_add_f32 v[8:9], v[22:23], v[8:9] neg_lo:[0,1] neg_hi:[0,1]
	v_pk_add_f32 v[28:29], v[22:23], v[26:27]
	v_mov_b32_e32 v25, v22
	v_mov_b32_e32 v9, v29
	v_pk_add_f32 v[32:33], v[24:25], v[8:9] neg_lo:[0,1] neg_hi:[0,1]
	v_pk_add_f32 v[8:9], v[24:25], v[8:9]
	v_mov_b32_e32 v26, v27
	v_pk_add_f32 v[24:25], v[8:9], v[22:23] op_sel:[1,0] op_sel_hi:[0,1] neg_lo:[0,1] neg_hi:[0,1]
	v_pk_add_f32 v[34:35], v[28:29], v[24:25] op_sel_hi:[1,0] neg_lo:[0,1] neg_hi:[0,1]
	v_mov_b32_e32 v28, v29
	v_mov_b32_e32 v29, v9
	v_pk_mov_b32 v[24:25], v[22:23], v[24:25] op_sel:[1,0]
	v_mov_b32_e32 v27, v22
	v_pk_add_f32 v[24:25], v[28:29], v[24:25] neg_lo:[0,1] neg_hi:[0,1]
	v_mov_b32_e32 v34, v32
	v_pk_add_f32 v[22:23], v[26:27], v[24:25] neg_lo:[0,1] neg_hi:[0,1]
	v_mov_b32_e32 v33, v9
	v_pk_add_f32 v[24:25], v[34:35], v[22:23]
	s_nop 0
	v_pk_add_f32 v[26:27], v[24:25], v[24:25] op_sel:[0,1] op_sel_hi:[1,0]
	s_nop 0
	v_pk_add_f32 v[8:9], v[8:9], v[26:27] op_sel:[1,0] op_sel_hi:[0,1]
	v_mov_b32_e32 v25, v8
	v_pk_add_f32 v[28:29], v[24:25], v[32:33] neg_lo:[0,1] neg_hi:[0,1]
	v_mov_b32_e32 v23, v26
	v_sub_f32_e32 v9, v24, v28
	v_pk_add_f32 v[22:23], v[22:23], v[28:29] neg_lo:[0,1] neg_hi:[0,1]
	v_sub_f32_e32 v9, v32, v9
	v_add_f32_e32 v9, v22, v9
	v_add_f32_e32 v9, v9, v23
	;; [unrolled: 1-line block ×3, first 2 shown]
	v_cndmask_b32_e32 v8, v12, v8, vcc
	v_cmp_lt_f32_e64 vcc, |v6|, s2
	s_nop 1
	v_cndmask_b32_e32 v6, v8, v6, vcc
	v_add_f32_e32 v3, v3, v6
	v_cvt_f16_f32_e32 v25, v3
	v_cvt_f32_f16_e32 v12, v25
	v_mov_b32_e32 v21, v25
.LBB351_282:
	s_or_b64 exec, exec, s[0:1]
	v_max_f32_e32 v3, v15, v15
	v_max_f32_e32 v8, v12, v12
	v_min_f32_e32 v6, v8, v3
	v_cmp_u_f16_e32 vcc, v25, v25
	v_max_f32_e32 v3, v8, v3
	s_movk_i32 s2, 0x1f8
	v_cndmask_b32_e32 v6, v6, v12, vcc
	v_cndmask_b32_e32 v3, v3, v12, vcc
	v_cndmask_b32_e64 v6, v6, v15, s[12:13]
	v_cndmask_b32_e64 v3, v3, v15, s[12:13]
	v_cmp_neq_f32_e32 vcc, v6, v3
	v_cmp_class_f32_e64 s[0:1], v6, s2
	s_or_b64 s[4:5], vcc, s[0:1]
	v_mov_b32_e32 v15, v21
	s_and_saveexec_b64 s[0:1], s[4:5]
	s_cbranch_execz .LBB351_284
; %bb.283:
	v_sub_f32_e32 v6, v6, v3
	s_mov_b32 s3, 0x3fb8aa3b
	v_mul_f32_e32 v8, 0x3fb8aa3b, v6
	v_fma_f32 v9, v6, s3, -v8
	v_rndne_f32_e32 v12, v8
	v_fmamk_f32 v9, v6, 0x32a5705f, v9
	v_sub_f32_e32 v8, v8, v12
	v_add_f32_e32 v8, v8, v9
	v_exp_f32_e32 v8, v8
	v_cvt_i32_f32_e32 v9, v12
	s_mov_b32 s3, 0xc2ce8ed0
	v_cmp_ngt_f32_e32 vcc, s3, v6
	s_mov_b32 s3, 0x42b17218
	v_ldexp_f32 v8, v8, v9
	v_cndmask_b32_e32 v8, 0, v8, vcc
	v_mov_b32_e32 v12, 0x7f800000
	v_cmp_nlt_f32_e32 vcc, s3, v6
	s_mov_b32 s3, 0x3f2aaaab
	s_mov_b32 s4, 0x7f800000
	v_cndmask_b32_e32 v6, v12, v8, vcc
	v_add_f32_e32 v15, 1.0, v6
	v_add_f32_e32 v8, -1.0, v15
	v_sub_f32_e32 v9, v8, v15
	v_add_f32_e32 v9, 1.0, v9
	v_sub_f32_e32 v8, v6, v8
	v_add_f32_e32 v18, v8, v9
	v_frexp_mant_f32_e32 v22, v15
	v_cvt_f64_f32_e32 v[8:9], v15
	v_frexp_exp_i32_f64_e32 v8, v[8:9]
	v_cmp_gt_f32_e32 vcc, s3, v22
	s_mov_b32 s3, 0x3f317218
	s_nop 0
	v_subbrev_co_u32_e32 v28, vcc, 0, v8, vcc
	v_sub_u32_e32 v8, 0, v28
	v_ldexp_f32 v9, v15, v8
	v_add_f32_e32 v15, -1.0, v9
	v_add_f32_e32 v22, 1.0, v9
	v_ldexp_f32 v8, v18, v8
	v_add_f32_e32 v18, 1.0, v15
	v_add_f32_e32 v23, -1.0, v22
	v_sub_f32_e32 v18, v9, v18
	v_sub_f32_e32 v9, v9, v23
	v_add_f32_e32 v18, v8, v18
	v_add_f32_e32 v8, v8, v9
	;; [unrolled: 1-line block ×3, first 2 shown]
	v_rcp_f32_e32 v32, v29
	v_sub_f32_e32 v9, v22, v29
	v_add_f32_e32 v30, v8, v9
	v_add_f32_e32 v9, v15, v18
	v_sub_f32_e32 v8, v15, v9
	v_add_f32_e32 v15, v18, v8
	v_mul_f32_e32 v18, v9, v32
	v_mul_f32_e32 v22, v29, v18
	v_fma_f32 v24, v18, v29, -v22
	v_fmac_f32_e32 v24, v18, v30
	v_add_f32_e32 v8, v22, v24
	v_sub_f32_e32 v23, v9, v8
	v_pk_add_f32 v[26:27], v[8:9], v[22:23] neg_lo:[0,1] neg_hi:[0,1]
	v_mov_b32_e32 v25, v8
	v_pk_add_f32 v[8:9], v[26:27], v[24:25] neg_lo:[0,1] neg_hi:[0,1]
	v_cmp_neq_f32_e32 vcc, s4, v6
	v_add_f32_e32 v9, v15, v9
	v_add_f32_e32 v8, v8, v9
	;; [unrolled: 1-line block ×3, first 2 shown]
	v_mul_f32_e32 v15, v32, v9
	v_mul_f32_e32 v22, v29, v15
	v_fma_f32 v24, v15, v29, -v22
	v_fmac_f32_e32 v24, v15, v30
	v_sub_f32_e32 v23, v23, v9
	v_add_f32_e32 v29, v8, v23
	v_add_f32_e32 v8, v22, v24
	v_sub_f32_e32 v23, v9, v8
	v_pk_add_f32 v[26:27], v[8:9], v[22:23] neg_lo:[0,1] neg_hi:[0,1]
	v_mov_b32_e32 v25, v8
	v_pk_add_f32 v[8:9], v[26:27], v[24:25] neg_lo:[0,1] neg_hi:[0,1]
	v_cvt_f32_i32_e32 v22, v28
	v_add_f32_e32 v9, v29, v9
	v_add_f32_e32 v8, v8, v9
	v_add_f32_e32 v8, v23, v8
	v_add_f32_e32 v23, v18, v15
	v_sub_f32_e32 v9, v23, v18
	v_mul_f32_e32 v8, v32, v8
	v_sub_f32_e32 v9, v15, v9
	v_add_f32_e32 v8, v9, v8
	v_add_f32_e32 v15, v23, v8
	v_mul_f32_e32 v18, v15, v15
	v_mov_b32_e32 v9, 0x3ecc95a3
	v_sub_f32_e32 v23, v15, v23
	v_fmac_f32_e32 v9, 0x3e9b6dac, v18
	v_sub_f32_e32 v8, v8, v23
	v_fmaak_f32 v9, v18, v9, 0x3f2aaada
	v_ldexp_f32 v26, v8, 1
	v_mul_f32_e32 v23, v15, v18
	v_mov_b32_e32 v8, 0x3f317218
	v_pk_mul_f32 v[8:9], v[22:23], v[8:9]
	v_ldexp_f32 v25, v15, 1
	v_fma_f32 v15, v22, s3, -v8
	v_fmamk_f32 v24, v22, 0xb102e308, v15
	v_pk_add_f32 v[22:23], v[8:9], v[24:25]
	s_mov_b32 s3, 0x33800000
	v_sub_f32_e32 v15, v23, v25
	v_sub_f32_e32 v15, v9, v15
	v_add_f32_e32 v27, v26, v15
	v_mov_b32_e32 v26, v8
	v_pk_add_f32 v[8:9], v[22:23], v[8:9] neg_lo:[0,1] neg_hi:[0,1]
	v_pk_add_f32 v[28:29], v[22:23], v[26:27]
	v_mov_b32_e32 v25, v22
	v_mov_b32_e32 v9, v29
	v_pk_add_f32 v[32:33], v[24:25], v[8:9] neg_lo:[0,1] neg_hi:[0,1]
	v_pk_add_f32 v[8:9], v[24:25], v[8:9]
	v_mov_b32_e32 v26, v27
	v_pk_add_f32 v[24:25], v[8:9], v[22:23] op_sel:[1,0] op_sel_hi:[0,1] neg_lo:[0,1] neg_hi:[0,1]
	v_pk_add_f32 v[34:35], v[28:29], v[24:25] op_sel_hi:[1,0] neg_lo:[0,1] neg_hi:[0,1]
	v_mov_b32_e32 v28, v29
	v_mov_b32_e32 v29, v9
	v_pk_mov_b32 v[24:25], v[22:23], v[24:25] op_sel:[1,0]
	v_mov_b32_e32 v27, v22
	v_pk_add_f32 v[24:25], v[28:29], v[24:25] neg_lo:[0,1] neg_hi:[0,1]
	v_mov_b32_e32 v34, v32
	v_pk_add_f32 v[22:23], v[26:27], v[24:25] neg_lo:[0,1] neg_hi:[0,1]
	v_mov_b32_e32 v33, v9
	v_pk_add_f32 v[24:25], v[34:35], v[22:23]
	s_nop 0
	v_pk_add_f32 v[26:27], v[24:25], v[24:25] op_sel:[0,1] op_sel_hi:[1,0]
	s_nop 0
	v_pk_add_f32 v[8:9], v[8:9], v[26:27] op_sel:[1,0] op_sel_hi:[0,1]
	v_mov_b32_e32 v25, v8
	v_pk_add_f32 v[28:29], v[24:25], v[32:33] neg_lo:[0,1] neg_hi:[0,1]
	v_mov_b32_e32 v23, v26
	v_sub_f32_e32 v9, v24, v28
	v_pk_add_f32 v[22:23], v[22:23], v[28:29] neg_lo:[0,1] neg_hi:[0,1]
	v_sub_f32_e32 v9, v32, v9
	v_add_f32_e32 v9, v22, v9
	v_add_f32_e32 v9, v9, v23
	;; [unrolled: 1-line block ×3, first 2 shown]
	v_cndmask_b32_e32 v8, v12, v8, vcc
	v_cmp_lt_f32_e64 vcc, |v6|, s3
	s_nop 1
	v_cndmask_b32_e32 v6, v8, v6, vcc
	v_add_f32_e32 v3, v3, v6
	v_cvt_f16_f32_e32 v25, v3
	v_cvt_f32_f16_e32 v12, v25
	v_mov_b32_e32 v15, v25
.LBB351_284:
	s_or_b64 exec, exec, s[0:1]
	v_max_f32_e32 v3, v7, v7
	v_max_f32_e32 v8, v12, v12
	v_min_f32_e32 v6, v8, v3
	v_cmp_u_f16_e32 vcc, v25, v25
	v_max_f32_e32 v3, v8, v3
	v_mov_b32_e32 v22, v15
	v_cndmask_b32_e32 v6, v6, v12, vcc
	v_cndmask_b32_e32 v3, v3, v12, vcc
	v_cndmask_b32_e64 v6, v6, v7, s[14:15]
	v_cndmask_b32_e64 v3, v3, v7, s[14:15]
	v_cmp_neq_f32_e32 vcc, v6, v3
	v_cmp_class_f32_e64 s[0:1], v6, s2
	s_or_b64 s[2:3], vcc, s[0:1]
	s_and_saveexec_b64 s[0:1], s[2:3]
	s_cbranch_execz .LBB351_286
; %bb.285:
	v_sub_f32_e32 v6, v6, v3
	s_mov_b32 s2, 0x3fb8aa3b
	v_mul_f32_e32 v7, 0x3fb8aa3b, v6
	v_fma_f32 v8, v6, s2, -v7
	v_rndne_f32_e32 v9, v7
	v_fmamk_f32 v8, v6, 0x32a5705f, v8
	v_sub_f32_e32 v7, v7, v9
	v_add_f32_e32 v7, v7, v8
	v_exp_f32_e32 v7, v7
	v_cvt_i32_f32_e32 v8, v9
	s_mov_b32 s2, 0xc2ce8ed0
	v_cmp_ngt_f32_e32 vcc, s2, v6
	s_mov_b32 s2, 0x42b17218
	v_ldexp_f32 v7, v7, v8
	v_cndmask_b32_e32 v7, 0, v7, vcc
	v_mov_b32_e32 v12, 0x7f800000
	v_cmp_nlt_f32_e32 vcc, s2, v6
	s_mov_b32 s2, 0x3f2aaaab
	s_mov_b32 s3, 0x7f800000
	v_cndmask_b32_e32 v18, v12, v7, vcc
	v_add_f32_e32 v8, 1.0, v18
	v_add_f32_e32 v6, -1.0, v8
	v_sub_f32_e32 v7, v6, v8
	v_add_f32_e32 v7, 1.0, v7
	v_sub_f32_e32 v6, v18, v6
	v_add_f32_e32 v9, v6, v7
	v_frexp_mant_f32_e32 v22, v8
	v_cvt_f64_f32_e32 v[6:7], v8
	v_frexp_exp_i32_f64_e32 v6, v[6:7]
	v_cmp_gt_f32_e32 vcc, s2, v22
	s_mov_b32 s2, 0x3f317218
	s_nop 0
	v_subbrev_co_u32_e32 v26, vcc, 0, v6, vcc
	v_sub_u32_e32 v6, 0, v26
	v_ldexp_f32 v7, v8, v6
	v_add_f32_e32 v8, -1.0, v7
	v_add_f32_e32 v22, 1.0, v7
	v_ldexp_f32 v6, v9, v6
	v_add_f32_e32 v9, 1.0, v8
	v_add_f32_e32 v23, -1.0, v22
	v_sub_f32_e32 v9, v7, v9
	v_sub_f32_e32 v7, v7, v23
	v_add_f32_e32 v9, v6, v9
	v_add_f32_e32 v6, v6, v7
	;; [unrolled: 1-line block ×3, first 2 shown]
	v_rcp_f32_e32 v29, v27
	v_sub_f32_e32 v7, v22, v27
	v_add_f32_e32 v28, v6, v7
	v_add_f32_e32 v7, v8, v9
	v_mul_f32_e32 v32, v7, v29
	v_sub_f32_e32 v6, v8, v7
	v_mul_f32_e32 v8, v27, v32
	v_fma_f32 v22, v32, v27, -v8
	v_fmac_f32_e32 v22, v32, v28
	v_add_f32_e32 v30, v9, v6
	v_add_f32_e32 v6, v8, v22
	v_sub_f32_e32 v9, v7, v6
	v_pk_add_f32 v[24:25], v[6:7], v[8:9] neg_lo:[0,1] neg_hi:[0,1]
	v_mov_b32_e32 v23, v6
	v_pk_add_f32 v[6:7], v[24:25], v[22:23] neg_lo:[0,1] neg_hi:[0,1]
	v_cmp_neq_f32_e32 vcc, s3, v18
	v_add_f32_e32 v7, v30, v7
	v_add_f32_e32 v6, v6, v7
	;; [unrolled: 1-line block ×3, first 2 shown]
	v_mul_f32_e32 v30, v29, v7
	v_mul_f32_e32 v8, v27, v30
	v_fma_f32 v22, v30, v27, -v8
	v_fmac_f32_e32 v22, v30, v28
	v_sub_f32_e32 v9, v9, v7
	v_add_f32_e32 v27, v6, v9
	v_add_f32_e32 v6, v8, v22
	v_sub_f32_e32 v9, v7, v6
	v_pk_add_f32 v[24:25], v[6:7], v[8:9] neg_lo:[0,1] neg_hi:[0,1]
	v_mov_b32_e32 v23, v6
	v_pk_add_f32 v[6:7], v[24:25], v[22:23] neg_lo:[0,1] neg_hi:[0,1]
	v_cvt_f32_i32_e32 v8, v26
	v_add_f32_e32 v7, v27, v7
	v_add_f32_e32 v6, v6, v7
	v_add_f32_e32 v6, v9, v6
	v_add_f32_e32 v9, v32, v30
	v_sub_f32_e32 v7, v9, v32
	v_mul_f32_e32 v6, v29, v6
	v_sub_f32_e32 v7, v30, v7
	v_add_f32_e32 v6, v7, v6
	v_add_f32_e32 v22, v9, v6
	v_mul_f32_e32 v24, v22, v22
	v_mov_b32_e32 v7, 0x3ecc95a3
	v_sub_f32_e32 v9, v22, v9
	v_fmac_f32_e32 v7, 0x3e9b6dac, v24
	v_sub_f32_e32 v6, v6, v9
	v_fmaak_f32 v7, v24, v7, 0x3f2aaada
	v_ldexp_f32 v25, v6, 1
	v_mul_f32_e32 v9, v22, v24
	v_mov_b32_e32 v6, 0x3f317218
	v_pk_mul_f32 v[6:7], v[8:9], v[6:7]
	v_ldexp_f32 v23, v22, 1
	v_fma_f32 v9, v8, s2, -v6
	v_fmamk_f32 v22, v8, 0xb102e308, v9
	v_pk_add_f32 v[8:9], v[6:7], v[22:23]
	v_mov_b32_e32 v24, v6
	v_sub_f32_e32 v23, v9, v23
	v_sub_f32_e32 v23, v7, v23
	v_add_f32_e32 v25, v25, v23
	v_pk_add_f32 v[6:7], v[8:9], v[6:7] neg_lo:[0,1] neg_hi:[0,1]
	v_pk_add_f32 v[26:27], v[8:9], v[24:25]
	v_mov_b32_e32 v23, v8
	v_mov_b32_e32 v7, v27
	v_pk_add_f32 v[28:29], v[22:23], v[6:7] neg_lo:[0,1] neg_hi:[0,1]
	v_pk_add_f32 v[6:7], v[22:23], v[6:7]
	v_mov_b32_e32 v24, v25
	v_pk_add_f32 v[22:23], v[6:7], v[8:9] op_sel:[1,0] op_sel_hi:[0,1] neg_lo:[0,1] neg_hi:[0,1]
	v_pk_add_f32 v[32:33], v[26:27], v[22:23] op_sel_hi:[1,0] neg_lo:[0,1] neg_hi:[0,1]
	v_mov_b32_e32 v26, v27
	v_mov_b32_e32 v27, v7
	v_pk_mov_b32 v[22:23], v[8:9], v[22:23] op_sel:[1,0]
	v_mov_b32_e32 v25, v8
	v_pk_add_f32 v[22:23], v[26:27], v[22:23] neg_lo:[0,1] neg_hi:[0,1]
	v_mov_b32_e32 v32, v28
	v_pk_add_f32 v[8:9], v[24:25], v[22:23] neg_lo:[0,1] neg_hi:[0,1]
	v_mov_b32_e32 v29, v7
	v_pk_add_f32 v[22:23], v[32:33], v[8:9]
	s_mov_b32 s2, 0x33800000
	v_pk_add_f32 v[24:25], v[22:23], v[22:23] op_sel:[0,1] op_sel_hi:[1,0]
	s_nop 0
	v_pk_add_f32 v[6:7], v[6:7], v[24:25] op_sel:[1,0] op_sel_hi:[0,1]
	v_mov_b32_e32 v23, v6
	v_pk_add_f32 v[26:27], v[22:23], v[28:29] neg_lo:[0,1] neg_hi:[0,1]
	v_mov_b32_e32 v9, v24
	v_sub_f32_e32 v7, v22, v26
	v_pk_add_f32 v[8:9], v[8:9], v[26:27] neg_lo:[0,1] neg_hi:[0,1]
	v_sub_f32_e32 v7, v28, v7
	v_add_f32_e32 v7, v8, v7
	v_add_f32_e32 v7, v7, v9
	;; [unrolled: 1-line block ×3, first 2 shown]
	v_cndmask_b32_e32 v6, v12, v6, vcc
	v_cmp_lt_f32_e64 vcc, |v18|, s2
	s_nop 1
	v_cndmask_b32_e32 v6, v6, v18, vcc
	v_add_f32_e32 v3, v3, v6
	v_cvt_f16_f32_e32 v25, v3
	v_cvt_f32_f16_e32 v12, v25
	v_mov_b32_e32 v22, v25
.LBB351_286:
	s_or_b64 exec, exec, s[0:1]
	v_max_f32_e32 v3, v16, v16
	v_max_f32_e32 v7, v12, v12
	v_min_f32_e32 v6, v7, v3
	v_cmp_u_f16_e32 vcc, v25, v25
	v_max_f32_e32 v3, v7, v3
	s_movk_i32 s2, 0x1f8
	v_cndmask_b32_e32 v6, v6, v12, vcc
	v_cndmask_b32_e32 v3, v3, v12, vcc
	v_cndmask_b32_e64 v6, v6, v16, s[16:17]
	v_cndmask_b32_e64 v3, v3, v16, s[16:17]
	v_cmp_neq_f32_e32 vcc, v6, v3
	v_cmp_class_f32_e64 s[0:1], v6, s2
	s_or_b64 s[4:5], vcc, s[0:1]
	v_mov_b32_e32 v16, v22
	s_and_saveexec_b64 s[0:1], s[4:5]
	s_cbranch_execz .LBB351_288
; %bb.287:
	v_sub_f32_e32 v6, v6, v3
	s_mov_b32 s3, 0x3fb8aa3b
	v_mul_f32_e32 v7, 0x3fb8aa3b, v6
	v_fma_f32 v8, v6, s3, -v7
	v_rndne_f32_e32 v9, v7
	v_fmamk_f32 v8, v6, 0x32a5705f, v8
	v_sub_f32_e32 v7, v7, v9
	v_add_f32_e32 v7, v7, v8
	v_exp_f32_e32 v7, v7
	v_cvt_i32_f32_e32 v8, v9
	s_mov_b32 s3, 0xc2ce8ed0
	v_cmp_ngt_f32_e32 vcc, s3, v6
	s_mov_b32 s3, 0x42b17218
	v_ldexp_f32 v7, v7, v8
	v_cndmask_b32_e32 v7, 0, v7, vcc
	v_mov_b32_e32 v12, 0x7f800000
	v_cmp_nlt_f32_e32 vcc, s3, v6
	s_mov_b32 s3, 0x3f2aaaab
	s_mov_b32 s4, 0x7f800000
	v_cndmask_b32_e32 v16, v12, v7, vcc
	v_add_f32_e32 v8, 1.0, v16
	v_add_f32_e32 v6, -1.0, v8
	v_sub_f32_e32 v7, v6, v8
	v_add_f32_e32 v7, 1.0, v7
	v_sub_f32_e32 v6, v16, v6
	v_add_f32_e32 v9, v6, v7
	v_frexp_mant_f32_e32 v18, v8
	v_cvt_f64_f32_e32 v[6:7], v8
	v_frexp_exp_i32_f64_e32 v6, v[6:7]
	v_cmp_gt_f32_e32 vcc, s3, v18
	s_mov_b32 s3, 0x3f317218
	s_nop 0
	v_subbrev_co_u32_e32 v18, vcc, 0, v6, vcc
	v_sub_u32_e32 v6, 0, v18
	v_ldexp_f32 v7, v8, v6
	v_add_f32_e32 v8, -1.0, v7
	v_add_f32_e32 v23, 1.0, v7
	v_ldexp_f32 v6, v9, v6
	v_add_f32_e32 v9, 1.0, v8
	v_add_f32_e32 v24, -1.0, v23
	v_sub_f32_e32 v9, v7, v9
	v_sub_f32_e32 v7, v7, v24
	v_add_f32_e32 v9, v6, v9
	v_add_f32_e32 v6, v6, v7
	;; [unrolled: 1-line block ×3, first 2 shown]
	v_rcp_f32_e32 v29, v28
	v_sub_f32_e32 v7, v23, v28
	v_add_f32_e32 v23, v6, v7
	v_add_f32_e32 v7, v8, v9
	v_mul_f32_e32 v32, v7, v29
	v_sub_f32_e32 v6, v8, v7
	v_mul_f32_e32 v8, v28, v32
	v_fma_f32 v24, v32, v28, -v8
	v_fmac_f32_e32 v24, v32, v23
	v_add_f32_e32 v30, v9, v6
	v_add_f32_e32 v6, v8, v24
	v_sub_f32_e32 v9, v7, v6
	v_pk_add_f32 v[26:27], v[6:7], v[8:9] neg_lo:[0,1] neg_hi:[0,1]
	v_mov_b32_e32 v25, v6
	v_pk_add_f32 v[6:7], v[26:27], v[24:25] neg_lo:[0,1] neg_hi:[0,1]
	v_cmp_neq_f32_e32 vcc, s4, v16
	v_add_f32_e32 v7, v30, v7
	v_add_f32_e32 v6, v6, v7
	;; [unrolled: 1-line block ×3, first 2 shown]
	v_mul_f32_e32 v30, v29, v7
	v_mul_f32_e32 v8, v28, v30
	v_fma_f32 v24, v30, v28, -v8
	v_fmac_f32_e32 v24, v30, v23
	v_sub_f32_e32 v9, v9, v7
	v_add_f32_e32 v23, v6, v9
	v_add_f32_e32 v6, v8, v24
	v_sub_f32_e32 v9, v7, v6
	v_pk_add_f32 v[26:27], v[6:7], v[8:9] neg_lo:[0,1] neg_hi:[0,1]
	v_mov_b32_e32 v25, v6
	v_pk_add_f32 v[6:7], v[26:27], v[24:25] neg_lo:[0,1] neg_hi:[0,1]
	v_cvt_f32_i32_e32 v8, v18
	v_add_f32_e32 v7, v23, v7
	v_add_f32_e32 v6, v6, v7
	;; [unrolled: 1-line block ×4, first 2 shown]
	v_sub_f32_e32 v7, v9, v32
	v_mul_f32_e32 v6, v29, v6
	v_sub_f32_e32 v7, v30, v7
	v_add_f32_e32 v6, v7, v6
	v_add_f32_e32 v23, v9, v6
	v_mul_f32_e32 v24, v23, v23
	v_mov_b32_e32 v7, 0x3ecc95a3
	v_sub_f32_e32 v9, v23, v9
	v_fmac_f32_e32 v7, 0x3e9b6dac, v24
	v_sub_f32_e32 v6, v6, v9
	v_fmaak_f32 v7, v24, v7, 0x3f2aaada
	v_ldexp_f32 v18, v6, 1
	v_mul_f32_e32 v9, v23, v24
	v_mov_b32_e32 v6, 0x3f317218
	v_pk_mul_f32 v[6:7], v[8:9], v[6:7]
	v_ldexp_f32 v25, v23, 1
	v_fma_f32 v9, v8, s3, -v6
	v_fmamk_f32 v24, v8, 0xb102e308, v9
	v_pk_add_f32 v[8:9], v[6:7], v[24:25]
	v_mov_b32_e32 v26, v6
	v_sub_f32_e32 v23, v9, v25
	v_sub_f32_e32 v23, v7, v23
	v_add_f32_e32 v27, v18, v23
	v_pk_add_f32 v[6:7], v[8:9], v[6:7] neg_lo:[0,1] neg_hi:[0,1]
	v_pk_add_f32 v[28:29], v[8:9], v[26:27]
	v_mov_b32_e32 v25, v8
	v_mov_b32_e32 v7, v29
	v_pk_add_f32 v[32:33], v[24:25], v[6:7] neg_lo:[0,1] neg_hi:[0,1]
	v_pk_add_f32 v[6:7], v[24:25], v[6:7]
	v_mov_b32_e32 v26, v27
	v_pk_add_f32 v[24:25], v[6:7], v[8:9] op_sel:[1,0] op_sel_hi:[0,1] neg_lo:[0,1] neg_hi:[0,1]
	v_pk_add_f32 v[34:35], v[28:29], v[24:25] op_sel_hi:[1,0] neg_lo:[0,1] neg_hi:[0,1]
	v_mov_b32_e32 v28, v29
	v_mov_b32_e32 v29, v7
	v_pk_mov_b32 v[24:25], v[8:9], v[24:25] op_sel:[1,0]
	v_mov_b32_e32 v27, v8
	v_pk_add_f32 v[24:25], v[28:29], v[24:25] neg_lo:[0,1] neg_hi:[0,1]
	v_mov_b32_e32 v34, v32
	v_pk_add_f32 v[8:9], v[26:27], v[24:25] neg_lo:[0,1] neg_hi:[0,1]
	v_mov_b32_e32 v33, v7
	v_pk_add_f32 v[24:25], v[34:35], v[8:9]
	s_mov_b32 s3, 0x33800000
	v_pk_add_f32 v[26:27], v[24:25], v[24:25] op_sel:[0,1] op_sel_hi:[1,0]
	s_nop 0
	v_pk_add_f32 v[6:7], v[6:7], v[26:27] op_sel:[1,0] op_sel_hi:[0,1]
	v_mov_b32_e32 v25, v6
	v_pk_add_f32 v[28:29], v[24:25], v[32:33] neg_lo:[0,1] neg_hi:[0,1]
	v_mov_b32_e32 v9, v26
	v_sub_f32_e32 v7, v24, v28
	v_pk_add_f32 v[8:9], v[8:9], v[28:29] neg_lo:[0,1] neg_hi:[0,1]
	v_sub_f32_e32 v7, v32, v7
	v_add_f32_e32 v7, v8, v7
	v_add_f32_e32 v7, v7, v9
	;; [unrolled: 1-line block ×3, first 2 shown]
	v_cndmask_b32_e32 v6, v12, v6, vcc
	v_cmp_lt_f32_e64 vcc, |v16|, s3
	s_nop 1
	v_cndmask_b32_e32 v6, v6, v16, vcc
	v_add_f32_e32 v3, v3, v6
	v_cvt_f16_f32_e32 v25, v3
	v_cvt_f32_f16_e32 v12, v25
	v_mov_b32_e32 v16, v25
.LBB351_288:
	s_or_b64 exec, exec, s[0:1]
	v_max_f32_e32 v3, v4, v4
	v_max_f32_e32 v7, v12, v12
	v_min_f32_e32 v6, v7, v3
	v_cmp_u_f16_e32 vcc, v25, v25
	v_max_f32_e32 v3, v7, v3
	v_mov_b32_e32 v23, v16
	v_cndmask_b32_e32 v6, v6, v12, vcc
	v_cndmask_b32_e32 v3, v3, v12, vcc
	v_cndmask_b32_e64 v6, v6, v4, s[18:19]
	v_cndmask_b32_e64 v3, v3, v4, s[18:19]
	v_cmp_neq_f32_e32 vcc, v6, v3
	v_cmp_class_f32_e64 s[0:1], v6, s2
	s_or_b64 s[2:3], vcc, s[0:1]
	s_and_saveexec_b64 s[0:1], s[2:3]
	s_cbranch_execz .LBB351_290
; %bb.289:
	v_sub_f32_e32 v4, v6, v3
	s_mov_b32 s2, 0x3fb8aa3b
	v_mul_f32_e32 v6, 0x3fb8aa3b, v4
	v_fma_f32 v7, v4, s2, -v6
	v_rndne_f32_e32 v8, v6
	v_fmamk_f32 v7, v4, 0x32a5705f, v7
	v_sub_f32_e32 v6, v6, v8
	v_add_f32_e32 v6, v6, v7
	v_exp_f32_e32 v6, v6
	v_cvt_i32_f32_e32 v7, v8
	s_mov_b32 s2, 0xc2ce8ed0
	v_cmp_ngt_f32_e32 vcc, s2, v4
	s_mov_b32 s2, 0x42b17218
	v_ldexp_f32 v6, v6, v7
	v_cndmask_b32_e32 v6, 0, v6, vcc
	v_mov_b32_e32 v12, 0x7f800000
	v_cmp_nlt_f32_e32 vcc, s2, v4
	s_mov_b32 s2, 0x3f2aaaab
	s_mov_b32 s3, 0x7f800000
	v_cndmask_b32_e32 v4, v12, v6, vcc
	v_add_f32_e32 v8, 1.0, v4
	v_add_f32_e32 v6, -1.0, v8
	v_sub_f32_e32 v7, v6, v8
	v_add_f32_e32 v7, 1.0, v7
	v_sub_f32_e32 v6, v4, v6
	v_add_f32_e32 v9, v6, v7
	v_frexp_mant_f32_e32 v18, v8
	v_cvt_f64_f32_e32 v[6:7], v8
	v_frexp_exp_i32_f64_e32 v6, v[6:7]
	v_cmp_gt_f32_e32 vcc, s2, v18
	s_mov_b32 s2, 0x3f317218
	s_nop 0
	v_subbrev_co_u32_e32 v18, vcc, 0, v6, vcc
	v_sub_u32_e32 v6, 0, v18
	v_ldexp_f32 v7, v8, v6
	v_add_f32_e32 v8, -1.0, v7
	v_add_f32_e32 v23, 1.0, v7
	v_ldexp_f32 v6, v9, v6
	v_add_f32_e32 v9, 1.0, v8
	v_add_f32_e32 v24, -1.0, v23
	v_sub_f32_e32 v9, v7, v9
	v_sub_f32_e32 v7, v7, v24
	v_add_f32_e32 v9, v6, v9
	v_add_f32_e32 v6, v6, v7
	;; [unrolled: 1-line block ×3, first 2 shown]
	v_rcp_f32_e32 v29, v28
	v_sub_f32_e32 v7, v23, v28
	v_add_f32_e32 v23, v6, v7
	v_add_f32_e32 v7, v8, v9
	v_mul_f32_e32 v32, v7, v29
	v_sub_f32_e32 v6, v8, v7
	v_mul_f32_e32 v8, v28, v32
	v_fma_f32 v24, v32, v28, -v8
	v_fmac_f32_e32 v24, v32, v23
	v_add_f32_e32 v30, v9, v6
	v_add_f32_e32 v6, v8, v24
	v_sub_f32_e32 v9, v7, v6
	v_pk_add_f32 v[26:27], v[6:7], v[8:9] neg_lo:[0,1] neg_hi:[0,1]
	v_mov_b32_e32 v25, v6
	v_pk_add_f32 v[6:7], v[26:27], v[24:25] neg_lo:[0,1] neg_hi:[0,1]
	v_cmp_neq_f32_e32 vcc, s3, v4
	v_add_f32_e32 v7, v30, v7
	v_add_f32_e32 v6, v6, v7
	;; [unrolled: 1-line block ×3, first 2 shown]
	v_mul_f32_e32 v30, v29, v7
	v_mul_f32_e32 v8, v28, v30
	v_fma_f32 v24, v30, v28, -v8
	v_fmac_f32_e32 v24, v30, v23
	v_sub_f32_e32 v9, v9, v7
	v_add_f32_e32 v23, v6, v9
	v_add_f32_e32 v6, v8, v24
	v_sub_f32_e32 v9, v7, v6
	v_pk_add_f32 v[26:27], v[6:7], v[8:9] neg_lo:[0,1] neg_hi:[0,1]
	v_mov_b32_e32 v25, v6
	v_pk_add_f32 v[6:7], v[26:27], v[24:25] neg_lo:[0,1] neg_hi:[0,1]
	v_cvt_f32_i32_e32 v8, v18
	v_add_f32_e32 v7, v23, v7
	v_add_f32_e32 v6, v6, v7
	;; [unrolled: 1-line block ×4, first 2 shown]
	v_sub_f32_e32 v7, v9, v32
	v_mul_f32_e32 v6, v29, v6
	v_sub_f32_e32 v7, v30, v7
	v_add_f32_e32 v6, v7, v6
	v_add_f32_e32 v23, v9, v6
	v_mul_f32_e32 v24, v23, v23
	v_mov_b32_e32 v7, 0x3ecc95a3
	v_sub_f32_e32 v9, v23, v9
	v_fmac_f32_e32 v7, 0x3e9b6dac, v24
	v_sub_f32_e32 v6, v6, v9
	v_fmaak_f32 v7, v24, v7, 0x3f2aaada
	v_ldexp_f32 v18, v6, 1
	v_mul_f32_e32 v9, v23, v24
	v_mov_b32_e32 v6, 0x3f317218
	v_pk_mul_f32 v[6:7], v[8:9], v[6:7]
	v_ldexp_f32 v25, v23, 1
	v_fma_f32 v9, v8, s2, -v6
	v_fmamk_f32 v24, v8, 0xb102e308, v9
	v_pk_add_f32 v[8:9], v[6:7], v[24:25]
	v_mov_b32_e32 v26, v6
	v_sub_f32_e32 v23, v9, v25
	v_sub_f32_e32 v23, v7, v23
	v_add_f32_e32 v27, v18, v23
	v_pk_add_f32 v[6:7], v[8:9], v[6:7] neg_lo:[0,1] neg_hi:[0,1]
	v_pk_add_f32 v[28:29], v[8:9], v[26:27]
	v_mov_b32_e32 v25, v8
	v_mov_b32_e32 v7, v29
	v_pk_add_f32 v[32:33], v[24:25], v[6:7] neg_lo:[0,1] neg_hi:[0,1]
	v_pk_add_f32 v[6:7], v[24:25], v[6:7]
	v_mov_b32_e32 v26, v27
	v_pk_add_f32 v[24:25], v[6:7], v[8:9] op_sel:[1,0] op_sel_hi:[0,1] neg_lo:[0,1] neg_hi:[0,1]
	v_pk_add_f32 v[34:35], v[28:29], v[24:25] op_sel_hi:[1,0] neg_lo:[0,1] neg_hi:[0,1]
	v_mov_b32_e32 v28, v29
	v_mov_b32_e32 v29, v7
	v_pk_mov_b32 v[24:25], v[8:9], v[24:25] op_sel:[1,0]
	v_mov_b32_e32 v27, v8
	v_pk_add_f32 v[24:25], v[28:29], v[24:25] neg_lo:[0,1] neg_hi:[0,1]
	v_mov_b32_e32 v34, v32
	v_pk_add_f32 v[8:9], v[26:27], v[24:25] neg_lo:[0,1] neg_hi:[0,1]
	v_mov_b32_e32 v33, v7
	v_pk_add_f32 v[24:25], v[34:35], v[8:9]
	s_mov_b32 s2, 0x33800000
	v_pk_add_f32 v[26:27], v[24:25], v[24:25] op_sel:[0,1] op_sel_hi:[1,0]
	s_nop 0
	v_pk_add_f32 v[6:7], v[6:7], v[26:27] op_sel:[1,0] op_sel_hi:[0,1]
	v_mov_b32_e32 v25, v6
	v_pk_add_f32 v[28:29], v[24:25], v[32:33] neg_lo:[0,1] neg_hi:[0,1]
	v_mov_b32_e32 v9, v26
	v_sub_f32_e32 v7, v24, v28
	v_pk_add_f32 v[8:9], v[8:9], v[28:29] neg_lo:[0,1] neg_hi:[0,1]
	v_sub_f32_e32 v7, v32, v7
	v_add_f32_e32 v7, v8, v7
	v_add_f32_e32 v7, v7, v9
	;; [unrolled: 1-line block ×3, first 2 shown]
	v_cndmask_b32_e32 v6, v12, v6, vcc
	v_cmp_lt_f32_e64 vcc, |v4|, s2
	s_nop 1
	v_cndmask_b32_e32 v4, v6, v4, vcc
	v_add_f32_e32 v3, v3, v4
	v_cvt_f16_f32_e32 v25, v3
	v_cvt_f32_f16_e32 v12, v25
	v_mov_b32_e32 v23, v25
.LBB351_290:
	s_or_b64 exec, exec, s[0:1]
	v_max_f32_e32 v3, v17, v17
	v_max_f32_e32 v6, v12, v12
	v_min_f32_e32 v4, v6, v3
	v_cmp_u_f16_e32 vcc, v25, v25
	v_max_f32_e32 v3, v6, v3
	s_movk_i32 s2, 0x1f8
	v_cndmask_b32_e32 v4, v4, v12, vcc
	v_cndmask_b32_e32 v3, v3, v12, vcc
	v_cndmask_b32_e64 v4, v4, v17, s[20:21]
	v_cndmask_b32_e64 v3, v3, v17, s[20:21]
	v_cmp_neq_f32_e32 vcc, v4, v3
	v_cmp_class_f32_e64 s[0:1], v4, s2
	s_or_b64 s[4:5], vcc, s[0:1]
	v_mov_b32_e32 v17, v23
	s_and_saveexec_b64 s[0:1], s[4:5]
	s_cbranch_execz .LBB351_292
; %bb.291:
	v_sub_f32_e32 v4, v4, v3
	s_mov_b32 s3, 0x3fb8aa3b
	v_mul_f32_e32 v6, 0x3fb8aa3b, v4
	v_fma_f32 v7, v4, s3, -v6
	v_rndne_f32_e32 v8, v6
	v_fmamk_f32 v7, v4, 0x32a5705f, v7
	v_sub_f32_e32 v6, v6, v8
	v_add_f32_e32 v6, v6, v7
	v_exp_f32_e32 v6, v6
	v_cvt_i32_f32_e32 v7, v8
	s_mov_b32 s3, 0xc2ce8ed0
	v_cmp_ngt_f32_e32 vcc, s3, v4
	s_mov_b32 s3, 0x42b17218
	v_ldexp_f32 v6, v6, v7
	v_cndmask_b32_e32 v6, 0, v6, vcc
	v_mov_b32_e32 v12, 0x7f800000
	v_cmp_nlt_f32_e32 vcc, s3, v4
	s_mov_b32 s3, 0x3f2aaaab
	s_mov_b32 s4, 0x7f800000
	v_cndmask_b32_e32 v4, v12, v6, vcc
	v_add_f32_e32 v8, 1.0, v4
	v_add_f32_e32 v6, -1.0, v8
	v_sub_f32_e32 v7, v6, v8
	v_add_f32_e32 v7, 1.0, v7
	v_sub_f32_e32 v6, v4, v6
	v_add_f32_e32 v9, v6, v7
	v_frexp_mant_f32_e32 v17, v8
	v_cvt_f64_f32_e32 v[6:7], v8
	v_frexp_exp_i32_f64_e32 v6, v[6:7]
	v_cmp_gt_f32_e32 vcc, s3, v17
	s_mov_b32 s3, 0x3f317218
	s_nop 0
	v_subbrev_co_u32_e32 v17, vcc, 0, v6, vcc
	v_sub_u32_e32 v6, 0, v17
	v_ldexp_f32 v7, v8, v6
	v_add_f32_e32 v8, -1.0, v7
	v_add_f32_e32 v18, 1.0, v7
	v_ldexp_f32 v6, v9, v6
	v_add_f32_e32 v9, 1.0, v8
	v_add_f32_e32 v24, -1.0, v18
	v_sub_f32_e32 v9, v7, v9
	v_sub_f32_e32 v7, v7, v24
	v_add_f32_e32 v9, v6, v9
	v_add_f32_e32 v6, v6, v7
	;; [unrolled: 1-line block ×3, first 2 shown]
	v_rcp_f32_e32 v29, v28
	v_sub_f32_e32 v7, v18, v28
	v_add_f32_e32 v18, v6, v7
	v_add_f32_e32 v7, v8, v9
	v_mul_f32_e32 v32, v7, v29
	v_sub_f32_e32 v6, v8, v7
	v_mul_f32_e32 v8, v28, v32
	v_fma_f32 v24, v32, v28, -v8
	v_fmac_f32_e32 v24, v32, v18
	v_add_f32_e32 v30, v9, v6
	v_add_f32_e32 v6, v8, v24
	v_sub_f32_e32 v9, v7, v6
	v_pk_add_f32 v[26:27], v[6:7], v[8:9] neg_lo:[0,1] neg_hi:[0,1]
	v_mov_b32_e32 v25, v6
	v_pk_add_f32 v[6:7], v[26:27], v[24:25] neg_lo:[0,1] neg_hi:[0,1]
	v_cmp_neq_f32_e32 vcc, s4, v4
	v_add_f32_e32 v7, v30, v7
	v_add_f32_e32 v6, v6, v7
	;; [unrolled: 1-line block ×3, first 2 shown]
	v_mul_f32_e32 v30, v29, v7
	v_mul_f32_e32 v8, v28, v30
	v_fma_f32 v24, v30, v28, -v8
	v_fmac_f32_e32 v24, v30, v18
	v_sub_f32_e32 v9, v9, v7
	v_add_f32_e32 v18, v6, v9
	v_add_f32_e32 v6, v8, v24
	v_sub_f32_e32 v9, v7, v6
	v_pk_add_f32 v[26:27], v[6:7], v[8:9] neg_lo:[0,1] neg_hi:[0,1]
	v_mov_b32_e32 v25, v6
	v_pk_add_f32 v[6:7], v[26:27], v[24:25] neg_lo:[0,1] neg_hi:[0,1]
	v_cvt_f32_i32_e32 v8, v17
	v_add_f32_e32 v7, v18, v7
	v_add_f32_e32 v6, v6, v7
	;; [unrolled: 1-line block ×4, first 2 shown]
	v_sub_f32_e32 v7, v9, v32
	v_mul_f32_e32 v6, v29, v6
	v_sub_f32_e32 v7, v30, v7
	v_add_f32_e32 v6, v7, v6
	v_add_f32_e32 v18, v9, v6
	v_mul_f32_e32 v24, v18, v18
	v_mov_b32_e32 v7, 0x3ecc95a3
	v_sub_f32_e32 v9, v18, v9
	v_fmac_f32_e32 v7, 0x3e9b6dac, v24
	v_sub_f32_e32 v6, v6, v9
	v_fmaak_f32 v7, v24, v7, 0x3f2aaada
	v_ldexp_f32 v17, v6, 1
	v_mul_f32_e32 v9, v18, v24
	v_mov_b32_e32 v6, 0x3f317218
	v_pk_mul_f32 v[6:7], v[8:9], v[6:7]
	v_ldexp_f32 v25, v18, 1
	v_fma_f32 v9, v8, s3, -v6
	v_fmamk_f32 v24, v8, 0xb102e308, v9
	v_pk_add_f32 v[8:9], v[6:7], v[24:25]
	v_mov_b32_e32 v26, v6
	v_sub_f32_e32 v18, v9, v25
	v_sub_f32_e32 v18, v7, v18
	v_add_f32_e32 v27, v17, v18
	v_pk_add_f32 v[6:7], v[8:9], v[6:7] neg_lo:[0,1] neg_hi:[0,1]
	v_pk_add_f32 v[28:29], v[8:9], v[26:27]
	v_mov_b32_e32 v25, v8
	v_mov_b32_e32 v7, v29
	v_pk_add_f32 v[32:33], v[24:25], v[6:7] neg_lo:[0,1] neg_hi:[0,1]
	v_pk_add_f32 v[6:7], v[24:25], v[6:7]
	v_mov_b32_e32 v26, v27
	v_pk_add_f32 v[24:25], v[6:7], v[8:9] op_sel:[1,0] op_sel_hi:[0,1] neg_lo:[0,1] neg_hi:[0,1]
	v_pk_add_f32 v[34:35], v[28:29], v[24:25] op_sel_hi:[1,0] neg_lo:[0,1] neg_hi:[0,1]
	v_mov_b32_e32 v28, v29
	v_mov_b32_e32 v29, v7
	v_pk_mov_b32 v[24:25], v[8:9], v[24:25] op_sel:[1,0]
	v_mov_b32_e32 v27, v8
	v_pk_add_f32 v[24:25], v[28:29], v[24:25] neg_lo:[0,1] neg_hi:[0,1]
	v_mov_b32_e32 v34, v32
	v_pk_add_f32 v[8:9], v[26:27], v[24:25] neg_lo:[0,1] neg_hi:[0,1]
	v_mov_b32_e32 v33, v7
	v_pk_add_f32 v[24:25], v[34:35], v[8:9]
	s_mov_b32 s3, 0x33800000
	v_pk_add_f32 v[26:27], v[24:25], v[24:25] op_sel:[0,1] op_sel_hi:[1,0]
	s_nop 0
	v_pk_add_f32 v[6:7], v[6:7], v[26:27] op_sel:[1,0] op_sel_hi:[0,1]
	v_mov_b32_e32 v25, v6
	v_pk_add_f32 v[28:29], v[24:25], v[32:33] neg_lo:[0,1] neg_hi:[0,1]
	v_mov_b32_e32 v9, v26
	v_sub_f32_e32 v7, v24, v28
	v_pk_add_f32 v[8:9], v[8:9], v[28:29] neg_lo:[0,1] neg_hi:[0,1]
	v_sub_f32_e32 v7, v32, v7
	v_add_f32_e32 v7, v8, v7
	v_add_f32_e32 v7, v7, v9
	;; [unrolled: 1-line block ×3, first 2 shown]
	v_cndmask_b32_e32 v6, v12, v6, vcc
	v_cmp_lt_f32_e64 vcc, |v4|, s3
	s_nop 1
	v_cndmask_b32_e32 v4, v6, v4, vcc
	v_add_f32_e32 v3, v3, v4
	v_cvt_f16_f32_e32 v25, v3
	v_cvt_f32_f16_e32 v12, v25
	v_mov_b32_e32 v17, v25
.LBB351_292:
	s_or_b64 exec, exec, s[0:1]
	v_max_f32_e32 v3, v5, v5
	v_max_f32_e32 v6, v12, v12
	v_min_f32_e32 v4, v6, v3
	v_cmp_u_f16_e32 vcc, v25, v25
	v_max_f32_e32 v3, v6, v3
	v_mov_b32_e32 v24, v17
	v_cndmask_b32_e32 v4, v4, v12, vcc
	v_cndmask_b32_e32 v3, v3, v12, vcc
	v_cndmask_b32_e64 v4, v4, v5, s[22:23]
	v_cndmask_b32_e64 v3, v3, v5, s[22:23]
	v_cmp_neq_f32_e32 vcc, v4, v3
	v_cmp_class_f32_e64 s[0:1], v4, s2
	s_or_b64 s[2:3], vcc, s[0:1]
	s_and_saveexec_b64 s[0:1], s[2:3]
	s_cbranch_execz .LBB351_294
; %bb.293:
	v_sub_f32_e32 v4, v4, v3
	s_mov_b32 s2, 0x3fb8aa3b
	v_mul_f32_e32 v5, 0x3fb8aa3b, v4
	v_fma_f32 v6, v4, s2, -v5
	v_rndne_f32_e32 v7, v5
	v_fmamk_f32 v6, v4, 0x32a5705f, v6
	v_sub_f32_e32 v5, v5, v7
	v_add_f32_e32 v5, v5, v6
	v_exp_f32_e32 v5, v5
	v_cvt_i32_f32_e32 v6, v7
	s_mov_b32 s2, 0xc2ce8ed0
	v_cmp_ngt_f32_e32 vcc, s2, v4
	s_mov_b32 s2, 0x42b17218
	v_ldexp_f32 v5, v5, v6
	v_cndmask_b32_e32 v5, 0, v5, vcc
	v_mov_b32_e32 v12, 0x7f800000
	v_cmp_nlt_f32_e32 vcc, s2, v4
	s_mov_b32 s2, 0x3f2aaaab
	s_mov_b32 s3, 0x7f800000
	v_cndmask_b32_e32 v18, v12, v5, vcc
	v_add_f32_e32 v6, 1.0, v18
	v_add_f32_e32 v4, -1.0, v6
	v_sub_f32_e32 v5, v4, v6
	v_add_f32_e32 v5, 1.0, v5
	v_sub_f32_e32 v4, v18, v4
	v_add_f32_e32 v7, v4, v5
	v_frexp_mant_f32_e32 v8, v6
	v_cvt_f64_f32_e32 v[4:5], v6
	v_frexp_exp_i32_f64_e32 v4, v[4:5]
	v_cmp_gt_f32_e32 vcc, s2, v8
	s_mov_b32 s2, 0x3f317218
	s_nop 0
	v_subbrev_co_u32_e32 v26, vcc, 0, v4, vcc
	v_sub_u32_e32 v4, 0, v26
	v_ldexp_f32 v5, v6, v4
	v_add_f32_e32 v6, -1.0, v5
	v_add_f32_e32 v8, 1.0, v5
	v_ldexp_f32 v4, v7, v4
	v_add_f32_e32 v7, 1.0, v6
	v_add_f32_e32 v9, -1.0, v8
	v_sub_f32_e32 v7, v5, v7
	v_sub_f32_e32 v5, v5, v9
	v_add_f32_e32 v7, v4, v7
	v_add_f32_e32 v4, v4, v5
	v_add_f32_e32 v27, v8, v4
	v_rcp_f32_e32 v29, v27
	v_sub_f32_e32 v5, v8, v27
	v_add_f32_e32 v28, v4, v5
	v_add_f32_e32 v5, v6, v7
	v_mul_f32_e32 v32, v5, v29
	v_sub_f32_e32 v4, v6, v5
	v_mul_f32_e32 v6, v27, v32
	v_fma_f32 v8, v32, v27, -v6
	v_fmac_f32_e32 v8, v32, v28
	v_add_f32_e32 v30, v7, v4
	v_add_f32_e32 v4, v6, v8
	v_sub_f32_e32 v7, v5, v4
	v_pk_add_f32 v[24:25], v[4:5], v[6:7] neg_lo:[0,1] neg_hi:[0,1]
	v_mov_b32_e32 v9, v4
	v_pk_add_f32 v[4:5], v[24:25], v[8:9] neg_lo:[0,1] neg_hi:[0,1]
	v_cmp_neq_f32_e32 vcc, s3, v18
	v_add_f32_e32 v5, v30, v5
	v_add_f32_e32 v4, v4, v5
	;; [unrolled: 1-line block ×3, first 2 shown]
	v_mul_f32_e32 v30, v29, v5
	v_mul_f32_e32 v6, v27, v30
	v_fma_f32 v8, v30, v27, -v6
	v_fmac_f32_e32 v8, v30, v28
	v_sub_f32_e32 v7, v7, v5
	v_add_f32_e32 v27, v4, v7
	v_add_f32_e32 v4, v6, v8
	v_sub_f32_e32 v7, v5, v4
	v_pk_add_f32 v[24:25], v[4:5], v[6:7] neg_lo:[0,1] neg_hi:[0,1]
	v_mov_b32_e32 v9, v4
	v_pk_add_f32 v[4:5], v[24:25], v[8:9] neg_lo:[0,1] neg_hi:[0,1]
	v_cvt_f32_i32_e32 v6, v26
	v_add_f32_e32 v5, v27, v5
	v_add_f32_e32 v4, v4, v5
	;; [unrolled: 1-line block ×4, first 2 shown]
	v_sub_f32_e32 v5, v7, v32
	v_mul_f32_e32 v4, v29, v4
	v_sub_f32_e32 v5, v30, v5
	v_add_f32_e32 v4, v5, v4
	v_add_f32_e32 v8, v7, v4
	v_mul_f32_e32 v24, v8, v8
	v_mov_b32_e32 v5, 0x3ecc95a3
	v_sub_f32_e32 v7, v8, v7
	v_fmac_f32_e32 v5, 0x3e9b6dac, v24
	v_sub_f32_e32 v4, v4, v7
	v_fmaak_f32 v5, v24, v5, 0x3f2aaada
	v_ldexp_f32 v25, v4, 1
	v_mul_f32_e32 v7, v8, v24
	v_mov_b32_e32 v4, 0x3f317218
	v_pk_mul_f32 v[4:5], v[6:7], v[4:5]
	v_ldexp_f32 v9, v8, 1
	v_fma_f32 v7, v6, s2, -v4
	v_fmamk_f32 v8, v6, 0xb102e308, v7
	v_pk_add_f32 v[6:7], v[4:5], v[8:9]
	v_mov_b32_e32 v24, v4
	v_sub_f32_e32 v9, v7, v9
	v_sub_f32_e32 v9, v5, v9
	v_add_f32_e32 v25, v25, v9
	v_pk_add_f32 v[4:5], v[6:7], v[4:5] neg_lo:[0,1] neg_hi:[0,1]
	v_pk_add_f32 v[26:27], v[6:7], v[24:25]
	v_mov_b32_e32 v9, v6
	v_mov_b32_e32 v5, v27
	v_pk_add_f32 v[28:29], v[8:9], v[4:5] neg_lo:[0,1] neg_hi:[0,1]
	v_pk_add_f32 v[4:5], v[8:9], v[4:5]
	v_mov_b32_e32 v24, v25
	v_pk_add_f32 v[8:9], v[4:5], v[6:7] op_sel:[1,0] op_sel_hi:[0,1] neg_lo:[0,1] neg_hi:[0,1]
	v_pk_add_f32 v[32:33], v[26:27], v[8:9] op_sel_hi:[1,0] neg_lo:[0,1] neg_hi:[0,1]
	v_mov_b32_e32 v26, v27
	v_mov_b32_e32 v27, v5
	v_pk_mov_b32 v[8:9], v[6:7], v[8:9] op_sel:[1,0]
	v_mov_b32_e32 v25, v6
	v_pk_add_f32 v[8:9], v[26:27], v[8:9] neg_lo:[0,1] neg_hi:[0,1]
	v_mov_b32_e32 v32, v28
	v_pk_add_f32 v[6:7], v[24:25], v[8:9] neg_lo:[0,1] neg_hi:[0,1]
	v_mov_b32_e32 v29, v5
	v_pk_add_f32 v[8:9], v[32:33], v[6:7]
	s_mov_b32 s2, 0x33800000
	v_pk_add_f32 v[24:25], v[8:9], v[8:9] op_sel:[0,1] op_sel_hi:[1,0]
	s_nop 0
	v_pk_add_f32 v[4:5], v[4:5], v[24:25] op_sel:[1,0] op_sel_hi:[0,1]
	v_mov_b32_e32 v9, v4
	v_pk_add_f32 v[26:27], v[8:9], v[28:29] neg_lo:[0,1] neg_hi:[0,1]
	v_mov_b32_e32 v7, v24
	v_sub_f32_e32 v5, v8, v26
	v_pk_add_f32 v[6:7], v[6:7], v[26:27] neg_lo:[0,1] neg_hi:[0,1]
	v_sub_f32_e32 v5, v28, v5
	v_add_f32_e32 v5, v6, v5
	v_add_f32_e32 v5, v5, v7
	v_add_f32_e32 v4, v4, v5
	v_cndmask_b32_e32 v4, v12, v4, vcc
	v_cmp_lt_f32_e64 vcc, |v18|, s2
	s_nop 1
	v_cndmask_b32_e32 v4, v4, v18, vcc
	v_add_f32_e32 v3, v3, v4
	v_cvt_f16_f32_e32 v25, v3
	v_cvt_f32_f16_e32 v12, v25
	v_mov_b32_e32 v24, v25
.LBB351_294:
	s_or_b64 exec, exec, s[0:1]
	v_max_f32_e32 v3, v19, v19
	v_max_f32_e32 v5, v12, v12
	v_min_f32_e32 v4, v5, v3
	v_cmp_u_f16_e32 vcc, v25, v25
	v_max_f32_e32 v3, v5, v3
	s_movk_i32 s0, 0x1f8
	v_cndmask_b32_e32 v4, v4, v12, vcc
	v_cndmask_b32_e32 v3, v3, v12, vcc
	v_cndmask_b32_e64 v4, v4, v19, s[24:25]
	v_cndmask_b32_e64 v3, v3, v19, s[24:25]
	v_cmp_neq_f32_e32 vcc, v4, v3
	v_cmp_class_f32_e64 s[0:1], v4, s0
	s_or_b64 s[2:3], vcc, s[0:1]
	v_mov_b32_e32 v12, v24
	s_and_saveexec_b64 s[0:1], s[2:3]
	s_cbranch_execz .LBB351_296
; %bb.295:
	v_sub_f32_e32 v4, v4, v3
	s_mov_b32 s2, 0x3fb8aa3b
	v_mul_f32_e32 v5, 0x3fb8aa3b, v4
	v_fma_f32 v6, v4, s2, -v5
	v_rndne_f32_e32 v7, v5
	v_fmamk_f32 v6, v4, 0x32a5705f, v6
	v_sub_f32_e32 v5, v5, v7
	v_add_f32_e32 v5, v5, v6
	v_exp_f32_e32 v5, v5
	v_cvt_i32_f32_e32 v6, v7
	s_mov_b32 s2, 0xc2ce8ed0
	v_cmp_ngt_f32_e32 vcc, s2, v4
	s_mov_b32 s2, 0x42b17218
	v_ldexp_f32 v5, v5, v6
	v_cndmask_b32_e32 v5, 0, v5, vcc
	v_mov_b32_e32 v12, 0x7f800000
	v_cmp_nlt_f32_e32 vcc, s2, v4
	s_mov_b32 s2, 0x3f2aaaab
	s_mov_b32 s3, 0x7f800000
	v_cndmask_b32_e32 v25, v12, v5, vcc
	v_add_f32_e32 v6, 1.0, v25
	v_add_f32_e32 v4, -1.0, v6
	v_sub_f32_e32 v5, v4, v6
	v_add_f32_e32 v5, 1.0, v5
	v_sub_f32_e32 v4, v25, v4
	v_add_f32_e32 v7, v4, v5
	v_frexp_mant_f32_e32 v8, v6
	v_cvt_f64_f32_e32 v[4:5], v6
	v_frexp_exp_i32_f64_e32 v4, v[4:5]
	v_cmp_gt_f32_e32 vcc, s2, v8
	s_mov_b32 s2, 0x3f317218
	s_nop 0
	v_subbrev_co_u32_e32 v26, vcc, 0, v4, vcc
	v_sub_u32_e32 v4, 0, v26
	v_ldexp_f32 v5, v6, v4
	v_add_f32_e32 v6, -1.0, v5
	v_add_f32_e32 v8, 1.0, v5
	v_ldexp_f32 v4, v7, v4
	v_add_f32_e32 v7, 1.0, v6
	v_add_f32_e32 v9, -1.0, v8
	v_sub_f32_e32 v7, v5, v7
	v_sub_f32_e32 v5, v5, v9
	v_add_f32_e32 v7, v4, v7
	v_add_f32_e32 v4, v4, v5
	v_add_f32_e32 v27, v8, v4
	v_rcp_f32_e32 v29, v27
	v_sub_f32_e32 v5, v8, v27
	v_add_f32_e32 v28, v4, v5
	v_add_f32_e32 v5, v6, v7
	v_mul_f32_e32 v32, v5, v29
	v_sub_f32_e32 v4, v6, v5
	v_mul_f32_e32 v6, v27, v32
	v_fma_f32 v8, v32, v27, -v6
	v_fmac_f32_e32 v8, v32, v28
	v_add_f32_e32 v30, v7, v4
	v_add_f32_e32 v4, v6, v8
	v_sub_f32_e32 v7, v5, v4
	v_pk_add_f32 v[18:19], v[4:5], v[6:7] neg_lo:[0,1] neg_hi:[0,1]
	v_mov_b32_e32 v9, v4
	v_pk_add_f32 v[4:5], v[18:19], v[8:9] neg_lo:[0,1] neg_hi:[0,1]
	v_cmp_neq_f32_e32 vcc, s3, v25
	v_add_f32_e32 v5, v30, v5
	v_add_f32_e32 v4, v4, v5
	;; [unrolled: 1-line block ×3, first 2 shown]
	v_mul_f32_e32 v30, v29, v5
	v_mul_f32_e32 v6, v27, v30
	v_fma_f32 v8, v30, v27, -v6
	v_fmac_f32_e32 v8, v30, v28
	v_sub_f32_e32 v7, v7, v5
	v_add_f32_e32 v27, v4, v7
	v_add_f32_e32 v4, v6, v8
	v_sub_f32_e32 v7, v5, v4
	v_pk_add_f32 v[18:19], v[4:5], v[6:7] neg_lo:[0,1] neg_hi:[0,1]
	v_mov_b32_e32 v9, v4
	v_pk_add_f32 v[4:5], v[18:19], v[8:9] neg_lo:[0,1] neg_hi:[0,1]
	v_cvt_f32_i32_e32 v6, v26
	v_add_f32_e32 v5, v27, v5
	v_add_f32_e32 v4, v4, v5
	;; [unrolled: 1-line block ×4, first 2 shown]
	v_sub_f32_e32 v5, v7, v32
	v_mul_f32_e32 v4, v29, v4
	v_sub_f32_e32 v5, v30, v5
	v_add_f32_e32 v4, v5, v4
	v_add_f32_e32 v8, v7, v4
	v_mul_f32_e32 v18, v8, v8
	v_mov_b32_e32 v5, 0x3ecc95a3
	v_sub_f32_e32 v7, v8, v7
	v_fmac_f32_e32 v5, 0x3e9b6dac, v18
	v_sub_f32_e32 v4, v4, v7
	v_fmaak_f32 v5, v18, v5, 0x3f2aaada
	v_ldexp_f32 v19, v4, 1
	v_mul_f32_e32 v7, v8, v18
	v_mov_b32_e32 v4, 0x3f317218
	v_pk_mul_f32 v[4:5], v[6:7], v[4:5]
	v_ldexp_f32 v9, v8, 1
	v_fma_f32 v7, v6, s2, -v4
	v_fmamk_f32 v8, v6, 0xb102e308, v7
	v_pk_add_f32 v[6:7], v[4:5], v[8:9]
	v_mov_b32_e32 v18, v4
	v_sub_f32_e32 v9, v7, v9
	v_sub_f32_e32 v9, v5, v9
	v_add_f32_e32 v19, v19, v9
	v_pk_add_f32 v[4:5], v[6:7], v[4:5] neg_lo:[0,1] neg_hi:[0,1]
	v_pk_add_f32 v[26:27], v[6:7], v[18:19]
	v_mov_b32_e32 v9, v6
	v_mov_b32_e32 v5, v27
	v_pk_add_f32 v[28:29], v[8:9], v[4:5] neg_lo:[0,1] neg_hi:[0,1]
	v_pk_add_f32 v[4:5], v[8:9], v[4:5]
	v_mov_b32_e32 v18, v19
	v_pk_add_f32 v[8:9], v[4:5], v[6:7] op_sel:[1,0] op_sel_hi:[0,1] neg_lo:[0,1] neg_hi:[0,1]
	v_pk_add_f32 v[32:33], v[26:27], v[8:9] op_sel_hi:[1,0] neg_lo:[0,1] neg_hi:[0,1]
	v_mov_b32_e32 v26, v27
	v_mov_b32_e32 v27, v5
	v_pk_mov_b32 v[8:9], v[6:7], v[8:9] op_sel:[1,0]
	v_mov_b32_e32 v19, v6
	v_pk_add_f32 v[8:9], v[26:27], v[8:9] neg_lo:[0,1] neg_hi:[0,1]
	v_mov_b32_e32 v32, v28
	v_pk_add_f32 v[6:7], v[18:19], v[8:9] neg_lo:[0,1] neg_hi:[0,1]
	v_mov_b32_e32 v29, v5
	v_pk_add_f32 v[8:9], v[32:33], v[6:7]
	s_mov_b32 s2, 0x33800000
	v_pk_add_f32 v[18:19], v[8:9], v[8:9] op_sel:[0,1] op_sel_hi:[1,0]
	s_nop 0
	v_pk_add_f32 v[4:5], v[4:5], v[18:19] op_sel:[1,0] op_sel_hi:[0,1]
	v_mov_b32_e32 v9, v4
	v_pk_add_f32 v[26:27], v[8:9], v[28:29] neg_lo:[0,1] neg_hi:[0,1]
	v_mov_b32_e32 v7, v18
	v_sub_f32_e32 v5, v8, v26
	v_pk_add_f32 v[6:7], v[6:7], v[26:27] neg_lo:[0,1] neg_hi:[0,1]
	v_sub_f32_e32 v5, v28, v5
	v_add_f32_e32 v5, v6, v5
	v_add_f32_e32 v5, v5, v7
	;; [unrolled: 1-line block ×3, first 2 shown]
	v_cndmask_b32_e32 v4, v12, v4, vcc
	v_cmp_lt_f32_e64 vcc, |v25|, s2
	s_nop 1
	v_cndmask_b32_e32 v4, v4, v25, vcc
	v_add_f32_e32 v3, v3, v4
	v_cvt_f16_f32_e32 v12, v3
.LBB351_296:
	s_or_b64 exec, exec, s[0:1]
	s_movk_i32 s0, 0x7f
	v_cmp_eq_u32_e32 vcc, s0, v0
	s_and_saveexec_b64 s[0:1], vcc
	s_cbranch_execz .LBB351_298
; %bb.297:
	s_mov_b32 s2, 0x20000
	v_mov_b32_e32 v3, 0
	v_or_b32_sdwa v4, v12, s2 dst_sel:DWORD dst_unused:UNUSED_PAD src0_sel:WORD_0 src1_sel:DWORD
	global_store_dword v3, v4, s[54:55] offset:256 sc1
.LBB351_298:
	s_or_b64 exec, exec, s[0:1]
.LBB351_299:
	s_add_u32 s0, s40, s38
	s_addc_u32 s1, s41, s39
	s_add_u32 s0, s0, s52
	s_addc_u32 s1, s1, s53
	s_mov_b64 s[2:3], -1
	s_and_b64 vcc, exec, s[42:43]
	s_waitcnt lgkmcnt(0)
	s_barrier
	s_cbranch_vccz .LBB351_301
; %bb.300:
	s_mov_b32 s2, 0x5040100
	v_perm_b32 v3, v13, v31, s2
	v_perm_b32 v4, v11, v10, s2
	ds_write2_b32 v1, v4, v3 offset1:1
	v_perm_b32 v3, v15, v21, s2
	v_perm_b32 v4, v14, v20, s2
	ds_write2_b32 v1, v4, v3 offset0:2 offset1:3
	v_perm_b32 v3, v17, v23, s2
	v_perm_b32 v4, v16, v22, s2
	ds_write2_b32 v1, v4, v3 offset0:4 offset1:5
	v_perm_b32 v3, v12, v24, s2
	ds_write_b32 v1, v3 offset:24
	s_waitcnt lgkmcnt(0)
	s_barrier
	ds_read_u16 v3, v2
	ds_read_u16 v4, v2 offset:256
	ds_read_u16 v5, v2 offset:512
	;; [unrolled: 1-line block ×13, first 2 shown]
	s_waitcnt lgkmcnt(13)
	global_store_short v2, v3, s[0:1]
	s_waitcnt lgkmcnt(12)
	global_store_short v2, v4, s[0:1] offset:256
	s_waitcnt lgkmcnt(11)
	global_store_short v2, v5, s[0:1] offset:512
	;; [unrolled: 2-line block ×13, first 2 shown]
	s_mov_b64 s[2:3], 0
.LBB351_301:
	s_andn2_b64 vcc, exec, s[2:3]
	s_cbranch_vccnz .LBB351_381
; %bb.302:
	s_mov_b32 s2, 0x5040100
	v_perm_b32 v3, v13, v31, s2
	v_perm_b32 v4, v11, v10, s2
	ds_write2_b32 v1, v4, v3 offset1:1
	v_perm_b32 v3, v15, v21, s2
	v_perm_b32 v4, v14, v20, s2
	ds_write2_b32 v1, v4, v3 offset0:2 offset1:3
	v_perm_b32 v3, v17, v23, s2
	v_perm_b32 v4, v16, v22, s2
	ds_write2_b32 v1, v4, v3 offset0:4 offset1:5
	v_perm_b32 v3, v12, v24, s2
	ds_write_b32 v1, v3 offset:24
	s_waitcnt lgkmcnt(0)
	s_barrier
	ds_read_u16 v8, v2
	ds_read_u16 v7, v2 offset:256
	ds_read_u16 v9, v2 offset:512
	;; [unrolled: 1-line block ×13, first 2 shown]
	v_mov_b32_e32 v3, 0
	v_lshl_add_u64 v[4:5], s[0:1], 0, v[2:3]
	v_cmp_gt_u32_e32 vcc, s33, v0
	s_and_saveexec_b64 s[0:1], vcc
	s_cbranch_execz .LBB351_304
; %bb.303:
	s_waitcnt lgkmcnt(13)
	global_store_short v[4:5], v8, off
.LBB351_304:
	s_or_b64 exec, exec, s[0:1]
	v_or_b32_e32 v1, 0x80, v0
	v_cmp_gt_u32_e32 vcc, s33, v1
	s_and_saveexec_b64 s[0:1], vcc
	s_cbranch_execz .LBB351_306
; %bb.305:
	s_waitcnt lgkmcnt(12)
	global_store_short v[4:5], v7, off offset:256
.LBB351_306:
	s_or_b64 exec, exec, s[0:1]
	v_or_b32_e32 v1, 0x100, v0
	v_cmp_gt_u32_e32 vcc, s33, v1
	s_and_saveexec_b64 s[0:1], vcc
	s_cbranch_execz .LBB351_308
; %bb.307:
	s_waitcnt lgkmcnt(11)
	global_store_short v[4:5], v9, off offset:512
.LBB351_308:
	;; [unrolled: 9-line block ×13, first 2 shown]
	s_or_b64 exec, exec, s[0:1]
	v_cmp_lt_u64_e64 s[0:1], s[50:51], 2
	s_and_b64 vcc, exec, s[0:1]
	s_cbranch_vccnz .LBB351_381
; %bb.331:
	s_add_u32 s0, s33, -1
	s_addc_u32 s1, s56, -1
	s_lshr_b64 s[2:3], s[0:1], 1
	s_lshr_b32 s5, s1, 1
	s_mul_hi_u32 s3, s2, 0x49249249
	s_mul_i32 s4, s2, 0x49249249
	s_mul_i32 s7, s5, 0x24924925
	s_mul_hi_u32 s2, s2, 0x24924925
	s_mul_hi_u32 s6, s5, 0x24924925
	s_add_u32 s2, s7, s2
	s_addc_u32 s6, s6, 0
	s_add_u32 s2, s4, s2
	s_addc_u32 s2, s3, 0
	s_add_u32 s2, s6, s2
	s_addc_u32 s3, 0, 0
	s_mul_hi_u32 s4, s5, 0x49249249
	s_mul_i32 s5, s5, 0x49249249
	s_add_u32 s2, s5, s2
	s_addc_u32 s3, s4, s3
	v_mov_b32_e32 v1, v3
	s_lshr_b64 s[2:3], s[2:3], 1
	v_cmp_eq_u64_e32 vcc, s[2:3], v[0:1]
	s_and_saveexec_b64 s[2:3], vcc
	s_cbranch_execz .LBB351_381
; %bb.332:
	v_mul_hi_u32_u24_e32 v1, 14, v0
	v_mul_u32_u24_e32 v0, 14, v0
	v_mov_b32_e32 v2, s1
	v_sub_co_u32_e32 v0, vcc, s0, v0
	s_nop 1
	v_subb_co_u32_e32 v1, vcc, v2, v1, vcc
	v_cmp_lt_i64_e32 vcc, 6, v[0:1]
	s_and_saveexec_b64 s[0:1], vcc
	s_xor_b64 s[0:1], exec, s[0:1]
	s_cbranch_execz .LBB351_358
; %bb.333:
	v_cmp_lt_i64_e32 vcc, 9, v[0:1]
	s_and_saveexec_b64 s[2:3], vcc
	s_xor_b64 s[2:3], exec, s[2:3]
	s_cbranch_execz .LBB351_347
; %bb.334:
	;; [unrolled: 5-line block ×4, first 2 shown]
	v_mov_b32_e32 v0, 0
	s_waitcnt lgkmcnt(0)
	global_store_short v0, v6, s[46:47]
                                        ; implicit-def: $vgpr19
.LBB351_337:
	s_andn2_saveexec_b64 s[6:7], s[6:7]
	s_cbranch_execz .LBB351_339
; %bb.338:
	v_mov_b32_e32 v0, 0
	s_waitcnt lgkmcnt(1)
	global_store_short v0, v19, s[46:47]
.LBB351_339:
	s_or_b64 exec, exec, s[6:7]
                                        ; implicit-def: $vgpr13
                                        ; implicit-def: $vgpr0_vgpr1
                                        ; implicit-def: $vgpr18
.LBB351_340:
	s_andn2_saveexec_b64 s[4:5], s[4:5]
	s_cbranch_execz .LBB351_346
; %bb.341:
	v_cmp_lt_i64_e32 vcc, 10, v[0:1]
	s_and_saveexec_b64 s[6:7], vcc
	s_xor_b64 s[6:7], exec, s[6:7]
	s_cbranch_execz .LBB351_343
; %bb.342:
	v_mov_b32_e32 v0, 0
	s_waitcnt lgkmcnt(2)
	global_store_short v0, v18, s[46:47]
                                        ; implicit-def: $vgpr13
.LBB351_343:
	s_andn2_saveexec_b64 s[6:7], s[6:7]
	s_cbranch_execz .LBB351_345
; %bb.344:
	v_mov_b32_e32 v0, 0
	s_waitcnt lgkmcnt(3)
	global_store_short v0, v13, s[46:47]
.LBB351_345:
	s_or_b64 exec, exec, s[6:7]
.LBB351_346:
	s_or_b64 exec, exec, s[4:5]
                                        ; implicit-def: $vgpr16
                                        ; implicit-def: $vgpr0_vgpr1
                                        ; implicit-def: $vgpr14
                                        ; implicit-def: $vgpr17
.LBB351_347:
	s_andn2_saveexec_b64 s[2:3], s[2:3]
	s_cbranch_execz .LBB351_357
; %bb.348:
	v_cmp_lt_i64_e32 vcc, 7, v[0:1]
	s_and_saveexec_b64 s[4:5], vcc
	s_xor_b64 s[4:5], exec, s[4:5]
	s_cbranch_execz .LBB351_354
; %bb.349:
	v_cmp_lt_i64_e32 vcc, 8, v[0:1]
	s_and_saveexec_b64 s[6:7], vcc
	s_xor_b64 s[6:7], exec, s[6:7]
	s_cbranch_execz .LBB351_351
; %bb.350:
	v_mov_b32_e32 v0, 0
	s_waitcnt lgkmcnt(4)
	global_store_short v0, v17, s[46:47]
                                        ; implicit-def: $vgpr14
.LBB351_351:
	s_andn2_saveexec_b64 s[6:7], s[6:7]
	s_cbranch_execz .LBB351_353
; %bb.352:
	v_mov_b32_e32 v0, 0
	s_waitcnt lgkmcnt(5)
	global_store_short v0, v14, s[46:47]
.LBB351_353:
	s_or_b64 exec, exec, s[6:7]
                                        ; implicit-def: $vgpr16
.LBB351_354:
	s_andn2_saveexec_b64 s[4:5], s[4:5]
	s_cbranch_execz .LBB351_356
; %bb.355:
	v_mov_b32_e32 v0, 0
	s_waitcnt lgkmcnt(6)
	global_store_short v0, v16, s[46:47]
.LBB351_356:
	s_or_b64 exec, exec, s[4:5]
.LBB351_357:
	s_or_b64 exec, exec, s[2:3]
                                        ; implicit-def: $vgpr0_vgpr1
                                        ; implicit-def: $vgpr12
                                        ; implicit-def: $vgpr7
                                        ; implicit-def: $vgpr9
                                        ; implicit-def: $vgpr8
                                        ; implicit-def: $vgpr11
                                        ; implicit-def: $vgpr10
                                        ; implicit-def: $vgpr15
.LBB351_358:
	s_andn2_saveexec_b64 s[0:1], s[0:1]
	s_cbranch_execz .LBB351_381
; %bb.359:
	v_cmp_lt_i64_e32 vcc, 3, v[0:1]
	s_and_saveexec_b64 s[0:1], vcc
	s_xor_b64 s[0:1], exec, s[0:1]
	s_cbranch_execz .LBB351_369
; %bb.360:
	v_cmp_lt_i64_e32 vcc, 4, v[0:1]
	s_and_saveexec_b64 s[2:3], vcc
	s_xor_b64 s[2:3], exec, s[2:3]
	;; [unrolled: 5-line block ×3, first 2 shown]
	s_cbranch_execz .LBB351_363
; %bb.362:
	v_mov_b32_e32 v0, 0
	s_waitcnt lgkmcnt(7)
	global_store_short v0, v15, s[46:47]
                                        ; implicit-def: $vgpr11
.LBB351_363:
	s_andn2_saveexec_b64 s[4:5], s[4:5]
	s_cbranch_execz .LBB351_365
; %bb.364:
	v_mov_b32_e32 v0, 0
	s_waitcnt lgkmcnt(8)
	global_store_short v0, v11, s[46:47]
.LBB351_365:
	s_or_b64 exec, exec, s[4:5]
                                        ; implicit-def: $vgpr12
.LBB351_366:
	s_andn2_saveexec_b64 s[2:3], s[2:3]
	s_cbranch_execz .LBB351_368
; %bb.367:
	v_mov_b32_e32 v0, 0
	s_waitcnt lgkmcnt(9)
	global_store_short v0, v12, s[46:47]
.LBB351_368:
	s_or_b64 exec, exec, s[2:3]
                                        ; implicit-def: $vgpr0_vgpr1
                                        ; implicit-def: $vgpr7
                                        ; implicit-def: $vgpr9
                                        ; implicit-def: $vgpr8
                                        ; implicit-def: $vgpr10
.LBB351_369:
	s_andn2_saveexec_b64 s[0:1], s[0:1]
	s_cbranch_execz .LBB351_381
; %bb.370:
	v_cmp_lt_i64_e32 vcc, 1, v[0:1]
	s_and_saveexec_b64 s[0:1], vcc
	s_xor_b64 s[0:1], exec, s[0:1]
	s_cbranch_execz .LBB351_376
; %bb.371:
	v_cmp_lt_i64_e32 vcc, 2, v[0:1]
	s_and_saveexec_b64 s[2:3], vcc
	s_xor_b64 s[2:3], exec, s[2:3]
	s_cbranch_execz .LBB351_373
; %bb.372:
	v_mov_b32_e32 v0, 0
	s_waitcnt lgkmcnt(10)
	global_store_short v0, v10, s[46:47]
                                        ; implicit-def: $vgpr9
.LBB351_373:
	s_andn2_saveexec_b64 s[2:3], s[2:3]
	s_cbranch_execz .LBB351_375
; %bb.374:
	v_mov_b32_e32 v0, 0
	s_waitcnt lgkmcnt(11)
	global_store_short v0, v9, s[46:47]
.LBB351_375:
	s_or_b64 exec, exec, s[2:3]
                                        ; implicit-def: $vgpr7
                                        ; implicit-def: $vgpr0_vgpr1
                                        ; implicit-def: $vgpr8
.LBB351_376:
	s_andn2_saveexec_b64 s[0:1], s[0:1]
	s_cbranch_execz .LBB351_381
; %bb.377:
	v_cmp_ne_u64_e32 vcc, 1, v[0:1]
	s_and_saveexec_b64 s[0:1], vcc
	s_xor_b64 s[0:1], exec, s[0:1]
	s_cbranch_execz .LBB351_379
; %bb.378:
	v_mov_b32_e32 v0, 0
	s_waitcnt lgkmcnt(13)
	global_store_short v0, v8, s[46:47]
                                        ; implicit-def: $vgpr7
.LBB351_379:
	s_andn2_saveexec_b64 s[0:1], s[0:1]
	s_cbranch_execz .LBB351_381
; %bb.380:
	v_mov_b32_e32 v0, 0
	s_waitcnt lgkmcnt(12)
	global_store_short v0, v7, s[46:47]
.LBB351_381:
	s_endpgm
	.section	.rodata,"a",@progbits
	.p2align	6, 0x0
	.amdhsa_kernel _ZN7rocprim17ROCPRIM_400000_NS6detail17trampoline_kernelINS0_14default_configENS1_20scan_config_selectorIN3c104HalfEEEZZNS1_9scan_implILNS1_25lookback_scan_determinismE0ELb0ELb0ES3_PKS6_PS6_S6_ZZZN2at6native31launch_logcumsumexp_cuda_kernelERKNSD_10TensorBaseESH_lENKUlvE_clEvENKUlvE3_clEvEUlS6_S6_E_S6_EEDaPvRmT3_T4_T5_mT6_P12ihipStream_tbENKUlT_T0_E_clISt17integral_constantIbLb0EESY_EEDaST_SU_EUlST_E_NS1_11comp_targetILNS1_3genE0ELNS1_11target_archE4294967295ELNS1_3gpuE0ELNS1_3repE0EEENS1_30default_config_static_selectorELNS0_4arch9wavefront6targetE1EEEvT1_
		.amdhsa_group_segment_fixed_size 3584
		.amdhsa_private_segment_fixed_size 0
		.amdhsa_kernarg_size 96
		.amdhsa_user_sgpr_count 2
		.amdhsa_user_sgpr_dispatch_ptr 0
		.amdhsa_user_sgpr_queue_ptr 0
		.amdhsa_user_sgpr_kernarg_segment_ptr 1
		.amdhsa_user_sgpr_dispatch_id 0
		.amdhsa_user_sgpr_kernarg_preload_length 0
		.amdhsa_user_sgpr_kernarg_preload_offset 0
		.amdhsa_user_sgpr_private_segment_size 0
		.amdhsa_uses_dynamic_stack 0
		.amdhsa_enable_private_segment 0
		.amdhsa_system_sgpr_workgroup_id_x 1
		.amdhsa_system_sgpr_workgroup_id_y 0
		.amdhsa_system_sgpr_workgroup_id_z 0
		.amdhsa_system_sgpr_workgroup_info 0
		.amdhsa_system_vgpr_workitem_id 0
		.amdhsa_next_free_vgpr 67
		.amdhsa_next_free_sgpr 62
		.amdhsa_accum_offset 68
		.amdhsa_reserve_vcc 1
		.amdhsa_float_round_mode_32 0
		.amdhsa_float_round_mode_16_64 0
		.amdhsa_float_denorm_mode_32 3
		.amdhsa_float_denorm_mode_16_64 3
		.amdhsa_dx10_clamp 1
		.amdhsa_ieee_mode 1
		.amdhsa_fp16_overflow 0
		.amdhsa_tg_split 0
		.amdhsa_exception_fp_ieee_invalid_op 0
		.amdhsa_exception_fp_denorm_src 0
		.amdhsa_exception_fp_ieee_div_zero 0
		.amdhsa_exception_fp_ieee_overflow 0
		.amdhsa_exception_fp_ieee_underflow 0
		.amdhsa_exception_fp_ieee_inexact 0
		.amdhsa_exception_int_div_zero 0
	.end_amdhsa_kernel
	.section	.text._ZN7rocprim17ROCPRIM_400000_NS6detail17trampoline_kernelINS0_14default_configENS1_20scan_config_selectorIN3c104HalfEEEZZNS1_9scan_implILNS1_25lookback_scan_determinismE0ELb0ELb0ES3_PKS6_PS6_S6_ZZZN2at6native31launch_logcumsumexp_cuda_kernelERKNSD_10TensorBaseESH_lENKUlvE_clEvENKUlvE3_clEvEUlS6_S6_E_S6_EEDaPvRmT3_T4_T5_mT6_P12ihipStream_tbENKUlT_T0_E_clISt17integral_constantIbLb0EESY_EEDaST_SU_EUlST_E_NS1_11comp_targetILNS1_3genE0ELNS1_11target_archE4294967295ELNS1_3gpuE0ELNS1_3repE0EEENS1_30default_config_static_selectorELNS0_4arch9wavefront6targetE1EEEvT1_,"axG",@progbits,_ZN7rocprim17ROCPRIM_400000_NS6detail17trampoline_kernelINS0_14default_configENS1_20scan_config_selectorIN3c104HalfEEEZZNS1_9scan_implILNS1_25lookback_scan_determinismE0ELb0ELb0ES3_PKS6_PS6_S6_ZZZN2at6native31launch_logcumsumexp_cuda_kernelERKNSD_10TensorBaseESH_lENKUlvE_clEvENKUlvE3_clEvEUlS6_S6_E_S6_EEDaPvRmT3_T4_T5_mT6_P12ihipStream_tbENKUlT_T0_E_clISt17integral_constantIbLb0EESY_EEDaST_SU_EUlST_E_NS1_11comp_targetILNS1_3genE0ELNS1_11target_archE4294967295ELNS1_3gpuE0ELNS1_3repE0EEENS1_30default_config_static_selectorELNS0_4arch9wavefront6targetE1EEEvT1_,comdat
.Lfunc_end351:
	.size	_ZN7rocprim17ROCPRIM_400000_NS6detail17trampoline_kernelINS0_14default_configENS1_20scan_config_selectorIN3c104HalfEEEZZNS1_9scan_implILNS1_25lookback_scan_determinismE0ELb0ELb0ES3_PKS6_PS6_S6_ZZZN2at6native31launch_logcumsumexp_cuda_kernelERKNSD_10TensorBaseESH_lENKUlvE_clEvENKUlvE3_clEvEUlS6_S6_E_S6_EEDaPvRmT3_T4_T5_mT6_P12ihipStream_tbENKUlT_T0_E_clISt17integral_constantIbLb0EESY_EEDaST_SU_EUlST_E_NS1_11comp_targetILNS1_3genE0ELNS1_11target_archE4294967295ELNS1_3gpuE0ELNS1_3repE0EEENS1_30default_config_static_selectorELNS0_4arch9wavefront6targetE1EEEvT1_, .Lfunc_end351-_ZN7rocprim17ROCPRIM_400000_NS6detail17trampoline_kernelINS0_14default_configENS1_20scan_config_selectorIN3c104HalfEEEZZNS1_9scan_implILNS1_25lookback_scan_determinismE0ELb0ELb0ES3_PKS6_PS6_S6_ZZZN2at6native31launch_logcumsumexp_cuda_kernelERKNSD_10TensorBaseESH_lENKUlvE_clEvENKUlvE3_clEvEUlS6_S6_E_S6_EEDaPvRmT3_T4_T5_mT6_P12ihipStream_tbENKUlT_T0_E_clISt17integral_constantIbLb0EESY_EEDaST_SU_EUlST_E_NS1_11comp_targetILNS1_3genE0ELNS1_11target_archE4294967295ELNS1_3gpuE0ELNS1_3repE0EEENS1_30default_config_static_selectorELNS0_4arch9wavefront6targetE1EEEvT1_
                                        ; -- End function
	.set _ZN7rocprim17ROCPRIM_400000_NS6detail17trampoline_kernelINS0_14default_configENS1_20scan_config_selectorIN3c104HalfEEEZZNS1_9scan_implILNS1_25lookback_scan_determinismE0ELb0ELb0ES3_PKS6_PS6_S6_ZZZN2at6native31launch_logcumsumexp_cuda_kernelERKNSD_10TensorBaseESH_lENKUlvE_clEvENKUlvE3_clEvEUlS6_S6_E_S6_EEDaPvRmT3_T4_T5_mT6_P12ihipStream_tbENKUlT_T0_E_clISt17integral_constantIbLb0EESY_EEDaST_SU_EUlST_E_NS1_11comp_targetILNS1_3genE0ELNS1_11target_archE4294967295ELNS1_3gpuE0ELNS1_3repE0EEENS1_30default_config_static_selectorELNS0_4arch9wavefront6targetE1EEEvT1_.num_vgpr, 67
	.set _ZN7rocprim17ROCPRIM_400000_NS6detail17trampoline_kernelINS0_14default_configENS1_20scan_config_selectorIN3c104HalfEEEZZNS1_9scan_implILNS1_25lookback_scan_determinismE0ELb0ELb0ES3_PKS6_PS6_S6_ZZZN2at6native31launch_logcumsumexp_cuda_kernelERKNSD_10TensorBaseESH_lENKUlvE_clEvENKUlvE3_clEvEUlS6_S6_E_S6_EEDaPvRmT3_T4_T5_mT6_P12ihipStream_tbENKUlT_T0_E_clISt17integral_constantIbLb0EESY_EEDaST_SU_EUlST_E_NS1_11comp_targetILNS1_3genE0ELNS1_11target_archE4294967295ELNS1_3gpuE0ELNS1_3repE0EEENS1_30default_config_static_selectorELNS0_4arch9wavefront6targetE1EEEvT1_.num_agpr, 0
	.set _ZN7rocprim17ROCPRIM_400000_NS6detail17trampoline_kernelINS0_14default_configENS1_20scan_config_selectorIN3c104HalfEEEZZNS1_9scan_implILNS1_25lookback_scan_determinismE0ELb0ELb0ES3_PKS6_PS6_S6_ZZZN2at6native31launch_logcumsumexp_cuda_kernelERKNSD_10TensorBaseESH_lENKUlvE_clEvENKUlvE3_clEvEUlS6_S6_E_S6_EEDaPvRmT3_T4_T5_mT6_P12ihipStream_tbENKUlT_T0_E_clISt17integral_constantIbLb0EESY_EEDaST_SU_EUlST_E_NS1_11comp_targetILNS1_3genE0ELNS1_11target_archE4294967295ELNS1_3gpuE0ELNS1_3repE0EEENS1_30default_config_static_selectorELNS0_4arch9wavefront6targetE1EEEvT1_.numbered_sgpr, 62
	.set _ZN7rocprim17ROCPRIM_400000_NS6detail17trampoline_kernelINS0_14default_configENS1_20scan_config_selectorIN3c104HalfEEEZZNS1_9scan_implILNS1_25lookback_scan_determinismE0ELb0ELb0ES3_PKS6_PS6_S6_ZZZN2at6native31launch_logcumsumexp_cuda_kernelERKNSD_10TensorBaseESH_lENKUlvE_clEvENKUlvE3_clEvEUlS6_S6_E_S6_EEDaPvRmT3_T4_T5_mT6_P12ihipStream_tbENKUlT_T0_E_clISt17integral_constantIbLb0EESY_EEDaST_SU_EUlST_E_NS1_11comp_targetILNS1_3genE0ELNS1_11target_archE4294967295ELNS1_3gpuE0ELNS1_3repE0EEENS1_30default_config_static_selectorELNS0_4arch9wavefront6targetE1EEEvT1_.num_named_barrier, 0
	.set _ZN7rocprim17ROCPRIM_400000_NS6detail17trampoline_kernelINS0_14default_configENS1_20scan_config_selectorIN3c104HalfEEEZZNS1_9scan_implILNS1_25lookback_scan_determinismE0ELb0ELb0ES3_PKS6_PS6_S6_ZZZN2at6native31launch_logcumsumexp_cuda_kernelERKNSD_10TensorBaseESH_lENKUlvE_clEvENKUlvE3_clEvEUlS6_S6_E_S6_EEDaPvRmT3_T4_T5_mT6_P12ihipStream_tbENKUlT_T0_E_clISt17integral_constantIbLb0EESY_EEDaST_SU_EUlST_E_NS1_11comp_targetILNS1_3genE0ELNS1_11target_archE4294967295ELNS1_3gpuE0ELNS1_3repE0EEENS1_30default_config_static_selectorELNS0_4arch9wavefront6targetE1EEEvT1_.private_seg_size, 0
	.set _ZN7rocprim17ROCPRIM_400000_NS6detail17trampoline_kernelINS0_14default_configENS1_20scan_config_selectorIN3c104HalfEEEZZNS1_9scan_implILNS1_25lookback_scan_determinismE0ELb0ELb0ES3_PKS6_PS6_S6_ZZZN2at6native31launch_logcumsumexp_cuda_kernelERKNSD_10TensorBaseESH_lENKUlvE_clEvENKUlvE3_clEvEUlS6_S6_E_S6_EEDaPvRmT3_T4_T5_mT6_P12ihipStream_tbENKUlT_T0_E_clISt17integral_constantIbLb0EESY_EEDaST_SU_EUlST_E_NS1_11comp_targetILNS1_3genE0ELNS1_11target_archE4294967295ELNS1_3gpuE0ELNS1_3repE0EEENS1_30default_config_static_selectorELNS0_4arch9wavefront6targetE1EEEvT1_.uses_vcc, 1
	.set _ZN7rocprim17ROCPRIM_400000_NS6detail17trampoline_kernelINS0_14default_configENS1_20scan_config_selectorIN3c104HalfEEEZZNS1_9scan_implILNS1_25lookback_scan_determinismE0ELb0ELb0ES3_PKS6_PS6_S6_ZZZN2at6native31launch_logcumsumexp_cuda_kernelERKNSD_10TensorBaseESH_lENKUlvE_clEvENKUlvE3_clEvEUlS6_S6_E_S6_EEDaPvRmT3_T4_T5_mT6_P12ihipStream_tbENKUlT_T0_E_clISt17integral_constantIbLb0EESY_EEDaST_SU_EUlST_E_NS1_11comp_targetILNS1_3genE0ELNS1_11target_archE4294967295ELNS1_3gpuE0ELNS1_3repE0EEENS1_30default_config_static_selectorELNS0_4arch9wavefront6targetE1EEEvT1_.uses_flat_scratch, 0
	.set _ZN7rocprim17ROCPRIM_400000_NS6detail17trampoline_kernelINS0_14default_configENS1_20scan_config_selectorIN3c104HalfEEEZZNS1_9scan_implILNS1_25lookback_scan_determinismE0ELb0ELb0ES3_PKS6_PS6_S6_ZZZN2at6native31launch_logcumsumexp_cuda_kernelERKNSD_10TensorBaseESH_lENKUlvE_clEvENKUlvE3_clEvEUlS6_S6_E_S6_EEDaPvRmT3_T4_T5_mT6_P12ihipStream_tbENKUlT_T0_E_clISt17integral_constantIbLb0EESY_EEDaST_SU_EUlST_E_NS1_11comp_targetILNS1_3genE0ELNS1_11target_archE4294967295ELNS1_3gpuE0ELNS1_3repE0EEENS1_30default_config_static_selectorELNS0_4arch9wavefront6targetE1EEEvT1_.has_dyn_sized_stack, 0
	.set _ZN7rocprim17ROCPRIM_400000_NS6detail17trampoline_kernelINS0_14default_configENS1_20scan_config_selectorIN3c104HalfEEEZZNS1_9scan_implILNS1_25lookback_scan_determinismE0ELb0ELb0ES3_PKS6_PS6_S6_ZZZN2at6native31launch_logcumsumexp_cuda_kernelERKNSD_10TensorBaseESH_lENKUlvE_clEvENKUlvE3_clEvEUlS6_S6_E_S6_EEDaPvRmT3_T4_T5_mT6_P12ihipStream_tbENKUlT_T0_E_clISt17integral_constantIbLb0EESY_EEDaST_SU_EUlST_E_NS1_11comp_targetILNS1_3genE0ELNS1_11target_archE4294967295ELNS1_3gpuE0ELNS1_3repE0EEENS1_30default_config_static_selectorELNS0_4arch9wavefront6targetE1EEEvT1_.has_recursion, 0
	.set _ZN7rocprim17ROCPRIM_400000_NS6detail17trampoline_kernelINS0_14default_configENS1_20scan_config_selectorIN3c104HalfEEEZZNS1_9scan_implILNS1_25lookback_scan_determinismE0ELb0ELb0ES3_PKS6_PS6_S6_ZZZN2at6native31launch_logcumsumexp_cuda_kernelERKNSD_10TensorBaseESH_lENKUlvE_clEvENKUlvE3_clEvEUlS6_S6_E_S6_EEDaPvRmT3_T4_T5_mT6_P12ihipStream_tbENKUlT_T0_E_clISt17integral_constantIbLb0EESY_EEDaST_SU_EUlST_E_NS1_11comp_targetILNS1_3genE0ELNS1_11target_archE4294967295ELNS1_3gpuE0ELNS1_3repE0EEENS1_30default_config_static_selectorELNS0_4arch9wavefront6targetE1EEEvT1_.has_indirect_call, 0
	.section	.AMDGPU.csdata,"",@progbits
; Kernel info:
; codeLenInByte = 77452
; TotalNumSgprs: 68
; NumVgprs: 67
; NumAgprs: 0
; TotalNumVgprs: 67
; ScratchSize: 0
; MemoryBound: 0
; FloatMode: 240
; IeeeMode: 1
; LDSByteSize: 3584 bytes/workgroup (compile time only)
; SGPRBlocks: 8
; VGPRBlocks: 8
; NumSGPRsForWavesPerEU: 68
; NumVGPRsForWavesPerEU: 67
; AccumOffset: 68
; Occupancy: 7
; WaveLimiterHint : 1
; COMPUTE_PGM_RSRC2:SCRATCH_EN: 0
; COMPUTE_PGM_RSRC2:USER_SGPR: 2
; COMPUTE_PGM_RSRC2:TRAP_HANDLER: 0
; COMPUTE_PGM_RSRC2:TGID_X_EN: 1
; COMPUTE_PGM_RSRC2:TGID_Y_EN: 0
; COMPUTE_PGM_RSRC2:TGID_Z_EN: 0
; COMPUTE_PGM_RSRC2:TIDIG_COMP_CNT: 0
; COMPUTE_PGM_RSRC3_GFX90A:ACCUM_OFFSET: 16
; COMPUTE_PGM_RSRC3_GFX90A:TG_SPLIT: 0
	.section	.text._ZN7rocprim17ROCPRIM_400000_NS6detail17trampoline_kernelINS0_14default_configENS1_20scan_config_selectorIN3c104HalfEEEZZNS1_9scan_implILNS1_25lookback_scan_determinismE0ELb0ELb0ES3_PKS6_PS6_S6_ZZZN2at6native31launch_logcumsumexp_cuda_kernelERKNSD_10TensorBaseESH_lENKUlvE_clEvENKUlvE3_clEvEUlS6_S6_E_S6_EEDaPvRmT3_T4_T5_mT6_P12ihipStream_tbENKUlT_T0_E_clISt17integral_constantIbLb0EESY_EEDaST_SU_EUlST_E_NS1_11comp_targetILNS1_3genE5ELNS1_11target_archE942ELNS1_3gpuE9ELNS1_3repE0EEENS1_30default_config_static_selectorELNS0_4arch9wavefront6targetE1EEEvT1_,"axG",@progbits,_ZN7rocprim17ROCPRIM_400000_NS6detail17trampoline_kernelINS0_14default_configENS1_20scan_config_selectorIN3c104HalfEEEZZNS1_9scan_implILNS1_25lookback_scan_determinismE0ELb0ELb0ES3_PKS6_PS6_S6_ZZZN2at6native31launch_logcumsumexp_cuda_kernelERKNSD_10TensorBaseESH_lENKUlvE_clEvENKUlvE3_clEvEUlS6_S6_E_S6_EEDaPvRmT3_T4_T5_mT6_P12ihipStream_tbENKUlT_T0_E_clISt17integral_constantIbLb0EESY_EEDaST_SU_EUlST_E_NS1_11comp_targetILNS1_3genE5ELNS1_11target_archE942ELNS1_3gpuE9ELNS1_3repE0EEENS1_30default_config_static_selectorELNS0_4arch9wavefront6targetE1EEEvT1_,comdat
	.globl	_ZN7rocprim17ROCPRIM_400000_NS6detail17trampoline_kernelINS0_14default_configENS1_20scan_config_selectorIN3c104HalfEEEZZNS1_9scan_implILNS1_25lookback_scan_determinismE0ELb0ELb0ES3_PKS6_PS6_S6_ZZZN2at6native31launch_logcumsumexp_cuda_kernelERKNSD_10TensorBaseESH_lENKUlvE_clEvENKUlvE3_clEvEUlS6_S6_E_S6_EEDaPvRmT3_T4_T5_mT6_P12ihipStream_tbENKUlT_T0_E_clISt17integral_constantIbLb0EESY_EEDaST_SU_EUlST_E_NS1_11comp_targetILNS1_3genE5ELNS1_11target_archE942ELNS1_3gpuE9ELNS1_3repE0EEENS1_30default_config_static_selectorELNS0_4arch9wavefront6targetE1EEEvT1_ ; -- Begin function _ZN7rocprim17ROCPRIM_400000_NS6detail17trampoline_kernelINS0_14default_configENS1_20scan_config_selectorIN3c104HalfEEEZZNS1_9scan_implILNS1_25lookback_scan_determinismE0ELb0ELb0ES3_PKS6_PS6_S6_ZZZN2at6native31launch_logcumsumexp_cuda_kernelERKNSD_10TensorBaseESH_lENKUlvE_clEvENKUlvE3_clEvEUlS6_S6_E_S6_EEDaPvRmT3_T4_T5_mT6_P12ihipStream_tbENKUlT_T0_E_clISt17integral_constantIbLb0EESY_EEDaST_SU_EUlST_E_NS1_11comp_targetILNS1_3genE5ELNS1_11target_archE942ELNS1_3gpuE9ELNS1_3repE0EEENS1_30default_config_static_selectorELNS0_4arch9wavefront6targetE1EEEvT1_
	.p2align	8
	.type	_ZN7rocprim17ROCPRIM_400000_NS6detail17trampoline_kernelINS0_14default_configENS1_20scan_config_selectorIN3c104HalfEEEZZNS1_9scan_implILNS1_25lookback_scan_determinismE0ELb0ELb0ES3_PKS6_PS6_S6_ZZZN2at6native31launch_logcumsumexp_cuda_kernelERKNSD_10TensorBaseESH_lENKUlvE_clEvENKUlvE3_clEvEUlS6_S6_E_S6_EEDaPvRmT3_T4_T5_mT6_P12ihipStream_tbENKUlT_T0_E_clISt17integral_constantIbLb0EESY_EEDaST_SU_EUlST_E_NS1_11comp_targetILNS1_3genE5ELNS1_11target_archE942ELNS1_3gpuE9ELNS1_3repE0EEENS1_30default_config_static_selectorELNS0_4arch9wavefront6targetE1EEEvT1_,@function
_ZN7rocprim17ROCPRIM_400000_NS6detail17trampoline_kernelINS0_14default_configENS1_20scan_config_selectorIN3c104HalfEEEZZNS1_9scan_implILNS1_25lookback_scan_determinismE0ELb0ELb0ES3_PKS6_PS6_S6_ZZZN2at6native31launch_logcumsumexp_cuda_kernelERKNSD_10TensorBaseESH_lENKUlvE_clEvENKUlvE3_clEvEUlS6_S6_E_S6_EEDaPvRmT3_T4_T5_mT6_P12ihipStream_tbENKUlT_T0_E_clISt17integral_constantIbLb0EESY_EEDaST_SU_EUlST_E_NS1_11comp_targetILNS1_3genE5ELNS1_11target_archE942ELNS1_3gpuE9ELNS1_3repE0EEENS1_30default_config_static_selectorELNS0_4arch9wavefront6targetE1EEEvT1_: ; @_ZN7rocprim17ROCPRIM_400000_NS6detail17trampoline_kernelINS0_14default_configENS1_20scan_config_selectorIN3c104HalfEEEZZNS1_9scan_implILNS1_25lookback_scan_determinismE0ELb0ELb0ES3_PKS6_PS6_S6_ZZZN2at6native31launch_logcumsumexp_cuda_kernelERKNSD_10TensorBaseESH_lENKUlvE_clEvENKUlvE3_clEvEUlS6_S6_E_S6_EEDaPvRmT3_T4_T5_mT6_P12ihipStream_tbENKUlT_T0_E_clISt17integral_constantIbLb0EESY_EEDaST_SU_EUlST_E_NS1_11comp_targetILNS1_3genE5ELNS1_11target_archE942ELNS1_3gpuE9ELNS1_3repE0EEENS1_30default_config_static_selectorELNS0_4arch9wavefront6targetE1EEEvT1_
; %bb.0:
	.section	.rodata,"a",@progbits
	.p2align	6, 0x0
	.amdhsa_kernel _ZN7rocprim17ROCPRIM_400000_NS6detail17trampoline_kernelINS0_14default_configENS1_20scan_config_selectorIN3c104HalfEEEZZNS1_9scan_implILNS1_25lookback_scan_determinismE0ELb0ELb0ES3_PKS6_PS6_S6_ZZZN2at6native31launch_logcumsumexp_cuda_kernelERKNSD_10TensorBaseESH_lENKUlvE_clEvENKUlvE3_clEvEUlS6_S6_E_S6_EEDaPvRmT3_T4_T5_mT6_P12ihipStream_tbENKUlT_T0_E_clISt17integral_constantIbLb0EESY_EEDaST_SU_EUlST_E_NS1_11comp_targetILNS1_3genE5ELNS1_11target_archE942ELNS1_3gpuE9ELNS1_3repE0EEENS1_30default_config_static_selectorELNS0_4arch9wavefront6targetE1EEEvT1_
		.amdhsa_group_segment_fixed_size 0
		.amdhsa_private_segment_fixed_size 0
		.amdhsa_kernarg_size 96
		.amdhsa_user_sgpr_count 2
		.amdhsa_user_sgpr_dispatch_ptr 0
		.amdhsa_user_sgpr_queue_ptr 0
		.amdhsa_user_sgpr_kernarg_segment_ptr 1
		.amdhsa_user_sgpr_dispatch_id 0
		.amdhsa_user_sgpr_kernarg_preload_length 0
		.amdhsa_user_sgpr_kernarg_preload_offset 0
		.amdhsa_user_sgpr_private_segment_size 0
		.amdhsa_uses_dynamic_stack 0
		.amdhsa_enable_private_segment 0
		.amdhsa_system_sgpr_workgroup_id_x 1
		.amdhsa_system_sgpr_workgroup_id_y 0
		.amdhsa_system_sgpr_workgroup_id_z 0
		.amdhsa_system_sgpr_workgroup_info 0
		.amdhsa_system_vgpr_workitem_id 0
		.amdhsa_next_free_vgpr 1
		.amdhsa_next_free_sgpr 0
		.amdhsa_accum_offset 4
		.amdhsa_reserve_vcc 0
		.amdhsa_float_round_mode_32 0
		.amdhsa_float_round_mode_16_64 0
		.amdhsa_float_denorm_mode_32 3
		.amdhsa_float_denorm_mode_16_64 3
		.amdhsa_dx10_clamp 1
		.amdhsa_ieee_mode 1
		.amdhsa_fp16_overflow 0
		.amdhsa_tg_split 0
		.amdhsa_exception_fp_ieee_invalid_op 0
		.amdhsa_exception_fp_denorm_src 0
		.amdhsa_exception_fp_ieee_div_zero 0
		.amdhsa_exception_fp_ieee_overflow 0
		.amdhsa_exception_fp_ieee_underflow 0
		.amdhsa_exception_fp_ieee_inexact 0
		.amdhsa_exception_int_div_zero 0
	.end_amdhsa_kernel
	.section	.text._ZN7rocprim17ROCPRIM_400000_NS6detail17trampoline_kernelINS0_14default_configENS1_20scan_config_selectorIN3c104HalfEEEZZNS1_9scan_implILNS1_25lookback_scan_determinismE0ELb0ELb0ES3_PKS6_PS6_S6_ZZZN2at6native31launch_logcumsumexp_cuda_kernelERKNSD_10TensorBaseESH_lENKUlvE_clEvENKUlvE3_clEvEUlS6_S6_E_S6_EEDaPvRmT3_T4_T5_mT6_P12ihipStream_tbENKUlT_T0_E_clISt17integral_constantIbLb0EESY_EEDaST_SU_EUlST_E_NS1_11comp_targetILNS1_3genE5ELNS1_11target_archE942ELNS1_3gpuE9ELNS1_3repE0EEENS1_30default_config_static_selectorELNS0_4arch9wavefront6targetE1EEEvT1_,"axG",@progbits,_ZN7rocprim17ROCPRIM_400000_NS6detail17trampoline_kernelINS0_14default_configENS1_20scan_config_selectorIN3c104HalfEEEZZNS1_9scan_implILNS1_25lookback_scan_determinismE0ELb0ELb0ES3_PKS6_PS6_S6_ZZZN2at6native31launch_logcumsumexp_cuda_kernelERKNSD_10TensorBaseESH_lENKUlvE_clEvENKUlvE3_clEvEUlS6_S6_E_S6_EEDaPvRmT3_T4_T5_mT6_P12ihipStream_tbENKUlT_T0_E_clISt17integral_constantIbLb0EESY_EEDaST_SU_EUlST_E_NS1_11comp_targetILNS1_3genE5ELNS1_11target_archE942ELNS1_3gpuE9ELNS1_3repE0EEENS1_30default_config_static_selectorELNS0_4arch9wavefront6targetE1EEEvT1_,comdat
.Lfunc_end352:
	.size	_ZN7rocprim17ROCPRIM_400000_NS6detail17trampoline_kernelINS0_14default_configENS1_20scan_config_selectorIN3c104HalfEEEZZNS1_9scan_implILNS1_25lookback_scan_determinismE0ELb0ELb0ES3_PKS6_PS6_S6_ZZZN2at6native31launch_logcumsumexp_cuda_kernelERKNSD_10TensorBaseESH_lENKUlvE_clEvENKUlvE3_clEvEUlS6_S6_E_S6_EEDaPvRmT3_T4_T5_mT6_P12ihipStream_tbENKUlT_T0_E_clISt17integral_constantIbLb0EESY_EEDaST_SU_EUlST_E_NS1_11comp_targetILNS1_3genE5ELNS1_11target_archE942ELNS1_3gpuE9ELNS1_3repE0EEENS1_30default_config_static_selectorELNS0_4arch9wavefront6targetE1EEEvT1_, .Lfunc_end352-_ZN7rocprim17ROCPRIM_400000_NS6detail17trampoline_kernelINS0_14default_configENS1_20scan_config_selectorIN3c104HalfEEEZZNS1_9scan_implILNS1_25lookback_scan_determinismE0ELb0ELb0ES3_PKS6_PS6_S6_ZZZN2at6native31launch_logcumsumexp_cuda_kernelERKNSD_10TensorBaseESH_lENKUlvE_clEvENKUlvE3_clEvEUlS6_S6_E_S6_EEDaPvRmT3_T4_T5_mT6_P12ihipStream_tbENKUlT_T0_E_clISt17integral_constantIbLb0EESY_EEDaST_SU_EUlST_E_NS1_11comp_targetILNS1_3genE5ELNS1_11target_archE942ELNS1_3gpuE9ELNS1_3repE0EEENS1_30default_config_static_selectorELNS0_4arch9wavefront6targetE1EEEvT1_
                                        ; -- End function
	.set _ZN7rocprim17ROCPRIM_400000_NS6detail17trampoline_kernelINS0_14default_configENS1_20scan_config_selectorIN3c104HalfEEEZZNS1_9scan_implILNS1_25lookback_scan_determinismE0ELb0ELb0ES3_PKS6_PS6_S6_ZZZN2at6native31launch_logcumsumexp_cuda_kernelERKNSD_10TensorBaseESH_lENKUlvE_clEvENKUlvE3_clEvEUlS6_S6_E_S6_EEDaPvRmT3_T4_T5_mT6_P12ihipStream_tbENKUlT_T0_E_clISt17integral_constantIbLb0EESY_EEDaST_SU_EUlST_E_NS1_11comp_targetILNS1_3genE5ELNS1_11target_archE942ELNS1_3gpuE9ELNS1_3repE0EEENS1_30default_config_static_selectorELNS0_4arch9wavefront6targetE1EEEvT1_.num_vgpr, 0
	.set _ZN7rocprim17ROCPRIM_400000_NS6detail17trampoline_kernelINS0_14default_configENS1_20scan_config_selectorIN3c104HalfEEEZZNS1_9scan_implILNS1_25lookback_scan_determinismE0ELb0ELb0ES3_PKS6_PS6_S6_ZZZN2at6native31launch_logcumsumexp_cuda_kernelERKNSD_10TensorBaseESH_lENKUlvE_clEvENKUlvE3_clEvEUlS6_S6_E_S6_EEDaPvRmT3_T4_T5_mT6_P12ihipStream_tbENKUlT_T0_E_clISt17integral_constantIbLb0EESY_EEDaST_SU_EUlST_E_NS1_11comp_targetILNS1_3genE5ELNS1_11target_archE942ELNS1_3gpuE9ELNS1_3repE0EEENS1_30default_config_static_selectorELNS0_4arch9wavefront6targetE1EEEvT1_.num_agpr, 0
	.set _ZN7rocprim17ROCPRIM_400000_NS6detail17trampoline_kernelINS0_14default_configENS1_20scan_config_selectorIN3c104HalfEEEZZNS1_9scan_implILNS1_25lookback_scan_determinismE0ELb0ELb0ES3_PKS6_PS6_S6_ZZZN2at6native31launch_logcumsumexp_cuda_kernelERKNSD_10TensorBaseESH_lENKUlvE_clEvENKUlvE3_clEvEUlS6_S6_E_S6_EEDaPvRmT3_T4_T5_mT6_P12ihipStream_tbENKUlT_T0_E_clISt17integral_constantIbLb0EESY_EEDaST_SU_EUlST_E_NS1_11comp_targetILNS1_3genE5ELNS1_11target_archE942ELNS1_3gpuE9ELNS1_3repE0EEENS1_30default_config_static_selectorELNS0_4arch9wavefront6targetE1EEEvT1_.numbered_sgpr, 0
	.set _ZN7rocprim17ROCPRIM_400000_NS6detail17trampoline_kernelINS0_14default_configENS1_20scan_config_selectorIN3c104HalfEEEZZNS1_9scan_implILNS1_25lookback_scan_determinismE0ELb0ELb0ES3_PKS6_PS6_S6_ZZZN2at6native31launch_logcumsumexp_cuda_kernelERKNSD_10TensorBaseESH_lENKUlvE_clEvENKUlvE3_clEvEUlS6_S6_E_S6_EEDaPvRmT3_T4_T5_mT6_P12ihipStream_tbENKUlT_T0_E_clISt17integral_constantIbLb0EESY_EEDaST_SU_EUlST_E_NS1_11comp_targetILNS1_3genE5ELNS1_11target_archE942ELNS1_3gpuE9ELNS1_3repE0EEENS1_30default_config_static_selectorELNS0_4arch9wavefront6targetE1EEEvT1_.num_named_barrier, 0
	.set _ZN7rocprim17ROCPRIM_400000_NS6detail17trampoline_kernelINS0_14default_configENS1_20scan_config_selectorIN3c104HalfEEEZZNS1_9scan_implILNS1_25lookback_scan_determinismE0ELb0ELb0ES3_PKS6_PS6_S6_ZZZN2at6native31launch_logcumsumexp_cuda_kernelERKNSD_10TensorBaseESH_lENKUlvE_clEvENKUlvE3_clEvEUlS6_S6_E_S6_EEDaPvRmT3_T4_T5_mT6_P12ihipStream_tbENKUlT_T0_E_clISt17integral_constantIbLb0EESY_EEDaST_SU_EUlST_E_NS1_11comp_targetILNS1_3genE5ELNS1_11target_archE942ELNS1_3gpuE9ELNS1_3repE0EEENS1_30default_config_static_selectorELNS0_4arch9wavefront6targetE1EEEvT1_.private_seg_size, 0
	.set _ZN7rocprim17ROCPRIM_400000_NS6detail17trampoline_kernelINS0_14default_configENS1_20scan_config_selectorIN3c104HalfEEEZZNS1_9scan_implILNS1_25lookback_scan_determinismE0ELb0ELb0ES3_PKS6_PS6_S6_ZZZN2at6native31launch_logcumsumexp_cuda_kernelERKNSD_10TensorBaseESH_lENKUlvE_clEvENKUlvE3_clEvEUlS6_S6_E_S6_EEDaPvRmT3_T4_T5_mT6_P12ihipStream_tbENKUlT_T0_E_clISt17integral_constantIbLb0EESY_EEDaST_SU_EUlST_E_NS1_11comp_targetILNS1_3genE5ELNS1_11target_archE942ELNS1_3gpuE9ELNS1_3repE0EEENS1_30default_config_static_selectorELNS0_4arch9wavefront6targetE1EEEvT1_.uses_vcc, 0
	.set _ZN7rocprim17ROCPRIM_400000_NS6detail17trampoline_kernelINS0_14default_configENS1_20scan_config_selectorIN3c104HalfEEEZZNS1_9scan_implILNS1_25lookback_scan_determinismE0ELb0ELb0ES3_PKS6_PS6_S6_ZZZN2at6native31launch_logcumsumexp_cuda_kernelERKNSD_10TensorBaseESH_lENKUlvE_clEvENKUlvE3_clEvEUlS6_S6_E_S6_EEDaPvRmT3_T4_T5_mT6_P12ihipStream_tbENKUlT_T0_E_clISt17integral_constantIbLb0EESY_EEDaST_SU_EUlST_E_NS1_11comp_targetILNS1_3genE5ELNS1_11target_archE942ELNS1_3gpuE9ELNS1_3repE0EEENS1_30default_config_static_selectorELNS0_4arch9wavefront6targetE1EEEvT1_.uses_flat_scratch, 0
	.set _ZN7rocprim17ROCPRIM_400000_NS6detail17trampoline_kernelINS0_14default_configENS1_20scan_config_selectorIN3c104HalfEEEZZNS1_9scan_implILNS1_25lookback_scan_determinismE0ELb0ELb0ES3_PKS6_PS6_S6_ZZZN2at6native31launch_logcumsumexp_cuda_kernelERKNSD_10TensorBaseESH_lENKUlvE_clEvENKUlvE3_clEvEUlS6_S6_E_S6_EEDaPvRmT3_T4_T5_mT6_P12ihipStream_tbENKUlT_T0_E_clISt17integral_constantIbLb0EESY_EEDaST_SU_EUlST_E_NS1_11comp_targetILNS1_3genE5ELNS1_11target_archE942ELNS1_3gpuE9ELNS1_3repE0EEENS1_30default_config_static_selectorELNS0_4arch9wavefront6targetE1EEEvT1_.has_dyn_sized_stack, 0
	.set _ZN7rocprim17ROCPRIM_400000_NS6detail17trampoline_kernelINS0_14default_configENS1_20scan_config_selectorIN3c104HalfEEEZZNS1_9scan_implILNS1_25lookback_scan_determinismE0ELb0ELb0ES3_PKS6_PS6_S6_ZZZN2at6native31launch_logcumsumexp_cuda_kernelERKNSD_10TensorBaseESH_lENKUlvE_clEvENKUlvE3_clEvEUlS6_S6_E_S6_EEDaPvRmT3_T4_T5_mT6_P12ihipStream_tbENKUlT_T0_E_clISt17integral_constantIbLb0EESY_EEDaST_SU_EUlST_E_NS1_11comp_targetILNS1_3genE5ELNS1_11target_archE942ELNS1_3gpuE9ELNS1_3repE0EEENS1_30default_config_static_selectorELNS0_4arch9wavefront6targetE1EEEvT1_.has_recursion, 0
	.set _ZN7rocprim17ROCPRIM_400000_NS6detail17trampoline_kernelINS0_14default_configENS1_20scan_config_selectorIN3c104HalfEEEZZNS1_9scan_implILNS1_25lookback_scan_determinismE0ELb0ELb0ES3_PKS6_PS6_S6_ZZZN2at6native31launch_logcumsumexp_cuda_kernelERKNSD_10TensorBaseESH_lENKUlvE_clEvENKUlvE3_clEvEUlS6_S6_E_S6_EEDaPvRmT3_T4_T5_mT6_P12ihipStream_tbENKUlT_T0_E_clISt17integral_constantIbLb0EESY_EEDaST_SU_EUlST_E_NS1_11comp_targetILNS1_3genE5ELNS1_11target_archE942ELNS1_3gpuE9ELNS1_3repE0EEENS1_30default_config_static_selectorELNS0_4arch9wavefront6targetE1EEEvT1_.has_indirect_call, 0
	.section	.AMDGPU.csdata,"",@progbits
; Kernel info:
; codeLenInByte = 0
; TotalNumSgprs: 6
; NumVgprs: 0
; NumAgprs: 0
; TotalNumVgprs: 0
; ScratchSize: 0
; MemoryBound: 0
; FloatMode: 240
; IeeeMode: 1
; LDSByteSize: 0 bytes/workgroup (compile time only)
; SGPRBlocks: 0
; VGPRBlocks: 0
; NumSGPRsForWavesPerEU: 6
; NumVGPRsForWavesPerEU: 1
; AccumOffset: 4
; Occupancy: 8
; WaveLimiterHint : 0
; COMPUTE_PGM_RSRC2:SCRATCH_EN: 0
; COMPUTE_PGM_RSRC2:USER_SGPR: 2
; COMPUTE_PGM_RSRC2:TRAP_HANDLER: 0
; COMPUTE_PGM_RSRC2:TGID_X_EN: 1
; COMPUTE_PGM_RSRC2:TGID_Y_EN: 0
; COMPUTE_PGM_RSRC2:TGID_Z_EN: 0
; COMPUTE_PGM_RSRC2:TIDIG_COMP_CNT: 0
; COMPUTE_PGM_RSRC3_GFX90A:ACCUM_OFFSET: 0
; COMPUTE_PGM_RSRC3_GFX90A:TG_SPLIT: 0
	.section	.text._ZN7rocprim17ROCPRIM_400000_NS6detail17trampoline_kernelINS0_14default_configENS1_20scan_config_selectorIN3c104HalfEEEZZNS1_9scan_implILNS1_25lookback_scan_determinismE0ELb0ELb0ES3_PKS6_PS6_S6_ZZZN2at6native31launch_logcumsumexp_cuda_kernelERKNSD_10TensorBaseESH_lENKUlvE_clEvENKUlvE3_clEvEUlS6_S6_E_S6_EEDaPvRmT3_T4_T5_mT6_P12ihipStream_tbENKUlT_T0_E_clISt17integral_constantIbLb0EESY_EEDaST_SU_EUlST_E_NS1_11comp_targetILNS1_3genE4ELNS1_11target_archE910ELNS1_3gpuE8ELNS1_3repE0EEENS1_30default_config_static_selectorELNS0_4arch9wavefront6targetE1EEEvT1_,"axG",@progbits,_ZN7rocprim17ROCPRIM_400000_NS6detail17trampoline_kernelINS0_14default_configENS1_20scan_config_selectorIN3c104HalfEEEZZNS1_9scan_implILNS1_25lookback_scan_determinismE0ELb0ELb0ES3_PKS6_PS6_S6_ZZZN2at6native31launch_logcumsumexp_cuda_kernelERKNSD_10TensorBaseESH_lENKUlvE_clEvENKUlvE3_clEvEUlS6_S6_E_S6_EEDaPvRmT3_T4_T5_mT6_P12ihipStream_tbENKUlT_T0_E_clISt17integral_constantIbLb0EESY_EEDaST_SU_EUlST_E_NS1_11comp_targetILNS1_3genE4ELNS1_11target_archE910ELNS1_3gpuE8ELNS1_3repE0EEENS1_30default_config_static_selectorELNS0_4arch9wavefront6targetE1EEEvT1_,comdat
	.globl	_ZN7rocprim17ROCPRIM_400000_NS6detail17trampoline_kernelINS0_14default_configENS1_20scan_config_selectorIN3c104HalfEEEZZNS1_9scan_implILNS1_25lookback_scan_determinismE0ELb0ELb0ES3_PKS6_PS6_S6_ZZZN2at6native31launch_logcumsumexp_cuda_kernelERKNSD_10TensorBaseESH_lENKUlvE_clEvENKUlvE3_clEvEUlS6_S6_E_S6_EEDaPvRmT3_T4_T5_mT6_P12ihipStream_tbENKUlT_T0_E_clISt17integral_constantIbLb0EESY_EEDaST_SU_EUlST_E_NS1_11comp_targetILNS1_3genE4ELNS1_11target_archE910ELNS1_3gpuE8ELNS1_3repE0EEENS1_30default_config_static_selectorELNS0_4arch9wavefront6targetE1EEEvT1_ ; -- Begin function _ZN7rocprim17ROCPRIM_400000_NS6detail17trampoline_kernelINS0_14default_configENS1_20scan_config_selectorIN3c104HalfEEEZZNS1_9scan_implILNS1_25lookback_scan_determinismE0ELb0ELb0ES3_PKS6_PS6_S6_ZZZN2at6native31launch_logcumsumexp_cuda_kernelERKNSD_10TensorBaseESH_lENKUlvE_clEvENKUlvE3_clEvEUlS6_S6_E_S6_EEDaPvRmT3_T4_T5_mT6_P12ihipStream_tbENKUlT_T0_E_clISt17integral_constantIbLb0EESY_EEDaST_SU_EUlST_E_NS1_11comp_targetILNS1_3genE4ELNS1_11target_archE910ELNS1_3gpuE8ELNS1_3repE0EEENS1_30default_config_static_selectorELNS0_4arch9wavefront6targetE1EEEvT1_
	.p2align	8
	.type	_ZN7rocprim17ROCPRIM_400000_NS6detail17trampoline_kernelINS0_14default_configENS1_20scan_config_selectorIN3c104HalfEEEZZNS1_9scan_implILNS1_25lookback_scan_determinismE0ELb0ELb0ES3_PKS6_PS6_S6_ZZZN2at6native31launch_logcumsumexp_cuda_kernelERKNSD_10TensorBaseESH_lENKUlvE_clEvENKUlvE3_clEvEUlS6_S6_E_S6_EEDaPvRmT3_T4_T5_mT6_P12ihipStream_tbENKUlT_T0_E_clISt17integral_constantIbLb0EESY_EEDaST_SU_EUlST_E_NS1_11comp_targetILNS1_3genE4ELNS1_11target_archE910ELNS1_3gpuE8ELNS1_3repE0EEENS1_30default_config_static_selectorELNS0_4arch9wavefront6targetE1EEEvT1_,@function
_ZN7rocprim17ROCPRIM_400000_NS6detail17trampoline_kernelINS0_14default_configENS1_20scan_config_selectorIN3c104HalfEEEZZNS1_9scan_implILNS1_25lookback_scan_determinismE0ELb0ELb0ES3_PKS6_PS6_S6_ZZZN2at6native31launch_logcumsumexp_cuda_kernelERKNSD_10TensorBaseESH_lENKUlvE_clEvENKUlvE3_clEvEUlS6_S6_E_S6_EEDaPvRmT3_T4_T5_mT6_P12ihipStream_tbENKUlT_T0_E_clISt17integral_constantIbLb0EESY_EEDaST_SU_EUlST_E_NS1_11comp_targetILNS1_3genE4ELNS1_11target_archE910ELNS1_3gpuE8ELNS1_3repE0EEENS1_30default_config_static_selectorELNS0_4arch9wavefront6targetE1EEEvT1_: ; @_ZN7rocprim17ROCPRIM_400000_NS6detail17trampoline_kernelINS0_14default_configENS1_20scan_config_selectorIN3c104HalfEEEZZNS1_9scan_implILNS1_25lookback_scan_determinismE0ELb0ELb0ES3_PKS6_PS6_S6_ZZZN2at6native31launch_logcumsumexp_cuda_kernelERKNSD_10TensorBaseESH_lENKUlvE_clEvENKUlvE3_clEvEUlS6_S6_E_S6_EEDaPvRmT3_T4_T5_mT6_P12ihipStream_tbENKUlT_T0_E_clISt17integral_constantIbLb0EESY_EEDaST_SU_EUlST_E_NS1_11comp_targetILNS1_3genE4ELNS1_11target_archE910ELNS1_3gpuE8ELNS1_3repE0EEENS1_30default_config_static_selectorELNS0_4arch9wavefront6targetE1EEEvT1_
; %bb.0:
	.section	.rodata,"a",@progbits
	.p2align	6, 0x0
	.amdhsa_kernel _ZN7rocprim17ROCPRIM_400000_NS6detail17trampoline_kernelINS0_14default_configENS1_20scan_config_selectorIN3c104HalfEEEZZNS1_9scan_implILNS1_25lookback_scan_determinismE0ELb0ELb0ES3_PKS6_PS6_S6_ZZZN2at6native31launch_logcumsumexp_cuda_kernelERKNSD_10TensorBaseESH_lENKUlvE_clEvENKUlvE3_clEvEUlS6_S6_E_S6_EEDaPvRmT3_T4_T5_mT6_P12ihipStream_tbENKUlT_T0_E_clISt17integral_constantIbLb0EESY_EEDaST_SU_EUlST_E_NS1_11comp_targetILNS1_3genE4ELNS1_11target_archE910ELNS1_3gpuE8ELNS1_3repE0EEENS1_30default_config_static_selectorELNS0_4arch9wavefront6targetE1EEEvT1_
		.amdhsa_group_segment_fixed_size 0
		.amdhsa_private_segment_fixed_size 0
		.amdhsa_kernarg_size 96
		.amdhsa_user_sgpr_count 2
		.amdhsa_user_sgpr_dispatch_ptr 0
		.amdhsa_user_sgpr_queue_ptr 0
		.amdhsa_user_sgpr_kernarg_segment_ptr 1
		.amdhsa_user_sgpr_dispatch_id 0
		.amdhsa_user_sgpr_kernarg_preload_length 0
		.amdhsa_user_sgpr_kernarg_preload_offset 0
		.amdhsa_user_sgpr_private_segment_size 0
		.amdhsa_uses_dynamic_stack 0
		.amdhsa_enable_private_segment 0
		.amdhsa_system_sgpr_workgroup_id_x 1
		.amdhsa_system_sgpr_workgroup_id_y 0
		.amdhsa_system_sgpr_workgroup_id_z 0
		.amdhsa_system_sgpr_workgroup_info 0
		.amdhsa_system_vgpr_workitem_id 0
		.amdhsa_next_free_vgpr 1
		.amdhsa_next_free_sgpr 0
		.amdhsa_accum_offset 4
		.amdhsa_reserve_vcc 0
		.amdhsa_float_round_mode_32 0
		.amdhsa_float_round_mode_16_64 0
		.amdhsa_float_denorm_mode_32 3
		.amdhsa_float_denorm_mode_16_64 3
		.amdhsa_dx10_clamp 1
		.amdhsa_ieee_mode 1
		.amdhsa_fp16_overflow 0
		.amdhsa_tg_split 0
		.amdhsa_exception_fp_ieee_invalid_op 0
		.amdhsa_exception_fp_denorm_src 0
		.amdhsa_exception_fp_ieee_div_zero 0
		.amdhsa_exception_fp_ieee_overflow 0
		.amdhsa_exception_fp_ieee_underflow 0
		.amdhsa_exception_fp_ieee_inexact 0
		.amdhsa_exception_int_div_zero 0
	.end_amdhsa_kernel
	.section	.text._ZN7rocprim17ROCPRIM_400000_NS6detail17trampoline_kernelINS0_14default_configENS1_20scan_config_selectorIN3c104HalfEEEZZNS1_9scan_implILNS1_25lookback_scan_determinismE0ELb0ELb0ES3_PKS6_PS6_S6_ZZZN2at6native31launch_logcumsumexp_cuda_kernelERKNSD_10TensorBaseESH_lENKUlvE_clEvENKUlvE3_clEvEUlS6_S6_E_S6_EEDaPvRmT3_T4_T5_mT6_P12ihipStream_tbENKUlT_T0_E_clISt17integral_constantIbLb0EESY_EEDaST_SU_EUlST_E_NS1_11comp_targetILNS1_3genE4ELNS1_11target_archE910ELNS1_3gpuE8ELNS1_3repE0EEENS1_30default_config_static_selectorELNS0_4arch9wavefront6targetE1EEEvT1_,"axG",@progbits,_ZN7rocprim17ROCPRIM_400000_NS6detail17trampoline_kernelINS0_14default_configENS1_20scan_config_selectorIN3c104HalfEEEZZNS1_9scan_implILNS1_25lookback_scan_determinismE0ELb0ELb0ES3_PKS6_PS6_S6_ZZZN2at6native31launch_logcumsumexp_cuda_kernelERKNSD_10TensorBaseESH_lENKUlvE_clEvENKUlvE3_clEvEUlS6_S6_E_S6_EEDaPvRmT3_T4_T5_mT6_P12ihipStream_tbENKUlT_T0_E_clISt17integral_constantIbLb0EESY_EEDaST_SU_EUlST_E_NS1_11comp_targetILNS1_3genE4ELNS1_11target_archE910ELNS1_3gpuE8ELNS1_3repE0EEENS1_30default_config_static_selectorELNS0_4arch9wavefront6targetE1EEEvT1_,comdat
.Lfunc_end353:
	.size	_ZN7rocprim17ROCPRIM_400000_NS6detail17trampoline_kernelINS0_14default_configENS1_20scan_config_selectorIN3c104HalfEEEZZNS1_9scan_implILNS1_25lookback_scan_determinismE0ELb0ELb0ES3_PKS6_PS6_S6_ZZZN2at6native31launch_logcumsumexp_cuda_kernelERKNSD_10TensorBaseESH_lENKUlvE_clEvENKUlvE3_clEvEUlS6_S6_E_S6_EEDaPvRmT3_T4_T5_mT6_P12ihipStream_tbENKUlT_T0_E_clISt17integral_constantIbLb0EESY_EEDaST_SU_EUlST_E_NS1_11comp_targetILNS1_3genE4ELNS1_11target_archE910ELNS1_3gpuE8ELNS1_3repE0EEENS1_30default_config_static_selectorELNS0_4arch9wavefront6targetE1EEEvT1_, .Lfunc_end353-_ZN7rocprim17ROCPRIM_400000_NS6detail17trampoline_kernelINS0_14default_configENS1_20scan_config_selectorIN3c104HalfEEEZZNS1_9scan_implILNS1_25lookback_scan_determinismE0ELb0ELb0ES3_PKS6_PS6_S6_ZZZN2at6native31launch_logcumsumexp_cuda_kernelERKNSD_10TensorBaseESH_lENKUlvE_clEvENKUlvE3_clEvEUlS6_S6_E_S6_EEDaPvRmT3_T4_T5_mT6_P12ihipStream_tbENKUlT_T0_E_clISt17integral_constantIbLb0EESY_EEDaST_SU_EUlST_E_NS1_11comp_targetILNS1_3genE4ELNS1_11target_archE910ELNS1_3gpuE8ELNS1_3repE0EEENS1_30default_config_static_selectorELNS0_4arch9wavefront6targetE1EEEvT1_
                                        ; -- End function
	.set _ZN7rocprim17ROCPRIM_400000_NS6detail17trampoline_kernelINS0_14default_configENS1_20scan_config_selectorIN3c104HalfEEEZZNS1_9scan_implILNS1_25lookback_scan_determinismE0ELb0ELb0ES3_PKS6_PS6_S6_ZZZN2at6native31launch_logcumsumexp_cuda_kernelERKNSD_10TensorBaseESH_lENKUlvE_clEvENKUlvE3_clEvEUlS6_S6_E_S6_EEDaPvRmT3_T4_T5_mT6_P12ihipStream_tbENKUlT_T0_E_clISt17integral_constantIbLb0EESY_EEDaST_SU_EUlST_E_NS1_11comp_targetILNS1_3genE4ELNS1_11target_archE910ELNS1_3gpuE8ELNS1_3repE0EEENS1_30default_config_static_selectorELNS0_4arch9wavefront6targetE1EEEvT1_.num_vgpr, 0
	.set _ZN7rocprim17ROCPRIM_400000_NS6detail17trampoline_kernelINS0_14default_configENS1_20scan_config_selectorIN3c104HalfEEEZZNS1_9scan_implILNS1_25lookback_scan_determinismE0ELb0ELb0ES3_PKS6_PS6_S6_ZZZN2at6native31launch_logcumsumexp_cuda_kernelERKNSD_10TensorBaseESH_lENKUlvE_clEvENKUlvE3_clEvEUlS6_S6_E_S6_EEDaPvRmT3_T4_T5_mT6_P12ihipStream_tbENKUlT_T0_E_clISt17integral_constantIbLb0EESY_EEDaST_SU_EUlST_E_NS1_11comp_targetILNS1_3genE4ELNS1_11target_archE910ELNS1_3gpuE8ELNS1_3repE0EEENS1_30default_config_static_selectorELNS0_4arch9wavefront6targetE1EEEvT1_.num_agpr, 0
	.set _ZN7rocprim17ROCPRIM_400000_NS6detail17trampoline_kernelINS0_14default_configENS1_20scan_config_selectorIN3c104HalfEEEZZNS1_9scan_implILNS1_25lookback_scan_determinismE0ELb0ELb0ES3_PKS6_PS6_S6_ZZZN2at6native31launch_logcumsumexp_cuda_kernelERKNSD_10TensorBaseESH_lENKUlvE_clEvENKUlvE3_clEvEUlS6_S6_E_S6_EEDaPvRmT3_T4_T5_mT6_P12ihipStream_tbENKUlT_T0_E_clISt17integral_constantIbLb0EESY_EEDaST_SU_EUlST_E_NS1_11comp_targetILNS1_3genE4ELNS1_11target_archE910ELNS1_3gpuE8ELNS1_3repE0EEENS1_30default_config_static_selectorELNS0_4arch9wavefront6targetE1EEEvT1_.numbered_sgpr, 0
	.set _ZN7rocprim17ROCPRIM_400000_NS6detail17trampoline_kernelINS0_14default_configENS1_20scan_config_selectorIN3c104HalfEEEZZNS1_9scan_implILNS1_25lookback_scan_determinismE0ELb0ELb0ES3_PKS6_PS6_S6_ZZZN2at6native31launch_logcumsumexp_cuda_kernelERKNSD_10TensorBaseESH_lENKUlvE_clEvENKUlvE3_clEvEUlS6_S6_E_S6_EEDaPvRmT3_T4_T5_mT6_P12ihipStream_tbENKUlT_T0_E_clISt17integral_constantIbLb0EESY_EEDaST_SU_EUlST_E_NS1_11comp_targetILNS1_3genE4ELNS1_11target_archE910ELNS1_3gpuE8ELNS1_3repE0EEENS1_30default_config_static_selectorELNS0_4arch9wavefront6targetE1EEEvT1_.num_named_barrier, 0
	.set _ZN7rocprim17ROCPRIM_400000_NS6detail17trampoline_kernelINS0_14default_configENS1_20scan_config_selectorIN3c104HalfEEEZZNS1_9scan_implILNS1_25lookback_scan_determinismE0ELb0ELb0ES3_PKS6_PS6_S6_ZZZN2at6native31launch_logcumsumexp_cuda_kernelERKNSD_10TensorBaseESH_lENKUlvE_clEvENKUlvE3_clEvEUlS6_S6_E_S6_EEDaPvRmT3_T4_T5_mT6_P12ihipStream_tbENKUlT_T0_E_clISt17integral_constantIbLb0EESY_EEDaST_SU_EUlST_E_NS1_11comp_targetILNS1_3genE4ELNS1_11target_archE910ELNS1_3gpuE8ELNS1_3repE0EEENS1_30default_config_static_selectorELNS0_4arch9wavefront6targetE1EEEvT1_.private_seg_size, 0
	.set _ZN7rocprim17ROCPRIM_400000_NS6detail17trampoline_kernelINS0_14default_configENS1_20scan_config_selectorIN3c104HalfEEEZZNS1_9scan_implILNS1_25lookback_scan_determinismE0ELb0ELb0ES3_PKS6_PS6_S6_ZZZN2at6native31launch_logcumsumexp_cuda_kernelERKNSD_10TensorBaseESH_lENKUlvE_clEvENKUlvE3_clEvEUlS6_S6_E_S6_EEDaPvRmT3_T4_T5_mT6_P12ihipStream_tbENKUlT_T0_E_clISt17integral_constantIbLb0EESY_EEDaST_SU_EUlST_E_NS1_11comp_targetILNS1_3genE4ELNS1_11target_archE910ELNS1_3gpuE8ELNS1_3repE0EEENS1_30default_config_static_selectorELNS0_4arch9wavefront6targetE1EEEvT1_.uses_vcc, 0
	.set _ZN7rocprim17ROCPRIM_400000_NS6detail17trampoline_kernelINS0_14default_configENS1_20scan_config_selectorIN3c104HalfEEEZZNS1_9scan_implILNS1_25lookback_scan_determinismE0ELb0ELb0ES3_PKS6_PS6_S6_ZZZN2at6native31launch_logcumsumexp_cuda_kernelERKNSD_10TensorBaseESH_lENKUlvE_clEvENKUlvE3_clEvEUlS6_S6_E_S6_EEDaPvRmT3_T4_T5_mT6_P12ihipStream_tbENKUlT_T0_E_clISt17integral_constantIbLb0EESY_EEDaST_SU_EUlST_E_NS1_11comp_targetILNS1_3genE4ELNS1_11target_archE910ELNS1_3gpuE8ELNS1_3repE0EEENS1_30default_config_static_selectorELNS0_4arch9wavefront6targetE1EEEvT1_.uses_flat_scratch, 0
	.set _ZN7rocprim17ROCPRIM_400000_NS6detail17trampoline_kernelINS0_14default_configENS1_20scan_config_selectorIN3c104HalfEEEZZNS1_9scan_implILNS1_25lookback_scan_determinismE0ELb0ELb0ES3_PKS6_PS6_S6_ZZZN2at6native31launch_logcumsumexp_cuda_kernelERKNSD_10TensorBaseESH_lENKUlvE_clEvENKUlvE3_clEvEUlS6_S6_E_S6_EEDaPvRmT3_T4_T5_mT6_P12ihipStream_tbENKUlT_T0_E_clISt17integral_constantIbLb0EESY_EEDaST_SU_EUlST_E_NS1_11comp_targetILNS1_3genE4ELNS1_11target_archE910ELNS1_3gpuE8ELNS1_3repE0EEENS1_30default_config_static_selectorELNS0_4arch9wavefront6targetE1EEEvT1_.has_dyn_sized_stack, 0
	.set _ZN7rocprim17ROCPRIM_400000_NS6detail17trampoline_kernelINS0_14default_configENS1_20scan_config_selectorIN3c104HalfEEEZZNS1_9scan_implILNS1_25lookback_scan_determinismE0ELb0ELb0ES3_PKS6_PS6_S6_ZZZN2at6native31launch_logcumsumexp_cuda_kernelERKNSD_10TensorBaseESH_lENKUlvE_clEvENKUlvE3_clEvEUlS6_S6_E_S6_EEDaPvRmT3_T4_T5_mT6_P12ihipStream_tbENKUlT_T0_E_clISt17integral_constantIbLb0EESY_EEDaST_SU_EUlST_E_NS1_11comp_targetILNS1_3genE4ELNS1_11target_archE910ELNS1_3gpuE8ELNS1_3repE0EEENS1_30default_config_static_selectorELNS0_4arch9wavefront6targetE1EEEvT1_.has_recursion, 0
	.set _ZN7rocprim17ROCPRIM_400000_NS6detail17trampoline_kernelINS0_14default_configENS1_20scan_config_selectorIN3c104HalfEEEZZNS1_9scan_implILNS1_25lookback_scan_determinismE0ELb0ELb0ES3_PKS6_PS6_S6_ZZZN2at6native31launch_logcumsumexp_cuda_kernelERKNSD_10TensorBaseESH_lENKUlvE_clEvENKUlvE3_clEvEUlS6_S6_E_S6_EEDaPvRmT3_T4_T5_mT6_P12ihipStream_tbENKUlT_T0_E_clISt17integral_constantIbLb0EESY_EEDaST_SU_EUlST_E_NS1_11comp_targetILNS1_3genE4ELNS1_11target_archE910ELNS1_3gpuE8ELNS1_3repE0EEENS1_30default_config_static_selectorELNS0_4arch9wavefront6targetE1EEEvT1_.has_indirect_call, 0
	.section	.AMDGPU.csdata,"",@progbits
; Kernel info:
; codeLenInByte = 0
; TotalNumSgprs: 6
; NumVgprs: 0
; NumAgprs: 0
; TotalNumVgprs: 0
; ScratchSize: 0
; MemoryBound: 0
; FloatMode: 240
; IeeeMode: 1
; LDSByteSize: 0 bytes/workgroup (compile time only)
; SGPRBlocks: 0
; VGPRBlocks: 0
; NumSGPRsForWavesPerEU: 6
; NumVGPRsForWavesPerEU: 1
; AccumOffset: 4
; Occupancy: 8
; WaveLimiterHint : 0
; COMPUTE_PGM_RSRC2:SCRATCH_EN: 0
; COMPUTE_PGM_RSRC2:USER_SGPR: 2
; COMPUTE_PGM_RSRC2:TRAP_HANDLER: 0
; COMPUTE_PGM_RSRC2:TGID_X_EN: 1
; COMPUTE_PGM_RSRC2:TGID_Y_EN: 0
; COMPUTE_PGM_RSRC2:TGID_Z_EN: 0
; COMPUTE_PGM_RSRC2:TIDIG_COMP_CNT: 0
; COMPUTE_PGM_RSRC3_GFX90A:ACCUM_OFFSET: 0
; COMPUTE_PGM_RSRC3_GFX90A:TG_SPLIT: 0
	.section	.text._ZN7rocprim17ROCPRIM_400000_NS6detail17trampoline_kernelINS0_14default_configENS1_20scan_config_selectorIN3c104HalfEEEZZNS1_9scan_implILNS1_25lookback_scan_determinismE0ELb0ELb0ES3_PKS6_PS6_S6_ZZZN2at6native31launch_logcumsumexp_cuda_kernelERKNSD_10TensorBaseESH_lENKUlvE_clEvENKUlvE3_clEvEUlS6_S6_E_S6_EEDaPvRmT3_T4_T5_mT6_P12ihipStream_tbENKUlT_T0_E_clISt17integral_constantIbLb0EESY_EEDaST_SU_EUlST_E_NS1_11comp_targetILNS1_3genE3ELNS1_11target_archE908ELNS1_3gpuE7ELNS1_3repE0EEENS1_30default_config_static_selectorELNS0_4arch9wavefront6targetE1EEEvT1_,"axG",@progbits,_ZN7rocprim17ROCPRIM_400000_NS6detail17trampoline_kernelINS0_14default_configENS1_20scan_config_selectorIN3c104HalfEEEZZNS1_9scan_implILNS1_25lookback_scan_determinismE0ELb0ELb0ES3_PKS6_PS6_S6_ZZZN2at6native31launch_logcumsumexp_cuda_kernelERKNSD_10TensorBaseESH_lENKUlvE_clEvENKUlvE3_clEvEUlS6_S6_E_S6_EEDaPvRmT3_T4_T5_mT6_P12ihipStream_tbENKUlT_T0_E_clISt17integral_constantIbLb0EESY_EEDaST_SU_EUlST_E_NS1_11comp_targetILNS1_3genE3ELNS1_11target_archE908ELNS1_3gpuE7ELNS1_3repE0EEENS1_30default_config_static_selectorELNS0_4arch9wavefront6targetE1EEEvT1_,comdat
	.globl	_ZN7rocprim17ROCPRIM_400000_NS6detail17trampoline_kernelINS0_14default_configENS1_20scan_config_selectorIN3c104HalfEEEZZNS1_9scan_implILNS1_25lookback_scan_determinismE0ELb0ELb0ES3_PKS6_PS6_S6_ZZZN2at6native31launch_logcumsumexp_cuda_kernelERKNSD_10TensorBaseESH_lENKUlvE_clEvENKUlvE3_clEvEUlS6_S6_E_S6_EEDaPvRmT3_T4_T5_mT6_P12ihipStream_tbENKUlT_T0_E_clISt17integral_constantIbLb0EESY_EEDaST_SU_EUlST_E_NS1_11comp_targetILNS1_3genE3ELNS1_11target_archE908ELNS1_3gpuE7ELNS1_3repE0EEENS1_30default_config_static_selectorELNS0_4arch9wavefront6targetE1EEEvT1_ ; -- Begin function _ZN7rocprim17ROCPRIM_400000_NS6detail17trampoline_kernelINS0_14default_configENS1_20scan_config_selectorIN3c104HalfEEEZZNS1_9scan_implILNS1_25lookback_scan_determinismE0ELb0ELb0ES3_PKS6_PS6_S6_ZZZN2at6native31launch_logcumsumexp_cuda_kernelERKNSD_10TensorBaseESH_lENKUlvE_clEvENKUlvE3_clEvEUlS6_S6_E_S6_EEDaPvRmT3_T4_T5_mT6_P12ihipStream_tbENKUlT_T0_E_clISt17integral_constantIbLb0EESY_EEDaST_SU_EUlST_E_NS1_11comp_targetILNS1_3genE3ELNS1_11target_archE908ELNS1_3gpuE7ELNS1_3repE0EEENS1_30default_config_static_selectorELNS0_4arch9wavefront6targetE1EEEvT1_
	.p2align	8
	.type	_ZN7rocprim17ROCPRIM_400000_NS6detail17trampoline_kernelINS0_14default_configENS1_20scan_config_selectorIN3c104HalfEEEZZNS1_9scan_implILNS1_25lookback_scan_determinismE0ELb0ELb0ES3_PKS6_PS6_S6_ZZZN2at6native31launch_logcumsumexp_cuda_kernelERKNSD_10TensorBaseESH_lENKUlvE_clEvENKUlvE3_clEvEUlS6_S6_E_S6_EEDaPvRmT3_T4_T5_mT6_P12ihipStream_tbENKUlT_T0_E_clISt17integral_constantIbLb0EESY_EEDaST_SU_EUlST_E_NS1_11comp_targetILNS1_3genE3ELNS1_11target_archE908ELNS1_3gpuE7ELNS1_3repE0EEENS1_30default_config_static_selectorELNS0_4arch9wavefront6targetE1EEEvT1_,@function
_ZN7rocprim17ROCPRIM_400000_NS6detail17trampoline_kernelINS0_14default_configENS1_20scan_config_selectorIN3c104HalfEEEZZNS1_9scan_implILNS1_25lookback_scan_determinismE0ELb0ELb0ES3_PKS6_PS6_S6_ZZZN2at6native31launch_logcumsumexp_cuda_kernelERKNSD_10TensorBaseESH_lENKUlvE_clEvENKUlvE3_clEvEUlS6_S6_E_S6_EEDaPvRmT3_T4_T5_mT6_P12ihipStream_tbENKUlT_T0_E_clISt17integral_constantIbLb0EESY_EEDaST_SU_EUlST_E_NS1_11comp_targetILNS1_3genE3ELNS1_11target_archE908ELNS1_3gpuE7ELNS1_3repE0EEENS1_30default_config_static_selectorELNS0_4arch9wavefront6targetE1EEEvT1_: ; @_ZN7rocprim17ROCPRIM_400000_NS6detail17trampoline_kernelINS0_14default_configENS1_20scan_config_selectorIN3c104HalfEEEZZNS1_9scan_implILNS1_25lookback_scan_determinismE0ELb0ELb0ES3_PKS6_PS6_S6_ZZZN2at6native31launch_logcumsumexp_cuda_kernelERKNSD_10TensorBaseESH_lENKUlvE_clEvENKUlvE3_clEvEUlS6_S6_E_S6_EEDaPvRmT3_T4_T5_mT6_P12ihipStream_tbENKUlT_T0_E_clISt17integral_constantIbLb0EESY_EEDaST_SU_EUlST_E_NS1_11comp_targetILNS1_3genE3ELNS1_11target_archE908ELNS1_3gpuE7ELNS1_3repE0EEENS1_30default_config_static_selectorELNS0_4arch9wavefront6targetE1EEEvT1_
; %bb.0:
	.section	.rodata,"a",@progbits
	.p2align	6, 0x0
	.amdhsa_kernel _ZN7rocprim17ROCPRIM_400000_NS6detail17trampoline_kernelINS0_14default_configENS1_20scan_config_selectorIN3c104HalfEEEZZNS1_9scan_implILNS1_25lookback_scan_determinismE0ELb0ELb0ES3_PKS6_PS6_S6_ZZZN2at6native31launch_logcumsumexp_cuda_kernelERKNSD_10TensorBaseESH_lENKUlvE_clEvENKUlvE3_clEvEUlS6_S6_E_S6_EEDaPvRmT3_T4_T5_mT6_P12ihipStream_tbENKUlT_T0_E_clISt17integral_constantIbLb0EESY_EEDaST_SU_EUlST_E_NS1_11comp_targetILNS1_3genE3ELNS1_11target_archE908ELNS1_3gpuE7ELNS1_3repE0EEENS1_30default_config_static_selectorELNS0_4arch9wavefront6targetE1EEEvT1_
		.amdhsa_group_segment_fixed_size 0
		.amdhsa_private_segment_fixed_size 0
		.amdhsa_kernarg_size 96
		.amdhsa_user_sgpr_count 2
		.amdhsa_user_sgpr_dispatch_ptr 0
		.amdhsa_user_sgpr_queue_ptr 0
		.amdhsa_user_sgpr_kernarg_segment_ptr 1
		.amdhsa_user_sgpr_dispatch_id 0
		.amdhsa_user_sgpr_kernarg_preload_length 0
		.amdhsa_user_sgpr_kernarg_preload_offset 0
		.amdhsa_user_sgpr_private_segment_size 0
		.amdhsa_uses_dynamic_stack 0
		.amdhsa_enable_private_segment 0
		.amdhsa_system_sgpr_workgroup_id_x 1
		.amdhsa_system_sgpr_workgroup_id_y 0
		.amdhsa_system_sgpr_workgroup_id_z 0
		.amdhsa_system_sgpr_workgroup_info 0
		.amdhsa_system_vgpr_workitem_id 0
		.amdhsa_next_free_vgpr 1
		.amdhsa_next_free_sgpr 0
		.amdhsa_accum_offset 4
		.amdhsa_reserve_vcc 0
		.amdhsa_float_round_mode_32 0
		.amdhsa_float_round_mode_16_64 0
		.amdhsa_float_denorm_mode_32 3
		.amdhsa_float_denorm_mode_16_64 3
		.amdhsa_dx10_clamp 1
		.amdhsa_ieee_mode 1
		.amdhsa_fp16_overflow 0
		.amdhsa_tg_split 0
		.amdhsa_exception_fp_ieee_invalid_op 0
		.amdhsa_exception_fp_denorm_src 0
		.amdhsa_exception_fp_ieee_div_zero 0
		.amdhsa_exception_fp_ieee_overflow 0
		.amdhsa_exception_fp_ieee_underflow 0
		.amdhsa_exception_fp_ieee_inexact 0
		.amdhsa_exception_int_div_zero 0
	.end_amdhsa_kernel
	.section	.text._ZN7rocprim17ROCPRIM_400000_NS6detail17trampoline_kernelINS0_14default_configENS1_20scan_config_selectorIN3c104HalfEEEZZNS1_9scan_implILNS1_25lookback_scan_determinismE0ELb0ELb0ES3_PKS6_PS6_S6_ZZZN2at6native31launch_logcumsumexp_cuda_kernelERKNSD_10TensorBaseESH_lENKUlvE_clEvENKUlvE3_clEvEUlS6_S6_E_S6_EEDaPvRmT3_T4_T5_mT6_P12ihipStream_tbENKUlT_T0_E_clISt17integral_constantIbLb0EESY_EEDaST_SU_EUlST_E_NS1_11comp_targetILNS1_3genE3ELNS1_11target_archE908ELNS1_3gpuE7ELNS1_3repE0EEENS1_30default_config_static_selectorELNS0_4arch9wavefront6targetE1EEEvT1_,"axG",@progbits,_ZN7rocprim17ROCPRIM_400000_NS6detail17trampoline_kernelINS0_14default_configENS1_20scan_config_selectorIN3c104HalfEEEZZNS1_9scan_implILNS1_25lookback_scan_determinismE0ELb0ELb0ES3_PKS6_PS6_S6_ZZZN2at6native31launch_logcumsumexp_cuda_kernelERKNSD_10TensorBaseESH_lENKUlvE_clEvENKUlvE3_clEvEUlS6_S6_E_S6_EEDaPvRmT3_T4_T5_mT6_P12ihipStream_tbENKUlT_T0_E_clISt17integral_constantIbLb0EESY_EEDaST_SU_EUlST_E_NS1_11comp_targetILNS1_3genE3ELNS1_11target_archE908ELNS1_3gpuE7ELNS1_3repE0EEENS1_30default_config_static_selectorELNS0_4arch9wavefront6targetE1EEEvT1_,comdat
.Lfunc_end354:
	.size	_ZN7rocprim17ROCPRIM_400000_NS6detail17trampoline_kernelINS0_14default_configENS1_20scan_config_selectorIN3c104HalfEEEZZNS1_9scan_implILNS1_25lookback_scan_determinismE0ELb0ELb0ES3_PKS6_PS6_S6_ZZZN2at6native31launch_logcumsumexp_cuda_kernelERKNSD_10TensorBaseESH_lENKUlvE_clEvENKUlvE3_clEvEUlS6_S6_E_S6_EEDaPvRmT3_T4_T5_mT6_P12ihipStream_tbENKUlT_T0_E_clISt17integral_constantIbLb0EESY_EEDaST_SU_EUlST_E_NS1_11comp_targetILNS1_3genE3ELNS1_11target_archE908ELNS1_3gpuE7ELNS1_3repE0EEENS1_30default_config_static_selectorELNS0_4arch9wavefront6targetE1EEEvT1_, .Lfunc_end354-_ZN7rocprim17ROCPRIM_400000_NS6detail17trampoline_kernelINS0_14default_configENS1_20scan_config_selectorIN3c104HalfEEEZZNS1_9scan_implILNS1_25lookback_scan_determinismE0ELb0ELb0ES3_PKS6_PS6_S6_ZZZN2at6native31launch_logcumsumexp_cuda_kernelERKNSD_10TensorBaseESH_lENKUlvE_clEvENKUlvE3_clEvEUlS6_S6_E_S6_EEDaPvRmT3_T4_T5_mT6_P12ihipStream_tbENKUlT_T0_E_clISt17integral_constantIbLb0EESY_EEDaST_SU_EUlST_E_NS1_11comp_targetILNS1_3genE3ELNS1_11target_archE908ELNS1_3gpuE7ELNS1_3repE0EEENS1_30default_config_static_selectorELNS0_4arch9wavefront6targetE1EEEvT1_
                                        ; -- End function
	.set _ZN7rocprim17ROCPRIM_400000_NS6detail17trampoline_kernelINS0_14default_configENS1_20scan_config_selectorIN3c104HalfEEEZZNS1_9scan_implILNS1_25lookback_scan_determinismE0ELb0ELb0ES3_PKS6_PS6_S6_ZZZN2at6native31launch_logcumsumexp_cuda_kernelERKNSD_10TensorBaseESH_lENKUlvE_clEvENKUlvE3_clEvEUlS6_S6_E_S6_EEDaPvRmT3_T4_T5_mT6_P12ihipStream_tbENKUlT_T0_E_clISt17integral_constantIbLb0EESY_EEDaST_SU_EUlST_E_NS1_11comp_targetILNS1_3genE3ELNS1_11target_archE908ELNS1_3gpuE7ELNS1_3repE0EEENS1_30default_config_static_selectorELNS0_4arch9wavefront6targetE1EEEvT1_.num_vgpr, 0
	.set _ZN7rocprim17ROCPRIM_400000_NS6detail17trampoline_kernelINS0_14default_configENS1_20scan_config_selectorIN3c104HalfEEEZZNS1_9scan_implILNS1_25lookback_scan_determinismE0ELb0ELb0ES3_PKS6_PS6_S6_ZZZN2at6native31launch_logcumsumexp_cuda_kernelERKNSD_10TensorBaseESH_lENKUlvE_clEvENKUlvE3_clEvEUlS6_S6_E_S6_EEDaPvRmT3_T4_T5_mT6_P12ihipStream_tbENKUlT_T0_E_clISt17integral_constantIbLb0EESY_EEDaST_SU_EUlST_E_NS1_11comp_targetILNS1_3genE3ELNS1_11target_archE908ELNS1_3gpuE7ELNS1_3repE0EEENS1_30default_config_static_selectorELNS0_4arch9wavefront6targetE1EEEvT1_.num_agpr, 0
	.set _ZN7rocprim17ROCPRIM_400000_NS6detail17trampoline_kernelINS0_14default_configENS1_20scan_config_selectorIN3c104HalfEEEZZNS1_9scan_implILNS1_25lookback_scan_determinismE0ELb0ELb0ES3_PKS6_PS6_S6_ZZZN2at6native31launch_logcumsumexp_cuda_kernelERKNSD_10TensorBaseESH_lENKUlvE_clEvENKUlvE3_clEvEUlS6_S6_E_S6_EEDaPvRmT3_T4_T5_mT6_P12ihipStream_tbENKUlT_T0_E_clISt17integral_constantIbLb0EESY_EEDaST_SU_EUlST_E_NS1_11comp_targetILNS1_3genE3ELNS1_11target_archE908ELNS1_3gpuE7ELNS1_3repE0EEENS1_30default_config_static_selectorELNS0_4arch9wavefront6targetE1EEEvT1_.numbered_sgpr, 0
	.set _ZN7rocprim17ROCPRIM_400000_NS6detail17trampoline_kernelINS0_14default_configENS1_20scan_config_selectorIN3c104HalfEEEZZNS1_9scan_implILNS1_25lookback_scan_determinismE0ELb0ELb0ES3_PKS6_PS6_S6_ZZZN2at6native31launch_logcumsumexp_cuda_kernelERKNSD_10TensorBaseESH_lENKUlvE_clEvENKUlvE3_clEvEUlS6_S6_E_S6_EEDaPvRmT3_T4_T5_mT6_P12ihipStream_tbENKUlT_T0_E_clISt17integral_constantIbLb0EESY_EEDaST_SU_EUlST_E_NS1_11comp_targetILNS1_3genE3ELNS1_11target_archE908ELNS1_3gpuE7ELNS1_3repE0EEENS1_30default_config_static_selectorELNS0_4arch9wavefront6targetE1EEEvT1_.num_named_barrier, 0
	.set _ZN7rocprim17ROCPRIM_400000_NS6detail17trampoline_kernelINS0_14default_configENS1_20scan_config_selectorIN3c104HalfEEEZZNS1_9scan_implILNS1_25lookback_scan_determinismE0ELb0ELb0ES3_PKS6_PS6_S6_ZZZN2at6native31launch_logcumsumexp_cuda_kernelERKNSD_10TensorBaseESH_lENKUlvE_clEvENKUlvE3_clEvEUlS6_S6_E_S6_EEDaPvRmT3_T4_T5_mT6_P12ihipStream_tbENKUlT_T0_E_clISt17integral_constantIbLb0EESY_EEDaST_SU_EUlST_E_NS1_11comp_targetILNS1_3genE3ELNS1_11target_archE908ELNS1_3gpuE7ELNS1_3repE0EEENS1_30default_config_static_selectorELNS0_4arch9wavefront6targetE1EEEvT1_.private_seg_size, 0
	.set _ZN7rocprim17ROCPRIM_400000_NS6detail17trampoline_kernelINS0_14default_configENS1_20scan_config_selectorIN3c104HalfEEEZZNS1_9scan_implILNS1_25lookback_scan_determinismE0ELb0ELb0ES3_PKS6_PS6_S6_ZZZN2at6native31launch_logcumsumexp_cuda_kernelERKNSD_10TensorBaseESH_lENKUlvE_clEvENKUlvE3_clEvEUlS6_S6_E_S6_EEDaPvRmT3_T4_T5_mT6_P12ihipStream_tbENKUlT_T0_E_clISt17integral_constantIbLb0EESY_EEDaST_SU_EUlST_E_NS1_11comp_targetILNS1_3genE3ELNS1_11target_archE908ELNS1_3gpuE7ELNS1_3repE0EEENS1_30default_config_static_selectorELNS0_4arch9wavefront6targetE1EEEvT1_.uses_vcc, 0
	.set _ZN7rocprim17ROCPRIM_400000_NS6detail17trampoline_kernelINS0_14default_configENS1_20scan_config_selectorIN3c104HalfEEEZZNS1_9scan_implILNS1_25lookback_scan_determinismE0ELb0ELb0ES3_PKS6_PS6_S6_ZZZN2at6native31launch_logcumsumexp_cuda_kernelERKNSD_10TensorBaseESH_lENKUlvE_clEvENKUlvE3_clEvEUlS6_S6_E_S6_EEDaPvRmT3_T4_T5_mT6_P12ihipStream_tbENKUlT_T0_E_clISt17integral_constantIbLb0EESY_EEDaST_SU_EUlST_E_NS1_11comp_targetILNS1_3genE3ELNS1_11target_archE908ELNS1_3gpuE7ELNS1_3repE0EEENS1_30default_config_static_selectorELNS0_4arch9wavefront6targetE1EEEvT1_.uses_flat_scratch, 0
	.set _ZN7rocprim17ROCPRIM_400000_NS6detail17trampoline_kernelINS0_14default_configENS1_20scan_config_selectorIN3c104HalfEEEZZNS1_9scan_implILNS1_25lookback_scan_determinismE0ELb0ELb0ES3_PKS6_PS6_S6_ZZZN2at6native31launch_logcumsumexp_cuda_kernelERKNSD_10TensorBaseESH_lENKUlvE_clEvENKUlvE3_clEvEUlS6_S6_E_S6_EEDaPvRmT3_T4_T5_mT6_P12ihipStream_tbENKUlT_T0_E_clISt17integral_constantIbLb0EESY_EEDaST_SU_EUlST_E_NS1_11comp_targetILNS1_3genE3ELNS1_11target_archE908ELNS1_3gpuE7ELNS1_3repE0EEENS1_30default_config_static_selectorELNS0_4arch9wavefront6targetE1EEEvT1_.has_dyn_sized_stack, 0
	.set _ZN7rocprim17ROCPRIM_400000_NS6detail17trampoline_kernelINS0_14default_configENS1_20scan_config_selectorIN3c104HalfEEEZZNS1_9scan_implILNS1_25lookback_scan_determinismE0ELb0ELb0ES3_PKS6_PS6_S6_ZZZN2at6native31launch_logcumsumexp_cuda_kernelERKNSD_10TensorBaseESH_lENKUlvE_clEvENKUlvE3_clEvEUlS6_S6_E_S6_EEDaPvRmT3_T4_T5_mT6_P12ihipStream_tbENKUlT_T0_E_clISt17integral_constantIbLb0EESY_EEDaST_SU_EUlST_E_NS1_11comp_targetILNS1_3genE3ELNS1_11target_archE908ELNS1_3gpuE7ELNS1_3repE0EEENS1_30default_config_static_selectorELNS0_4arch9wavefront6targetE1EEEvT1_.has_recursion, 0
	.set _ZN7rocprim17ROCPRIM_400000_NS6detail17trampoline_kernelINS0_14default_configENS1_20scan_config_selectorIN3c104HalfEEEZZNS1_9scan_implILNS1_25lookback_scan_determinismE0ELb0ELb0ES3_PKS6_PS6_S6_ZZZN2at6native31launch_logcumsumexp_cuda_kernelERKNSD_10TensorBaseESH_lENKUlvE_clEvENKUlvE3_clEvEUlS6_S6_E_S6_EEDaPvRmT3_T4_T5_mT6_P12ihipStream_tbENKUlT_T0_E_clISt17integral_constantIbLb0EESY_EEDaST_SU_EUlST_E_NS1_11comp_targetILNS1_3genE3ELNS1_11target_archE908ELNS1_3gpuE7ELNS1_3repE0EEENS1_30default_config_static_selectorELNS0_4arch9wavefront6targetE1EEEvT1_.has_indirect_call, 0
	.section	.AMDGPU.csdata,"",@progbits
; Kernel info:
; codeLenInByte = 0
; TotalNumSgprs: 6
; NumVgprs: 0
; NumAgprs: 0
; TotalNumVgprs: 0
; ScratchSize: 0
; MemoryBound: 0
; FloatMode: 240
; IeeeMode: 1
; LDSByteSize: 0 bytes/workgroup (compile time only)
; SGPRBlocks: 0
; VGPRBlocks: 0
; NumSGPRsForWavesPerEU: 6
; NumVGPRsForWavesPerEU: 1
; AccumOffset: 4
; Occupancy: 8
; WaveLimiterHint : 0
; COMPUTE_PGM_RSRC2:SCRATCH_EN: 0
; COMPUTE_PGM_RSRC2:USER_SGPR: 2
; COMPUTE_PGM_RSRC2:TRAP_HANDLER: 0
; COMPUTE_PGM_RSRC2:TGID_X_EN: 1
; COMPUTE_PGM_RSRC2:TGID_Y_EN: 0
; COMPUTE_PGM_RSRC2:TGID_Z_EN: 0
; COMPUTE_PGM_RSRC2:TIDIG_COMP_CNT: 0
; COMPUTE_PGM_RSRC3_GFX90A:ACCUM_OFFSET: 0
; COMPUTE_PGM_RSRC3_GFX90A:TG_SPLIT: 0
	.section	.text._ZN7rocprim17ROCPRIM_400000_NS6detail17trampoline_kernelINS0_14default_configENS1_20scan_config_selectorIN3c104HalfEEEZZNS1_9scan_implILNS1_25lookback_scan_determinismE0ELb0ELb0ES3_PKS6_PS6_S6_ZZZN2at6native31launch_logcumsumexp_cuda_kernelERKNSD_10TensorBaseESH_lENKUlvE_clEvENKUlvE3_clEvEUlS6_S6_E_S6_EEDaPvRmT3_T4_T5_mT6_P12ihipStream_tbENKUlT_T0_E_clISt17integral_constantIbLb0EESY_EEDaST_SU_EUlST_E_NS1_11comp_targetILNS1_3genE2ELNS1_11target_archE906ELNS1_3gpuE6ELNS1_3repE0EEENS1_30default_config_static_selectorELNS0_4arch9wavefront6targetE1EEEvT1_,"axG",@progbits,_ZN7rocprim17ROCPRIM_400000_NS6detail17trampoline_kernelINS0_14default_configENS1_20scan_config_selectorIN3c104HalfEEEZZNS1_9scan_implILNS1_25lookback_scan_determinismE0ELb0ELb0ES3_PKS6_PS6_S6_ZZZN2at6native31launch_logcumsumexp_cuda_kernelERKNSD_10TensorBaseESH_lENKUlvE_clEvENKUlvE3_clEvEUlS6_S6_E_S6_EEDaPvRmT3_T4_T5_mT6_P12ihipStream_tbENKUlT_T0_E_clISt17integral_constantIbLb0EESY_EEDaST_SU_EUlST_E_NS1_11comp_targetILNS1_3genE2ELNS1_11target_archE906ELNS1_3gpuE6ELNS1_3repE0EEENS1_30default_config_static_selectorELNS0_4arch9wavefront6targetE1EEEvT1_,comdat
	.globl	_ZN7rocprim17ROCPRIM_400000_NS6detail17trampoline_kernelINS0_14default_configENS1_20scan_config_selectorIN3c104HalfEEEZZNS1_9scan_implILNS1_25lookback_scan_determinismE0ELb0ELb0ES3_PKS6_PS6_S6_ZZZN2at6native31launch_logcumsumexp_cuda_kernelERKNSD_10TensorBaseESH_lENKUlvE_clEvENKUlvE3_clEvEUlS6_S6_E_S6_EEDaPvRmT3_T4_T5_mT6_P12ihipStream_tbENKUlT_T0_E_clISt17integral_constantIbLb0EESY_EEDaST_SU_EUlST_E_NS1_11comp_targetILNS1_3genE2ELNS1_11target_archE906ELNS1_3gpuE6ELNS1_3repE0EEENS1_30default_config_static_selectorELNS0_4arch9wavefront6targetE1EEEvT1_ ; -- Begin function _ZN7rocprim17ROCPRIM_400000_NS6detail17trampoline_kernelINS0_14default_configENS1_20scan_config_selectorIN3c104HalfEEEZZNS1_9scan_implILNS1_25lookback_scan_determinismE0ELb0ELb0ES3_PKS6_PS6_S6_ZZZN2at6native31launch_logcumsumexp_cuda_kernelERKNSD_10TensorBaseESH_lENKUlvE_clEvENKUlvE3_clEvEUlS6_S6_E_S6_EEDaPvRmT3_T4_T5_mT6_P12ihipStream_tbENKUlT_T0_E_clISt17integral_constantIbLb0EESY_EEDaST_SU_EUlST_E_NS1_11comp_targetILNS1_3genE2ELNS1_11target_archE906ELNS1_3gpuE6ELNS1_3repE0EEENS1_30default_config_static_selectorELNS0_4arch9wavefront6targetE1EEEvT1_
	.p2align	8
	.type	_ZN7rocprim17ROCPRIM_400000_NS6detail17trampoline_kernelINS0_14default_configENS1_20scan_config_selectorIN3c104HalfEEEZZNS1_9scan_implILNS1_25lookback_scan_determinismE0ELb0ELb0ES3_PKS6_PS6_S6_ZZZN2at6native31launch_logcumsumexp_cuda_kernelERKNSD_10TensorBaseESH_lENKUlvE_clEvENKUlvE3_clEvEUlS6_S6_E_S6_EEDaPvRmT3_T4_T5_mT6_P12ihipStream_tbENKUlT_T0_E_clISt17integral_constantIbLb0EESY_EEDaST_SU_EUlST_E_NS1_11comp_targetILNS1_3genE2ELNS1_11target_archE906ELNS1_3gpuE6ELNS1_3repE0EEENS1_30default_config_static_selectorELNS0_4arch9wavefront6targetE1EEEvT1_,@function
_ZN7rocprim17ROCPRIM_400000_NS6detail17trampoline_kernelINS0_14default_configENS1_20scan_config_selectorIN3c104HalfEEEZZNS1_9scan_implILNS1_25lookback_scan_determinismE0ELb0ELb0ES3_PKS6_PS6_S6_ZZZN2at6native31launch_logcumsumexp_cuda_kernelERKNSD_10TensorBaseESH_lENKUlvE_clEvENKUlvE3_clEvEUlS6_S6_E_S6_EEDaPvRmT3_T4_T5_mT6_P12ihipStream_tbENKUlT_T0_E_clISt17integral_constantIbLb0EESY_EEDaST_SU_EUlST_E_NS1_11comp_targetILNS1_3genE2ELNS1_11target_archE906ELNS1_3gpuE6ELNS1_3repE0EEENS1_30default_config_static_selectorELNS0_4arch9wavefront6targetE1EEEvT1_: ; @_ZN7rocprim17ROCPRIM_400000_NS6detail17trampoline_kernelINS0_14default_configENS1_20scan_config_selectorIN3c104HalfEEEZZNS1_9scan_implILNS1_25lookback_scan_determinismE0ELb0ELb0ES3_PKS6_PS6_S6_ZZZN2at6native31launch_logcumsumexp_cuda_kernelERKNSD_10TensorBaseESH_lENKUlvE_clEvENKUlvE3_clEvEUlS6_S6_E_S6_EEDaPvRmT3_T4_T5_mT6_P12ihipStream_tbENKUlT_T0_E_clISt17integral_constantIbLb0EESY_EEDaST_SU_EUlST_E_NS1_11comp_targetILNS1_3genE2ELNS1_11target_archE906ELNS1_3gpuE6ELNS1_3repE0EEENS1_30default_config_static_selectorELNS0_4arch9wavefront6targetE1EEEvT1_
; %bb.0:
	.section	.rodata,"a",@progbits
	.p2align	6, 0x0
	.amdhsa_kernel _ZN7rocprim17ROCPRIM_400000_NS6detail17trampoline_kernelINS0_14default_configENS1_20scan_config_selectorIN3c104HalfEEEZZNS1_9scan_implILNS1_25lookback_scan_determinismE0ELb0ELb0ES3_PKS6_PS6_S6_ZZZN2at6native31launch_logcumsumexp_cuda_kernelERKNSD_10TensorBaseESH_lENKUlvE_clEvENKUlvE3_clEvEUlS6_S6_E_S6_EEDaPvRmT3_T4_T5_mT6_P12ihipStream_tbENKUlT_T0_E_clISt17integral_constantIbLb0EESY_EEDaST_SU_EUlST_E_NS1_11comp_targetILNS1_3genE2ELNS1_11target_archE906ELNS1_3gpuE6ELNS1_3repE0EEENS1_30default_config_static_selectorELNS0_4arch9wavefront6targetE1EEEvT1_
		.amdhsa_group_segment_fixed_size 0
		.amdhsa_private_segment_fixed_size 0
		.amdhsa_kernarg_size 96
		.amdhsa_user_sgpr_count 2
		.amdhsa_user_sgpr_dispatch_ptr 0
		.amdhsa_user_sgpr_queue_ptr 0
		.amdhsa_user_sgpr_kernarg_segment_ptr 1
		.amdhsa_user_sgpr_dispatch_id 0
		.amdhsa_user_sgpr_kernarg_preload_length 0
		.amdhsa_user_sgpr_kernarg_preload_offset 0
		.amdhsa_user_sgpr_private_segment_size 0
		.amdhsa_uses_dynamic_stack 0
		.amdhsa_enable_private_segment 0
		.amdhsa_system_sgpr_workgroup_id_x 1
		.amdhsa_system_sgpr_workgroup_id_y 0
		.amdhsa_system_sgpr_workgroup_id_z 0
		.amdhsa_system_sgpr_workgroup_info 0
		.amdhsa_system_vgpr_workitem_id 0
		.amdhsa_next_free_vgpr 1
		.amdhsa_next_free_sgpr 0
		.amdhsa_accum_offset 4
		.amdhsa_reserve_vcc 0
		.amdhsa_float_round_mode_32 0
		.amdhsa_float_round_mode_16_64 0
		.amdhsa_float_denorm_mode_32 3
		.amdhsa_float_denorm_mode_16_64 3
		.amdhsa_dx10_clamp 1
		.amdhsa_ieee_mode 1
		.amdhsa_fp16_overflow 0
		.amdhsa_tg_split 0
		.amdhsa_exception_fp_ieee_invalid_op 0
		.amdhsa_exception_fp_denorm_src 0
		.amdhsa_exception_fp_ieee_div_zero 0
		.amdhsa_exception_fp_ieee_overflow 0
		.amdhsa_exception_fp_ieee_underflow 0
		.amdhsa_exception_fp_ieee_inexact 0
		.amdhsa_exception_int_div_zero 0
	.end_amdhsa_kernel
	.section	.text._ZN7rocprim17ROCPRIM_400000_NS6detail17trampoline_kernelINS0_14default_configENS1_20scan_config_selectorIN3c104HalfEEEZZNS1_9scan_implILNS1_25lookback_scan_determinismE0ELb0ELb0ES3_PKS6_PS6_S6_ZZZN2at6native31launch_logcumsumexp_cuda_kernelERKNSD_10TensorBaseESH_lENKUlvE_clEvENKUlvE3_clEvEUlS6_S6_E_S6_EEDaPvRmT3_T4_T5_mT6_P12ihipStream_tbENKUlT_T0_E_clISt17integral_constantIbLb0EESY_EEDaST_SU_EUlST_E_NS1_11comp_targetILNS1_3genE2ELNS1_11target_archE906ELNS1_3gpuE6ELNS1_3repE0EEENS1_30default_config_static_selectorELNS0_4arch9wavefront6targetE1EEEvT1_,"axG",@progbits,_ZN7rocprim17ROCPRIM_400000_NS6detail17trampoline_kernelINS0_14default_configENS1_20scan_config_selectorIN3c104HalfEEEZZNS1_9scan_implILNS1_25lookback_scan_determinismE0ELb0ELb0ES3_PKS6_PS6_S6_ZZZN2at6native31launch_logcumsumexp_cuda_kernelERKNSD_10TensorBaseESH_lENKUlvE_clEvENKUlvE3_clEvEUlS6_S6_E_S6_EEDaPvRmT3_T4_T5_mT6_P12ihipStream_tbENKUlT_T0_E_clISt17integral_constantIbLb0EESY_EEDaST_SU_EUlST_E_NS1_11comp_targetILNS1_3genE2ELNS1_11target_archE906ELNS1_3gpuE6ELNS1_3repE0EEENS1_30default_config_static_selectorELNS0_4arch9wavefront6targetE1EEEvT1_,comdat
.Lfunc_end355:
	.size	_ZN7rocprim17ROCPRIM_400000_NS6detail17trampoline_kernelINS0_14default_configENS1_20scan_config_selectorIN3c104HalfEEEZZNS1_9scan_implILNS1_25lookback_scan_determinismE0ELb0ELb0ES3_PKS6_PS6_S6_ZZZN2at6native31launch_logcumsumexp_cuda_kernelERKNSD_10TensorBaseESH_lENKUlvE_clEvENKUlvE3_clEvEUlS6_S6_E_S6_EEDaPvRmT3_T4_T5_mT6_P12ihipStream_tbENKUlT_T0_E_clISt17integral_constantIbLb0EESY_EEDaST_SU_EUlST_E_NS1_11comp_targetILNS1_3genE2ELNS1_11target_archE906ELNS1_3gpuE6ELNS1_3repE0EEENS1_30default_config_static_selectorELNS0_4arch9wavefront6targetE1EEEvT1_, .Lfunc_end355-_ZN7rocprim17ROCPRIM_400000_NS6detail17trampoline_kernelINS0_14default_configENS1_20scan_config_selectorIN3c104HalfEEEZZNS1_9scan_implILNS1_25lookback_scan_determinismE0ELb0ELb0ES3_PKS6_PS6_S6_ZZZN2at6native31launch_logcumsumexp_cuda_kernelERKNSD_10TensorBaseESH_lENKUlvE_clEvENKUlvE3_clEvEUlS6_S6_E_S6_EEDaPvRmT3_T4_T5_mT6_P12ihipStream_tbENKUlT_T0_E_clISt17integral_constantIbLb0EESY_EEDaST_SU_EUlST_E_NS1_11comp_targetILNS1_3genE2ELNS1_11target_archE906ELNS1_3gpuE6ELNS1_3repE0EEENS1_30default_config_static_selectorELNS0_4arch9wavefront6targetE1EEEvT1_
                                        ; -- End function
	.set _ZN7rocprim17ROCPRIM_400000_NS6detail17trampoline_kernelINS0_14default_configENS1_20scan_config_selectorIN3c104HalfEEEZZNS1_9scan_implILNS1_25lookback_scan_determinismE0ELb0ELb0ES3_PKS6_PS6_S6_ZZZN2at6native31launch_logcumsumexp_cuda_kernelERKNSD_10TensorBaseESH_lENKUlvE_clEvENKUlvE3_clEvEUlS6_S6_E_S6_EEDaPvRmT3_T4_T5_mT6_P12ihipStream_tbENKUlT_T0_E_clISt17integral_constantIbLb0EESY_EEDaST_SU_EUlST_E_NS1_11comp_targetILNS1_3genE2ELNS1_11target_archE906ELNS1_3gpuE6ELNS1_3repE0EEENS1_30default_config_static_selectorELNS0_4arch9wavefront6targetE1EEEvT1_.num_vgpr, 0
	.set _ZN7rocprim17ROCPRIM_400000_NS6detail17trampoline_kernelINS0_14default_configENS1_20scan_config_selectorIN3c104HalfEEEZZNS1_9scan_implILNS1_25lookback_scan_determinismE0ELb0ELb0ES3_PKS6_PS6_S6_ZZZN2at6native31launch_logcumsumexp_cuda_kernelERKNSD_10TensorBaseESH_lENKUlvE_clEvENKUlvE3_clEvEUlS6_S6_E_S6_EEDaPvRmT3_T4_T5_mT6_P12ihipStream_tbENKUlT_T0_E_clISt17integral_constantIbLb0EESY_EEDaST_SU_EUlST_E_NS1_11comp_targetILNS1_3genE2ELNS1_11target_archE906ELNS1_3gpuE6ELNS1_3repE0EEENS1_30default_config_static_selectorELNS0_4arch9wavefront6targetE1EEEvT1_.num_agpr, 0
	.set _ZN7rocprim17ROCPRIM_400000_NS6detail17trampoline_kernelINS0_14default_configENS1_20scan_config_selectorIN3c104HalfEEEZZNS1_9scan_implILNS1_25lookback_scan_determinismE0ELb0ELb0ES3_PKS6_PS6_S6_ZZZN2at6native31launch_logcumsumexp_cuda_kernelERKNSD_10TensorBaseESH_lENKUlvE_clEvENKUlvE3_clEvEUlS6_S6_E_S6_EEDaPvRmT3_T4_T5_mT6_P12ihipStream_tbENKUlT_T0_E_clISt17integral_constantIbLb0EESY_EEDaST_SU_EUlST_E_NS1_11comp_targetILNS1_3genE2ELNS1_11target_archE906ELNS1_3gpuE6ELNS1_3repE0EEENS1_30default_config_static_selectorELNS0_4arch9wavefront6targetE1EEEvT1_.numbered_sgpr, 0
	.set _ZN7rocprim17ROCPRIM_400000_NS6detail17trampoline_kernelINS0_14default_configENS1_20scan_config_selectorIN3c104HalfEEEZZNS1_9scan_implILNS1_25lookback_scan_determinismE0ELb0ELb0ES3_PKS6_PS6_S6_ZZZN2at6native31launch_logcumsumexp_cuda_kernelERKNSD_10TensorBaseESH_lENKUlvE_clEvENKUlvE3_clEvEUlS6_S6_E_S6_EEDaPvRmT3_T4_T5_mT6_P12ihipStream_tbENKUlT_T0_E_clISt17integral_constantIbLb0EESY_EEDaST_SU_EUlST_E_NS1_11comp_targetILNS1_3genE2ELNS1_11target_archE906ELNS1_3gpuE6ELNS1_3repE0EEENS1_30default_config_static_selectorELNS0_4arch9wavefront6targetE1EEEvT1_.num_named_barrier, 0
	.set _ZN7rocprim17ROCPRIM_400000_NS6detail17trampoline_kernelINS0_14default_configENS1_20scan_config_selectorIN3c104HalfEEEZZNS1_9scan_implILNS1_25lookback_scan_determinismE0ELb0ELb0ES3_PKS6_PS6_S6_ZZZN2at6native31launch_logcumsumexp_cuda_kernelERKNSD_10TensorBaseESH_lENKUlvE_clEvENKUlvE3_clEvEUlS6_S6_E_S6_EEDaPvRmT3_T4_T5_mT6_P12ihipStream_tbENKUlT_T0_E_clISt17integral_constantIbLb0EESY_EEDaST_SU_EUlST_E_NS1_11comp_targetILNS1_3genE2ELNS1_11target_archE906ELNS1_3gpuE6ELNS1_3repE0EEENS1_30default_config_static_selectorELNS0_4arch9wavefront6targetE1EEEvT1_.private_seg_size, 0
	.set _ZN7rocprim17ROCPRIM_400000_NS6detail17trampoline_kernelINS0_14default_configENS1_20scan_config_selectorIN3c104HalfEEEZZNS1_9scan_implILNS1_25lookback_scan_determinismE0ELb0ELb0ES3_PKS6_PS6_S6_ZZZN2at6native31launch_logcumsumexp_cuda_kernelERKNSD_10TensorBaseESH_lENKUlvE_clEvENKUlvE3_clEvEUlS6_S6_E_S6_EEDaPvRmT3_T4_T5_mT6_P12ihipStream_tbENKUlT_T0_E_clISt17integral_constantIbLb0EESY_EEDaST_SU_EUlST_E_NS1_11comp_targetILNS1_3genE2ELNS1_11target_archE906ELNS1_3gpuE6ELNS1_3repE0EEENS1_30default_config_static_selectorELNS0_4arch9wavefront6targetE1EEEvT1_.uses_vcc, 0
	.set _ZN7rocprim17ROCPRIM_400000_NS6detail17trampoline_kernelINS0_14default_configENS1_20scan_config_selectorIN3c104HalfEEEZZNS1_9scan_implILNS1_25lookback_scan_determinismE0ELb0ELb0ES3_PKS6_PS6_S6_ZZZN2at6native31launch_logcumsumexp_cuda_kernelERKNSD_10TensorBaseESH_lENKUlvE_clEvENKUlvE3_clEvEUlS6_S6_E_S6_EEDaPvRmT3_T4_T5_mT6_P12ihipStream_tbENKUlT_T0_E_clISt17integral_constantIbLb0EESY_EEDaST_SU_EUlST_E_NS1_11comp_targetILNS1_3genE2ELNS1_11target_archE906ELNS1_3gpuE6ELNS1_3repE0EEENS1_30default_config_static_selectorELNS0_4arch9wavefront6targetE1EEEvT1_.uses_flat_scratch, 0
	.set _ZN7rocprim17ROCPRIM_400000_NS6detail17trampoline_kernelINS0_14default_configENS1_20scan_config_selectorIN3c104HalfEEEZZNS1_9scan_implILNS1_25lookback_scan_determinismE0ELb0ELb0ES3_PKS6_PS6_S6_ZZZN2at6native31launch_logcumsumexp_cuda_kernelERKNSD_10TensorBaseESH_lENKUlvE_clEvENKUlvE3_clEvEUlS6_S6_E_S6_EEDaPvRmT3_T4_T5_mT6_P12ihipStream_tbENKUlT_T0_E_clISt17integral_constantIbLb0EESY_EEDaST_SU_EUlST_E_NS1_11comp_targetILNS1_3genE2ELNS1_11target_archE906ELNS1_3gpuE6ELNS1_3repE0EEENS1_30default_config_static_selectorELNS0_4arch9wavefront6targetE1EEEvT1_.has_dyn_sized_stack, 0
	.set _ZN7rocprim17ROCPRIM_400000_NS6detail17trampoline_kernelINS0_14default_configENS1_20scan_config_selectorIN3c104HalfEEEZZNS1_9scan_implILNS1_25lookback_scan_determinismE0ELb0ELb0ES3_PKS6_PS6_S6_ZZZN2at6native31launch_logcumsumexp_cuda_kernelERKNSD_10TensorBaseESH_lENKUlvE_clEvENKUlvE3_clEvEUlS6_S6_E_S6_EEDaPvRmT3_T4_T5_mT6_P12ihipStream_tbENKUlT_T0_E_clISt17integral_constantIbLb0EESY_EEDaST_SU_EUlST_E_NS1_11comp_targetILNS1_3genE2ELNS1_11target_archE906ELNS1_3gpuE6ELNS1_3repE0EEENS1_30default_config_static_selectorELNS0_4arch9wavefront6targetE1EEEvT1_.has_recursion, 0
	.set _ZN7rocprim17ROCPRIM_400000_NS6detail17trampoline_kernelINS0_14default_configENS1_20scan_config_selectorIN3c104HalfEEEZZNS1_9scan_implILNS1_25lookback_scan_determinismE0ELb0ELb0ES3_PKS6_PS6_S6_ZZZN2at6native31launch_logcumsumexp_cuda_kernelERKNSD_10TensorBaseESH_lENKUlvE_clEvENKUlvE3_clEvEUlS6_S6_E_S6_EEDaPvRmT3_T4_T5_mT6_P12ihipStream_tbENKUlT_T0_E_clISt17integral_constantIbLb0EESY_EEDaST_SU_EUlST_E_NS1_11comp_targetILNS1_3genE2ELNS1_11target_archE906ELNS1_3gpuE6ELNS1_3repE0EEENS1_30default_config_static_selectorELNS0_4arch9wavefront6targetE1EEEvT1_.has_indirect_call, 0
	.section	.AMDGPU.csdata,"",@progbits
; Kernel info:
; codeLenInByte = 0
; TotalNumSgprs: 6
; NumVgprs: 0
; NumAgprs: 0
; TotalNumVgprs: 0
; ScratchSize: 0
; MemoryBound: 0
; FloatMode: 240
; IeeeMode: 1
; LDSByteSize: 0 bytes/workgroup (compile time only)
; SGPRBlocks: 0
; VGPRBlocks: 0
; NumSGPRsForWavesPerEU: 6
; NumVGPRsForWavesPerEU: 1
; AccumOffset: 4
; Occupancy: 8
; WaveLimiterHint : 0
; COMPUTE_PGM_RSRC2:SCRATCH_EN: 0
; COMPUTE_PGM_RSRC2:USER_SGPR: 2
; COMPUTE_PGM_RSRC2:TRAP_HANDLER: 0
; COMPUTE_PGM_RSRC2:TGID_X_EN: 1
; COMPUTE_PGM_RSRC2:TGID_Y_EN: 0
; COMPUTE_PGM_RSRC2:TGID_Z_EN: 0
; COMPUTE_PGM_RSRC2:TIDIG_COMP_CNT: 0
; COMPUTE_PGM_RSRC3_GFX90A:ACCUM_OFFSET: 0
; COMPUTE_PGM_RSRC3_GFX90A:TG_SPLIT: 0
	.section	.text._ZN7rocprim17ROCPRIM_400000_NS6detail17trampoline_kernelINS0_14default_configENS1_20scan_config_selectorIN3c104HalfEEEZZNS1_9scan_implILNS1_25lookback_scan_determinismE0ELb0ELb0ES3_PKS6_PS6_S6_ZZZN2at6native31launch_logcumsumexp_cuda_kernelERKNSD_10TensorBaseESH_lENKUlvE_clEvENKUlvE3_clEvEUlS6_S6_E_S6_EEDaPvRmT3_T4_T5_mT6_P12ihipStream_tbENKUlT_T0_E_clISt17integral_constantIbLb0EESY_EEDaST_SU_EUlST_E_NS1_11comp_targetILNS1_3genE10ELNS1_11target_archE1201ELNS1_3gpuE5ELNS1_3repE0EEENS1_30default_config_static_selectorELNS0_4arch9wavefront6targetE1EEEvT1_,"axG",@progbits,_ZN7rocprim17ROCPRIM_400000_NS6detail17trampoline_kernelINS0_14default_configENS1_20scan_config_selectorIN3c104HalfEEEZZNS1_9scan_implILNS1_25lookback_scan_determinismE0ELb0ELb0ES3_PKS6_PS6_S6_ZZZN2at6native31launch_logcumsumexp_cuda_kernelERKNSD_10TensorBaseESH_lENKUlvE_clEvENKUlvE3_clEvEUlS6_S6_E_S6_EEDaPvRmT3_T4_T5_mT6_P12ihipStream_tbENKUlT_T0_E_clISt17integral_constantIbLb0EESY_EEDaST_SU_EUlST_E_NS1_11comp_targetILNS1_3genE10ELNS1_11target_archE1201ELNS1_3gpuE5ELNS1_3repE0EEENS1_30default_config_static_selectorELNS0_4arch9wavefront6targetE1EEEvT1_,comdat
	.globl	_ZN7rocprim17ROCPRIM_400000_NS6detail17trampoline_kernelINS0_14default_configENS1_20scan_config_selectorIN3c104HalfEEEZZNS1_9scan_implILNS1_25lookback_scan_determinismE0ELb0ELb0ES3_PKS6_PS6_S6_ZZZN2at6native31launch_logcumsumexp_cuda_kernelERKNSD_10TensorBaseESH_lENKUlvE_clEvENKUlvE3_clEvEUlS6_S6_E_S6_EEDaPvRmT3_T4_T5_mT6_P12ihipStream_tbENKUlT_T0_E_clISt17integral_constantIbLb0EESY_EEDaST_SU_EUlST_E_NS1_11comp_targetILNS1_3genE10ELNS1_11target_archE1201ELNS1_3gpuE5ELNS1_3repE0EEENS1_30default_config_static_selectorELNS0_4arch9wavefront6targetE1EEEvT1_ ; -- Begin function _ZN7rocprim17ROCPRIM_400000_NS6detail17trampoline_kernelINS0_14default_configENS1_20scan_config_selectorIN3c104HalfEEEZZNS1_9scan_implILNS1_25lookback_scan_determinismE0ELb0ELb0ES3_PKS6_PS6_S6_ZZZN2at6native31launch_logcumsumexp_cuda_kernelERKNSD_10TensorBaseESH_lENKUlvE_clEvENKUlvE3_clEvEUlS6_S6_E_S6_EEDaPvRmT3_T4_T5_mT6_P12ihipStream_tbENKUlT_T0_E_clISt17integral_constantIbLb0EESY_EEDaST_SU_EUlST_E_NS1_11comp_targetILNS1_3genE10ELNS1_11target_archE1201ELNS1_3gpuE5ELNS1_3repE0EEENS1_30default_config_static_selectorELNS0_4arch9wavefront6targetE1EEEvT1_
	.p2align	8
	.type	_ZN7rocprim17ROCPRIM_400000_NS6detail17trampoline_kernelINS0_14default_configENS1_20scan_config_selectorIN3c104HalfEEEZZNS1_9scan_implILNS1_25lookback_scan_determinismE0ELb0ELb0ES3_PKS6_PS6_S6_ZZZN2at6native31launch_logcumsumexp_cuda_kernelERKNSD_10TensorBaseESH_lENKUlvE_clEvENKUlvE3_clEvEUlS6_S6_E_S6_EEDaPvRmT3_T4_T5_mT6_P12ihipStream_tbENKUlT_T0_E_clISt17integral_constantIbLb0EESY_EEDaST_SU_EUlST_E_NS1_11comp_targetILNS1_3genE10ELNS1_11target_archE1201ELNS1_3gpuE5ELNS1_3repE0EEENS1_30default_config_static_selectorELNS0_4arch9wavefront6targetE1EEEvT1_,@function
_ZN7rocprim17ROCPRIM_400000_NS6detail17trampoline_kernelINS0_14default_configENS1_20scan_config_selectorIN3c104HalfEEEZZNS1_9scan_implILNS1_25lookback_scan_determinismE0ELb0ELb0ES3_PKS6_PS6_S6_ZZZN2at6native31launch_logcumsumexp_cuda_kernelERKNSD_10TensorBaseESH_lENKUlvE_clEvENKUlvE3_clEvEUlS6_S6_E_S6_EEDaPvRmT3_T4_T5_mT6_P12ihipStream_tbENKUlT_T0_E_clISt17integral_constantIbLb0EESY_EEDaST_SU_EUlST_E_NS1_11comp_targetILNS1_3genE10ELNS1_11target_archE1201ELNS1_3gpuE5ELNS1_3repE0EEENS1_30default_config_static_selectorELNS0_4arch9wavefront6targetE1EEEvT1_: ; @_ZN7rocprim17ROCPRIM_400000_NS6detail17trampoline_kernelINS0_14default_configENS1_20scan_config_selectorIN3c104HalfEEEZZNS1_9scan_implILNS1_25lookback_scan_determinismE0ELb0ELb0ES3_PKS6_PS6_S6_ZZZN2at6native31launch_logcumsumexp_cuda_kernelERKNSD_10TensorBaseESH_lENKUlvE_clEvENKUlvE3_clEvEUlS6_S6_E_S6_EEDaPvRmT3_T4_T5_mT6_P12ihipStream_tbENKUlT_T0_E_clISt17integral_constantIbLb0EESY_EEDaST_SU_EUlST_E_NS1_11comp_targetILNS1_3genE10ELNS1_11target_archE1201ELNS1_3gpuE5ELNS1_3repE0EEENS1_30default_config_static_selectorELNS0_4arch9wavefront6targetE1EEEvT1_
; %bb.0:
	.section	.rodata,"a",@progbits
	.p2align	6, 0x0
	.amdhsa_kernel _ZN7rocprim17ROCPRIM_400000_NS6detail17trampoline_kernelINS0_14default_configENS1_20scan_config_selectorIN3c104HalfEEEZZNS1_9scan_implILNS1_25lookback_scan_determinismE0ELb0ELb0ES3_PKS6_PS6_S6_ZZZN2at6native31launch_logcumsumexp_cuda_kernelERKNSD_10TensorBaseESH_lENKUlvE_clEvENKUlvE3_clEvEUlS6_S6_E_S6_EEDaPvRmT3_T4_T5_mT6_P12ihipStream_tbENKUlT_T0_E_clISt17integral_constantIbLb0EESY_EEDaST_SU_EUlST_E_NS1_11comp_targetILNS1_3genE10ELNS1_11target_archE1201ELNS1_3gpuE5ELNS1_3repE0EEENS1_30default_config_static_selectorELNS0_4arch9wavefront6targetE1EEEvT1_
		.amdhsa_group_segment_fixed_size 0
		.amdhsa_private_segment_fixed_size 0
		.amdhsa_kernarg_size 96
		.amdhsa_user_sgpr_count 2
		.amdhsa_user_sgpr_dispatch_ptr 0
		.amdhsa_user_sgpr_queue_ptr 0
		.amdhsa_user_sgpr_kernarg_segment_ptr 1
		.amdhsa_user_sgpr_dispatch_id 0
		.amdhsa_user_sgpr_kernarg_preload_length 0
		.amdhsa_user_sgpr_kernarg_preload_offset 0
		.amdhsa_user_sgpr_private_segment_size 0
		.amdhsa_uses_dynamic_stack 0
		.amdhsa_enable_private_segment 0
		.amdhsa_system_sgpr_workgroup_id_x 1
		.amdhsa_system_sgpr_workgroup_id_y 0
		.amdhsa_system_sgpr_workgroup_id_z 0
		.amdhsa_system_sgpr_workgroup_info 0
		.amdhsa_system_vgpr_workitem_id 0
		.amdhsa_next_free_vgpr 1
		.amdhsa_next_free_sgpr 0
		.amdhsa_accum_offset 4
		.amdhsa_reserve_vcc 0
		.amdhsa_float_round_mode_32 0
		.amdhsa_float_round_mode_16_64 0
		.amdhsa_float_denorm_mode_32 3
		.amdhsa_float_denorm_mode_16_64 3
		.amdhsa_dx10_clamp 1
		.amdhsa_ieee_mode 1
		.amdhsa_fp16_overflow 0
		.amdhsa_tg_split 0
		.amdhsa_exception_fp_ieee_invalid_op 0
		.amdhsa_exception_fp_denorm_src 0
		.amdhsa_exception_fp_ieee_div_zero 0
		.amdhsa_exception_fp_ieee_overflow 0
		.amdhsa_exception_fp_ieee_underflow 0
		.amdhsa_exception_fp_ieee_inexact 0
		.amdhsa_exception_int_div_zero 0
	.end_amdhsa_kernel
	.section	.text._ZN7rocprim17ROCPRIM_400000_NS6detail17trampoline_kernelINS0_14default_configENS1_20scan_config_selectorIN3c104HalfEEEZZNS1_9scan_implILNS1_25lookback_scan_determinismE0ELb0ELb0ES3_PKS6_PS6_S6_ZZZN2at6native31launch_logcumsumexp_cuda_kernelERKNSD_10TensorBaseESH_lENKUlvE_clEvENKUlvE3_clEvEUlS6_S6_E_S6_EEDaPvRmT3_T4_T5_mT6_P12ihipStream_tbENKUlT_T0_E_clISt17integral_constantIbLb0EESY_EEDaST_SU_EUlST_E_NS1_11comp_targetILNS1_3genE10ELNS1_11target_archE1201ELNS1_3gpuE5ELNS1_3repE0EEENS1_30default_config_static_selectorELNS0_4arch9wavefront6targetE1EEEvT1_,"axG",@progbits,_ZN7rocprim17ROCPRIM_400000_NS6detail17trampoline_kernelINS0_14default_configENS1_20scan_config_selectorIN3c104HalfEEEZZNS1_9scan_implILNS1_25lookback_scan_determinismE0ELb0ELb0ES3_PKS6_PS6_S6_ZZZN2at6native31launch_logcumsumexp_cuda_kernelERKNSD_10TensorBaseESH_lENKUlvE_clEvENKUlvE3_clEvEUlS6_S6_E_S6_EEDaPvRmT3_T4_T5_mT6_P12ihipStream_tbENKUlT_T0_E_clISt17integral_constantIbLb0EESY_EEDaST_SU_EUlST_E_NS1_11comp_targetILNS1_3genE10ELNS1_11target_archE1201ELNS1_3gpuE5ELNS1_3repE0EEENS1_30default_config_static_selectorELNS0_4arch9wavefront6targetE1EEEvT1_,comdat
.Lfunc_end356:
	.size	_ZN7rocprim17ROCPRIM_400000_NS6detail17trampoline_kernelINS0_14default_configENS1_20scan_config_selectorIN3c104HalfEEEZZNS1_9scan_implILNS1_25lookback_scan_determinismE0ELb0ELb0ES3_PKS6_PS6_S6_ZZZN2at6native31launch_logcumsumexp_cuda_kernelERKNSD_10TensorBaseESH_lENKUlvE_clEvENKUlvE3_clEvEUlS6_S6_E_S6_EEDaPvRmT3_T4_T5_mT6_P12ihipStream_tbENKUlT_T0_E_clISt17integral_constantIbLb0EESY_EEDaST_SU_EUlST_E_NS1_11comp_targetILNS1_3genE10ELNS1_11target_archE1201ELNS1_3gpuE5ELNS1_3repE0EEENS1_30default_config_static_selectorELNS0_4arch9wavefront6targetE1EEEvT1_, .Lfunc_end356-_ZN7rocprim17ROCPRIM_400000_NS6detail17trampoline_kernelINS0_14default_configENS1_20scan_config_selectorIN3c104HalfEEEZZNS1_9scan_implILNS1_25lookback_scan_determinismE0ELb0ELb0ES3_PKS6_PS6_S6_ZZZN2at6native31launch_logcumsumexp_cuda_kernelERKNSD_10TensorBaseESH_lENKUlvE_clEvENKUlvE3_clEvEUlS6_S6_E_S6_EEDaPvRmT3_T4_T5_mT6_P12ihipStream_tbENKUlT_T0_E_clISt17integral_constantIbLb0EESY_EEDaST_SU_EUlST_E_NS1_11comp_targetILNS1_3genE10ELNS1_11target_archE1201ELNS1_3gpuE5ELNS1_3repE0EEENS1_30default_config_static_selectorELNS0_4arch9wavefront6targetE1EEEvT1_
                                        ; -- End function
	.set _ZN7rocprim17ROCPRIM_400000_NS6detail17trampoline_kernelINS0_14default_configENS1_20scan_config_selectorIN3c104HalfEEEZZNS1_9scan_implILNS1_25lookback_scan_determinismE0ELb0ELb0ES3_PKS6_PS6_S6_ZZZN2at6native31launch_logcumsumexp_cuda_kernelERKNSD_10TensorBaseESH_lENKUlvE_clEvENKUlvE3_clEvEUlS6_S6_E_S6_EEDaPvRmT3_T4_T5_mT6_P12ihipStream_tbENKUlT_T0_E_clISt17integral_constantIbLb0EESY_EEDaST_SU_EUlST_E_NS1_11comp_targetILNS1_3genE10ELNS1_11target_archE1201ELNS1_3gpuE5ELNS1_3repE0EEENS1_30default_config_static_selectorELNS0_4arch9wavefront6targetE1EEEvT1_.num_vgpr, 0
	.set _ZN7rocprim17ROCPRIM_400000_NS6detail17trampoline_kernelINS0_14default_configENS1_20scan_config_selectorIN3c104HalfEEEZZNS1_9scan_implILNS1_25lookback_scan_determinismE0ELb0ELb0ES3_PKS6_PS6_S6_ZZZN2at6native31launch_logcumsumexp_cuda_kernelERKNSD_10TensorBaseESH_lENKUlvE_clEvENKUlvE3_clEvEUlS6_S6_E_S6_EEDaPvRmT3_T4_T5_mT6_P12ihipStream_tbENKUlT_T0_E_clISt17integral_constantIbLb0EESY_EEDaST_SU_EUlST_E_NS1_11comp_targetILNS1_3genE10ELNS1_11target_archE1201ELNS1_3gpuE5ELNS1_3repE0EEENS1_30default_config_static_selectorELNS0_4arch9wavefront6targetE1EEEvT1_.num_agpr, 0
	.set _ZN7rocprim17ROCPRIM_400000_NS6detail17trampoline_kernelINS0_14default_configENS1_20scan_config_selectorIN3c104HalfEEEZZNS1_9scan_implILNS1_25lookback_scan_determinismE0ELb0ELb0ES3_PKS6_PS6_S6_ZZZN2at6native31launch_logcumsumexp_cuda_kernelERKNSD_10TensorBaseESH_lENKUlvE_clEvENKUlvE3_clEvEUlS6_S6_E_S6_EEDaPvRmT3_T4_T5_mT6_P12ihipStream_tbENKUlT_T0_E_clISt17integral_constantIbLb0EESY_EEDaST_SU_EUlST_E_NS1_11comp_targetILNS1_3genE10ELNS1_11target_archE1201ELNS1_3gpuE5ELNS1_3repE0EEENS1_30default_config_static_selectorELNS0_4arch9wavefront6targetE1EEEvT1_.numbered_sgpr, 0
	.set _ZN7rocprim17ROCPRIM_400000_NS6detail17trampoline_kernelINS0_14default_configENS1_20scan_config_selectorIN3c104HalfEEEZZNS1_9scan_implILNS1_25lookback_scan_determinismE0ELb0ELb0ES3_PKS6_PS6_S6_ZZZN2at6native31launch_logcumsumexp_cuda_kernelERKNSD_10TensorBaseESH_lENKUlvE_clEvENKUlvE3_clEvEUlS6_S6_E_S6_EEDaPvRmT3_T4_T5_mT6_P12ihipStream_tbENKUlT_T0_E_clISt17integral_constantIbLb0EESY_EEDaST_SU_EUlST_E_NS1_11comp_targetILNS1_3genE10ELNS1_11target_archE1201ELNS1_3gpuE5ELNS1_3repE0EEENS1_30default_config_static_selectorELNS0_4arch9wavefront6targetE1EEEvT1_.num_named_barrier, 0
	.set _ZN7rocprim17ROCPRIM_400000_NS6detail17trampoline_kernelINS0_14default_configENS1_20scan_config_selectorIN3c104HalfEEEZZNS1_9scan_implILNS1_25lookback_scan_determinismE0ELb0ELb0ES3_PKS6_PS6_S6_ZZZN2at6native31launch_logcumsumexp_cuda_kernelERKNSD_10TensorBaseESH_lENKUlvE_clEvENKUlvE3_clEvEUlS6_S6_E_S6_EEDaPvRmT3_T4_T5_mT6_P12ihipStream_tbENKUlT_T0_E_clISt17integral_constantIbLb0EESY_EEDaST_SU_EUlST_E_NS1_11comp_targetILNS1_3genE10ELNS1_11target_archE1201ELNS1_3gpuE5ELNS1_3repE0EEENS1_30default_config_static_selectorELNS0_4arch9wavefront6targetE1EEEvT1_.private_seg_size, 0
	.set _ZN7rocprim17ROCPRIM_400000_NS6detail17trampoline_kernelINS0_14default_configENS1_20scan_config_selectorIN3c104HalfEEEZZNS1_9scan_implILNS1_25lookback_scan_determinismE0ELb0ELb0ES3_PKS6_PS6_S6_ZZZN2at6native31launch_logcumsumexp_cuda_kernelERKNSD_10TensorBaseESH_lENKUlvE_clEvENKUlvE3_clEvEUlS6_S6_E_S6_EEDaPvRmT3_T4_T5_mT6_P12ihipStream_tbENKUlT_T0_E_clISt17integral_constantIbLb0EESY_EEDaST_SU_EUlST_E_NS1_11comp_targetILNS1_3genE10ELNS1_11target_archE1201ELNS1_3gpuE5ELNS1_3repE0EEENS1_30default_config_static_selectorELNS0_4arch9wavefront6targetE1EEEvT1_.uses_vcc, 0
	.set _ZN7rocprim17ROCPRIM_400000_NS6detail17trampoline_kernelINS0_14default_configENS1_20scan_config_selectorIN3c104HalfEEEZZNS1_9scan_implILNS1_25lookback_scan_determinismE0ELb0ELb0ES3_PKS6_PS6_S6_ZZZN2at6native31launch_logcumsumexp_cuda_kernelERKNSD_10TensorBaseESH_lENKUlvE_clEvENKUlvE3_clEvEUlS6_S6_E_S6_EEDaPvRmT3_T4_T5_mT6_P12ihipStream_tbENKUlT_T0_E_clISt17integral_constantIbLb0EESY_EEDaST_SU_EUlST_E_NS1_11comp_targetILNS1_3genE10ELNS1_11target_archE1201ELNS1_3gpuE5ELNS1_3repE0EEENS1_30default_config_static_selectorELNS0_4arch9wavefront6targetE1EEEvT1_.uses_flat_scratch, 0
	.set _ZN7rocprim17ROCPRIM_400000_NS6detail17trampoline_kernelINS0_14default_configENS1_20scan_config_selectorIN3c104HalfEEEZZNS1_9scan_implILNS1_25lookback_scan_determinismE0ELb0ELb0ES3_PKS6_PS6_S6_ZZZN2at6native31launch_logcumsumexp_cuda_kernelERKNSD_10TensorBaseESH_lENKUlvE_clEvENKUlvE3_clEvEUlS6_S6_E_S6_EEDaPvRmT3_T4_T5_mT6_P12ihipStream_tbENKUlT_T0_E_clISt17integral_constantIbLb0EESY_EEDaST_SU_EUlST_E_NS1_11comp_targetILNS1_3genE10ELNS1_11target_archE1201ELNS1_3gpuE5ELNS1_3repE0EEENS1_30default_config_static_selectorELNS0_4arch9wavefront6targetE1EEEvT1_.has_dyn_sized_stack, 0
	.set _ZN7rocprim17ROCPRIM_400000_NS6detail17trampoline_kernelINS0_14default_configENS1_20scan_config_selectorIN3c104HalfEEEZZNS1_9scan_implILNS1_25lookback_scan_determinismE0ELb0ELb0ES3_PKS6_PS6_S6_ZZZN2at6native31launch_logcumsumexp_cuda_kernelERKNSD_10TensorBaseESH_lENKUlvE_clEvENKUlvE3_clEvEUlS6_S6_E_S6_EEDaPvRmT3_T4_T5_mT6_P12ihipStream_tbENKUlT_T0_E_clISt17integral_constantIbLb0EESY_EEDaST_SU_EUlST_E_NS1_11comp_targetILNS1_3genE10ELNS1_11target_archE1201ELNS1_3gpuE5ELNS1_3repE0EEENS1_30default_config_static_selectorELNS0_4arch9wavefront6targetE1EEEvT1_.has_recursion, 0
	.set _ZN7rocprim17ROCPRIM_400000_NS6detail17trampoline_kernelINS0_14default_configENS1_20scan_config_selectorIN3c104HalfEEEZZNS1_9scan_implILNS1_25lookback_scan_determinismE0ELb0ELb0ES3_PKS6_PS6_S6_ZZZN2at6native31launch_logcumsumexp_cuda_kernelERKNSD_10TensorBaseESH_lENKUlvE_clEvENKUlvE3_clEvEUlS6_S6_E_S6_EEDaPvRmT3_T4_T5_mT6_P12ihipStream_tbENKUlT_T0_E_clISt17integral_constantIbLb0EESY_EEDaST_SU_EUlST_E_NS1_11comp_targetILNS1_3genE10ELNS1_11target_archE1201ELNS1_3gpuE5ELNS1_3repE0EEENS1_30default_config_static_selectorELNS0_4arch9wavefront6targetE1EEEvT1_.has_indirect_call, 0
	.section	.AMDGPU.csdata,"",@progbits
; Kernel info:
; codeLenInByte = 0
; TotalNumSgprs: 6
; NumVgprs: 0
; NumAgprs: 0
; TotalNumVgprs: 0
; ScratchSize: 0
; MemoryBound: 0
; FloatMode: 240
; IeeeMode: 1
; LDSByteSize: 0 bytes/workgroup (compile time only)
; SGPRBlocks: 0
; VGPRBlocks: 0
; NumSGPRsForWavesPerEU: 6
; NumVGPRsForWavesPerEU: 1
; AccumOffset: 4
; Occupancy: 8
; WaveLimiterHint : 0
; COMPUTE_PGM_RSRC2:SCRATCH_EN: 0
; COMPUTE_PGM_RSRC2:USER_SGPR: 2
; COMPUTE_PGM_RSRC2:TRAP_HANDLER: 0
; COMPUTE_PGM_RSRC2:TGID_X_EN: 1
; COMPUTE_PGM_RSRC2:TGID_Y_EN: 0
; COMPUTE_PGM_RSRC2:TGID_Z_EN: 0
; COMPUTE_PGM_RSRC2:TIDIG_COMP_CNT: 0
; COMPUTE_PGM_RSRC3_GFX90A:ACCUM_OFFSET: 0
; COMPUTE_PGM_RSRC3_GFX90A:TG_SPLIT: 0
	.section	.text._ZN7rocprim17ROCPRIM_400000_NS6detail17trampoline_kernelINS0_14default_configENS1_20scan_config_selectorIN3c104HalfEEEZZNS1_9scan_implILNS1_25lookback_scan_determinismE0ELb0ELb0ES3_PKS6_PS6_S6_ZZZN2at6native31launch_logcumsumexp_cuda_kernelERKNSD_10TensorBaseESH_lENKUlvE_clEvENKUlvE3_clEvEUlS6_S6_E_S6_EEDaPvRmT3_T4_T5_mT6_P12ihipStream_tbENKUlT_T0_E_clISt17integral_constantIbLb0EESY_EEDaST_SU_EUlST_E_NS1_11comp_targetILNS1_3genE10ELNS1_11target_archE1200ELNS1_3gpuE4ELNS1_3repE0EEENS1_30default_config_static_selectorELNS0_4arch9wavefront6targetE1EEEvT1_,"axG",@progbits,_ZN7rocprim17ROCPRIM_400000_NS6detail17trampoline_kernelINS0_14default_configENS1_20scan_config_selectorIN3c104HalfEEEZZNS1_9scan_implILNS1_25lookback_scan_determinismE0ELb0ELb0ES3_PKS6_PS6_S6_ZZZN2at6native31launch_logcumsumexp_cuda_kernelERKNSD_10TensorBaseESH_lENKUlvE_clEvENKUlvE3_clEvEUlS6_S6_E_S6_EEDaPvRmT3_T4_T5_mT6_P12ihipStream_tbENKUlT_T0_E_clISt17integral_constantIbLb0EESY_EEDaST_SU_EUlST_E_NS1_11comp_targetILNS1_3genE10ELNS1_11target_archE1200ELNS1_3gpuE4ELNS1_3repE0EEENS1_30default_config_static_selectorELNS0_4arch9wavefront6targetE1EEEvT1_,comdat
	.globl	_ZN7rocprim17ROCPRIM_400000_NS6detail17trampoline_kernelINS0_14default_configENS1_20scan_config_selectorIN3c104HalfEEEZZNS1_9scan_implILNS1_25lookback_scan_determinismE0ELb0ELb0ES3_PKS6_PS6_S6_ZZZN2at6native31launch_logcumsumexp_cuda_kernelERKNSD_10TensorBaseESH_lENKUlvE_clEvENKUlvE3_clEvEUlS6_S6_E_S6_EEDaPvRmT3_T4_T5_mT6_P12ihipStream_tbENKUlT_T0_E_clISt17integral_constantIbLb0EESY_EEDaST_SU_EUlST_E_NS1_11comp_targetILNS1_3genE10ELNS1_11target_archE1200ELNS1_3gpuE4ELNS1_3repE0EEENS1_30default_config_static_selectorELNS0_4arch9wavefront6targetE1EEEvT1_ ; -- Begin function _ZN7rocprim17ROCPRIM_400000_NS6detail17trampoline_kernelINS0_14default_configENS1_20scan_config_selectorIN3c104HalfEEEZZNS1_9scan_implILNS1_25lookback_scan_determinismE0ELb0ELb0ES3_PKS6_PS6_S6_ZZZN2at6native31launch_logcumsumexp_cuda_kernelERKNSD_10TensorBaseESH_lENKUlvE_clEvENKUlvE3_clEvEUlS6_S6_E_S6_EEDaPvRmT3_T4_T5_mT6_P12ihipStream_tbENKUlT_T0_E_clISt17integral_constantIbLb0EESY_EEDaST_SU_EUlST_E_NS1_11comp_targetILNS1_3genE10ELNS1_11target_archE1200ELNS1_3gpuE4ELNS1_3repE0EEENS1_30default_config_static_selectorELNS0_4arch9wavefront6targetE1EEEvT1_
	.p2align	8
	.type	_ZN7rocprim17ROCPRIM_400000_NS6detail17trampoline_kernelINS0_14default_configENS1_20scan_config_selectorIN3c104HalfEEEZZNS1_9scan_implILNS1_25lookback_scan_determinismE0ELb0ELb0ES3_PKS6_PS6_S6_ZZZN2at6native31launch_logcumsumexp_cuda_kernelERKNSD_10TensorBaseESH_lENKUlvE_clEvENKUlvE3_clEvEUlS6_S6_E_S6_EEDaPvRmT3_T4_T5_mT6_P12ihipStream_tbENKUlT_T0_E_clISt17integral_constantIbLb0EESY_EEDaST_SU_EUlST_E_NS1_11comp_targetILNS1_3genE10ELNS1_11target_archE1200ELNS1_3gpuE4ELNS1_3repE0EEENS1_30default_config_static_selectorELNS0_4arch9wavefront6targetE1EEEvT1_,@function
_ZN7rocprim17ROCPRIM_400000_NS6detail17trampoline_kernelINS0_14default_configENS1_20scan_config_selectorIN3c104HalfEEEZZNS1_9scan_implILNS1_25lookback_scan_determinismE0ELb0ELb0ES3_PKS6_PS6_S6_ZZZN2at6native31launch_logcumsumexp_cuda_kernelERKNSD_10TensorBaseESH_lENKUlvE_clEvENKUlvE3_clEvEUlS6_S6_E_S6_EEDaPvRmT3_T4_T5_mT6_P12ihipStream_tbENKUlT_T0_E_clISt17integral_constantIbLb0EESY_EEDaST_SU_EUlST_E_NS1_11comp_targetILNS1_3genE10ELNS1_11target_archE1200ELNS1_3gpuE4ELNS1_3repE0EEENS1_30default_config_static_selectorELNS0_4arch9wavefront6targetE1EEEvT1_: ; @_ZN7rocprim17ROCPRIM_400000_NS6detail17trampoline_kernelINS0_14default_configENS1_20scan_config_selectorIN3c104HalfEEEZZNS1_9scan_implILNS1_25lookback_scan_determinismE0ELb0ELb0ES3_PKS6_PS6_S6_ZZZN2at6native31launch_logcumsumexp_cuda_kernelERKNSD_10TensorBaseESH_lENKUlvE_clEvENKUlvE3_clEvEUlS6_S6_E_S6_EEDaPvRmT3_T4_T5_mT6_P12ihipStream_tbENKUlT_T0_E_clISt17integral_constantIbLb0EESY_EEDaST_SU_EUlST_E_NS1_11comp_targetILNS1_3genE10ELNS1_11target_archE1200ELNS1_3gpuE4ELNS1_3repE0EEENS1_30default_config_static_selectorELNS0_4arch9wavefront6targetE1EEEvT1_
; %bb.0:
	.section	.rodata,"a",@progbits
	.p2align	6, 0x0
	.amdhsa_kernel _ZN7rocprim17ROCPRIM_400000_NS6detail17trampoline_kernelINS0_14default_configENS1_20scan_config_selectorIN3c104HalfEEEZZNS1_9scan_implILNS1_25lookback_scan_determinismE0ELb0ELb0ES3_PKS6_PS6_S6_ZZZN2at6native31launch_logcumsumexp_cuda_kernelERKNSD_10TensorBaseESH_lENKUlvE_clEvENKUlvE3_clEvEUlS6_S6_E_S6_EEDaPvRmT3_T4_T5_mT6_P12ihipStream_tbENKUlT_T0_E_clISt17integral_constantIbLb0EESY_EEDaST_SU_EUlST_E_NS1_11comp_targetILNS1_3genE10ELNS1_11target_archE1200ELNS1_3gpuE4ELNS1_3repE0EEENS1_30default_config_static_selectorELNS0_4arch9wavefront6targetE1EEEvT1_
		.amdhsa_group_segment_fixed_size 0
		.amdhsa_private_segment_fixed_size 0
		.amdhsa_kernarg_size 96
		.amdhsa_user_sgpr_count 2
		.amdhsa_user_sgpr_dispatch_ptr 0
		.amdhsa_user_sgpr_queue_ptr 0
		.amdhsa_user_sgpr_kernarg_segment_ptr 1
		.amdhsa_user_sgpr_dispatch_id 0
		.amdhsa_user_sgpr_kernarg_preload_length 0
		.amdhsa_user_sgpr_kernarg_preload_offset 0
		.amdhsa_user_sgpr_private_segment_size 0
		.amdhsa_uses_dynamic_stack 0
		.amdhsa_enable_private_segment 0
		.amdhsa_system_sgpr_workgroup_id_x 1
		.amdhsa_system_sgpr_workgroup_id_y 0
		.amdhsa_system_sgpr_workgroup_id_z 0
		.amdhsa_system_sgpr_workgroup_info 0
		.amdhsa_system_vgpr_workitem_id 0
		.amdhsa_next_free_vgpr 1
		.amdhsa_next_free_sgpr 0
		.amdhsa_accum_offset 4
		.amdhsa_reserve_vcc 0
		.amdhsa_float_round_mode_32 0
		.amdhsa_float_round_mode_16_64 0
		.amdhsa_float_denorm_mode_32 3
		.amdhsa_float_denorm_mode_16_64 3
		.amdhsa_dx10_clamp 1
		.amdhsa_ieee_mode 1
		.amdhsa_fp16_overflow 0
		.amdhsa_tg_split 0
		.amdhsa_exception_fp_ieee_invalid_op 0
		.amdhsa_exception_fp_denorm_src 0
		.amdhsa_exception_fp_ieee_div_zero 0
		.amdhsa_exception_fp_ieee_overflow 0
		.amdhsa_exception_fp_ieee_underflow 0
		.amdhsa_exception_fp_ieee_inexact 0
		.amdhsa_exception_int_div_zero 0
	.end_amdhsa_kernel
	.section	.text._ZN7rocprim17ROCPRIM_400000_NS6detail17trampoline_kernelINS0_14default_configENS1_20scan_config_selectorIN3c104HalfEEEZZNS1_9scan_implILNS1_25lookback_scan_determinismE0ELb0ELb0ES3_PKS6_PS6_S6_ZZZN2at6native31launch_logcumsumexp_cuda_kernelERKNSD_10TensorBaseESH_lENKUlvE_clEvENKUlvE3_clEvEUlS6_S6_E_S6_EEDaPvRmT3_T4_T5_mT6_P12ihipStream_tbENKUlT_T0_E_clISt17integral_constantIbLb0EESY_EEDaST_SU_EUlST_E_NS1_11comp_targetILNS1_3genE10ELNS1_11target_archE1200ELNS1_3gpuE4ELNS1_3repE0EEENS1_30default_config_static_selectorELNS0_4arch9wavefront6targetE1EEEvT1_,"axG",@progbits,_ZN7rocprim17ROCPRIM_400000_NS6detail17trampoline_kernelINS0_14default_configENS1_20scan_config_selectorIN3c104HalfEEEZZNS1_9scan_implILNS1_25lookback_scan_determinismE0ELb0ELb0ES3_PKS6_PS6_S6_ZZZN2at6native31launch_logcumsumexp_cuda_kernelERKNSD_10TensorBaseESH_lENKUlvE_clEvENKUlvE3_clEvEUlS6_S6_E_S6_EEDaPvRmT3_T4_T5_mT6_P12ihipStream_tbENKUlT_T0_E_clISt17integral_constantIbLb0EESY_EEDaST_SU_EUlST_E_NS1_11comp_targetILNS1_3genE10ELNS1_11target_archE1200ELNS1_3gpuE4ELNS1_3repE0EEENS1_30default_config_static_selectorELNS0_4arch9wavefront6targetE1EEEvT1_,comdat
.Lfunc_end357:
	.size	_ZN7rocprim17ROCPRIM_400000_NS6detail17trampoline_kernelINS0_14default_configENS1_20scan_config_selectorIN3c104HalfEEEZZNS1_9scan_implILNS1_25lookback_scan_determinismE0ELb0ELb0ES3_PKS6_PS6_S6_ZZZN2at6native31launch_logcumsumexp_cuda_kernelERKNSD_10TensorBaseESH_lENKUlvE_clEvENKUlvE3_clEvEUlS6_S6_E_S6_EEDaPvRmT3_T4_T5_mT6_P12ihipStream_tbENKUlT_T0_E_clISt17integral_constantIbLb0EESY_EEDaST_SU_EUlST_E_NS1_11comp_targetILNS1_3genE10ELNS1_11target_archE1200ELNS1_3gpuE4ELNS1_3repE0EEENS1_30default_config_static_selectorELNS0_4arch9wavefront6targetE1EEEvT1_, .Lfunc_end357-_ZN7rocprim17ROCPRIM_400000_NS6detail17trampoline_kernelINS0_14default_configENS1_20scan_config_selectorIN3c104HalfEEEZZNS1_9scan_implILNS1_25lookback_scan_determinismE0ELb0ELb0ES3_PKS6_PS6_S6_ZZZN2at6native31launch_logcumsumexp_cuda_kernelERKNSD_10TensorBaseESH_lENKUlvE_clEvENKUlvE3_clEvEUlS6_S6_E_S6_EEDaPvRmT3_T4_T5_mT6_P12ihipStream_tbENKUlT_T0_E_clISt17integral_constantIbLb0EESY_EEDaST_SU_EUlST_E_NS1_11comp_targetILNS1_3genE10ELNS1_11target_archE1200ELNS1_3gpuE4ELNS1_3repE0EEENS1_30default_config_static_selectorELNS0_4arch9wavefront6targetE1EEEvT1_
                                        ; -- End function
	.set _ZN7rocprim17ROCPRIM_400000_NS6detail17trampoline_kernelINS0_14default_configENS1_20scan_config_selectorIN3c104HalfEEEZZNS1_9scan_implILNS1_25lookback_scan_determinismE0ELb0ELb0ES3_PKS6_PS6_S6_ZZZN2at6native31launch_logcumsumexp_cuda_kernelERKNSD_10TensorBaseESH_lENKUlvE_clEvENKUlvE3_clEvEUlS6_S6_E_S6_EEDaPvRmT3_T4_T5_mT6_P12ihipStream_tbENKUlT_T0_E_clISt17integral_constantIbLb0EESY_EEDaST_SU_EUlST_E_NS1_11comp_targetILNS1_3genE10ELNS1_11target_archE1200ELNS1_3gpuE4ELNS1_3repE0EEENS1_30default_config_static_selectorELNS0_4arch9wavefront6targetE1EEEvT1_.num_vgpr, 0
	.set _ZN7rocprim17ROCPRIM_400000_NS6detail17trampoline_kernelINS0_14default_configENS1_20scan_config_selectorIN3c104HalfEEEZZNS1_9scan_implILNS1_25lookback_scan_determinismE0ELb0ELb0ES3_PKS6_PS6_S6_ZZZN2at6native31launch_logcumsumexp_cuda_kernelERKNSD_10TensorBaseESH_lENKUlvE_clEvENKUlvE3_clEvEUlS6_S6_E_S6_EEDaPvRmT3_T4_T5_mT6_P12ihipStream_tbENKUlT_T0_E_clISt17integral_constantIbLb0EESY_EEDaST_SU_EUlST_E_NS1_11comp_targetILNS1_3genE10ELNS1_11target_archE1200ELNS1_3gpuE4ELNS1_3repE0EEENS1_30default_config_static_selectorELNS0_4arch9wavefront6targetE1EEEvT1_.num_agpr, 0
	.set _ZN7rocprim17ROCPRIM_400000_NS6detail17trampoline_kernelINS0_14default_configENS1_20scan_config_selectorIN3c104HalfEEEZZNS1_9scan_implILNS1_25lookback_scan_determinismE0ELb0ELb0ES3_PKS6_PS6_S6_ZZZN2at6native31launch_logcumsumexp_cuda_kernelERKNSD_10TensorBaseESH_lENKUlvE_clEvENKUlvE3_clEvEUlS6_S6_E_S6_EEDaPvRmT3_T4_T5_mT6_P12ihipStream_tbENKUlT_T0_E_clISt17integral_constantIbLb0EESY_EEDaST_SU_EUlST_E_NS1_11comp_targetILNS1_3genE10ELNS1_11target_archE1200ELNS1_3gpuE4ELNS1_3repE0EEENS1_30default_config_static_selectorELNS0_4arch9wavefront6targetE1EEEvT1_.numbered_sgpr, 0
	.set _ZN7rocprim17ROCPRIM_400000_NS6detail17trampoline_kernelINS0_14default_configENS1_20scan_config_selectorIN3c104HalfEEEZZNS1_9scan_implILNS1_25lookback_scan_determinismE0ELb0ELb0ES3_PKS6_PS6_S6_ZZZN2at6native31launch_logcumsumexp_cuda_kernelERKNSD_10TensorBaseESH_lENKUlvE_clEvENKUlvE3_clEvEUlS6_S6_E_S6_EEDaPvRmT3_T4_T5_mT6_P12ihipStream_tbENKUlT_T0_E_clISt17integral_constantIbLb0EESY_EEDaST_SU_EUlST_E_NS1_11comp_targetILNS1_3genE10ELNS1_11target_archE1200ELNS1_3gpuE4ELNS1_3repE0EEENS1_30default_config_static_selectorELNS0_4arch9wavefront6targetE1EEEvT1_.num_named_barrier, 0
	.set _ZN7rocprim17ROCPRIM_400000_NS6detail17trampoline_kernelINS0_14default_configENS1_20scan_config_selectorIN3c104HalfEEEZZNS1_9scan_implILNS1_25lookback_scan_determinismE0ELb0ELb0ES3_PKS6_PS6_S6_ZZZN2at6native31launch_logcumsumexp_cuda_kernelERKNSD_10TensorBaseESH_lENKUlvE_clEvENKUlvE3_clEvEUlS6_S6_E_S6_EEDaPvRmT3_T4_T5_mT6_P12ihipStream_tbENKUlT_T0_E_clISt17integral_constantIbLb0EESY_EEDaST_SU_EUlST_E_NS1_11comp_targetILNS1_3genE10ELNS1_11target_archE1200ELNS1_3gpuE4ELNS1_3repE0EEENS1_30default_config_static_selectorELNS0_4arch9wavefront6targetE1EEEvT1_.private_seg_size, 0
	.set _ZN7rocprim17ROCPRIM_400000_NS6detail17trampoline_kernelINS0_14default_configENS1_20scan_config_selectorIN3c104HalfEEEZZNS1_9scan_implILNS1_25lookback_scan_determinismE0ELb0ELb0ES3_PKS6_PS6_S6_ZZZN2at6native31launch_logcumsumexp_cuda_kernelERKNSD_10TensorBaseESH_lENKUlvE_clEvENKUlvE3_clEvEUlS6_S6_E_S6_EEDaPvRmT3_T4_T5_mT6_P12ihipStream_tbENKUlT_T0_E_clISt17integral_constantIbLb0EESY_EEDaST_SU_EUlST_E_NS1_11comp_targetILNS1_3genE10ELNS1_11target_archE1200ELNS1_3gpuE4ELNS1_3repE0EEENS1_30default_config_static_selectorELNS0_4arch9wavefront6targetE1EEEvT1_.uses_vcc, 0
	.set _ZN7rocprim17ROCPRIM_400000_NS6detail17trampoline_kernelINS0_14default_configENS1_20scan_config_selectorIN3c104HalfEEEZZNS1_9scan_implILNS1_25lookback_scan_determinismE0ELb0ELb0ES3_PKS6_PS6_S6_ZZZN2at6native31launch_logcumsumexp_cuda_kernelERKNSD_10TensorBaseESH_lENKUlvE_clEvENKUlvE3_clEvEUlS6_S6_E_S6_EEDaPvRmT3_T4_T5_mT6_P12ihipStream_tbENKUlT_T0_E_clISt17integral_constantIbLb0EESY_EEDaST_SU_EUlST_E_NS1_11comp_targetILNS1_3genE10ELNS1_11target_archE1200ELNS1_3gpuE4ELNS1_3repE0EEENS1_30default_config_static_selectorELNS0_4arch9wavefront6targetE1EEEvT1_.uses_flat_scratch, 0
	.set _ZN7rocprim17ROCPRIM_400000_NS6detail17trampoline_kernelINS0_14default_configENS1_20scan_config_selectorIN3c104HalfEEEZZNS1_9scan_implILNS1_25lookback_scan_determinismE0ELb0ELb0ES3_PKS6_PS6_S6_ZZZN2at6native31launch_logcumsumexp_cuda_kernelERKNSD_10TensorBaseESH_lENKUlvE_clEvENKUlvE3_clEvEUlS6_S6_E_S6_EEDaPvRmT3_T4_T5_mT6_P12ihipStream_tbENKUlT_T0_E_clISt17integral_constantIbLb0EESY_EEDaST_SU_EUlST_E_NS1_11comp_targetILNS1_3genE10ELNS1_11target_archE1200ELNS1_3gpuE4ELNS1_3repE0EEENS1_30default_config_static_selectorELNS0_4arch9wavefront6targetE1EEEvT1_.has_dyn_sized_stack, 0
	.set _ZN7rocprim17ROCPRIM_400000_NS6detail17trampoline_kernelINS0_14default_configENS1_20scan_config_selectorIN3c104HalfEEEZZNS1_9scan_implILNS1_25lookback_scan_determinismE0ELb0ELb0ES3_PKS6_PS6_S6_ZZZN2at6native31launch_logcumsumexp_cuda_kernelERKNSD_10TensorBaseESH_lENKUlvE_clEvENKUlvE3_clEvEUlS6_S6_E_S6_EEDaPvRmT3_T4_T5_mT6_P12ihipStream_tbENKUlT_T0_E_clISt17integral_constantIbLb0EESY_EEDaST_SU_EUlST_E_NS1_11comp_targetILNS1_3genE10ELNS1_11target_archE1200ELNS1_3gpuE4ELNS1_3repE0EEENS1_30default_config_static_selectorELNS0_4arch9wavefront6targetE1EEEvT1_.has_recursion, 0
	.set _ZN7rocprim17ROCPRIM_400000_NS6detail17trampoline_kernelINS0_14default_configENS1_20scan_config_selectorIN3c104HalfEEEZZNS1_9scan_implILNS1_25lookback_scan_determinismE0ELb0ELb0ES3_PKS6_PS6_S6_ZZZN2at6native31launch_logcumsumexp_cuda_kernelERKNSD_10TensorBaseESH_lENKUlvE_clEvENKUlvE3_clEvEUlS6_S6_E_S6_EEDaPvRmT3_T4_T5_mT6_P12ihipStream_tbENKUlT_T0_E_clISt17integral_constantIbLb0EESY_EEDaST_SU_EUlST_E_NS1_11comp_targetILNS1_3genE10ELNS1_11target_archE1200ELNS1_3gpuE4ELNS1_3repE0EEENS1_30default_config_static_selectorELNS0_4arch9wavefront6targetE1EEEvT1_.has_indirect_call, 0
	.section	.AMDGPU.csdata,"",@progbits
; Kernel info:
; codeLenInByte = 0
; TotalNumSgprs: 6
; NumVgprs: 0
; NumAgprs: 0
; TotalNumVgprs: 0
; ScratchSize: 0
; MemoryBound: 0
; FloatMode: 240
; IeeeMode: 1
; LDSByteSize: 0 bytes/workgroup (compile time only)
; SGPRBlocks: 0
; VGPRBlocks: 0
; NumSGPRsForWavesPerEU: 6
; NumVGPRsForWavesPerEU: 1
; AccumOffset: 4
; Occupancy: 8
; WaveLimiterHint : 0
; COMPUTE_PGM_RSRC2:SCRATCH_EN: 0
; COMPUTE_PGM_RSRC2:USER_SGPR: 2
; COMPUTE_PGM_RSRC2:TRAP_HANDLER: 0
; COMPUTE_PGM_RSRC2:TGID_X_EN: 1
; COMPUTE_PGM_RSRC2:TGID_Y_EN: 0
; COMPUTE_PGM_RSRC2:TGID_Z_EN: 0
; COMPUTE_PGM_RSRC2:TIDIG_COMP_CNT: 0
; COMPUTE_PGM_RSRC3_GFX90A:ACCUM_OFFSET: 0
; COMPUTE_PGM_RSRC3_GFX90A:TG_SPLIT: 0
	.section	.text._ZN7rocprim17ROCPRIM_400000_NS6detail17trampoline_kernelINS0_14default_configENS1_20scan_config_selectorIN3c104HalfEEEZZNS1_9scan_implILNS1_25lookback_scan_determinismE0ELb0ELb0ES3_PKS6_PS6_S6_ZZZN2at6native31launch_logcumsumexp_cuda_kernelERKNSD_10TensorBaseESH_lENKUlvE_clEvENKUlvE3_clEvEUlS6_S6_E_S6_EEDaPvRmT3_T4_T5_mT6_P12ihipStream_tbENKUlT_T0_E_clISt17integral_constantIbLb0EESY_EEDaST_SU_EUlST_E_NS1_11comp_targetILNS1_3genE9ELNS1_11target_archE1100ELNS1_3gpuE3ELNS1_3repE0EEENS1_30default_config_static_selectorELNS0_4arch9wavefront6targetE1EEEvT1_,"axG",@progbits,_ZN7rocprim17ROCPRIM_400000_NS6detail17trampoline_kernelINS0_14default_configENS1_20scan_config_selectorIN3c104HalfEEEZZNS1_9scan_implILNS1_25lookback_scan_determinismE0ELb0ELb0ES3_PKS6_PS6_S6_ZZZN2at6native31launch_logcumsumexp_cuda_kernelERKNSD_10TensorBaseESH_lENKUlvE_clEvENKUlvE3_clEvEUlS6_S6_E_S6_EEDaPvRmT3_T4_T5_mT6_P12ihipStream_tbENKUlT_T0_E_clISt17integral_constantIbLb0EESY_EEDaST_SU_EUlST_E_NS1_11comp_targetILNS1_3genE9ELNS1_11target_archE1100ELNS1_3gpuE3ELNS1_3repE0EEENS1_30default_config_static_selectorELNS0_4arch9wavefront6targetE1EEEvT1_,comdat
	.globl	_ZN7rocprim17ROCPRIM_400000_NS6detail17trampoline_kernelINS0_14default_configENS1_20scan_config_selectorIN3c104HalfEEEZZNS1_9scan_implILNS1_25lookback_scan_determinismE0ELb0ELb0ES3_PKS6_PS6_S6_ZZZN2at6native31launch_logcumsumexp_cuda_kernelERKNSD_10TensorBaseESH_lENKUlvE_clEvENKUlvE3_clEvEUlS6_S6_E_S6_EEDaPvRmT3_T4_T5_mT6_P12ihipStream_tbENKUlT_T0_E_clISt17integral_constantIbLb0EESY_EEDaST_SU_EUlST_E_NS1_11comp_targetILNS1_3genE9ELNS1_11target_archE1100ELNS1_3gpuE3ELNS1_3repE0EEENS1_30default_config_static_selectorELNS0_4arch9wavefront6targetE1EEEvT1_ ; -- Begin function _ZN7rocprim17ROCPRIM_400000_NS6detail17trampoline_kernelINS0_14default_configENS1_20scan_config_selectorIN3c104HalfEEEZZNS1_9scan_implILNS1_25lookback_scan_determinismE0ELb0ELb0ES3_PKS6_PS6_S6_ZZZN2at6native31launch_logcumsumexp_cuda_kernelERKNSD_10TensorBaseESH_lENKUlvE_clEvENKUlvE3_clEvEUlS6_S6_E_S6_EEDaPvRmT3_T4_T5_mT6_P12ihipStream_tbENKUlT_T0_E_clISt17integral_constantIbLb0EESY_EEDaST_SU_EUlST_E_NS1_11comp_targetILNS1_3genE9ELNS1_11target_archE1100ELNS1_3gpuE3ELNS1_3repE0EEENS1_30default_config_static_selectorELNS0_4arch9wavefront6targetE1EEEvT1_
	.p2align	8
	.type	_ZN7rocprim17ROCPRIM_400000_NS6detail17trampoline_kernelINS0_14default_configENS1_20scan_config_selectorIN3c104HalfEEEZZNS1_9scan_implILNS1_25lookback_scan_determinismE0ELb0ELb0ES3_PKS6_PS6_S6_ZZZN2at6native31launch_logcumsumexp_cuda_kernelERKNSD_10TensorBaseESH_lENKUlvE_clEvENKUlvE3_clEvEUlS6_S6_E_S6_EEDaPvRmT3_T4_T5_mT6_P12ihipStream_tbENKUlT_T0_E_clISt17integral_constantIbLb0EESY_EEDaST_SU_EUlST_E_NS1_11comp_targetILNS1_3genE9ELNS1_11target_archE1100ELNS1_3gpuE3ELNS1_3repE0EEENS1_30default_config_static_selectorELNS0_4arch9wavefront6targetE1EEEvT1_,@function
_ZN7rocprim17ROCPRIM_400000_NS6detail17trampoline_kernelINS0_14default_configENS1_20scan_config_selectorIN3c104HalfEEEZZNS1_9scan_implILNS1_25lookback_scan_determinismE0ELb0ELb0ES3_PKS6_PS6_S6_ZZZN2at6native31launch_logcumsumexp_cuda_kernelERKNSD_10TensorBaseESH_lENKUlvE_clEvENKUlvE3_clEvEUlS6_S6_E_S6_EEDaPvRmT3_T4_T5_mT6_P12ihipStream_tbENKUlT_T0_E_clISt17integral_constantIbLb0EESY_EEDaST_SU_EUlST_E_NS1_11comp_targetILNS1_3genE9ELNS1_11target_archE1100ELNS1_3gpuE3ELNS1_3repE0EEENS1_30default_config_static_selectorELNS0_4arch9wavefront6targetE1EEEvT1_: ; @_ZN7rocprim17ROCPRIM_400000_NS6detail17trampoline_kernelINS0_14default_configENS1_20scan_config_selectorIN3c104HalfEEEZZNS1_9scan_implILNS1_25lookback_scan_determinismE0ELb0ELb0ES3_PKS6_PS6_S6_ZZZN2at6native31launch_logcumsumexp_cuda_kernelERKNSD_10TensorBaseESH_lENKUlvE_clEvENKUlvE3_clEvEUlS6_S6_E_S6_EEDaPvRmT3_T4_T5_mT6_P12ihipStream_tbENKUlT_T0_E_clISt17integral_constantIbLb0EESY_EEDaST_SU_EUlST_E_NS1_11comp_targetILNS1_3genE9ELNS1_11target_archE1100ELNS1_3gpuE3ELNS1_3repE0EEENS1_30default_config_static_selectorELNS0_4arch9wavefront6targetE1EEEvT1_
; %bb.0:
	.section	.rodata,"a",@progbits
	.p2align	6, 0x0
	.amdhsa_kernel _ZN7rocprim17ROCPRIM_400000_NS6detail17trampoline_kernelINS0_14default_configENS1_20scan_config_selectorIN3c104HalfEEEZZNS1_9scan_implILNS1_25lookback_scan_determinismE0ELb0ELb0ES3_PKS6_PS6_S6_ZZZN2at6native31launch_logcumsumexp_cuda_kernelERKNSD_10TensorBaseESH_lENKUlvE_clEvENKUlvE3_clEvEUlS6_S6_E_S6_EEDaPvRmT3_T4_T5_mT6_P12ihipStream_tbENKUlT_T0_E_clISt17integral_constantIbLb0EESY_EEDaST_SU_EUlST_E_NS1_11comp_targetILNS1_3genE9ELNS1_11target_archE1100ELNS1_3gpuE3ELNS1_3repE0EEENS1_30default_config_static_selectorELNS0_4arch9wavefront6targetE1EEEvT1_
		.amdhsa_group_segment_fixed_size 0
		.amdhsa_private_segment_fixed_size 0
		.amdhsa_kernarg_size 96
		.amdhsa_user_sgpr_count 2
		.amdhsa_user_sgpr_dispatch_ptr 0
		.amdhsa_user_sgpr_queue_ptr 0
		.amdhsa_user_sgpr_kernarg_segment_ptr 1
		.amdhsa_user_sgpr_dispatch_id 0
		.amdhsa_user_sgpr_kernarg_preload_length 0
		.amdhsa_user_sgpr_kernarg_preload_offset 0
		.amdhsa_user_sgpr_private_segment_size 0
		.amdhsa_uses_dynamic_stack 0
		.amdhsa_enable_private_segment 0
		.amdhsa_system_sgpr_workgroup_id_x 1
		.amdhsa_system_sgpr_workgroup_id_y 0
		.amdhsa_system_sgpr_workgroup_id_z 0
		.amdhsa_system_sgpr_workgroup_info 0
		.amdhsa_system_vgpr_workitem_id 0
		.amdhsa_next_free_vgpr 1
		.amdhsa_next_free_sgpr 0
		.amdhsa_accum_offset 4
		.amdhsa_reserve_vcc 0
		.amdhsa_float_round_mode_32 0
		.amdhsa_float_round_mode_16_64 0
		.amdhsa_float_denorm_mode_32 3
		.amdhsa_float_denorm_mode_16_64 3
		.amdhsa_dx10_clamp 1
		.amdhsa_ieee_mode 1
		.amdhsa_fp16_overflow 0
		.amdhsa_tg_split 0
		.amdhsa_exception_fp_ieee_invalid_op 0
		.amdhsa_exception_fp_denorm_src 0
		.amdhsa_exception_fp_ieee_div_zero 0
		.amdhsa_exception_fp_ieee_overflow 0
		.amdhsa_exception_fp_ieee_underflow 0
		.amdhsa_exception_fp_ieee_inexact 0
		.amdhsa_exception_int_div_zero 0
	.end_amdhsa_kernel
	.section	.text._ZN7rocprim17ROCPRIM_400000_NS6detail17trampoline_kernelINS0_14default_configENS1_20scan_config_selectorIN3c104HalfEEEZZNS1_9scan_implILNS1_25lookback_scan_determinismE0ELb0ELb0ES3_PKS6_PS6_S6_ZZZN2at6native31launch_logcumsumexp_cuda_kernelERKNSD_10TensorBaseESH_lENKUlvE_clEvENKUlvE3_clEvEUlS6_S6_E_S6_EEDaPvRmT3_T4_T5_mT6_P12ihipStream_tbENKUlT_T0_E_clISt17integral_constantIbLb0EESY_EEDaST_SU_EUlST_E_NS1_11comp_targetILNS1_3genE9ELNS1_11target_archE1100ELNS1_3gpuE3ELNS1_3repE0EEENS1_30default_config_static_selectorELNS0_4arch9wavefront6targetE1EEEvT1_,"axG",@progbits,_ZN7rocprim17ROCPRIM_400000_NS6detail17trampoline_kernelINS0_14default_configENS1_20scan_config_selectorIN3c104HalfEEEZZNS1_9scan_implILNS1_25lookback_scan_determinismE0ELb0ELb0ES3_PKS6_PS6_S6_ZZZN2at6native31launch_logcumsumexp_cuda_kernelERKNSD_10TensorBaseESH_lENKUlvE_clEvENKUlvE3_clEvEUlS6_S6_E_S6_EEDaPvRmT3_T4_T5_mT6_P12ihipStream_tbENKUlT_T0_E_clISt17integral_constantIbLb0EESY_EEDaST_SU_EUlST_E_NS1_11comp_targetILNS1_3genE9ELNS1_11target_archE1100ELNS1_3gpuE3ELNS1_3repE0EEENS1_30default_config_static_selectorELNS0_4arch9wavefront6targetE1EEEvT1_,comdat
.Lfunc_end358:
	.size	_ZN7rocprim17ROCPRIM_400000_NS6detail17trampoline_kernelINS0_14default_configENS1_20scan_config_selectorIN3c104HalfEEEZZNS1_9scan_implILNS1_25lookback_scan_determinismE0ELb0ELb0ES3_PKS6_PS6_S6_ZZZN2at6native31launch_logcumsumexp_cuda_kernelERKNSD_10TensorBaseESH_lENKUlvE_clEvENKUlvE3_clEvEUlS6_S6_E_S6_EEDaPvRmT3_T4_T5_mT6_P12ihipStream_tbENKUlT_T0_E_clISt17integral_constantIbLb0EESY_EEDaST_SU_EUlST_E_NS1_11comp_targetILNS1_3genE9ELNS1_11target_archE1100ELNS1_3gpuE3ELNS1_3repE0EEENS1_30default_config_static_selectorELNS0_4arch9wavefront6targetE1EEEvT1_, .Lfunc_end358-_ZN7rocprim17ROCPRIM_400000_NS6detail17trampoline_kernelINS0_14default_configENS1_20scan_config_selectorIN3c104HalfEEEZZNS1_9scan_implILNS1_25lookback_scan_determinismE0ELb0ELb0ES3_PKS6_PS6_S6_ZZZN2at6native31launch_logcumsumexp_cuda_kernelERKNSD_10TensorBaseESH_lENKUlvE_clEvENKUlvE3_clEvEUlS6_S6_E_S6_EEDaPvRmT3_T4_T5_mT6_P12ihipStream_tbENKUlT_T0_E_clISt17integral_constantIbLb0EESY_EEDaST_SU_EUlST_E_NS1_11comp_targetILNS1_3genE9ELNS1_11target_archE1100ELNS1_3gpuE3ELNS1_3repE0EEENS1_30default_config_static_selectorELNS0_4arch9wavefront6targetE1EEEvT1_
                                        ; -- End function
	.set _ZN7rocprim17ROCPRIM_400000_NS6detail17trampoline_kernelINS0_14default_configENS1_20scan_config_selectorIN3c104HalfEEEZZNS1_9scan_implILNS1_25lookback_scan_determinismE0ELb0ELb0ES3_PKS6_PS6_S6_ZZZN2at6native31launch_logcumsumexp_cuda_kernelERKNSD_10TensorBaseESH_lENKUlvE_clEvENKUlvE3_clEvEUlS6_S6_E_S6_EEDaPvRmT3_T4_T5_mT6_P12ihipStream_tbENKUlT_T0_E_clISt17integral_constantIbLb0EESY_EEDaST_SU_EUlST_E_NS1_11comp_targetILNS1_3genE9ELNS1_11target_archE1100ELNS1_3gpuE3ELNS1_3repE0EEENS1_30default_config_static_selectorELNS0_4arch9wavefront6targetE1EEEvT1_.num_vgpr, 0
	.set _ZN7rocprim17ROCPRIM_400000_NS6detail17trampoline_kernelINS0_14default_configENS1_20scan_config_selectorIN3c104HalfEEEZZNS1_9scan_implILNS1_25lookback_scan_determinismE0ELb0ELb0ES3_PKS6_PS6_S6_ZZZN2at6native31launch_logcumsumexp_cuda_kernelERKNSD_10TensorBaseESH_lENKUlvE_clEvENKUlvE3_clEvEUlS6_S6_E_S6_EEDaPvRmT3_T4_T5_mT6_P12ihipStream_tbENKUlT_T0_E_clISt17integral_constantIbLb0EESY_EEDaST_SU_EUlST_E_NS1_11comp_targetILNS1_3genE9ELNS1_11target_archE1100ELNS1_3gpuE3ELNS1_3repE0EEENS1_30default_config_static_selectorELNS0_4arch9wavefront6targetE1EEEvT1_.num_agpr, 0
	.set _ZN7rocprim17ROCPRIM_400000_NS6detail17trampoline_kernelINS0_14default_configENS1_20scan_config_selectorIN3c104HalfEEEZZNS1_9scan_implILNS1_25lookback_scan_determinismE0ELb0ELb0ES3_PKS6_PS6_S6_ZZZN2at6native31launch_logcumsumexp_cuda_kernelERKNSD_10TensorBaseESH_lENKUlvE_clEvENKUlvE3_clEvEUlS6_S6_E_S6_EEDaPvRmT3_T4_T5_mT6_P12ihipStream_tbENKUlT_T0_E_clISt17integral_constantIbLb0EESY_EEDaST_SU_EUlST_E_NS1_11comp_targetILNS1_3genE9ELNS1_11target_archE1100ELNS1_3gpuE3ELNS1_3repE0EEENS1_30default_config_static_selectorELNS0_4arch9wavefront6targetE1EEEvT1_.numbered_sgpr, 0
	.set _ZN7rocprim17ROCPRIM_400000_NS6detail17trampoline_kernelINS0_14default_configENS1_20scan_config_selectorIN3c104HalfEEEZZNS1_9scan_implILNS1_25lookback_scan_determinismE0ELb0ELb0ES3_PKS6_PS6_S6_ZZZN2at6native31launch_logcumsumexp_cuda_kernelERKNSD_10TensorBaseESH_lENKUlvE_clEvENKUlvE3_clEvEUlS6_S6_E_S6_EEDaPvRmT3_T4_T5_mT6_P12ihipStream_tbENKUlT_T0_E_clISt17integral_constantIbLb0EESY_EEDaST_SU_EUlST_E_NS1_11comp_targetILNS1_3genE9ELNS1_11target_archE1100ELNS1_3gpuE3ELNS1_3repE0EEENS1_30default_config_static_selectorELNS0_4arch9wavefront6targetE1EEEvT1_.num_named_barrier, 0
	.set _ZN7rocprim17ROCPRIM_400000_NS6detail17trampoline_kernelINS0_14default_configENS1_20scan_config_selectorIN3c104HalfEEEZZNS1_9scan_implILNS1_25lookback_scan_determinismE0ELb0ELb0ES3_PKS6_PS6_S6_ZZZN2at6native31launch_logcumsumexp_cuda_kernelERKNSD_10TensorBaseESH_lENKUlvE_clEvENKUlvE3_clEvEUlS6_S6_E_S6_EEDaPvRmT3_T4_T5_mT6_P12ihipStream_tbENKUlT_T0_E_clISt17integral_constantIbLb0EESY_EEDaST_SU_EUlST_E_NS1_11comp_targetILNS1_3genE9ELNS1_11target_archE1100ELNS1_3gpuE3ELNS1_3repE0EEENS1_30default_config_static_selectorELNS0_4arch9wavefront6targetE1EEEvT1_.private_seg_size, 0
	.set _ZN7rocprim17ROCPRIM_400000_NS6detail17trampoline_kernelINS0_14default_configENS1_20scan_config_selectorIN3c104HalfEEEZZNS1_9scan_implILNS1_25lookback_scan_determinismE0ELb0ELb0ES3_PKS6_PS6_S6_ZZZN2at6native31launch_logcumsumexp_cuda_kernelERKNSD_10TensorBaseESH_lENKUlvE_clEvENKUlvE3_clEvEUlS6_S6_E_S6_EEDaPvRmT3_T4_T5_mT6_P12ihipStream_tbENKUlT_T0_E_clISt17integral_constantIbLb0EESY_EEDaST_SU_EUlST_E_NS1_11comp_targetILNS1_3genE9ELNS1_11target_archE1100ELNS1_3gpuE3ELNS1_3repE0EEENS1_30default_config_static_selectorELNS0_4arch9wavefront6targetE1EEEvT1_.uses_vcc, 0
	.set _ZN7rocprim17ROCPRIM_400000_NS6detail17trampoline_kernelINS0_14default_configENS1_20scan_config_selectorIN3c104HalfEEEZZNS1_9scan_implILNS1_25lookback_scan_determinismE0ELb0ELb0ES3_PKS6_PS6_S6_ZZZN2at6native31launch_logcumsumexp_cuda_kernelERKNSD_10TensorBaseESH_lENKUlvE_clEvENKUlvE3_clEvEUlS6_S6_E_S6_EEDaPvRmT3_T4_T5_mT6_P12ihipStream_tbENKUlT_T0_E_clISt17integral_constantIbLb0EESY_EEDaST_SU_EUlST_E_NS1_11comp_targetILNS1_3genE9ELNS1_11target_archE1100ELNS1_3gpuE3ELNS1_3repE0EEENS1_30default_config_static_selectorELNS0_4arch9wavefront6targetE1EEEvT1_.uses_flat_scratch, 0
	.set _ZN7rocprim17ROCPRIM_400000_NS6detail17trampoline_kernelINS0_14default_configENS1_20scan_config_selectorIN3c104HalfEEEZZNS1_9scan_implILNS1_25lookback_scan_determinismE0ELb0ELb0ES3_PKS6_PS6_S6_ZZZN2at6native31launch_logcumsumexp_cuda_kernelERKNSD_10TensorBaseESH_lENKUlvE_clEvENKUlvE3_clEvEUlS6_S6_E_S6_EEDaPvRmT3_T4_T5_mT6_P12ihipStream_tbENKUlT_T0_E_clISt17integral_constantIbLb0EESY_EEDaST_SU_EUlST_E_NS1_11comp_targetILNS1_3genE9ELNS1_11target_archE1100ELNS1_3gpuE3ELNS1_3repE0EEENS1_30default_config_static_selectorELNS0_4arch9wavefront6targetE1EEEvT1_.has_dyn_sized_stack, 0
	.set _ZN7rocprim17ROCPRIM_400000_NS6detail17trampoline_kernelINS0_14default_configENS1_20scan_config_selectorIN3c104HalfEEEZZNS1_9scan_implILNS1_25lookback_scan_determinismE0ELb0ELb0ES3_PKS6_PS6_S6_ZZZN2at6native31launch_logcumsumexp_cuda_kernelERKNSD_10TensorBaseESH_lENKUlvE_clEvENKUlvE3_clEvEUlS6_S6_E_S6_EEDaPvRmT3_T4_T5_mT6_P12ihipStream_tbENKUlT_T0_E_clISt17integral_constantIbLb0EESY_EEDaST_SU_EUlST_E_NS1_11comp_targetILNS1_3genE9ELNS1_11target_archE1100ELNS1_3gpuE3ELNS1_3repE0EEENS1_30default_config_static_selectorELNS0_4arch9wavefront6targetE1EEEvT1_.has_recursion, 0
	.set _ZN7rocprim17ROCPRIM_400000_NS6detail17trampoline_kernelINS0_14default_configENS1_20scan_config_selectorIN3c104HalfEEEZZNS1_9scan_implILNS1_25lookback_scan_determinismE0ELb0ELb0ES3_PKS6_PS6_S6_ZZZN2at6native31launch_logcumsumexp_cuda_kernelERKNSD_10TensorBaseESH_lENKUlvE_clEvENKUlvE3_clEvEUlS6_S6_E_S6_EEDaPvRmT3_T4_T5_mT6_P12ihipStream_tbENKUlT_T0_E_clISt17integral_constantIbLb0EESY_EEDaST_SU_EUlST_E_NS1_11comp_targetILNS1_3genE9ELNS1_11target_archE1100ELNS1_3gpuE3ELNS1_3repE0EEENS1_30default_config_static_selectorELNS0_4arch9wavefront6targetE1EEEvT1_.has_indirect_call, 0
	.section	.AMDGPU.csdata,"",@progbits
; Kernel info:
; codeLenInByte = 0
; TotalNumSgprs: 6
; NumVgprs: 0
; NumAgprs: 0
; TotalNumVgprs: 0
; ScratchSize: 0
; MemoryBound: 0
; FloatMode: 240
; IeeeMode: 1
; LDSByteSize: 0 bytes/workgroup (compile time only)
; SGPRBlocks: 0
; VGPRBlocks: 0
; NumSGPRsForWavesPerEU: 6
; NumVGPRsForWavesPerEU: 1
; AccumOffset: 4
; Occupancy: 8
; WaveLimiterHint : 0
; COMPUTE_PGM_RSRC2:SCRATCH_EN: 0
; COMPUTE_PGM_RSRC2:USER_SGPR: 2
; COMPUTE_PGM_RSRC2:TRAP_HANDLER: 0
; COMPUTE_PGM_RSRC2:TGID_X_EN: 1
; COMPUTE_PGM_RSRC2:TGID_Y_EN: 0
; COMPUTE_PGM_RSRC2:TGID_Z_EN: 0
; COMPUTE_PGM_RSRC2:TIDIG_COMP_CNT: 0
; COMPUTE_PGM_RSRC3_GFX90A:ACCUM_OFFSET: 0
; COMPUTE_PGM_RSRC3_GFX90A:TG_SPLIT: 0
	.section	.text._ZN7rocprim17ROCPRIM_400000_NS6detail17trampoline_kernelINS0_14default_configENS1_20scan_config_selectorIN3c104HalfEEEZZNS1_9scan_implILNS1_25lookback_scan_determinismE0ELb0ELb0ES3_PKS6_PS6_S6_ZZZN2at6native31launch_logcumsumexp_cuda_kernelERKNSD_10TensorBaseESH_lENKUlvE_clEvENKUlvE3_clEvEUlS6_S6_E_S6_EEDaPvRmT3_T4_T5_mT6_P12ihipStream_tbENKUlT_T0_E_clISt17integral_constantIbLb0EESY_EEDaST_SU_EUlST_E_NS1_11comp_targetILNS1_3genE8ELNS1_11target_archE1030ELNS1_3gpuE2ELNS1_3repE0EEENS1_30default_config_static_selectorELNS0_4arch9wavefront6targetE1EEEvT1_,"axG",@progbits,_ZN7rocprim17ROCPRIM_400000_NS6detail17trampoline_kernelINS0_14default_configENS1_20scan_config_selectorIN3c104HalfEEEZZNS1_9scan_implILNS1_25lookback_scan_determinismE0ELb0ELb0ES3_PKS6_PS6_S6_ZZZN2at6native31launch_logcumsumexp_cuda_kernelERKNSD_10TensorBaseESH_lENKUlvE_clEvENKUlvE3_clEvEUlS6_S6_E_S6_EEDaPvRmT3_T4_T5_mT6_P12ihipStream_tbENKUlT_T0_E_clISt17integral_constantIbLb0EESY_EEDaST_SU_EUlST_E_NS1_11comp_targetILNS1_3genE8ELNS1_11target_archE1030ELNS1_3gpuE2ELNS1_3repE0EEENS1_30default_config_static_selectorELNS0_4arch9wavefront6targetE1EEEvT1_,comdat
	.globl	_ZN7rocprim17ROCPRIM_400000_NS6detail17trampoline_kernelINS0_14default_configENS1_20scan_config_selectorIN3c104HalfEEEZZNS1_9scan_implILNS1_25lookback_scan_determinismE0ELb0ELb0ES3_PKS6_PS6_S6_ZZZN2at6native31launch_logcumsumexp_cuda_kernelERKNSD_10TensorBaseESH_lENKUlvE_clEvENKUlvE3_clEvEUlS6_S6_E_S6_EEDaPvRmT3_T4_T5_mT6_P12ihipStream_tbENKUlT_T0_E_clISt17integral_constantIbLb0EESY_EEDaST_SU_EUlST_E_NS1_11comp_targetILNS1_3genE8ELNS1_11target_archE1030ELNS1_3gpuE2ELNS1_3repE0EEENS1_30default_config_static_selectorELNS0_4arch9wavefront6targetE1EEEvT1_ ; -- Begin function _ZN7rocprim17ROCPRIM_400000_NS6detail17trampoline_kernelINS0_14default_configENS1_20scan_config_selectorIN3c104HalfEEEZZNS1_9scan_implILNS1_25lookback_scan_determinismE0ELb0ELb0ES3_PKS6_PS6_S6_ZZZN2at6native31launch_logcumsumexp_cuda_kernelERKNSD_10TensorBaseESH_lENKUlvE_clEvENKUlvE3_clEvEUlS6_S6_E_S6_EEDaPvRmT3_T4_T5_mT6_P12ihipStream_tbENKUlT_T0_E_clISt17integral_constantIbLb0EESY_EEDaST_SU_EUlST_E_NS1_11comp_targetILNS1_3genE8ELNS1_11target_archE1030ELNS1_3gpuE2ELNS1_3repE0EEENS1_30default_config_static_selectorELNS0_4arch9wavefront6targetE1EEEvT1_
	.p2align	8
	.type	_ZN7rocprim17ROCPRIM_400000_NS6detail17trampoline_kernelINS0_14default_configENS1_20scan_config_selectorIN3c104HalfEEEZZNS1_9scan_implILNS1_25lookback_scan_determinismE0ELb0ELb0ES3_PKS6_PS6_S6_ZZZN2at6native31launch_logcumsumexp_cuda_kernelERKNSD_10TensorBaseESH_lENKUlvE_clEvENKUlvE3_clEvEUlS6_S6_E_S6_EEDaPvRmT3_T4_T5_mT6_P12ihipStream_tbENKUlT_T0_E_clISt17integral_constantIbLb0EESY_EEDaST_SU_EUlST_E_NS1_11comp_targetILNS1_3genE8ELNS1_11target_archE1030ELNS1_3gpuE2ELNS1_3repE0EEENS1_30default_config_static_selectorELNS0_4arch9wavefront6targetE1EEEvT1_,@function
_ZN7rocprim17ROCPRIM_400000_NS6detail17trampoline_kernelINS0_14default_configENS1_20scan_config_selectorIN3c104HalfEEEZZNS1_9scan_implILNS1_25lookback_scan_determinismE0ELb0ELb0ES3_PKS6_PS6_S6_ZZZN2at6native31launch_logcumsumexp_cuda_kernelERKNSD_10TensorBaseESH_lENKUlvE_clEvENKUlvE3_clEvEUlS6_S6_E_S6_EEDaPvRmT3_T4_T5_mT6_P12ihipStream_tbENKUlT_T0_E_clISt17integral_constantIbLb0EESY_EEDaST_SU_EUlST_E_NS1_11comp_targetILNS1_3genE8ELNS1_11target_archE1030ELNS1_3gpuE2ELNS1_3repE0EEENS1_30default_config_static_selectorELNS0_4arch9wavefront6targetE1EEEvT1_: ; @_ZN7rocprim17ROCPRIM_400000_NS6detail17trampoline_kernelINS0_14default_configENS1_20scan_config_selectorIN3c104HalfEEEZZNS1_9scan_implILNS1_25lookback_scan_determinismE0ELb0ELb0ES3_PKS6_PS6_S6_ZZZN2at6native31launch_logcumsumexp_cuda_kernelERKNSD_10TensorBaseESH_lENKUlvE_clEvENKUlvE3_clEvEUlS6_S6_E_S6_EEDaPvRmT3_T4_T5_mT6_P12ihipStream_tbENKUlT_T0_E_clISt17integral_constantIbLb0EESY_EEDaST_SU_EUlST_E_NS1_11comp_targetILNS1_3genE8ELNS1_11target_archE1030ELNS1_3gpuE2ELNS1_3repE0EEENS1_30default_config_static_selectorELNS0_4arch9wavefront6targetE1EEEvT1_
; %bb.0:
	.section	.rodata,"a",@progbits
	.p2align	6, 0x0
	.amdhsa_kernel _ZN7rocprim17ROCPRIM_400000_NS6detail17trampoline_kernelINS0_14default_configENS1_20scan_config_selectorIN3c104HalfEEEZZNS1_9scan_implILNS1_25lookback_scan_determinismE0ELb0ELb0ES3_PKS6_PS6_S6_ZZZN2at6native31launch_logcumsumexp_cuda_kernelERKNSD_10TensorBaseESH_lENKUlvE_clEvENKUlvE3_clEvEUlS6_S6_E_S6_EEDaPvRmT3_T4_T5_mT6_P12ihipStream_tbENKUlT_T0_E_clISt17integral_constantIbLb0EESY_EEDaST_SU_EUlST_E_NS1_11comp_targetILNS1_3genE8ELNS1_11target_archE1030ELNS1_3gpuE2ELNS1_3repE0EEENS1_30default_config_static_selectorELNS0_4arch9wavefront6targetE1EEEvT1_
		.amdhsa_group_segment_fixed_size 0
		.amdhsa_private_segment_fixed_size 0
		.amdhsa_kernarg_size 96
		.amdhsa_user_sgpr_count 2
		.amdhsa_user_sgpr_dispatch_ptr 0
		.amdhsa_user_sgpr_queue_ptr 0
		.amdhsa_user_sgpr_kernarg_segment_ptr 1
		.amdhsa_user_sgpr_dispatch_id 0
		.amdhsa_user_sgpr_kernarg_preload_length 0
		.amdhsa_user_sgpr_kernarg_preload_offset 0
		.amdhsa_user_sgpr_private_segment_size 0
		.amdhsa_uses_dynamic_stack 0
		.amdhsa_enable_private_segment 0
		.amdhsa_system_sgpr_workgroup_id_x 1
		.amdhsa_system_sgpr_workgroup_id_y 0
		.amdhsa_system_sgpr_workgroup_id_z 0
		.amdhsa_system_sgpr_workgroup_info 0
		.amdhsa_system_vgpr_workitem_id 0
		.amdhsa_next_free_vgpr 1
		.amdhsa_next_free_sgpr 0
		.amdhsa_accum_offset 4
		.amdhsa_reserve_vcc 0
		.amdhsa_float_round_mode_32 0
		.amdhsa_float_round_mode_16_64 0
		.amdhsa_float_denorm_mode_32 3
		.amdhsa_float_denorm_mode_16_64 3
		.amdhsa_dx10_clamp 1
		.amdhsa_ieee_mode 1
		.amdhsa_fp16_overflow 0
		.amdhsa_tg_split 0
		.amdhsa_exception_fp_ieee_invalid_op 0
		.amdhsa_exception_fp_denorm_src 0
		.amdhsa_exception_fp_ieee_div_zero 0
		.amdhsa_exception_fp_ieee_overflow 0
		.amdhsa_exception_fp_ieee_underflow 0
		.amdhsa_exception_fp_ieee_inexact 0
		.amdhsa_exception_int_div_zero 0
	.end_amdhsa_kernel
	.section	.text._ZN7rocprim17ROCPRIM_400000_NS6detail17trampoline_kernelINS0_14default_configENS1_20scan_config_selectorIN3c104HalfEEEZZNS1_9scan_implILNS1_25lookback_scan_determinismE0ELb0ELb0ES3_PKS6_PS6_S6_ZZZN2at6native31launch_logcumsumexp_cuda_kernelERKNSD_10TensorBaseESH_lENKUlvE_clEvENKUlvE3_clEvEUlS6_S6_E_S6_EEDaPvRmT3_T4_T5_mT6_P12ihipStream_tbENKUlT_T0_E_clISt17integral_constantIbLb0EESY_EEDaST_SU_EUlST_E_NS1_11comp_targetILNS1_3genE8ELNS1_11target_archE1030ELNS1_3gpuE2ELNS1_3repE0EEENS1_30default_config_static_selectorELNS0_4arch9wavefront6targetE1EEEvT1_,"axG",@progbits,_ZN7rocprim17ROCPRIM_400000_NS6detail17trampoline_kernelINS0_14default_configENS1_20scan_config_selectorIN3c104HalfEEEZZNS1_9scan_implILNS1_25lookback_scan_determinismE0ELb0ELb0ES3_PKS6_PS6_S6_ZZZN2at6native31launch_logcumsumexp_cuda_kernelERKNSD_10TensorBaseESH_lENKUlvE_clEvENKUlvE3_clEvEUlS6_S6_E_S6_EEDaPvRmT3_T4_T5_mT6_P12ihipStream_tbENKUlT_T0_E_clISt17integral_constantIbLb0EESY_EEDaST_SU_EUlST_E_NS1_11comp_targetILNS1_3genE8ELNS1_11target_archE1030ELNS1_3gpuE2ELNS1_3repE0EEENS1_30default_config_static_selectorELNS0_4arch9wavefront6targetE1EEEvT1_,comdat
.Lfunc_end359:
	.size	_ZN7rocprim17ROCPRIM_400000_NS6detail17trampoline_kernelINS0_14default_configENS1_20scan_config_selectorIN3c104HalfEEEZZNS1_9scan_implILNS1_25lookback_scan_determinismE0ELb0ELb0ES3_PKS6_PS6_S6_ZZZN2at6native31launch_logcumsumexp_cuda_kernelERKNSD_10TensorBaseESH_lENKUlvE_clEvENKUlvE3_clEvEUlS6_S6_E_S6_EEDaPvRmT3_T4_T5_mT6_P12ihipStream_tbENKUlT_T0_E_clISt17integral_constantIbLb0EESY_EEDaST_SU_EUlST_E_NS1_11comp_targetILNS1_3genE8ELNS1_11target_archE1030ELNS1_3gpuE2ELNS1_3repE0EEENS1_30default_config_static_selectorELNS0_4arch9wavefront6targetE1EEEvT1_, .Lfunc_end359-_ZN7rocprim17ROCPRIM_400000_NS6detail17trampoline_kernelINS0_14default_configENS1_20scan_config_selectorIN3c104HalfEEEZZNS1_9scan_implILNS1_25lookback_scan_determinismE0ELb0ELb0ES3_PKS6_PS6_S6_ZZZN2at6native31launch_logcumsumexp_cuda_kernelERKNSD_10TensorBaseESH_lENKUlvE_clEvENKUlvE3_clEvEUlS6_S6_E_S6_EEDaPvRmT3_T4_T5_mT6_P12ihipStream_tbENKUlT_T0_E_clISt17integral_constantIbLb0EESY_EEDaST_SU_EUlST_E_NS1_11comp_targetILNS1_3genE8ELNS1_11target_archE1030ELNS1_3gpuE2ELNS1_3repE0EEENS1_30default_config_static_selectorELNS0_4arch9wavefront6targetE1EEEvT1_
                                        ; -- End function
	.set _ZN7rocprim17ROCPRIM_400000_NS6detail17trampoline_kernelINS0_14default_configENS1_20scan_config_selectorIN3c104HalfEEEZZNS1_9scan_implILNS1_25lookback_scan_determinismE0ELb0ELb0ES3_PKS6_PS6_S6_ZZZN2at6native31launch_logcumsumexp_cuda_kernelERKNSD_10TensorBaseESH_lENKUlvE_clEvENKUlvE3_clEvEUlS6_S6_E_S6_EEDaPvRmT3_T4_T5_mT6_P12ihipStream_tbENKUlT_T0_E_clISt17integral_constantIbLb0EESY_EEDaST_SU_EUlST_E_NS1_11comp_targetILNS1_3genE8ELNS1_11target_archE1030ELNS1_3gpuE2ELNS1_3repE0EEENS1_30default_config_static_selectorELNS0_4arch9wavefront6targetE1EEEvT1_.num_vgpr, 0
	.set _ZN7rocprim17ROCPRIM_400000_NS6detail17trampoline_kernelINS0_14default_configENS1_20scan_config_selectorIN3c104HalfEEEZZNS1_9scan_implILNS1_25lookback_scan_determinismE0ELb0ELb0ES3_PKS6_PS6_S6_ZZZN2at6native31launch_logcumsumexp_cuda_kernelERKNSD_10TensorBaseESH_lENKUlvE_clEvENKUlvE3_clEvEUlS6_S6_E_S6_EEDaPvRmT3_T4_T5_mT6_P12ihipStream_tbENKUlT_T0_E_clISt17integral_constantIbLb0EESY_EEDaST_SU_EUlST_E_NS1_11comp_targetILNS1_3genE8ELNS1_11target_archE1030ELNS1_3gpuE2ELNS1_3repE0EEENS1_30default_config_static_selectorELNS0_4arch9wavefront6targetE1EEEvT1_.num_agpr, 0
	.set _ZN7rocprim17ROCPRIM_400000_NS6detail17trampoline_kernelINS0_14default_configENS1_20scan_config_selectorIN3c104HalfEEEZZNS1_9scan_implILNS1_25lookback_scan_determinismE0ELb0ELb0ES3_PKS6_PS6_S6_ZZZN2at6native31launch_logcumsumexp_cuda_kernelERKNSD_10TensorBaseESH_lENKUlvE_clEvENKUlvE3_clEvEUlS6_S6_E_S6_EEDaPvRmT3_T4_T5_mT6_P12ihipStream_tbENKUlT_T0_E_clISt17integral_constantIbLb0EESY_EEDaST_SU_EUlST_E_NS1_11comp_targetILNS1_3genE8ELNS1_11target_archE1030ELNS1_3gpuE2ELNS1_3repE0EEENS1_30default_config_static_selectorELNS0_4arch9wavefront6targetE1EEEvT1_.numbered_sgpr, 0
	.set _ZN7rocprim17ROCPRIM_400000_NS6detail17trampoline_kernelINS0_14default_configENS1_20scan_config_selectorIN3c104HalfEEEZZNS1_9scan_implILNS1_25lookback_scan_determinismE0ELb0ELb0ES3_PKS6_PS6_S6_ZZZN2at6native31launch_logcumsumexp_cuda_kernelERKNSD_10TensorBaseESH_lENKUlvE_clEvENKUlvE3_clEvEUlS6_S6_E_S6_EEDaPvRmT3_T4_T5_mT6_P12ihipStream_tbENKUlT_T0_E_clISt17integral_constantIbLb0EESY_EEDaST_SU_EUlST_E_NS1_11comp_targetILNS1_3genE8ELNS1_11target_archE1030ELNS1_3gpuE2ELNS1_3repE0EEENS1_30default_config_static_selectorELNS0_4arch9wavefront6targetE1EEEvT1_.num_named_barrier, 0
	.set _ZN7rocprim17ROCPRIM_400000_NS6detail17trampoline_kernelINS0_14default_configENS1_20scan_config_selectorIN3c104HalfEEEZZNS1_9scan_implILNS1_25lookback_scan_determinismE0ELb0ELb0ES3_PKS6_PS6_S6_ZZZN2at6native31launch_logcumsumexp_cuda_kernelERKNSD_10TensorBaseESH_lENKUlvE_clEvENKUlvE3_clEvEUlS6_S6_E_S6_EEDaPvRmT3_T4_T5_mT6_P12ihipStream_tbENKUlT_T0_E_clISt17integral_constantIbLb0EESY_EEDaST_SU_EUlST_E_NS1_11comp_targetILNS1_3genE8ELNS1_11target_archE1030ELNS1_3gpuE2ELNS1_3repE0EEENS1_30default_config_static_selectorELNS0_4arch9wavefront6targetE1EEEvT1_.private_seg_size, 0
	.set _ZN7rocprim17ROCPRIM_400000_NS6detail17trampoline_kernelINS0_14default_configENS1_20scan_config_selectorIN3c104HalfEEEZZNS1_9scan_implILNS1_25lookback_scan_determinismE0ELb0ELb0ES3_PKS6_PS6_S6_ZZZN2at6native31launch_logcumsumexp_cuda_kernelERKNSD_10TensorBaseESH_lENKUlvE_clEvENKUlvE3_clEvEUlS6_S6_E_S6_EEDaPvRmT3_T4_T5_mT6_P12ihipStream_tbENKUlT_T0_E_clISt17integral_constantIbLb0EESY_EEDaST_SU_EUlST_E_NS1_11comp_targetILNS1_3genE8ELNS1_11target_archE1030ELNS1_3gpuE2ELNS1_3repE0EEENS1_30default_config_static_selectorELNS0_4arch9wavefront6targetE1EEEvT1_.uses_vcc, 0
	.set _ZN7rocprim17ROCPRIM_400000_NS6detail17trampoline_kernelINS0_14default_configENS1_20scan_config_selectorIN3c104HalfEEEZZNS1_9scan_implILNS1_25lookback_scan_determinismE0ELb0ELb0ES3_PKS6_PS6_S6_ZZZN2at6native31launch_logcumsumexp_cuda_kernelERKNSD_10TensorBaseESH_lENKUlvE_clEvENKUlvE3_clEvEUlS6_S6_E_S6_EEDaPvRmT3_T4_T5_mT6_P12ihipStream_tbENKUlT_T0_E_clISt17integral_constantIbLb0EESY_EEDaST_SU_EUlST_E_NS1_11comp_targetILNS1_3genE8ELNS1_11target_archE1030ELNS1_3gpuE2ELNS1_3repE0EEENS1_30default_config_static_selectorELNS0_4arch9wavefront6targetE1EEEvT1_.uses_flat_scratch, 0
	.set _ZN7rocprim17ROCPRIM_400000_NS6detail17trampoline_kernelINS0_14default_configENS1_20scan_config_selectorIN3c104HalfEEEZZNS1_9scan_implILNS1_25lookback_scan_determinismE0ELb0ELb0ES3_PKS6_PS6_S6_ZZZN2at6native31launch_logcumsumexp_cuda_kernelERKNSD_10TensorBaseESH_lENKUlvE_clEvENKUlvE3_clEvEUlS6_S6_E_S6_EEDaPvRmT3_T4_T5_mT6_P12ihipStream_tbENKUlT_T0_E_clISt17integral_constantIbLb0EESY_EEDaST_SU_EUlST_E_NS1_11comp_targetILNS1_3genE8ELNS1_11target_archE1030ELNS1_3gpuE2ELNS1_3repE0EEENS1_30default_config_static_selectorELNS0_4arch9wavefront6targetE1EEEvT1_.has_dyn_sized_stack, 0
	.set _ZN7rocprim17ROCPRIM_400000_NS6detail17trampoline_kernelINS0_14default_configENS1_20scan_config_selectorIN3c104HalfEEEZZNS1_9scan_implILNS1_25lookback_scan_determinismE0ELb0ELb0ES3_PKS6_PS6_S6_ZZZN2at6native31launch_logcumsumexp_cuda_kernelERKNSD_10TensorBaseESH_lENKUlvE_clEvENKUlvE3_clEvEUlS6_S6_E_S6_EEDaPvRmT3_T4_T5_mT6_P12ihipStream_tbENKUlT_T0_E_clISt17integral_constantIbLb0EESY_EEDaST_SU_EUlST_E_NS1_11comp_targetILNS1_3genE8ELNS1_11target_archE1030ELNS1_3gpuE2ELNS1_3repE0EEENS1_30default_config_static_selectorELNS0_4arch9wavefront6targetE1EEEvT1_.has_recursion, 0
	.set _ZN7rocprim17ROCPRIM_400000_NS6detail17trampoline_kernelINS0_14default_configENS1_20scan_config_selectorIN3c104HalfEEEZZNS1_9scan_implILNS1_25lookback_scan_determinismE0ELb0ELb0ES3_PKS6_PS6_S6_ZZZN2at6native31launch_logcumsumexp_cuda_kernelERKNSD_10TensorBaseESH_lENKUlvE_clEvENKUlvE3_clEvEUlS6_S6_E_S6_EEDaPvRmT3_T4_T5_mT6_P12ihipStream_tbENKUlT_T0_E_clISt17integral_constantIbLb0EESY_EEDaST_SU_EUlST_E_NS1_11comp_targetILNS1_3genE8ELNS1_11target_archE1030ELNS1_3gpuE2ELNS1_3repE0EEENS1_30default_config_static_selectorELNS0_4arch9wavefront6targetE1EEEvT1_.has_indirect_call, 0
	.section	.AMDGPU.csdata,"",@progbits
; Kernel info:
; codeLenInByte = 0
; TotalNumSgprs: 6
; NumVgprs: 0
; NumAgprs: 0
; TotalNumVgprs: 0
; ScratchSize: 0
; MemoryBound: 0
; FloatMode: 240
; IeeeMode: 1
; LDSByteSize: 0 bytes/workgroup (compile time only)
; SGPRBlocks: 0
; VGPRBlocks: 0
; NumSGPRsForWavesPerEU: 6
; NumVGPRsForWavesPerEU: 1
; AccumOffset: 4
; Occupancy: 8
; WaveLimiterHint : 0
; COMPUTE_PGM_RSRC2:SCRATCH_EN: 0
; COMPUTE_PGM_RSRC2:USER_SGPR: 2
; COMPUTE_PGM_RSRC2:TRAP_HANDLER: 0
; COMPUTE_PGM_RSRC2:TGID_X_EN: 1
; COMPUTE_PGM_RSRC2:TGID_Y_EN: 0
; COMPUTE_PGM_RSRC2:TGID_Z_EN: 0
; COMPUTE_PGM_RSRC2:TIDIG_COMP_CNT: 0
; COMPUTE_PGM_RSRC3_GFX90A:ACCUM_OFFSET: 0
; COMPUTE_PGM_RSRC3_GFX90A:TG_SPLIT: 0
	.section	.text._ZN7rocprim17ROCPRIM_400000_NS6detail17trampoline_kernelINS0_14default_configENS1_25transform_config_selectorIN3c104HalfELb1EEEZNS1_14transform_implILb1ES3_S7_PS6_S9_NS0_8identityIS6_EEEE10hipError_tT2_T3_mT4_P12ihipStream_tbEUlT_E_NS1_11comp_targetILNS1_3genE0ELNS1_11target_archE4294967295ELNS1_3gpuE0ELNS1_3repE0EEENS1_30default_config_static_selectorELNS0_4arch9wavefront6targetE1EEEvT1_,"axG",@progbits,_ZN7rocprim17ROCPRIM_400000_NS6detail17trampoline_kernelINS0_14default_configENS1_25transform_config_selectorIN3c104HalfELb1EEEZNS1_14transform_implILb1ES3_S7_PS6_S9_NS0_8identityIS6_EEEE10hipError_tT2_T3_mT4_P12ihipStream_tbEUlT_E_NS1_11comp_targetILNS1_3genE0ELNS1_11target_archE4294967295ELNS1_3gpuE0ELNS1_3repE0EEENS1_30default_config_static_selectorELNS0_4arch9wavefront6targetE1EEEvT1_,comdat
	.protected	_ZN7rocprim17ROCPRIM_400000_NS6detail17trampoline_kernelINS0_14default_configENS1_25transform_config_selectorIN3c104HalfELb1EEEZNS1_14transform_implILb1ES3_S7_PS6_S9_NS0_8identityIS6_EEEE10hipError_tT2_T3_mT4_P12ihipStream_tbEUlT_E_NS1_11comp_targetILNS1_3genE0ELNS1_11target_archE4294967295ELNS1_3gpuE0ELNS1_3repE0EEENS1_30default_config_static_selectorELNS0_4arch9wavefront6targetE1EEEvT1_ ; -- Begin function _ZN7rocprim17ROCPRIM_400000_NS6detail17trampoline_kernelINS0_14default_configENS1_25transform_config_selectorIN3c104HalfELb1EEEZNS1_14transform_implILb1ES3_S7_PS6_S9_NS0_8identityIS6_EEEE10hipError_tT2_T3_mT4_P12ihipStream_tbEUlT_E_NS1_11comp_targetILNS1_3genE0ELNS1_11target_archE4294967295ELNS1_3gpuE0ELNS1_3repE0EEENS1_30default_config_static_selectorELNS0_4arch9wavefront6targetE1EEEvT1_
	.globl	_ZN7rocprim17ROCPRIM_400000_NS6detail17trampoline_kernelINS0_14default_configENS1_25transform_config_selectorIN3c104HalfELb1EEEZNS1_14transform_implILb1ES3_S7_PS6_S9_NS0_8identityIS6_EEEE10hipError_tT2_T3_mT4_P12ihipStream_tbEUlT_E_NS1_11comp_targetILNS1_3genE0ELNS1_11target_archE4294967295ELNS1_3gpuE0ELNS1_3repE0EEENS1_30default_config_static_selectorELNS0_4arch9wavefront6targetE1EEEvT1_
	.p2align	8
	.type	_ZN7rocprim17ROCPRIM_400000_NS6detail17trampoline_kernelINS0_14default_configENS1_25transform_config_selectorIN3c104HalfELb1EEEZNS1_14transform_implILb1ES3_S7_PS6_S9_NS0_8identityIS6_EEEE10hipError_tT2_T3_mT4_P12ihipStream_tbEUlT_E_NS1_11comp_targetILNS1_3genE0ELNS1_11target_archE4294967295ELNS1_3gpuE0ELNS1_3repE0EEENS1_30default_config_static_selectorELNS0_4arch9wavefront6targetE1EEEvT1_,@function
_ZN7rocprim17ROCPRIM_400000_NS6detail17trampoline_kernelINS0_14default_configENS1_25transform_config_selectorIN3c104HalfELb1EEEZNS1_14transform_implILb1ES3_S7_PS6_S9_NS0_8identityIS6_EEEE10hipError_tT2_T3_mT4_P12ihipStream_tbEUlT_E_NS1_11comp_targetILNS1_3genE0ELNS1_11target_archE4294967295ELNS1_3gpuE0ELNS1_3repE0EEENS1_30default_config_static_selectorELNS0_4arch9wavefront6targetE1EEEvT1_: ; @_ZN7rocprim17ROCPRIM_400000_NS6detail17trampoline_kernelINS0_14default_configENS1_25transform_config_selectorIN3c104HalfELb1EEEZNS1_14transform_implILb1ES3_S7_PS6_S9_NS0_8identityIS6_EEEE10hipError_tT2_T3_mT4_P12ihipStream_tbEUlT_E_NS1_11comp_targetILNS1_3genE0ELNS1_11target_archE4294967295ELNS1_3gpuE0ELNS1_3repE0EEENS1_30default_config_static_selectorELNS0_4arch9wavefront6targetE1EEEvT1_
; %bb.0:
	s_load_dwordx8 s[4:11], s[0:1], 0x0
	s_load_dword s3, s[0:1], 0x28
	s_waitcnt lgkmcnt(0)
	s_lshl_b64 s[0:1], s[6:7], 1
	s_add_u32 s4, s4, s0
	s_addc_u32 s5, s5, s1
	s_add_u32 s9, s10, s0
	s_addc_u32 s14, s11, s1
	s_lshl_b32 s0, s2, 9
	s_mov_b32 s1, 0
	s_add_i32 s3, s3, -1
	s_lshl_b64 s[10:11], s[0:1], 1
	s_add_u32 s12, s4, s10
	s_addc_u32 s13, s5, s11
	s_cmp_lg_u32 s2, s3
	s_mov_b64 s[2:3], -1
	s_cbranch_scc0 .LBB360_2
; %bb.1:
	v_lshlrev_b32_e32 v1, 3, v0
	global_load_dwordx2 v[2:3], v1, s[12:13]
	s_add_u32 s2, s9, s10
	s_addc_u32 s3, s14, s11
	s_waitcnt vmcnt(0)
	global_store_dwordx2 v1, v[2:3], s[2:3]
	s_mov_b64 s[2:3], 0
.LBB360_2:
	s_andn2_b64 vcc, exec, s[2:3]
	s_cbranch_vccnz .LBB360_16
; %bb.3:
	s_sub_i32 s6, s8, s0
	v_cmp_gt_u32_e32 vcc, s6, v0
	v_lshlrev_b32_e32 v1, 1, v0
                                        ; implicit-def: $vgpr2
	s_and_saveexec_b64 s[0:1], vcc
	s_cbranch_execz .LBB360_5
; %bb.4:
	global_load_ushort v2, v1, s[12:13]
.LBB360_5:
	s_or_b64 exec, exec, s[0:1]
	v_or_b32_e32 v3, 0x80, v0
	v_cmp_gt_u32_e64 s[0:1], s6, v3
                                        ; implicit-def: $vgpr3
	s_and_saveexec_b64 s[2:3], s[0:1]
	s_cbranch_execz .LBB360_7
; %bb.6:
	global_load_ushort v3, v1, s[12:13] offset:256
.LBB360_7:
	s_or_b64 exec, exec, s[2:3]
	v_or_b32_e32 v4, 0x100, v0
	v_cmp_gt_u32_e64 s[2:3], s6, v4
                                        ; implicit-def: $vgpr4
	s_and_saveexec_b64 s[4:5], s[2:3]
	s_cbranch_execz .LBB360_9
; %bb.8:
	global_load_ushort v4, v1, s[12:13] offset:512
.LBB360_9:
	s_or_b64 exec, exec, s[4:5]
	v_or_b32_e32 v1, 0x180, v0
	v_cmp_gt_u32_e64 s[4:5], s6, v1
	v_cmp_le_u32_e64 s[6:7], s6, v1
	s_and_saveexec_b64 s[16:17], s[6:7]
	s_xor_b64 s[6:7], exec, s[16:17]
	s_or_saveexec_b64 s[6:7], s[6:7]
                                        ; implicit-def: $vgpr5
	s_xor_b64 exec, exec, s[6:7]
	s_cbranch_execz .LBB360_11
; %bb.10:
	v_lshlrev_b32_e32 v1, 1, v0
	global_load_ushort v5, v1, s[12:13] offset:768
.LBB360_11:
	s_or_b64 exec, exec, s[6:7]
	s_add_u32 s6, s9, s10
	s_addc_u32 s7, s14, s11
	v_lshlrev_b32_e32 v0, 1, v0
	v_mov_b32_e32 v1, 0
	v_lshl_add_u64 v[0:1], s[6:7], 0, v[0:1]
	s_and_saveexec_b64 s[6:7], vcc
	s_cbranch_execnz .LBB360_17
; %bb.12:
	s_or_b64 exec, exec, s[6:7]
	s_and_saveexec_b64 s[6:7], s[0:1]
	s_cbranch_execnz .LBB360_18
.LBB360_13:
	s_or_b64 exec, exec, s[6:7]
	s_and_saveexec_b64 s[0:1], s[2:3]
	s_cbranch_execnz .LBB360_19
.LBB360_14:
	s_or_b64 exec, exec, s[0:1]
	s_and_saveexec_b64 s[0:1], s[4:5]
	s_cbranch_execz .LBB360_16
.LBB360_15:
	s_waitcnt vmcnt(0)
	global_store_short v[0:1], v5, off offset:768
.LBB360_16:
	s_endpgm
.LBB360_17:
	s_waitcnt vmcnt(0)
	global_store_short v[0:1], v2, off
	s_or_b64 exec, exec, s[6:7]
	s_and_saveexec_b64 s[6:7], s[0:1]
	s_cbranch_execz .LBB360_13
.LBB360_18:
	s_waitcnt vmcnt(0)
	global_store_short v[0:1], v3, off offset:256
	s_or_b64 exec, exec, s[6:7]
	s_and_saveexec_b64 s[0:1], s[2:3]
	s_cbranch_execz .LBB360_14
.LBB360_19:
	s_waitcnt vmcnt(0)
	global_store_short v[0:1], v4, off offset:512
	s_or_b64 exec, exec, s[0:1]
	s_and_saveexec_b64 s[0:1], s[4:5]
	s_cbranch_execnz .LBB360_15
	s_branch .LBB360_16
	.section	.rodata,"a",@progbits
	.p2align	6, 0x0
	.amdhsa_kernel _ZN7rocprim17ROCPRIM_400000_NS6detail17trampoline_kernelINS0_14default_configENS1_25transform_config_selectorIN3c104HalfELb1EEEZNS1_14transform_implILb1ES3_S7_PS6_S9_NS0_8identityIS6_EEEE10hipError_tT2_T3_mT4_P12ihipStream_tbEUlT_E_NS1_11comp_targetILNS1_3genE0ELNS1_11target_archE4294967295ELNS1_3gpuE0ELNS1_3repE0EEENS1_30default_config_static_selectorELNS0_4arch9wavefront6targetE1EEEvT1_
		.amdhsa_group_segment_fixed_size 0
		.amdhsa_private_segment_fixed_size 0
		.amdhsa_kernarg_size 296
		.amdhsa_user_sgpr_count 2
		.amdhsa_user_sgpr_dispatch_ptr 0
		.amdhsa_user_sgpr_queue_ptr 0
		.amdhsa_user_sgpr_kernarg_segment_ptr 1
		.amdhsa_user_sgpr_dispatch_id 0
		.amdhsa_user_sgpr_kernarg_preload_length 0
		.amdhsa_user_sgpr_kernarg_preload_offset 0
		.amdhsa_user_sgpr_private_segment_size 0
		.amdhsa_uses_dynamic_stack 0
		.amdhsa_enable_private_segment 0
		.amdhsa_system_sgpr_workgroup_id_x 1
		.amdhsa_system_sgpr_workgroup_id_y 0
		.amdhsa_system_sgpr_workgroup_id_z 0
		.amdhsa_system_sgpr_workgroup_info 0
		.amdhsa_system_vgpr_workitem_id 0
		.amdhsa_next_free_vgpr 6
		.amdhsa_next_free_sgpr 18
		.amdhsa_accum_offset 8
		.amdhsa_reserve_vcc 1
		.amdhsa_float_round_mode_32 0
		.amdhsa_float_round_mode_16_64 0
		.amdhsa_float_denorm_mode_32 3
		.amdhsa_float_denorm_mode_16_64 3
		.amdhsa_dx10_clamp 1
		.amdhsa_ieee_mode 1
		.amdhsa_fp16_overflow 0
		.amdhsa_tg_split 0
		.amdhsa_exception_fp_ieee_invalid_op 0
		.amdhsa_exception_fp_denorm_src 0
		.amdhsa_exception_fp_ieee_div_zero 0
		.amdhsa_exception_fp_ieee_overflow 0
		.amdhsa_exception_fp_ieee_underflow 0
		.amdhsa_exception_fp_ieee_inexact 0
		.amdhsa_exception_int_div_zero 0
	.end_amdhsa_kernel
	.section	.text._ZN7rocprim17ROCPRIM_400000_NS6detail17trampoline_kernelINS0_14default_configENS1_25transform_config_selectorIN3c104HalfELb1EEEZNS1_14transform_implILb1ES3_S7_PS6_S9_NS0_8identityIS6_EEEE10hipError_tT2_T3_mT4_P12ihipStream_tbEUlT_E_NS1_11comp_targetILNS1_3genE0ELNS1_11target_archE4294967295ELNS1_3gpuE0ELNS1_3repE0EEENS1_30default_config_static_selectorELNS0_4arch9wavefront6targetE1EEEvT1_,"axG",@progbits,_ZN7rocprim17ROCPRIM_400000_NS6detail17trampoline_kernelINS0_14default_configENS1_25transform_config_selectorIN3c104HalfELb1EEEZNS1_14transform_implILb1ES3_S7_PS6_S9_NS0_8identityIS6_EEEE10hipError_tT2_T3_mT4_P12ihipStream_tbEUlT_E_NS1_11comp_targetILNS1_3genE0ELNS1_11target_archE4294967295ELNS1_3gpuE0ELNS1_3repE0EEENS1_30default_config_static_selectorELNS0_4arch9wavefront6targetE1EEEvT1_,comdat
.Lfunc_end360:
	.size	_ZN7rocprim17ROCPRIM_400000_NS6detail17trampoline_kernelINS0_14default_configENS1_25transform_config_selectorIN3c104HalfELb1EEEZNS1_14transform_implILb1ES3_S7_PS6_S9_NS0_8identityIS6_EEEE10hipError_tT2_T3_mT4_P12ihipStream_tbEUlT_E_NS1_11comp_targetILNS1_3genE0ELNS1_11target_archE4294967295ELNS1_3gpuE0ELNS1_3repE0EEENS1_30default_config_static_selectorELNS0_4arch9wavefront6targetE1EEEvT1_, .Lfunc_end360-_ZN7rocprim17ROCPRIM_400000_NS6detail17trampoline_kernelINS0_14default_configENS1_25transform_config_selectorIN3c104HalfELb1EEEZNS1_14transform_implILb1ES3_S7_PS6_S9_NS0_8identityIS6_EEEE10hipError_tT2_T3_mT4_P12ihipStream_tbEUlT_E_NS1_11comp_targetILNS1_3genE0ELNS1_11target_archE4294967295ELNS1_3gpuE0ELNS1_3repE0EEENS1_30default_config_static_selectorELNS0_4arch9wavefront6targetE1EEEvT1_
                                        ; -- End function
	.set _ZN7rocprim17ROCPRIM_400000_NS6detail17trampoline_kernelINS0_14default_configENS1_25transform_config_selectorIN3c104HalfELb1EEEZNS1_14transform_implILb1ES3_S7_PS6_S9_NS0_8identityIS6_EEEE10hipError_tT2_T3_mT4_P12ihipStream_tbEUlT_E_NS1_11comp_targetILNS1_3genE0ELNS1_11target_archE4294967295ELNS1_3gpuE0ELNS1_3repE0EEENS1_30default_config_static_selectorELNS0_4arch9wavefront6targetE1EEEvT1_.num_vgpr, 6
	.set _ZN7rocprim17ROCPRIM_400000_NS6detail17trampoline_kernelINS0_14default_configENS1_25transform_config_selectorIN3c104HalfELb1EEEZNS1_14transform_implILb1ES3_S7_PS6_S9_NS0_8identityIS6_EEEE10hipError_tT2_T3_mT4_P12ihipStream_tbEUlT_E_NS1_11comp_targetILNS1_3genE0ELNS1_11target_archE4294967295ELNS1_3gpuE0ELNS1_3repE0EEENS1_30default_config_static_selectorELNS0_4arch9wavefront6targetE1EEEvT1_.num_agpr, 0
	.set _ZN7rocprim17ROCPRIM_400000_NS6detail17trampoline_kernelINS0_14default_configENS1_25transform_config_selectorIN3c104HalfELb1EEEZNS1_14transform_implILb1ES3_S7_PS6_S9_NS0_8identityIS6_EEEE10hipError_tT2_T3_mT4_P12ihipStream_tbEUlT_E_NS1_11comp_targetILNS1_3genE0ELNS1_11target_archE4294967295ELNS1_3gpuE0ELNS1_3repE0EEENS1_30default_config_static_selectorELNS0_4arch9wavefront6targetE1EEEvT1_.numbered_sgpr, 18
	.set _ZN7rocprim17ROCPRIM_400000_NS6detail17trampoline_kernelINS0_14default_configENS1_25transform_config_selectorIN3c104HalfELb1EEEZNS1_14transform_implILb1ES3_S7_PS6_S9_NS0_8identityIS6_EEEE10hipError_tT2_T3_mT4_P12ihipStream_tbEUlT_E_NS1_11comp_targetILNS1_3genE0ELNS1_11target_archE4294967295ELNS1_3gpuE0ELNS1_3repE0EEENS1_30default_config_static_selectorELNS0_4arch9wavefront6targetE1EEEvT1_.num_named_barrier, 0
	.set _ZN7rocprim17ROCPRIM_400000_NS6detail17trampoline_kernelINS0_14default_configENS1_25transform_config_selectorIN3c104HalfELb1EEEZNS1_14transform_implILb1ES3_S7_PS6_S9_NS0_8identityIS6_EEEE10hipError_tT2_T3_mT4_P12ihipStream_tbEUlT_E_NS1_11comp_targetILNS1_3genE0ELNS1_11target_archE4294967295ELNS1_3gpuE0ELNS1_3repE0EEENS1_30default_config_static_selectorELNS0_4arch9wavefront6targetE1EEEvT1_.private_seg_size, 0
	.set _ZN7rocprim17ROCPRIM_400000_NS6detail17trampoline_kernelINS0_14default_configENS1_25transform_config_selectorIN3c104HalfELb1EEEZNS1_14transform_implILb1ES3_S7_PS6_S9_NS0_8identityIS6_EEEE10hipError_tT2_T3_mT4_P12ihipStream_tbEUlT_E_NS1_11comp_targetILNS1_3genE0ELNS1_11target_archE4294967295ELNS1_3gpuE0ELNS1_3repE0EEENS1_30default_config_static_selectorELNS0_4arch9wavefront6targetE1EEEvT1_.uses_vcc, 1
	.set _ZN7rocprim17ROCPRIM_400000_NS6detail17trampoline_kernelINS0_14default_configENS1_25transform_config_selectorIN3c104HalfELb1EEEZNS1_14transform_implILb1ES3_S7_PS6_S9_NS0_8identityIS6_EEEE10hipError_tT2_T3_mT4_P12ihipStream_tbEUlT_E_NS1_11comp_targetILNS1_3genE0ELNS1_11target_archE4294967295ELNS1_3gpuE0ELNS1_3repE0EEENS1_30default_config_static_selectorELNS0_4arch9wavefront6targetE1EEEvT1_.uses_flat_scratch, 0
	.set _ZN7rocprim17ROCPRIM_400000_NS6detail17trampoline_kernelINS0_14default_configENS1_25transform_config_selectorIN3c104HalfELb1EEEZNS1_14transform_implILb1ES3_S7_PS6_S9_NS0_8identityIS6_EEEE10hipError_tT2_T3_mT4_P12ihipStream_tbEUlT_E_NS1_11comp_targetILNS1_3genE0ELNS1_11target_archE4294967295ELNS1_3gpuE0ELNS1_3repE0EEENS1_30default_config_static_selectorELNS0_4arch9wavefront6targetE1EEEvT1_.has_dyn_sized_stack, 0
	.set _ZN7rocprim17ROCPRIM_400000_NS6detail17trampoline_kernelINS0_14default_configENS1_25transform_config_selectorIN3c104HalfELb1EEEZNS1_14transform_implILb1ES3_S7_PS6_S9_NS0_8identityIS6_EEEE10hipError_tT2_T3_mT4_P12ihipStream_tbEUlT_E_NS1_11comp_targetILNS1_3genE0ELNS1_11target_archE4294967295ELNS1_3gpuE0ELNS1_3repE0EEENS1_30default_config_static_selectorELNS0_4arch9wavefront6targetE1EEEvT1_.has_recursion, 0
	.set _ZN7rocprim17ROCPRIM_400000_NS6detail17trampoline_kernelINS0_14default_configENS1_25transform_config_selectorIN3c104HalfELb1EEEZNS1_14transform_implILb1ES3_S7_PS6_S9_NS0_8identityIS6_EEEE10hipError_tT2_T3_mT4_P12ihipStream_tbEUlT_E_NS1_11comp_targetILNS1_3genE0ELNS1_11target_archE4294967295ELNS1_3gpuE0ELNS1_3repE0EEENS1_30default_config_static_selectorELNS0_4arch9wavefront6targetE1EEEvT1_.has_indirect_call, 0
	.section	.AMDGPU.csdata,"",@progbits
; Kernel info:
; codeLenInByte = 444
; TotalNumSgprs: 24
; NumVgprs: 6
; NumAgprs: 0
; TotalNumVgprs: 6
; ScratchSize: 0
; MemoryBound: 0
; FloatMode: 240
; IeeeMode: 1
; LDSByteSize: 0 bytes/workgroup (compile time only)
; SGPRBlocks: 2
; VGPRBlocks: 0
; NumSGPRsForWavesPerEU: 24
; NumVGPRsForWavesPerEU: 6
; AccumOffset: 8
; Occupancy: 8
; WaveLimiterHint : 0
; COMPUTE_PGM_RSRC2:SCRATCH_EN: 0
; COMPUTE_PGM_RSRC2:USER_SGPR: 2
; COMPUTE_PGM_RSRC2:TRAP_HANDLER: 0
; COMPUTE_PGM_RSRC2:TGID_X_EN: 1
; COMPUTE_PGM_RSRC2:TGID_Y_EN: 0
; COMPUTE_PGM_RSRC2:TGID_Z_EN: 0
; COMPUTE_PGM_RSRC2:TIDIG_COMP_CNT: 0
; COMPUTE_PGM_RSRC3_GFX90A:ACCUM_OFFSET: 1
; COMPUTE_PGM_RSRC3_GFX90A:TG_SPLIT: 0
	.section	.text._ZN7rocprim17ROCPRIM_400000_NS6detail17trampoline_kernelINS0_14default_configENS1_25transform_config_selectorIN3c104HalfELb1EEEZNS1_14transform_implILb1ES3_S7_PS6_S9_NS0_8identityIS6_EEEE10hipError_tT2_T3_mT4_P12ihipStream_tbEUlT_E_NS1_11comp_targetILNS1_3genE10ELNS1_11target_archE1201ELNS1_3gpuE5ELNS1_3repE0EEENS1_30default_config_static_selectorELNS0_4arch9wavefront6targetE1EEEvT1_,"axG",@progbits,_ZN7rocprim17ROCPRIM_400000_NS6detail17trampoline_kernelINS0_14default_configENS1_25transform_config_selectorIN3c104HalfELb1EEEZNS1_14transform_implILb1ES3_S7_PS6_S9_NS0_8identityIS6_EEEE10hipError_tT2_T3_mT4_P12ihipStream_tbEUlT_E_NS1_11comp_targetILNS1_3genE10ELNS1_11target_archE1201ELNS1_3gpuE5ELNS1_3repE0EEENS1_30default_config_static_selectorELNS0_4arch9wavefront6targetE1EEEvT1_,comdat
	.protected	_ZN7rocprim17ROCPRIM_400000_NS6detail17trampoline_kernelINS0_14default_configENS1_25transform_config_selectorIN3c104HalfELb1EEEZNS1_14transform_implILb1ES3_S7_PS6_S9_NS0_8identityIS6_EEEE10hipError_tT2_T3_mT4_P12ihipStream_tbEUlT_E_NS1_11comp_targetILNS1_3genE10ELNS1_11target_archE1201ELNS1_3gpuE5ELNS1_3repE0EEENS1_30default_config_static_selectorELNS0_4arch9wavefront6targetE1EEEvT1_ ; -- Begin function _ZN7rocprim17ROCPRIM_400000_NS6detail17trampoline_kernelINS0_14default_configENS1_25transform_config_selectorIN3c104HalfELb1EEEZNS1_14transform_implILb1ES3_S7_PS6_S9_NS0_8identityIS6_EEEE10hipError_tT2_T3_mT4_P12ihipStream_tbEUlT_E_NS1_11comp_targetILNS1_3genE10ELNS1_11target_archE1201ELNS1_3gpuE5ELNS1_3repE0EEENS1_30default_config_static_selectorELNS0_4arch9wavefront6targetE1EEEvT1_
	.globl	_ZN7rocprim17ROCPRIM_400000_NS6detail17trampoline_kernelINS0_14default_configENS1_25transform_config_selectorIN3c104HalfELb1EEEZNS1_14transform_implILb1ES3_S7_PS6_S9_NS0_8identityIS6_EEEE10hipError_tT2_T3_mT4_P12ihipStream_tbEUlT_E_NS1_11comp_targetILNS1_3genE10ELNS1_11target_archE1201ELNS1_3gpuE5ELNS1_3repE0EEENS1_30default_config_static_selectorELNS0_4arch9wavefront6targetE1EEEvT1_
	.p2align	8
	.type	_ZN7rocprim17ROCPRIM_400000_NS6detail17trampoline_kernelINS0_14default_configENS1_25transform_config_selectorIN3c104HalfELb1EEEZNS1_14transform_implILb1ES3_S7_PS6_S9_NS0_8identityIS6_EEEE10hipError_tT2_T3_mT4_P12ihipStream_tbEUlT_E_NS1_11comp_targetILNS1_3genE10ELNS1_11target_archE1201ELNS1_3gpuE5ELNS1_3repE0EEENS1_30default_config_static_selectorELNS0_4arch9wavefront6targetE1EEEvT1_,@function
_ZN7rocprim17ROCPRIM_400000_NS6detail17trampoline_kernelINS0_14default_configENS1_25transform_config_selectorIN3c104HalfELb1EEEZNS1_14transform_implILb1ES3_S7_PS6_S9_NS0_8identityIS6_EEEE10hipError_tT2_T3_mT4_P12ihipStream_tbEUlT_E_NS1_11comp_targetILNS1_3genE10ELNS1_11target_archE1201ELNS1_3gpuE5ELNS1_3repE0EEENS1_30default_config_static_selectorELNS0_4arch9wavefront6targetE1EEEvT1_: ; @_ZN7rocprim17ROCPRIM_400000_NS6detail17trampoline_kernelINS0_14default_configENS1_25transform_config_selectorIN3c104HalfELb1EEEZNS1_14transform_implILb1ES3_S7_PS6_S9_NS0_8identityIS6_EEEE10hipError_tT2_T3_mT4_P12ihipStream_tbEUlT_E_NS1_11comp_targetILNS1_3genE10ELNS1_11target_archE1201ELNS1_3gpuE5ELNS1_3repE0EEENS1_30default_config_static_selectorELNS0_4arch9wavefront6targetE1EEEvT1_
; %bb.0:
	.section	.rodata,"a",@progbits
	.p2align	6, 0x0
	.amdhsa_kernel _ZN7rocprim17ROCPRIM_400000_NS6detail17trampoline_kernelINS0_14default_configENS1_25transform_config_selectorIN3c104HalfELb1EEEZNS1_14transform_implILb1ES3_S7_PS6_S9_NS0_8identityIS6_EEEE10hipError_tT2_T3_mT4_P12ihipStream_tbEUlT_E_NS1_11comp_targetILNS1_3genE10ELNS1_11target_archE1201ELNS1_3gpuE5ELNS1_3repE0EEENS1_30default_config_static_selectorELNS0_4arch9wavefront6targetE1EEEvT1_
		.amdhsa_group_segment_fixed_size 0
		.amdhsa_private_segment_fixed_size 0
		.amdhsa_kernarg_size 40
		.amdhsa_user_sgpr_count 2
		.amdhsa_user_sgpr_dispatch_ptr 0
		.amdhsa_user_sgpr_queue_ptr 0
		.amdhsa_user_sgpr_kernarg_segment_ptr 1
		.amdhsa_user_sgpr_dispatch_id 0
		.amdhsa_user_sgpr_kernarg_preload_length 0
		.amdhsa_user_sgpr_kernarg_preload_offset 0
		.amdhsa_user_sgpr_private_segment_size 0
		.amdhsa_uses_dynamic_stack 0
		.amdhsa_enable_private_segment 0
		.amdhsa_system_sgpr_workgroup_id_x 1
		.amdhsa_system_sgpr_workgroup_id_y 0
		.amdhsa_system_sgpr_workgroup_id_z 0
		.amdhsa_system_sgpr_workgroup_info 0
		.amdhsa_system_vgpr_workitem_id 0
		.amdhsa_next_free_vgpr 1
		.amdhsa_next_free_sgpr 0
		.amdhsa_accum_offset 4
		.amdhsa_reserve_vcc 0
		.amdhsa_float_round_mode_32 0
		.amdhsa_float_round_mode_16_64 0
		.amdhsa_float_denorm_mode_32 3
		.amdhsa_float_denorm_mode_16_64 3
		.amdhsa_dx10_clamp 1
		.amdhsa_ieee_mode 1
		.amdhsa_fp16_overflow 0
		.amdhsa_tg_split 0
		.amdhsa_exception_fp_ieee_invalid_op 0
		.amdhsa_exception_fp_denorm_src 0
		.amdhsa_exception_fp_ieee_div_zero 0
		.amdhsa_exception_fp_ieee_overflow 0
		.amdhsa_exception_fp_ieee_underflow 0
		.amdhsa_exception_fp_ieee_inexact 0
		.amdhsa_exception_int_div_zero 0
	.end_amdhsa_kernel
	.section	.text._ZN7rocprim17ROCPRIM_400000_NS6detail17trampoline_kernelINS0_14default_configENS1_25transform_config_selectorIN3c104HalfELb1EEEZNS1_14transform_implILb1ES3_S7_PS6_S9_NS0_8identityIS6_EEEE10hipError_tT2_T3_mT4_P12ihipStream_tbEUlT_E_NS1_11comp_targetILNS1_3genE10ELNS1_11target_archE1201ELNS1_3gpuE5ELNS1_3repE0EEENS1_30default_config_static_selectorELNS0_4arch9wavefront6targetE1EEEvT1_,"axG",@progbits,_ZN7rocprim17ROCPRIM_400000_NS6detail17trampoline_kernelINS0_14default_configENS1_25transform_config_selectorIN3c104HalfELb1EEEZNS1_14transform_implILb1ES3_S7_PS6_S9_NS0_8identityIS6_EEEE10hipError_tT2_T3_mT4_P12ihipStream_tbEUlT_E_NS1_11comp_targetILNS1_3genE10ELNS1_11target_archE1201ELNS1_3gpuE5ELNS1_3repE0EEENS1_30default_config_static_selectorELNS0_4arch9wavefront6targetE1EEEvT1_,comdat
.Lfunc_end361:
	.size	_ZN7rocprim17ROCPRIM_400000_NS6detail17trampoline_kernelINS0_14default_configENS1_25transform_config_selectorIN3c104HalfELb1EEEZNS1_14transform_implILb1ES3_S7_PS6_S9_NS0_8identityIS6_EEEE10hipError_tT2_T3_mT4_P12ihipStream_tbEUlT_E_NS1_11comp_targetILNS1_3genE10ELNS1_11target_archE1201ELNS1_3gpuE5ELNS1_3repE0EEENS1_30default_config_static_selectorELNS0_4arch9wavefront6targetE1EEEvT1_, .Lfunc_end361-_ZN7rocprim17ROCPRIM_400000_NS6detail17trampoline_kernelINS0_14default_configENS1_25transform_config_selectorIN3c104HalfELb1EEEZNS1_14transform_implILb1ES3_S7_PS6_S9_NS0_8identityIS6_EEEE10hipError_tT2_T3_mT4_P12ihipStream_tbEUlT_E_NS1_11comp_targetILNS1_3genE10ELNS1_11target_archE1201ELNS1_3gpuE5ELNS1_3repE0EEENS1_30default_config_static_selectorELNS0_4arch9wavefront6targetE1EEEvT1_
                                        ; -- End function
	.set _ZN7rocprim17ROCPRIM_400000_NS6detail17trampoline_kernelINS0_14default_configENS1_25transform_config_selectorIN3c104HalfELb1EEEZNS1_14transform_implILb1ES3_S7_PS6_S9_NS0_8identityIS6_EEEE10hipError_tT2_T3_mT4_P12ihipStream_tbEUlT_E_NS1_11comp_targetILNS1_3genE10ELNS1_11target_archE1201ELNS1_3gpuE5ELNS1_3repE0EEENS1_30default_config_static_selectorELNS0_4arch9wavefront6targetE1EEEvT1_.num_vgpr, 0
	.set _ZN7rocprim17ROCPRIM_400000_NS6detail17trampoline_kernelINS0_14default_configENS1_25transform_config_selectorIN3c104HalfELb1EEEZNS1_14transform_implILb1ES3_S7_PS6_S9_NS0_8identityIS6_EEEE10hipError_tT2_T3_mT4_P12ihipStream_tbEUlT_E_NS1_11comp_targetILNS1_3genE10ELNS1_11target_archE1201ELNS1_3gpuE5ELNS1_3repE0EEENS1_30default_config_static_selectorELNS0_4arch9wavefront6targetE1EEEvT1_.num_agpr, 0
	.set _ZN7rocprim17ROCPRIM_400000_NS6detail17trampoline_kernelINS0_14default_configENS1_25transform_config_selectorIN3c104HalfELb1EEEZNS1_14transform_implILb1ES3_S7_PS6_S9_NS0_8identityIS6_EEEE10hipError_tT2_T3_mT4_P12ihipStream_tbEUlT_E_NS1_11comp_targetILNS1_3genE10ELNS1_11target_archE1201ELNS1_3gpuE5ELNS1_3repE0EEENS1_30default_config_static_selectorELNS0_4arch9wavefront6targetE1EEEvT1_.numbered_sgpr, 0
	.set _ZN7rocprim17ROCPRIM_400000_NS6detail17trampoline_kernelINS0_14default_configENS1_25transform_config_selectorIN3c104HalfELb1EEEZNS1_14transform_implILb1ES3_S7_PS6_S9_NS0_8identityIS6_EEEE10hipError_tT2_T3_mT4_P12ihipStream_tbEUlT_E_NS1_11comp_targetILNS1_3genE10ELNS1_11target_archE1201ELNS1_3gpuE5ELNS1_3repE0EEENS1_30default_config_static_selectorELNS0_4arch9wavefront6targetE1EEEvT1_.num_named_barrier, 0
	.set _ZN7rocprim17ROCPRIM_400000_NS6detail17trampoline_kernelINS0_14default_configENS1_25transform_config_selectorIN3c104HalfELb1EEEZNS1_14transform_implILb1ES3_S7_PS6_S9_NS0_8identityIS6_EEEE10hipError_tT2_T3_mT4_P12ihipStream_tbEUlT_E_NS1_11comp_targetILNS1_3genE10ELNS1_11target_archE1201ELNS1_3gpuE5ELNS1_3repE0EEENS1_30default_config_static_selectorELNS0_4arch9wavefront6targetE1EEEvT1_.private_seg_size, 0
	.set _ZN7rocprim17ROCPRIM_400000_NS6detail17trampoline_kernelINS0_14default_configENS1_25transform_config_selectorIN3c104HalfELb1EEEZNS1_14transform_implILb1ES3_S7_PS6_S9_NS0_8identityIS6_EEEE10hipError_tT2_T3_mT4_P12ihipStream_tbEUlT_E_NS1_11comp_targetILNS1_3genE10ELNS1_11target_archE1201ELNS1_3gpuE5ELNS1_3repE0EEENS1_30default_config_static_selectorELNS0_4arch9wavefront6targetE1EEEvT1_.uses_vcc, 0
	.set _ZN7rocprim17ROCPRIM_400000_NS6detail17trampoline_kernelINS0_14default_configENS1_25transform_config_selectorIN3c104HalfELb1EEEZNS1_14transform_implILb1ES3_S7_PS6_S9_NS0_8identityIS6_EEEE10hipError_tT2_T3_mT4_P12ihipStream_tbEUlT_E_NS1_11comp_targetILNS1_3genE10ELNS1_11target_archE1201ELNS1_3gpuE5ELNS1_3repE0EEENS1_30default_config_static_selectorELNS0_4arch9wavefront6targetE1EEEvT1_.uses_flat_scratch, 0
	.set _ZN7rocprim17ROCPRIM_400000_NS6detail17trampoline_kernelINS0_14default_configENS1_25transform_config_selectorIN3c104HalfELb1EEEZNS1_14transform_implILb1ES3_S7_PS6_S9_NS0_8identityIS6_EEEE10hipError_tT2_T3_mT4_P12ihipStream_tbEUlT_E_NS1_11comp_targetILNS1_3genE10ELNS1_11target_archE1201ELNS1_3gpuE5ELNS1_3repE0EEENS1_30default_config_static_selectorELNS0_4arch9wavefront6targetE1EEEvT1_.has_dyn_sized_stack, 0
	.set _ZN7rocprim17ROCPRIM_400000_NS6detail17trampoline_kernelINS0_14default_configENS1_25transform_config_selectorIN3c104HalfELb1EEEZNS1_14transform_implILb1ES3_S7_PS6_S9_NS0_8identityIS6_EEEE10hipError_tT2_T3_mT4_P12ihipStream_tbEUlT_E_NS1_11comp_targetILNS1_3genE10ELNS1_11target_archE1201ELNS1_3gpuE5ELNS1_3repE0EEENS1_30default_config_static_selectorELNS0_4arch9wavefront6targetE1EEEvT1_.has_recursion, 0
	.set _ZN7rocprim17ROCPRIM_400000_NS6detail17trampoline_kernelINS0_14default_configENS1_25transform_config_selectorIN3c104HalfELb1EEEZNS1_14transform_implILb1ES3_S7_PS6_S9_NS0_8identityIS6_EEEE10hipError_tT2_T3_mT4_P12ihipStream_tbEUlT_E_NS1_11comp_targetILNS1_3genE10ELNS1_11target_archE1201ELNS1_3gpuE5ELNS1_3repE0EEENS1_30default_config_static_selectorELNS0_4arch9wavefront6targetE1EEEvT1_.has_indirect_call, 0
	.section	.AMDGPU.csdata,"",@progbits
; Kernel info:
; codeLenInByte = 0
; TotalNumSgprs: 6
; NumVgprs: 0
; NumAgprs: 0
; TotalNumVgprs: 0
; ScratchSize: 0
; MemoryBound: 0
; FloatMode: 240
; IeeeMode: 1
; LDSByteSize: 0 bytes/workgroup (compile time only)
; SGPRBlocks: 0
; VGPRBlocks: 0
; NumSGPRsForWavesPerEU: 6
; NumVGPRsForWavesPerEU: 1
; AccumOffset: 4
; Occupancy: 8
; WaveLimiterHint : 0
; COMPUTE_PGM_RSRC2:SCRATCH_EN: 0
; COMPUTE_PGM_RSRC2:USER_SGPR: 2
; COMPUTE_PGM_RSRC2:TRAP_HANDLER: 0
; COMPUTE_PGM_RSRC2:TGID_X_EN: 1
; COMPUTE_PGM_RSRC2:TGID_Y_EN: 0
; COMPUTE_PGM_RSRC2:TGID_Z_EN: 0
; COMPUTE_PGM_RSRC2:TIDIG_COMP_CNT: 0
; COMPUTE_PGM_RSRC3_GFX90A:ACCUM_OFFSET: 0
; COMPUTE_PGM_RSRC3_GFX90A:TG_SPLIT: 0
	.section	.text._ZN7rocprim17ROCPRIM_400000_NS6detail17trampoline_kernelINS0_14default_configENS1_25transform_config_selectorIN3c104HalfELb1EEEZNS1_14transform_implILb1ES3_S7_PS6_S9_NS0_8identityIS6_EEEE10hipError_tT2_T3_mT4_P12ihipStream_tbEUlT_E_NS1_11comp_targetILNS1_3genE5ELNS1_11target_archE942ELNS1_3gpuE9ELNS1_3repE0EEENS1_30default_config_static_selectorELNS0_4arch9wavefront6targetE1EEEvT1_,"axG",@progbits,_ZN7rocprim17ROCPRIM_400000_NS6detail17trampoline_kernelINS0_14default_configENS1_25transform_config_selectorIN3c104HalfELb1EEEZNS1_14transform_implILb1ES3_S7_PS6_S9_NS0_8identityIS6_EEEE10hipError_tT2_T3_mT4_P12ihipStream_tbEUlT_E_NS1_11comp_targetILNS1_3genE5ELNS1_11target_archE942ELNS1_3gpuE9ELNS1_3repE0EEENS1_30default_config_static_selectorELNS0_4arch9wavefront6targetE1EEEvT1_,comdat
	.protected	_ZN7rocprim17ROCPRIM_400000_NS6detail17trampoline_kernelINS0_14default_configENS1_25transform_config_selectorIN3c104HalfELb1EEEZNS1_14transform_implILb1ES3_S7_PS6_S9_NS0_8identityIS6_EEEE10hipError_tT2_T3_mT4_P12ihipStream_tbEUlT_E_NS1_11comp_targetILNS1_3genE5ELNS1_11target_archE942ELNS1_3gpuE9ELNS1_3repE0EEENS1_30default_config_static_selectorELNS0_4arch9wavefront6targetE1EEEvT1_ ; -- Begin function _ZN7rocprim17ROCPRIM_400000_NS6detail17trampoline_kernelINS0_14default_configENS1_25transform_config_selectorIN3c104HalfELb1EEEZNS1_14transform_implILb1ES3_S7_PS6_S9_NS0_8identityIS6_EEEE10hipError_tT2_T3_mT4_P12ihipStream_tbEUlT_E_NS1_11comp_targetILNS1_3genE5ELNS1_11target_archE942ELNS1_3gpuE9ELNS1_3repE0EEENS1_30default_config_static_selectorELNS0_4arch9wavefront6targetE1EEEvT1_
	.globl	_ZN7rocprim17ROCPRIM_400000_NS6detail17trampoline_kernelINS0_14default_configENS1_25transform_config_selectorIN3c104HalfELb1EEEZNS1_14transform_implILb1ES3_S7_PS6_S9_NS0_8identityIS6_EEEE10hipError_tT2_T3_mT4_P12ihipStream_tbEUlT_E_NS1_11comp_targetILNS1_3genE5ELNS1_11target_archE942ELNS1_3gpuE9ELNS1_3repE0EEENS1_30default_config_static_selectorELNS0_4arch9wavefront6targetE1EEEvT1_
	.p2align	8
	.type	_ZN7rocprim17ROCPRIM_400000_NS6detail17trampoline_kernelINS0_14default_configENS1_25transform_config_selectorIN3c104HalfELb1EEEZNS1_14transform_implILb1ES3_S7_PS6_S9_NS0_8identityIS6_EEEE10hipError_tT2_T3_mT4_P12ihipStream_tbEUlT_E_NS1_11comp_targetILNS1_3genE5ELNS1_11target_archE942ELNS1_3gpuE9ELNS1_3repE0EEENS1_30default_config_static_selectorELNS0_4arch9wavefront6targetE1EEEvT1_,@function
_ZN7rocprim17ROCPRIM_400000_NS6detail17trampoline_kernelINS0_14default_configENS1_25transform_config_selectorIN3c104HalfELb1EEEZNS1_14transform_implILb1ES3_S7_PS6_S9_NS0_8identityIS6_EEEE10hipError_tT2_T3_mT4_P12ihipStream_tbEUlT_E_NS1_11comp_targetILNS1_3genE5ELNS1_11target_archE942ELNS1_3gpuE9ELNS1_3repE0EEENS1_30default_config_static_selectorELNS0_4arch9wavefront6targetE1EEEvT1_: ; @_ZN7rocprim17ROCPRIM_400000_NS6detail17trampoline_kernelINS0_14default_configENS1_25transform_config_selectorIN3c104HalfELb1EEEZNS1_14transform_implILb1ES3_S7_PS6_S9_NS0_8identityIS6_EEEE10hipError_tT2_T3_mT4_P12ihipStream_tbEUlT_E_NS1_11comp_targetILNS1_3genE5ELNS1_11target_archE942ELNS1_3gpuE9ELNS1_3repE0EEENS1_30default_config_static_selectorELNS0_4arch9wavefront6targetE1EEEvT1_
; %bb.0:
	.section	.rodata,"a",@progbits
	.p2align	6, 0x0
	.amdhsa_kernel _ZN7rocprim17ROCPRIM_400000_NS6detail17trampoline_kernelINS0_14default_configENS1_25transform_config_selectorIN3c104HalfELb1EEEZNS1_14transform_implILb1ES3_S7_PS6_S9_NS0_8identityIS6_EEEE10hipError_tT2_T3_mT4_P12ihipStream_tbEUlT_E_NS1_11comp_targetILNS1_3genE5ELNS1_11target_archE942ELNS1_3gpuE9ELNS1_3repE0EEENS1_30default_config_static_selectorELNS0_4arch9wavefront6targetE1EEEvT1_
		.amdhsa_group_segment_fixed_size 0
		.amdhsa_private_segment_fixed_size 0
		.amdhsa_kernarg_size 40
		.amdhsa_user_sgpr_count 2
		.amdhsa_user_sgpr_dispatch_ptr 0
		.amdhsa_user_sgpr_queue_ptr 0
		.amdhsa_user_sgpr_kernarg_segment_ptr 1
		.amdhsa_user_sgpr_dispatch_id 0
		.amdhsa_user_sgpr_kernarg_preload_length 0
		.amdhsa_user_sgpr_kernarg_preload_offset 0
		.amdhsa_user_sgpr_private_segment_size 0
		.amdhsa_uses_dynamic_stack 0
		.amdhsa_enable_private_segment 0
		.amdhsa_system_sgpr_workgroup_id_x 1
		.amdhsa_system_sgpr_workgroup_id_y 0
		.amdhsa_system_sgpr_workgroup_id_z 0
		.amdhsa_system_sgpr_workgroup_info 0
		.amdhsa_system_vgpr_workitem_id 0
		.amdhsa_next_free_vgpr 1
		.amdhsa_next_free_sgpr 0
		.amdhsa_accum_offset 4
		.amdhsa_reserve_vcc 0
		.amdhsa_float_round_mode_32 0
		.amdhsa_float_round_mode_16_64 0
		.amdhsa_float_denorm_mode_32 3
		.amdhsa_float_denorm_mode_16_64 3
		.amdhsa_dx10_clamp 1
		.amdhsa_ieee_mode 1
		.amdhsa_fp16_overflow 0
		.amdhsa_tg_split 0
		.amdhsa_exception_fp_ieee_invalid_op 0
		.amdhsa_exception_fp_denorm_src 0
		.amdhsa_exception_fp_ieee_div_zero 0
		.amdhsa_exception_fp_ieee_overflow 0
		.amdhsa_exception_fp_ieee_underflow 0
		.amdhsa_exception_fp_ieee_inexact 0
		.amdhsa_exception_int_div_zero 0
	.end_amdhsa_kernel
	.section	.text._ZN7rocprim17ROCPRIM_400000_NS6detail17trampoline_kernelINS0_14default_configENS1_25transform_config_selectorIN3c104HalfELb1EEEZNS1_14transform_implILb1ES3_S7_PS6_S9_NS0_8identityIS6_EEEE10hipError_tT2_T3_mT4_P12ihipStream_tbEUlT_E_NS1_11comp_targetILNS1_3genE5ELNS1_11target_archE942ELNS1_3gpuE9ELNS1_3repE0EEENS1_30default_config_static_selectorELNS0_4arch9wavefront6targetE1EEEvT1_,"axG",@progbits,_ZN7rocprim17ROCPRIM_400000_NS6detail17trampoline_kernelINS0_14default_configENS1_25transform_config_selectorIN3c104HalfELb1EEEZNS1_14transform_implILb1ES3_S7_PS6_S9_NS0_8identityIS6_EEEE10hipError_tT2_T3_mT4_P12ihipStream_tbEUlT_E_NS1_11comp_targetILNS1_3genE5ELNS1_11target_archE942ELNS1_3gpuE9ELNS1_3repE0EEENS1_30default_config_static_selectorELNS0_4arch9wavefront6targetE1EEEvT1_,comdat
.Lfunc_end362:
	.size	_ZN7rocprim17ROCPRIM_400000_NS6detail17trampoline_kernelINS0_14default_configENS1_25transform_config_selectorIN3c104HalfELb1EEEZNS1_14transform_implILb1ES3_S7_PS6_S9_NS0_8identityIS6_EEEE10hipError_tT2_T3_mT4_P12ihipStream_tbEUlT_E_NS1_11comp_targetILNS1_3genE5ELNS1_11target_archE942ELNS1_3gpuE9ELNS1_3repE0EEENS1_30default_config_static_selectorELNS0_4arch9wavefront6targetE1EEEvT1_, .Lfunc_end362-_ZN7rocprim17ROCPRIM_400000_NS6detail17trampoline_kernelINS0_14default_configENS1_25transform_config_selectorIN3c104HalfELb1EEEZNS1_14transform_implILb1ES3_S7_PS6_S9_NS0_8identityIS6_EEEE10hipError_tT2_T3_mT4_P12ihipStream_tbEUlT_E_NS1_11comp_targetILNS1_3genE5ELNS1_11target_archE942ELNS1_3gpuE9ELNS1_3repE0EEENS1_30default_config_static_selectorELNS0_4arch9wavefront6targetE1EEEvT1_
                                        ; -- End function
	.set _ZN7rocprim17ROCPRIM_400000_NS6detail17trampoline_kernelINS0_14default_configENS1_25transform_config_selectorIN3c104HalfELb1EEEZNS1_14transform_implILb1ES3_S7_PS6_S9_NS0_8identityIS6_EEEE10hipError_tT2_T3_mT4_P12ihipStream_tbEUlT_E_NS1_11comp_targetILNS1_3genE5ELNS1_11target_archE942ELNS1_3gpuE9ELNS1_3repE0EEENS1_30default_config_static_selectorELNS0_4arch9wavefront6targetE1EEEvT1_.num_vgpr, 0
	.set _ZN7rocprim17ROCPRIM_400000_NS6detail17trampoline_kernelINS0_14default_configENS1_25transform_config_selectorIN3c104HalfELb1EEEZNS1_14transform_implILb1ES3_S7_PS6_S9_NS0_8identityIS6_EEEE10hipError_tT2_T3_mT4_P12ihipStream_tbEUlT_E_NS1_11comp_targetILNS1_3genE5ELNS1_11target_archE942ELNS1_3gpuE9ELNS1_3repE0EEENS1_30default_config_static_selectorELNS0_4arch9wavefront6targetE1EEEvT1_.num_agpr, 0
	.set _ZN7rocprim17ROCPRIM_400000_NS6detail17trampoline_kernelINS0_14default_configENS1_25transform_config_selectorIN3c104HalfELb1EEEZNS1_14transform_implILb1ES3_S7_PS6_S9_NS0_8identityIS6_EEEE10hipError_tT2_T3_mT4_P12ihipStream_tbEUlT_E_NS1_11comp_targetILNS1_3genE5ELNS1_11target_archE942ELNS1_3gpuE9ELNS1_3repE0EEENS1_30default_config_static_selectorELNS0_4arch9wavefront6targetE1EEEvT1_.numbered_sgpr, 0
	.set _ZN7rocprim17ROCPRIM_400000_NS6detail17trampoline_kernelINS0_14default_configENS1_25transform_config_selectorIN3c104HalfELb1EEEZNS1_14transform_implILb1ES3_S7_PS6_S9_NS0_8identityIS6_EEEE10hipError_tT2_T3_mT4_P12ihipStream_tbEUlT_E_NS1_11comp_targetILNS1_3genE5ELNS1_11target_archE942ELNS1_3gpuE9ELNS1_3repE0EEENS1_30default_config_static_selectorELNS0_4arch9wavefront6targetE1EEEvT1_.num_named_barrier, 0
	.set _ZN7rocprim17ROCPRIM_400000_NS6detail17trampoline_kernelINS0_14default_configENS1_25transform_config_selectorIN3c104HalfELb1EEEZNS1_14transform_implILb1ES3_S7_PS6_S9_NS0_8identityIS6_EEEE10hipError_tT2_T3_mT4_P12ihipStream_tbEUlT_E_NS1_11comp_targetILNS1_3genE5ELNS1_11target_archE942ELNS1_3gpuE9ELNS1_3repE0EEENS1_30default_config_static_selectorELNS0_4arch9wavefront6targetE1EEEvT1_.private_seg_size, 0
	.set _ZN7rocprim17ROCPRIM_400000_NS6detail17trampoline_kernelINS0_14default_configENS1_25transform_config_selectorIN3c104HalfELb1EEEZNS1_14transform_implILb1ES3_S7_PS6_S9_NS0_8identityIS6_EEEE10hipError_tT2_T3_mT4_P12ihipStream_tbEUlT_E_NS1_11comp_targetILNS1_3genE5ELNS1_11target_archE942ELNS1_3gpuE9ELNS1_3repE0EEENS1_30default_config_static_selectorELNS0_4arch9wavefront6targetE1EEEvT1_.uses_vcc, 0
	.set _ZN7rocprim17ROCPRIM_400000_NS6detail17trampoline_kernelINS0_14default_configENS1_25transform_config_selectorIN3c104HalfELb1EEEZNS1_14transform_implILb1ES3_S7_PS6_S9_NS0_8identityIS6_EEEE10hipError_tT2_T3_mT4_P12ihipStream_tbEUlT_E_NS1_11comp_targetILNS1_3genE5ELNS1_11target_archE942ELNS1_3gpuE9ELNS1_3repE0EEENS1_30default_config_static_selectorELNS0_4arch9wavefront6targetE1EEEvT1_.uses_flat_scratch, 0
	.set _ZN7rocprim17ROCPRIM_400000_NS6detail17trampoline_kernelINS0_14default_configENS1_25transform_config_selectorIN3c104HalfELb1EEEZNS1_14transform_implILb1ES3_S7_PS6_S9_NS0_8identityIS6_EEEE10hipError_tT2_T3_mT4_P12ihipStream_tbEUlT_E_NS1_11comp_targetILNS1_3genE5ELNS1_11target_archE942ELNS1_3gpuE9ELNS1_3repE0EEENS1_30default_config_static_selectorELNS0_4arch9wavefront6targetE1EEEvT1_.has_dyn_sized_stack, 0
	.set _ZN7rocprim17ROCPRIM_400000_NS6detail17trampoline_kernelINS0_14default_configENS1_25transform_config_selectorIN3c104HalfELb1EEEZNS1_14transform_implILb1ES3_S7_PS6_S9_NS0_8identityIS6_EEEE10hipError_tT2_T3_mT4_P12ihipStream_tbEUlT_E_NS1_11comp_targetILNS1_3genE5ELNS1_11target_archE942ELNS1_3gpuE9ELNS1_3repE0EEENS1_30default_config_static_selectorELNS0_4arch9wavefront6targetE1EEEvT1_.has_recursion, 0
	.set _ZN7rocprim17ROCPRIM_400000_NS6detail17trampoline_kernelINS0_14default_configENS1_25transform_config_selectorIN3c104HalfELb1EEEZNS1_14transform_implILb1ES3_S7_PS6_S9_NS0_8identityIS6_EEEE10hipError_tT2_T3_mT4_P12ihipStream_tbEUlT_E_NS1_11comp_targetILNS1_3genE5ELNS1_11target_archE942ELNS1_3gpuE9ELNS1_3repE0EEENS1_30default_config_static_selectorELNS0_4arch9wavefront6targetE1EEEvT1_.has_indirect_call, 0
	.section	.AMDGPU.csdata,"",@progbits
; Kernel info:
; codeLenInByte = 0
; TotalNumSgprs: 6
; NumVgprs: 0
; NumAgprs: 0
; TotalNumVgprs: 0
; ScratchSize: 0
; MemoryBound: 0
; FloatMode: 240
; IeeeMode: 1
; LDSByteSize: 0 bytes/workgroup (compile time only)
; SGPRBlocks: 0
; VGPRBlocks: 0
; NumSGPRsForWavesPerEU: 6
; NumVGPRsForWavesPerEU: 1
; AccumOffset: 4
; Occupancy: 8
; WaveLimiterHint : 0
; COMPUTE_PGM_RSRC2:SCRATCH_EN: 0
; COMPUTE_PGM_RSRC2:USER_SGPR: 2
; COMPUTE_PGM_RSRC2:TRAP_HANDLER: 0
; COMPUTE_PGM_RSRC2:TGID_X_EN: 1
; COMPUTE_PGM_RSRC2:TGID_Y_EN: 0
; COMPUTE_PGM_RSRC2:TGID_Z_EN: 0
; COMPUTE_PGM_RSRC2:TIDIG_COMP_CNT: 0
; COMPUTE_PGM_RSRC3_GFX90A:ACCUM_OFFSET: 0
; COMPUTE_PGM_RSRC3_GFX90A:TG_SPLIT: 0
	.section	.text._ZN7rocprim17ROCPRIM_400000_NS6detail17trampoline_kernelINS0_14default_configENS1_25transform_config_selectorIN3c104HalfELb1EEEZNS1_14transform_implILb1ES3_S7_PS6_S9_NS0_8identityIS6_EEEE10hipError_tT2_T3_mT4_P12ihipStream_tbEUlT_E_NS1_11comp_targetILNS1_3genE4ELNS1_11target_archE910ELNS1_3gpuE8ELNS1_3repE0EEENS1_30default_config_static_selectorELNS0_4arch9wavefront6targetE1EEEvT1_,"axG",@progbits,_ZN7rocprim17ROCPRIM_400000_NS6detail17trampoline_kernelINS0_14default_configENS1_25transform_config_selectorIN3c104HalfELb1EEEZNS1_14transform_implILb1ES3_S7_PS6_S9_NS0_8identityIS6_EEEE10hipError_tT2_T3_mT4_P12ihipStream_tbEUlT_E_NS1_11comp_targetILNS1_3genE4ELNS1_11target_archE910ELNS1_3gpuE8ELNS1_3repE0EEENS1_30default_config_static_selectorELNS0_4arch9wavefront6targetE1EEEvT1_,comdat
	.protected	_ZN7rocprim17ROCPRIM_400000_NS6detail17trampoline_kernelINS0_14default_configENS1_25transform_config_selectorIN3c104HalfELb1EEEZNS1_14transform_implILb1ES3_S7_PS6_S9_NS0_8identityIS6_EEEE10hipError_tT2_T3_mT4_P12ihipStream_tbEUlT_E_NS1_11comp_targetILNS1_3genE4ELNS1_11target_archE910ELNS1_3gpuE8ELNS1_3repE0EEENS1_30default_config_static_selectorELNS0_4arch9wavefront6targetE1EEEvT1_ ; -- Begin function _ZN7rocprim17ROCPRIM_400000_NS6detail17trampoline_kernelINS0_14default_configENS1_25transform_config_selectorIN3c104HalfELb1EEEZNS1_14transform_implILb1ES3_S7_PS6_S9_NS0_8identityIS6_EEEE10hipError_tT2_T3_mT4_P12ihipStream_tbEUlT_E_NS1_11comp_targetILNS1_3genE4ELNS1_11target_archE910ELNS1_3gpuE8ELNS1_3repE0EEENS1_30default_config_static_selectorELNS0_4arch9wavefront6targetE1EEEvT1_
	.globl	_ZN7rocprim17ROCPRIM_400000_NS6detail17trampoline_kernelINS0_14default_configENS1_25transform_config_selectorIN3c104HalfELb1EEEZNS1_14transform_implILb1ES3_S7_PS6_S9_NS0_8identityIS6_EEEE10hipError_tT2_T3_mT4_P12ihipStream_tbEUlT_E_NS1_11comp_targetILNS1_3genE4ELNS1_11target_archE910ELNS1_3gpuE8ELNS1_3repE0EEENS1_30default_config_static_selectorELNS0_4arch9wavefront6targetE1EEEvT1_
	.p2align	8
	.type	_ZN7rocprim17ROCPRIM_400000_NS6detail17trampoline_kernelINS0_14default_configENS1_25transform_config_selectorIN3c104HalfELb1EEEZNS1_14transform_implILb1ES3_S7_PS6_S9_NS0_8identityIS6_EEEE10hipError_tT2_T3_mT4_P12ihipStream_tbEUlT_E_NS1_11comp_targetILNS1_3genE4ELNS1_11target_archE910ELNS1_3gpuE8ELNS1_3repE0EEENS1_30default_config_static_selectorELNS0_4arch9wavefront6targetE1EEEvT1_,@function
_ZN7rocprim17ROCPRIM_400000_NS6detail17trampoline_kernelINS0_14default_configENS1_25transform_config_selectorIN3c104HalfELb1EEEZNS1_14transform_implILb1ES3_S7_PS6_S9_NS0_8identityIS6_EEEE10hipError_tT2_T3_mT4_P12ihipStream_tbEUlT_E_NS1_11comp_targetILNS1_3genE4ELNS1_11target_archE910ELNS1_3gpuE8ELNS1_3repE0EEENS1_30default_config_static_selectorELNS0_4arch9wavefront6targetE1EEEvT1_: ; @_ZN7rocprim17ROCPRIM_400000_NS6detail17trampoline_kernelINS0_14default_configENS1_25transform_config_selectorIN3c104HalfELb1EEEZNS1_14transform_implILb1ES3_S7_PS6_S9_NS0_8identityIS6_EEEE10hipError_tT2_T3_mT4_P12ihipStream_tbEUlT_E_NS1_11comp_targetILNS1_3genE4ELNS1_11target_archE910ELNS1_3gpuE8ELNS1_3repE0EEENS1_30default_config_static_selectorELNS0_4arch9wavefront6targetE1EEEvT1_
; %bb.0:
	.section	.rodata,"a",@progbits
	.p2align	6, 0x0
	.amdhsa_kernel _ZN7rocprim17ROCPRIM_400000_NS6detail17trampoline_kernelINS0_14default_configENS1_25transform_config_selectorIN3c104HalfELb1EEEZNS1_14transform_implILb1ES3_S7_PS6_S9_NS0_8identityIS6_EEEE10hipError_tT2_T3_mT4_P12ihipStream_tbEUlT_E_NS1_11comp_targetILNS1_3genE4ELNS1_11target_archE910ELNS1_3gpuE8ELNS1_3repE0EEENS1_30default_config_static_selectorELNS0_4arch9wavefront6targetE1EEEvT1_
		.amdhsa_group_segment_fixed_size 0
		.amdhsa_private_segment_fixed_size 0
		.amdhsa_kernarg_size 40
		.amdhsa_user_sgpr_count 2
		.amdhsa_user_sgpr_dispatch_ptr 0
		.amdhsa_user_sgpr_queue_ptr 0
		.amdhsa_user_sgpr_kernarg_segment_ptr 1
		.amdhsa_user_sgpr_dispatch_id 0
		.amdhsa_user_sgpr_kernarg_preload_length 0
		.amdhsa_user_sgpr_kernarg_preload_offset 0
		.amdhsa_user_sgpr_private_segment_size 0
		.amdhsa_uses_dynamic_stack 0
		.amdhsa_enable_private_segment 0
		.amdhsa_system_sgpr_workgroup_id_x 1
		.amdhsa_system_sgpr_workgroup_id_y 0
		.amdhsa_system_sgpr_workgroup_id_z 0
		.amdhsa_system_sgpr_workgroup_info 0
		.amdhsa_system_vgpr_workitem_id 0
		.amdhsa_next_free_vgpr 1
		.amdhsa_next_free_sgpr 0
		.amdhsa_accum_offset 4
		.amdhsa_reserve_vcc 0
		.amdhsa_float_round_mode_32 0
		.amdhsa_float_round_mode_16_64 0
		.amdhsa_float_denorm_mode_32 3
		.amdhsa_float_denorm_mode_16_64 3
		.amdhsa_dx10_clamp 1
		.amdhsa_ieee_mode 1
		.amdhsa_fp16_overflow 0
		.amdhsa_tg_split 0
		.amdhsa_exception_fp_ieee_invalid_op 0
		.amdhsa_exception_fp_denorm_src 0
		.amdhsa_exception_fp_ieee_div_zero 0
		.amdhsa_exception_fp_ieee_overflow 0
		.amdhsa_exception_fp_ieee_underflow 0
		.amdhsa_exception_fp_ieee_inexact 0
		.amdhsa_exception_int_div_zero 0
	.end_amdhsa_kernel
	.section	.text._ZN7rocprim17ROCPRIM_400000_NS6detail17trampoline_kernelINS0_14default_configENS1_25transform_config_selectorIN3c104HalfELb1EEEZNS1_14transform_implILb1ES3_S7_PS6_S9_NS0_8identityIS6_EEEE10hipError_tT2_T3_mT4_P12ihipStream_tbEUlT_E_NS1_11comp_targetILNS1_3genE4ELNS1_11target_archE910ELNS1_3gpuE8ELNS1_3repE0EEENS1_30default_config_static_selectorELNS0_4arch9wavefront6targetE1EEEvT1_,"axG",@progbits,_ZN7rocprim17ROCPRIM_400000_NS6detail17trampoline_kernelINS0_14default_configENS1_25transform_config_selectorIN3c104HalfELb1EEEZNS1_14transform_implILb1ES3_S7_PS6_S9_NS0_8identityIS6_EEEE10hipError_tT2_T3_mT4_P12ihipStream_tbEUlT_E_NS1_11comp_targetILNS1_3genE4ELNS1_11target_archE910ELNS1_3gpuE8ELNS1_3repE0EEENS1_30default_config_static_selectorELNS0_4arch9wavefront6targetE1EEEvT1_,comdat
.Lfunc_end363:
	.size	_ZN7rocprim17ROCPRIM_400000_NS6detail17trampoline_kernelINS0_14default_configENS1_25transform_config_selectorIN3c104HalfELb1EEEZNS1_14transform_implILb1ES3_S7_PS6_S9_NS0_8identityIS6_EEEE10hipError_tT2_T3_mT4_P12ihipStream_tbEUlT_E_NS1_11comp_targetILNS1_3genE4ELNS1_11target_archE910ELNS1_3gpuE8ELNS1_3repE0EEENS1_30default_config_static_selectorELNS0_4arch9wavefront6targetE1EEEvT1_, .Lfunc_end363-_ZN7rocprim17ROCPRIM_400000_NS6detail17trampoline_kernelINS0_14default_configENS1_25transform_config_selectorIN3c104HalfELb1EEEZNS1_14transform_implILb1ES3_S7_PS6_S9_NS0_8identityIS6_EEEE10hipError_tT2_T3_mT4_P12ihipStream_tbEUlT_E_NS1_11comp_targetILNS1_3genE4ELNS1_11target_archE910ELNS1_3gpuE8ELNS1_3repE0EEENS1_30default_config_static_selectorELNS0_4arch9wavefront6targetE1EEEvT1_
                                        ; -- End function
	.set _ZN7rocprim17ROCPRIM_400000_NS6detail17trampoline_kernelINS0_14default_configENS1_25transform_config_selectorIN3c104HalfELb1EEEZNS1_14transform_implILb1ES3_S7_PS6_S9_NS0_8identityIS6_EEEE10hipError_tT2_T3_mT4_P12ihipStream_tbEUlT_E_NS1_11comp_targetILNS1_3genE4ELNS1_11target_archE910ELNS1_3gpuE8ELNS1_3repE0EEENS1_30default_config_static_selectorELNS0_4arch9wavefront6targetE1EEEvT1_.num_vgpr, 0
	.set _ZN7rocprim17ROCPRIM_400000_NS6detail17trampoline_kernelINS0_14default_configENS1_25transform_config_selectorIN3c104HalfELb1EEEZNS1_14transform_implILb1ES3_S7_PS6_S9_NS0_8identityIS6_EEEE10hipError_tT2_T3_mT4_P12ihipStream_tbEUlT_E_NS1_11comp_targetILNS1_3genE4ELNS1_11target_archE910ELNS1_3gpuE8ELNS1_3repE0EEENS1_30default_config_static_selectorELNS0_4arch9wavefront6targetE1EEEvT1_.num_agpr, 0
	.set _ZN7rocprim17ROCPRIM_400000_NS6detail17trampoline_kernelINS0_14default_configENS1_25transform_config_selectorIN3c104HalfELb1EEEZNS1_14transform_implILb1ES3_S7_PS6_S9_NS0_8identityIS6_EEEE10hipError_tT2_T3_mT4_P12ihipStream_tbEUlT_E_NS1_11comp_targetILNS1_3genE4ELNS1_11target_archE910ELNS1_3gpuE8ELNS1_3repE0EEENS1_30default_config_static_selectorELNS0_4arch9wavefront6targetE1EEEvT1_.numbered_sgpr, 0
	.set _ZN7rocprim17ROCPRIM_400000_NS6detail17trampoline_kernelINS0_14default_configENS1_25transform_config_selectorIN3c104HalfELb1EEEZNS1_14transform_implILb1ES3_S7_PS6_S9_NS0_8identityIS6_EEEE10hipError_tT2_T3_mT4_P12ihipStream_tbEUlT_E_NS1_11comp_targetILNS1_3genE4ELNS1_11target_archE910ELNS1_3gpuE8ELNS1_3repE0EEENS1_30default_config_static_selectorELNS0_4arch9wavefront6targetE1EEEvT1_.num_named_barrier, 0
	.set _ZN7rocprim17ROCPRIM_400000_NS6detail17trampoline_kernelINS0_14default_configENS1_25transform_config_selectorIN3c104HalfELb1EEEZNS1_14transform_implILb1ES3_S7_PS6_S9_NS0_8identityIS6_EEEE10hipError_tT2_T3_mT4_P12ihipStream_tbEUlT_E_NS1_11comp_targetILNS1_3genE4ELNS1_11target_archE910ELNS1_3gpuE8ELNS1_3repE0EEENS1_30default_config_static_selectorELNS0_4arch9wavefront6targetE1EEEvT1_.private_seg_size, 0
	.set _ZN7rocprim17ROCPRIM_400000_NS6detail17trampoline_kernelINS0_14default_configENS1_25transform_config_selectorIN3c104HalfELb1EEEZNS1_14transform_implILb1ES3_S7_PS6_S9_NS0_8identityIS6_EEEE10hipError_tT2_T3_mT4_P12ihipStream_tbEUlT_E_NS1_11comp_targetILNS1_3genE4ELNS1_11target_archE910ELNS1_3gpuE8ELNS1_3repE0EEENS1_30default_config_static_selectorELNS0_4arch9wavefront6targetE1EEEvT1_.uses_vcc, 0
	.set _ZN7rocprim17ROCPRIM_400000_NS6detail17trampoline_kernelINS0_14default_configENS1_25transform_config_selectorIN3c104HalfELb1EEEZNS1_14transform_implILb1ES3_S7_PS6_S9_NS0_8identityIS6_EEEE10hipError_tT2_T3_mT4_P12ihipStream_tbEUlT_E_NS1_11comp_targetILNS1_3genE4ELNS1_11target_archE910ELNS1_3gpuE8ELNS1_3repE0EEENS1_30default_config_static_selectorELNS0_4arch9wavefront6targetE1EEEvT1_.uses_flat_scratch, 0
	.set _ZN7rocprim17ROCPRIM_400000_NS6detail17trampoline_kernelINS0_14default_configENS1_25transform_config_selectorIN3c104HalfELb1EEEZNS1_14transform_implILb1ES3_S7_PS6_S9_NS0_8identityIS6_EEEE10hipError_tT2_T3_mT4_P12ihipStream_tbEUlT_E_NS1_11comp_targetILNS1_3genE4ELNS1_11target_archE910ELNS1_3gpuE8ELNS1_3repE0EEENS1_30default_config_static_selectorELNS0_4arch9wavefront6targetE1EEEvT1_.has_dyn_sized_stack, 0
	.set _ZN7rocprim17ROCPRIM_400000_NS6detail17trampoline_kernelINS0_14default_configENS1_25transform_config_selectorIN3c104HalfELb1EEEZNS1_14transform_implILb1ES3_S7_PS6_S9_NS0_8identityIS6_EEEE10hipError_tT2_T3_mT4_P12ihipStream_tbEUlT_E_NS1_11comp_targetILNS1_3genE4ELNS1_11target_archE910ELNS1_3gpuE8ELNS1_3repE0EEENS1_30default_config_static_selectorELNS0_4arch9wavefront6targetE1EEEvT1_.has_recursion, 0
	.set _ZN7rocprim17ROCPRIM_400000_NS6detail17trampoline_kernelINS0_14default_configENS1_25transform_config_selectorIN3c104HalfELb1EEEZNS1_14transform_implILb1ES3_S7_PS6_S9_NS0_8identityIS6_EEEE10hipError_tT2_T3_mT4_P12ihipStream_tbEUlT_E_NS1_11comp_targetILNS1_3genE4ELNS1_11target_archE910ELNS1_3gpuE8ELNS1_3repE0EEENS1_30default_config_static_selectorELNS0_4arch9wavefront6targetE1EEEvT1_.has_indirect_call, 0
	.section	.AMDGPU.csdata,"",@progbits
; Kernel info:
; codeLenInByte = 0
; TotalNumSgprs: 6
; NumVgprs: 0
; NumAgprs: 0
; TotalNumVgprs: 0
; ScratchSize: 0
; MemoryBound: 0
; FloatMode: 240
; IeeeMode: 1
; LDSByteSize: 0 bytes/workgroup (compile time only)
; SGPRBlocks: 0
; VGPRBlocks: 0
; NumSGPRsForWavesPerEU: 6
; NumVGPRsForWavesPerEU: 1
; AccumOffset: 4
; Occupancy: 8
; WaveLimiterHint : 0
; COMPUTE_PGM_RSRC2:SCRATCH_EN: 0
; COMPUTE_PGM_RSRC2:USER_SGPR: 2
; COMPUTE_PGM_RSRC2:TRAP_HANDLER: 0
; COMPUTE_PGM_RSRC2:TGID_X_EN: 1
; COMPUTE_PGM_RSRC2:TGID_Y_EN: 0
; COMPUTE_PGM_RSRC2:TGID_Z_EN: 0
; COMPUTE_PGM_RSRC2:TIDIG_COMP_CNT: 0
; COMPUTE_PGM_RSRC3_GFX90A:ACCUM_OFFSET: 0
; COMPUTE_PGM_RSRC3_GFX90A:TG_SPLIT: 0
	.section	.text._ZN7rocprim17ROCPRIM_400000_NS6detail17trampoline_kernelINS0_14default_configENS1_25transform_config_selectorIN3c104HalfELb1EEEZNS1_14transform_implILb1ES3_S7_PS6_S9_NS0_8identityIS6_EEEE10hipError_tT2_T3_mT4_P12ihipStream_tbEUlT_E_NS1_11comp_targetILNS1_3genE3ELNS1_11target_archE908ELNS1_3gpuE7ELNS1_3repE0EEENS1_30default_config_static_selectorELNS0_4arch9wavefront6targetE1EEEvT1_,"axG",@progbits,_ZN7rocprim17ROCPRIM_400000_NS6detail17trampoline_kernelINS0_14default_configENS1_25transform_config_selectorIN3c104HalfELb1EEEZNS1_14transform_implILb1ES3_S7_PS6_S9_NS0_8identityIS6_EEEE10hipError_tT2_T3_mT4_P12ihipStream_tbEUlT_E_NS1_11comp_targetILNS1_3genE3ELNS1_11target_archE908ELNS1_3gpuE7ELNS1_3repE0EEENS1_30default_config_static_selectorELNS0_4arch9wavefront6targetE1EEEvT1_,comdat
	.protected	_ZN7rocprim17ROCPRIM_400000_NS6detail17trampoline_kernelINS0_14default_configENS1_25transform_config_selectorIN3c104HalfELb1EEEZNS1_14transform_implILb1ES3_S7_PS6_S9_NS0_8identityIS6_EEEE10hipError_tT2_T3_mT4_P12ihipStream_tbEUlT_E_NS1_11comp_targetILNS1_3genE3ELNS1_11target_archE908ELNS1_3gpuE7ELNS1_3repE0EEENS1_30default_config_static_selectorELNS0_4arch9wavefront6targetE1EEEvT1_ ; -- Begin function _ZN7rocprim17ROCPRIM_400000_NS6detail17trampoline_kernelINS0_14default_configENS1_25transform_config_selectorIN3c104HalfELb1EEEZNS1_14transform_implILb1ES3_S7_PS6_S9_NS0_8identityIS6_EEEE10hipError_tT2_T3_mT4_P12ihipStream_tbEUlT_E_NS1_11comp_targetILNS1_3genE3ELNS1_11target_archE908ELNS1_3gpuE7ELNS1_3repE0EEENS1_30default_config_static_selectorELNS0_4arch9wavefront6targetE1EEEvT1_
	.globl	_ZN7rocprim17ROCPRIM_400000_NS6detail17trampoline_kernelINS0_14default_configENS1_25transform_config_selectorIN3c104HalfELb1EEEZNS1_14transform_implILb1ES3_S7_PS6_S9_NS0_8identityIS6_EEEE10hipError_tT2_T3_mT4_P12ihipStream_tbEUlT_E_NS1_11comp_targetILNS1_3genE3ELNS1_11target_archE908ELNS1_3gpuE7ELNS1_3repE0EEENS1_30default_config_static_selectorELNS0_4arch9wavefront6targetE1EEEvT1_
	.p2align	8
	.type	_ZN7rocprim17ROCPRIM_400000_NS6detail17trampoline_kernelINS0_14default_configENS1_25transform_config_selectorIN3c104HalfELb1EEEZNS1_14transform_implILb1ES3_S7_PS6_S9_NS0_8identityIS6_EEEE10hipError_tT2_T3_mT4_P12ihipStream_tbEUlT_E_NS1_11comp_targetILNS1_3genE3ELNS1_11target_archE908ELNS1_3gpuE7ELNS1_3repE0EEENS1_30default_config_static_selectorELNS0_4arch9wavefront6targetE1EEEvT1_,@function
_ZN7rocprim17ROCPRIM_400000_NS6detail17trampoline_kernelINS0_14default_configENS1_25transform_config_selectorIN3c104HalfELb1EEEZNS1_14transform_implILb1ES3_S7_PS6_S9_NS0_8identityIS6_EEEE10hipError_tT2_T3_mT4_P12ihipStream_tbEUlT_E_NS1_11comp_targetILNS1_3genE3ELNS1_11target_archE908ELNS1_3gpuE7ELNS1_3repE0EEENS1_30default_config_static_selectorELNS0_4arch9wavefront6targetE1EEEvT1_: ; @_ZN7rocprim17ROCPRIM_400000_NS6detail17trampoline_kernelINS0_14default_configENS1_25transform_config_selectorIN3c104HalfELb1EEEZNS1_14transform_implILb1ES3_S7_PS6_S9_NS0_8identityIS6_EEEE10hipError_tT2_T3_mT4_P12ihipStream_tbEUlT_E_NS1_11comp_targetILNS1_3genE3ELNS1_11target_archE908ELNS1_3gpuE7ELNS1_3repE0EEENS1_30default_config_static_selectorELNS0_4arch9wavefront6targetE1EEEvT1_
; %bb.0:
	.section	.rodata,"a",@progbits
	.p2align	6, 0x0
	.amdhsa_kernel _ZN7rocprim17ROCPRIM_400000_NS6detail17trampoline_kernelINS0_14default_configENS1_25transform_config_selectorIN3c104HalfELb1EEEZNS1_14transform_implILb1ES3_S7_PS6_S9_NS0_8identityIS6_EEEE10hipError_tT2_T3_mT4_P12ihipStream_tbEUlT_E_NS1_11comp_targetILNS1_3genE3ELNS1_11target_archE908ELNS1_3gpuE7ELNS1_3repE0EEENS1_30default_config_static_selectorELNS0_4arch9wavefront6targetE1EEEvT1_
		.amdhsa_group_segment_fixed_size 0
		.amdhsa_private_segment_fixed_size 0
		.amdhsa_kernarg_size 40
		.amdhsa_user_sgpr_count 2
		.amdhsa_user_sgpr_dispatch_ptr 0
		.amdhsa_user_sgpr_queue_ptr 0
		.amdhsa_user_sgpr_kernarg_segment_ptr 1
		.amdhsa_user_sgpr_dispatch_id 0
		.amdhsa_user_sgpr_kernarg_preload_length 0
		.amdhsa_user_sgpr_kernarg_preload_offset 0
		.amdhsa_user_sgpr_private_segment_size 0
		.amdhsa_uses_dynamic_stack 0
		.amdhsa_enable_private_segment 0
		.amdhsa_system_sgpr_workgroup_id_x 1
		.amdhsa_system_sgpr_workgroup_id_y 0
		.amdhsa_system_sgpr_workgroup_id_z 0
		.amdhsa_system_sgpr_workgroup_info 0
		.amdhsa_system_vgpr_workitem_id 0
		.amdhsa_next_free_vgpr 1
		.amdhsa_next_free_sgpr 0
		.amdhsa_accum_offset 4
		.amdhsa_reserve_vcc 0
		.amdhsa_float_round_mode_32 0
		.amdhsa_float_round_mode_16_64 0
		.amdhsa_float_denorm_mode_32 3
		.amdhsa_float_denorm_mode_16_64 3
		.amdhsa_dx10_clamp 1
		.amdhsa_ieee_mode 1
		.amdhsa_fp16_overflow 0
		.amdhsa_tg_split 0
		.amdhsa_exception_fp_ieee_invalid_op 0
		.amdhsa_exception_fp_denorm_src 0
		.amdhsa_exception_fp_ieee_div_zero 0
		.amdhsa_exception_fp_ieee_overflow 0
		.amdhsa_exception_fp_ieee_underflow 0
		.amdhsa_exception_fp_ieee_inexact 0
		.amdhsa_exception_int_div_zero 0
	.end_amdhsa_kernel
	.section	.text._ZN7rocprim17ROCPRIM_400000_NS6detail17trampoline_kernelINS0_14default_configENS1_25transform_config_selectorIN3c104HalfELb1EEEZNS1_14transform_implILb1ES3_S7_PS6_S9_NS0_8identityIS6_EEEE10hipError_tT2_T3_mT4_P12ihipStream_tbEUlT_E_NS1_11comp_targetILNS1_3genE3ELNS1_11target_archE908ELNS1_3gpuE7ELNS1_3repE0EEENS1_30default_config_static_selectorELNS0_4arch9wavefront6targetE1EEEvT1_,"axG",@progbits,_ZN7rocprim17ROCPRIM_400000_NS6detail17trampoline_kernelINS0_14default_configENS1_25transform_config_selectorIN3c104HalfELb1EEEZNS1_14transform_implILb1ES3_S7_PS6_S9_NS0_8identityIS6_EEEE10hipError_tT2_T3_mT4_P12ihipStream_tbEUlT_E_NS1_11comp_targetILNS1_3genE3ELNS1_11target_archE908ELNS1_3gpuE7ELNS1_3repE0EEENS1_30default_config_static_selectorELNS0_4arch9wavefront6targetE1EEEvT1_,comdat
.Lfunc_end364:
	.size	_ZN7rocprim17ROCPRIM_400000_NS6detail17trampoline_kernelINS0_14default_configENS1_25transform_config_selectorIN3c104HalfELb1EEEZNS1_14transform_implILb1ES3_S7_PS6_S9_NS0_8identityIS6_EEEE10hipError_tT2_T3_mT4_P12ihipStream_tbEUlT_E_NS1_11comp_targetILNS1_3genE3ELNS1_11target_archE908ELNS1_3gpuE7ELNS1_3repE0EEENS1_30default_config_static_selectorELNS0_4arch9wavefront6targetE1EEEvT1_, .Lfunc_end364-_ZN7rocprim17ROCPRIM_400000_NS6detail17trampoline_kernelINS0_14default_configENS1_25transform_config_selectorIN3c104HalfELb1EEEZNS1_14transform_implILb1ES3_S7_PS6_S9_NS0_8identityIS6_EEEE10hipError_tT2_T3_mT4_P12ihipStream_tbEUlT_E_NS1_11comp_targetILNS1_3genE3ELNS1_11target_archE908ELNS1_3gpuE7ELNS1_3repE0EEENS1_30default_config_static_selectorELNS0_4arch9wavefront6targetE1EEEvT1_
                                        ; -- End function
	.set _ZN7rocprim17ROCPRIM_400000_NS6detail17trampoline_kernelINS0_14default_configENS1_25transform_config_selectorIN3c104HalfELb1EEEZNS1_14transform_implILb1ES3_S7_PS6_S9_NS0_8identityIS6_EEEE10hipError_tT2_T3_mT4_P12ihipStream_tbEUlT_E_NS1_11comp_targetILNS1_3genE3ELNS1_11target_archE908ELNS1_3gpuE7ELNS1_3repE0EEENS1_30default_config_static_selectorELNS0_4arch9wavefront6targetE1EEEvT1_.num_vgpr, 0
	.set _ZN7rocprim17ROCPRIM_400000_NS6detail17trampoline_kernelINS0_14default_configENS1_25transform_config_selectorIN3c104HalfELb1EEEZNS1_14transform_implILb1ES3_S7_PS6_S9_NS0_8identityIS6_EEEE10hipError_tT2_T3_mT4_P12ihipStream_tbEUlT_E_NS1_11comp_targetILNS1_3genE3ELNS1_11target_archE908ELNS1_3gpuE7ELNS1_3repE0EEENS1_30default_config_static_selectorELNS0_4arch9wavefront6targetE1EEEvT1_.num_agpr, 0
	.set _ZN7rocprim17ROCPRIM_400000_NS6detail17trampoline_kernelINS0_14default_configENS1_25transform_config_selectorIN3c104HalfELb1EEEZNS1_14transform_implILb1ES3_S7_PS6_S9_NS0_8identityIS6_EEEE10hipError_tT2_T3_mT4_P12ihipStream_tbEUlT_E_NS1_11comp_targetILNS1_3genE3ELNS1_11target_archE908ELNS1_3gpuE7ELNS1_3repE0EEENS1_30default_config_static_selectorELNS0_4arch9wavefront6targetE1EEEvT1_.numbered_sgpr, 0
	.set _ZN7rocprim17ROCPRIM_400000_NS6detail17trampoline_kernelINS0_14default_configENS1_25transform_config_selectorIN3c104HalfELb1EEEZNS1_14transform_implILb1ES3_S7_PS6_S9_NS0_8identityIS6_EEEE10hipError_tT2_T3_mT4_P12ihipStream_tbEUlT_E_NS1_11comp_targetILNS1_3genE3ELNS1_11target_archE908ELNS1_3gpuE7ELNS1_3repE0EEENS1_30default_config_static_selectorELNS0_4arch9wavefront6targetE1EEEvT1_.num_named_barrier, 0
	.set _ZN7rocprim17ROCPRIM_400000_NS6detail17trampoline_kernelINS0_14default_configENS1_25transform_config_selectorIN3c104HalfELb1EEEZNS1_14transform_implILb1ES3_S7_PS6_S9_NS0_8identityIS6_EEEE10hipError_tT2_T3_mT4_P12ihipStream_tbEUlT_E_NS1_11comp_targetILNS1_3genE3ELNS1_11target_archE908ELNS1_3gpuE7ELNS1_3repE0EEENS1_30default_config_static_selectorELNS0_4arch9wavefront6targetE1EEEvT1_.private_seg_size, 0
	.set _ZN7rocprim17ROCPRIM_400000_NS6detail17trampoline_kernelINS0_14default_configENS1_25transform_config_selectorIN3c104HalfELb1EEEZNS1_14transform_implILb1ES3_S7_PS6_S9_NS0_8identityIS6_EEEE10hipError_tT2_T3_mT4_P12ihipStream_tbEUlT_E_NS1_11comp_targetILNS1_3genE3ELNS1_11target_archE908ELNS1_3gpuE7ELNS1_3repE0EEENS1_30default_config_static_selectorELNS0_4arch9wavefront6targetE1EEEvT1_.uses_vcc, 0
	.set _ZN7rocprim17ROCPRIM_400000_NS6detail17trampoline_kernelINS0_14default_configENS1_25transform_config_selectorIN3c104HalfELb1EEEZNS1_14transform_implILb1ES3_S7_PS6_S9_NS0_8identityIS6_EEEE10hipError_tT2_T3_mT4_P12ihipStream_tbEUlT_E_NS1_11comp_targetILNS1_3genE3ELNS1_11target_archE908ELNS1_3gpuE7ELNS1_3repE0EEENS1_30default_config_static_selectorELNS0_4arch9wavefront6targetE1EEEvT1_.uses_flat_scratch, 0
	.set _ZN7rocprim17ROCPRIM_400000_NS6detail17trampoline_kernelINS0_14default_configENS1_25transform_config_selectorIN3c104HalfELb1EEEZNS1_14transform_implILb1ES3_S7_PS6_S9_NS0_8identityIS6_EEEE10hipError_tT2_T3_mT4_P12ihipStream_tbEUlT_E_NS1_11comp_targetILNS1_3genE3ELNS1_11target_archE908ELNS1_3gpuE7ELNS1_3repE0EEENS1_30default_config_static_selectorELNS0_4arch9wavefront6targetE1EEEvT1_.has_dyn_sized_stack, 0
	.set _ZN7rocprim17ROCPRIM_400000_NS6detail17trampoline_kernelINS0_14default_configENS1_25transform_config_selectorIN3c104HalfELb1EEEZNS1_14transform_implILb1ES3_S7_PS6_S9_NS0_8identityIS6_EEEE10hipError_tT2_T3_mT4_P12ihipStream_tbEUlT_E_NS1_11comp_targetILNS1_3genE3ELNS1_11target_archE908ELNS1_3gpuE7ELNS1_3repE0EEENS1_30default_config_static_selectorELNS0_4arch9wavefront6targetE1EEEvT1_.has_recursion, 0
	.set _ZN7rocprim17ROCPRIM_400000_NS6detail17trampoline_kernelINS0_14default_configENS1_25transform_config_selectorIN3c104HalfELb1EEEZNS1_14transform_implILb1ES3_S7_PS6_S9_NS0_8identityIS6_EEEE10hipError_tT2_T3_mT4_P12ihipStream_tbEUlT_E_NS1_11comp_targetILNS1_3genE3ELNS1_11target_archE908ELNS1_3gpuE7ELNS1_3repE0EEENS1_30default_config_static_selectorELNS0_4arch9wavefront6targetE1EEEvT1_.has_indirect_call, 0
	.section	.AMDGPU.csdata,"",@progbits
; Kernel info:
; codeLenInByte = 0
; TotalNumSgprs: 6
; NumVgprs: 0
; NumAgprs: 0
; TotalNumVgprs: 0
; ScratchSize: 0
; MemoryBound: 0
; FloatMode: 240
; IeeeMode: 1
; LDSByteSize: 0 bytes/workgroup (compile time only)
; SGPRBlocks: 0
; VGPRBlocks: 0
; NumSGPRsForWavesPerEU: 6
; NumVGPRsForWavesPerEU: 1
; AccumOffset: 4
; Occupancy: 8
; WaveLimiterHint : 0
; COMPUTE_PGM_RSRC2:SCRATCH_EN: 0
; COMPUTE_PGM_RSRC2:USER_SGPR: 2
; COMPUTE_PGM_RSRC2:TRAP_HANDLER: 0
; COMPUTE_PGM_RSRC2:TGID_X_EN: 1
; COMPUTE_PGM_RSRC2:TGID_Y_EN: 0
; COMPUTE_PGM_RSRC2:TGID_Z_EN: 0
; COMPUTE_PGM_RSRC2:TIDIG_COMP_CNT: 0
; COMPUTE_PGM_RSRC3_GFX90A:ACCUM_OFFSET: 0
; COMPUTE_PGM_RSRC3_GFX90A:TG_SPLIT: 0
	.section	.text._ZN7rocprim17ROCPRIM_400000_NS6detail17trampoline_kernelINS0_14default_configENS1_25transform_config_selectorIN3c104HalfELb1EEEZNS1_14transform_implILb1ES3_S7_PS6_S9_NS0_8identityIS6_EEEE10hipError_tT2_T3_mT4_P12ihipStream_tbEUlT_E_NS1_11comp_targetILNS1_3genE2ELNS1_11target_archE906ELNS1_3gpuE6ELNS1_3repE0EEENS1_30default_config_static_selectorELNS0_4arch9wavefront6targetE1EEEvT1_,"axG",@progbits,_ZN7rocprim17ROCPRIM_400000_NS6detail17trampoline_kernelINS0_14default_configENS1_25transform_config_selectorIN3c104HalfELb1EEEZNS1_14transform_implILb1ES3_S7_PS6_S9_NS0_8identityIS6_EEEE10hipError_tT2_T3_mT4_P12ihipStream_tbEUlT_E_NS1_11comp_targetILNS1_3genE2ELNS1_11target_archE906ELNS1_3gpuE6ELNS1_3repE0EEENS1_30default_config_static_selectorELNS0_4arch9wavefront6targetE1EEEvT1_,comdat
	.protected	_ZN7rocprim17ROCPRIM_400000_NS6detail17trampoline_kernelINS0_14default_configENS1_25transform_config_selectorIN3c104HalfELb1EEEZNS1_14transform_implILb1ES3_S7_PS6_S9_NS0_8identityIS6_EEEE10hipError_tT2_T3_mT4_P12ihipStream_tbEUlT_E_NS1_11comp_targetILNS1_3genE2ELNS1_11target_archE906ELNS1_3gpuE6ELNS1_3repE0EEENS1_30default_config_static_selectorELNS0_4arch9wavefront6targetE1EEEvT1_ ; -- Begin function _ZN7rocprim17ROCPRIM_400000_NS6detail17trampoline_kernelINS0_14default_configENS1_25transform_config_selectorIN3c104HalfELb1EEEZNS1_14transform_implILb1ES3_S7_PS6_S9_NS0_8identityIS6_EEEE10hipError_tT2_T3_mT4_P12ihipStream_tbEUlT_E_NS1_11comp_targetILNS1_3genE2ELNS1_11target_archE906ELNS1_3gpuE6ELNS1_3repE0EEENS1_30default_config_static_selectorELNS0_4arch9wavefront6targetE1EEEvT1_
	.globl	_ZN7rocprim17ROCPRIM_400000_NS6detail17trampoline_kernelINS0_14default_configENS1_25transform_config_selectorIN3c104HalfELb1EEEZNS1_14transform_implILb1ES3_S7_PS6_S9_NS0_8identityIS6_EEEE10hipError_tT2_T3_mT4_P12ihipStream_tbEUlT_E_NS1_11comp_targetILNS1_3genE2ELNS1_11target_archE906ELNS1_3gpuE6ELNS1_3repE0EEENS1_30default_config_static_selectorELNS0_4arch9wavefront6targetE1EEEvT1_
	.p2align	8
	.type	_ZN7rocprim17ROCPRIM_400000_NS6detail17trampoline_kernelINS0_14default_configENS1_25transform_config_selectorIN3c104HalfELb1EEEZNS1_14transform_implILb1ES3_S7_PS6_S9_NS0_8identityIS6_EEEE10hipError_tT2_T3_mT4_P12ihipStream_tbEUlT_E_NS1_11comp_targetILNS1_3genE2ELNS1_11target_archE906ELNS1_3gpuE6ELNS1_3repE0EEENS1_30default_config_static_selectorELNS0_4arch9wavefront6targetE1EEEvT1_,@function
_ZN7rocprim17ROCPRIM_400000_NS6detail17trampoline_kernelINS0_14default_configENS1_25transform_config_selectorIN3c104HalfELb1EEEZNS1_14transform_implILb1ES3_S7_PS6_S9_NS0_8identityIS6_EEEE10hipError_tT2_T3_mT4_P12ihipStream_tbEUlT_E_NS1_11comp_targetILNS1_3genE2ELNS1_11target_archE906ELNS1_3gpuE6ELNS1_3repE0EEENS1_30default_config_static_selectorELNS0_4arch9wavefront6targetE1EEEvT1_: ; @_ZN7rocprim17ROCPRIM_400000_NS6detail17trampoline_kernelINS0_14default_configENS1_25transform_config_selectorIN3c104HalfELb1EEEZNS1_14transform_implILb1ES3_S7_PS6_S9_NS0_8identityIS6_EEEE10hipError_tT2_T3_mT4_P12ihipStream_tbEUlT_E_NS1_11comp_targetILNS1_3genE2ELNS1_11target_archE906ELNS1_3gpuE6ELNS1_3repE0EEENS1_30default_config_static_selectorELNS0_4arch9wavefront6targetE1EEEvT1_
; %bb.0:
	.section	.rodata,"a",@progbits
	.p2align	6, 0x0
	.amdhsa_kernel _ZN7rocprim17ROCPRIM_400000_NS6detail17trampoline_kernelINS0_14default_configENS1_25transform_config_selectorIN3c104HalfELb1EEEZNS1_14transform_implILb1ES3_S7_PS6_S9_NS0_8identityIS6_EEEE10hipError_tT2_T3_mT4_P12ihipStream_tbEUlT_E_NS1_11comp_targetILNS1_3genE2ELNS1_11target_archE906ELNS1_3gpuE6ELNS1_3repE0EEENS1_30default_config_static_selectorELNS0_4arch9wavefront6targetE1EEEvT1_
		.amdhsa_group_segment_fixed_size 0
		.amdhsa_private_segment_fixed_size 0
		.amdhsa_kernarg_size 40
		.amdhsa_user_sgpr_count 2
		.amdhsa_user_sgpr_dispatch_ptr 0
		.amdhsa_user_sgpr_queue_ptr 0
		.amdhsa_user_sgpr_kernarg_segment_ptr 1
		.amdhsa_user_sgpr_dispatch_id 0
		.amdhsa_user_sgpr_kernarg_preload_length 0
		.amdhsa_user_sgpr_kernarg_preload_offset 0
		.amdhsa_user_sgpr_private_segment_size 0
		.amdhsa_uses_dynamic_stack 0
		.amdhsa_enable_private_segment 0
		.amdhsa_system_sgpr_workgroup_id_x 1
		.amdhsa_system_sgpr_workgroup_id_y 0
		.amdhsa_system_sgpr_workgroup_id_z 0
		.amdhsa_system_sgpr_workgroup_info 0
		.amdhsa_system_vgpr_workitem_id 0
		.amdhsa_next_free_vgpr 1
		.amdhsa_next_free_sgpr 0
		.amdhsa_accum_offset 4
		.amdhsa_reserve_vcc 0
		.amdhsa_float_round_mode_32 0
		.amdhsa_float_round_mode_16_64 0
		.amdhsa_float_denorm_mode_32 3
		.amdhsa_float_denorm_mode_16_64 3
		.amdhsa_dx10_clamp 1
		.amdhsa_ieee_mode 1
		.amdhsa_fp16_overflow 0
		.amdhsa_tg_split 0
		.amdhsa_exception_fp_ieee_invalid_op 0
		.amdhsa_exception_fp_denorm_src 0
		.amdhsa_exception_fp_ieee_div_zero 0
		.amdhsa_exception_fp_ieee_overflow 0
		.amdhsa_exception_fp_ieee_underflow 0
		.amdhsa_exception_fp_ieee_inexact 0
		.amdhsa_exception_int_div_zero 0
	.end_amdhsa_kernel
	.section	.text._ZN7rocprim17ROCPRIM_400000_NS6detail17trampoline_kernelINS0_14default_configENS1_25transform_config_selectorIN3c104HalfELb1EEEZNS1_14transform_implILb1ES3_S7_PS6_S9_NS0_8identityIS6_EEEE10hipError_tT2_T3_mT4_P12ihipStream_tbEUlT_E_NS1_11comp_targetILNS1_3genE2ELNS1_11target_archE906ELNS1_3gpuE6ELNS1_3repE0EEENS1_30default_config_static_selectorELNS0_4arch9wavefront6targetE1EEEvT1_,"axG",@progbits,_ZN7rocprim17ROCPRIM_400000_NS6detail17trampoline_kernelINS0_14default_configENS1_25transform_config_selectorIN3c104HalfELb1EEEZNS1_14transform_implILb1ES3_S7_PS6_S9_NS0_8identityIS6_EEEE10hipError_tT2_T3_mT4_P12ihipStream_tbEUlT_E_NS1_11comp_targetILNS1_3genE2ELNS1_11target_archE906ELNS1_3gpuE6ELNS1_3repE0EEENS1_30default_config_static_selectorELNS0_4arch9wavefront6targetE1EEEvT1_,comdat
.Lfunc_end365:
	.size	_ZN7rocprim17ROCPRIM_400000_NS6detail17trampoline_kernelINS0_14default_configENS1_25transform_config_selectorIN3c104HalfELb1EEEZNS1_14transform_implILb1ES3_S7_PS6_S9_NS0_8identityIS6_EEEE10hipError_tT2_T3_mT4_P12ihipStream_tbEUlT_E_NS1_11comp_targetILNS1_3genE2ELNS1_11target_archE906ELNS1_3gpuE6ELNS1_3repE0EEENS1_30default_config_static_selectorELNS0_4arch9wavefront6targetE1EEEvT1_, .Lfunc_end365-_ZN7rocprim17ROCPRIM_400000_NS6detail17trampoline_kernelINS0_14default_configENS1_25transform_config_selectorIN3c104HalfELb1EEEZNS1_14transform_implILb1ES3_S7_PS6_S9_NS0_8identityIS6_EEEE10hipError_tT2_T3_mT4_P12ihipStream_tbEUlT_E_NS1_11comp_targetILNS1_3genE2ELNS1_11target_archE906ELNS1_3gpuE6ELNS1_3repE0EEENS1_30default_config_static_selectorELNS0_4arch9wavefront6targetE1EEEvT1_
                                        ; -- End function
	.set _ZN7rocprim17ROCPRIM_400000_NS6detail17trampoline_kernelINS0_14default_configENS1_25transform_config_selectorIN3c104HalfELb1EEEZNS1_14transform_implILb1ES3_S7_PS6_S9_NS0_8identityIS6_EEEE10hipError_tT2_T3_mT4_P12ihipStream_tbEUlT_E_NS1_11comp_targetILNS1_3genE2ELNS1_11target_archE906ELNS1_3gpuE6ELNS1_3repE0EEENS1_30default_config_static_selectorELNS0_4arch9wavefront6targetE1EEEvT1_.num_vgpr, 0
	.set _ZN7rocprim17ROCPRIM_400000_NS6detail17trampoline_kernelINS0_14default_configENS1_25transform_config_selectorIN3c104HalfELb1EEEZNS1_14transform_implILb1ES3_S7_PS6_S9_NS0_8identityIS6_EEEE10hipError_tT2_T3_mT4_P12ihipStream_tbEUlT_E_NS1_11comp_targetILNS1_3genE2ELNS1_11target_archE906ELNS1_3gpuE6ELNS1_3repE0EEENS1_30default_config_static_selectorELNS0_4arch9wavefront6targetE1EEEvT1_.num_agpr, 0
	.set _ZN7rocprim17ROCPRIM_400000_NS6detail17trampoline_kernelINS0_14default_configENS1_25transform_config_selectorIN3c104HalfELb1EEEZNS1_14transform_implILb1ES3_S7_PS6_S9_NS0_8identityIS6_EEEE10hipError_tT2_T3_mT4_P12ihipStream_tbEUlT_E_NS1_11comp_targetILNS1_3genE2ELNS1_11target_archE906ELNS1_3gpuE6ELNS1_3repE0EEENS1_30default_config_static_selectorELNS0_4arch9wavefront6targetE1EEEvT1_.numbered_sgpr, 0
	.set _ZN7rocprim17ROCPRIM_400000_NS6detail17trampoline_kernelINS0_14default_configENS1_25transform_config_selectorIN3c104HalfELb1EEEZNS1_14transform_implILb1ES3_S7_PS6_S9_NS0_8identityIS6_EEEE10hipError_tT2_T3_mT4_P12ihipStream_tbEUlT_E_NS1_11comp_targetILNS1_3genE2ELNS1_11target_archE906ELNS1_3gpuE6ELNS1_3repE0EEENS1_30default_config_static_selectorELNS0_4arch9wavefront6targetE1EEEvT1_.num_named_barrier, 0
	.set _ZN7rocprim17ROCPRIM_400000_NS6detail17trampoline_kernelINS0_14default_configENS1_25transform_config_selectorIN3c104HalfELb1EEEZNS1_14transform_implILb1ES3_S7_PS6_S9_NS0_8identityIS6_EEEE10hipError_tT2_T3_mT4_P12ihipStream_tbEUlT_E_NS1_11comp_targetILNS1_3genE2ELNS1_11target_archE906ELNS1_3gpuE6ELNS1_3repE0EEENS1_30default_config_static_selectorELNS0_4arch9wavefront6targetE1EEEvT1_.private_seg_size, 0
	.set _ZN7rocprim17ROCPRIM_400000_NS6detail17trampoline_kernelINS0_14default_configENS1_25transform_config_selectorIN3c104HalfELb1EEEZNS1_14transform_implILb1ES3_S7_PS6_S9_NS0_8identityIS6_EEEE10hipError_tT2_T3_mT4_P12ihipStream_tbEUlT_E_NS1_11comp_targetILNS1_3genE2ELNS1_11target_archE906ELNS1_3gpuE6ELNS1_3repE0EEENS1_30default_config_static_selectorELNS0_4arch9wavefront6targetE1EEEvT1_.uses_vcc, 0
	.set _ZN7rocprim17ROCPRIM_400000_NS6detail17trampoline_kernelINS0_14default_configENS1_25transform_config_selectorIN3c104HalfELb1EEEZNS1_14transform_implILb1ES3_S7_PS6_S9_NS0_8identityIS6_EEEE10hipError_tT2_T3_mT4_P12ihipStream_tbEUlT_E_NS1_11comp_targetILNS1_3genE2ELNS1_11target_archE906ELNS1_3gpuE6ELNS1_3repE0EEENS1_30default_config_static_selectorELNS0_4arch9wavefront6targetE1EEEvT1_.uses_flat_scratch, 0
	.set _ZN7rocprim17ROCPRIM_400000_NS6detail17trampoline_kernelINS0_14default_configENS1_25transform_config_selectorIN3c104HalfELb1EEEZNS1_14transform_implILb1ES3_S7_PS6_S9_NS0_8identityIS6_EEEE10hipError_tT2_T3_mT4_P12ihipStream_tbEUlT_E_NS1_11comp_targetILNS1_3genE2ELNS1_11target_archE906ELNS1_3gpuE6ELNS1_3repE0EEENS1_30default_config_static_selectorELNS0_4arch9wavefront6targetE1EEEvT1_.has_dyn_sized_stack, 0
	.set _ZN7rocprim17ROCPRIM_400000_NS6detail17trampoline_kernelINS0_14default_configENS1_25transform_config_selectorIN3c104HalfELb1EEEZNS1_14transform_implILb1ES3_S7_PS6_S9_NS0_8identityIS6_EEEE10hipError_tT2_T3_mT4_P12ihipStream_tbEUlT_E_NS1_11comp_targetILNS1_3genE2ELNS1_11target_archE906ELNS1_3gpuE6ELNS1_3repE0EEENS1_30default_config_static_selectorELNS0_4arch9wavefront6targetE1EEEvT1_.has_recursion, 0
	.set _ZN7rocprim17ROCPRIM_400000_NS6detail17trampoline_kernelINS0_14default_configENS1_25transform_config_selectorIN3c104HalfELb1EEEZNS1_14transform_implILb1ES3_S7_PS6_S9_NS0_8identityIS6_EEEE10hipError_tT2_T3_mT4_P12ihipStream_tbEUlT_E_NS1_11comp_targetILNS1_3genE2ELNS1_11target_archE906ELNS1_3gpuE6ELNS1_3repE0EEENS1_30default_config_static_selectorELNS0_4arch9wavefront6targetE1EEEvT1_.has_indirect_call, 0
	.section	.AMDGPU.csdata,"",@progbits
; Kernel info:
; codeLenInByte = 0
; TotalNumSgprs: 6
; NumVgprs: 0
; NumAgprs: 0
; TotalNumVgprs: 0
; ScratchSize: 0
; MemoryBound: 0
; FloatMode: 240
; IeeeMode: 1
; LDSByteSize: 0 bytes/workgroup (compile time only)
; SGPRBlocks: 0
; VGPRBlocks: 0
; NumSGPRsForWavesPerEU: 6
; NumVGPRsForWavesPerEU: 1
; AccumOffset: 4
; Occupancy: 8
; WaveLimiterHint : 0
; COMPUTE_PGM_RSRC2:SCRATCH_EN: 0
; COMPUTE_PGM_RSRC2:USER_SGPR: 2
; COMPUTE_PGM_RSRC2:TRAP_HANDLER: 0
; COMPUTE_PGM_RSRC2:TGID_X_EN: 1
; COMPUTE_PGM_RSRC2:TGID_Y_EN: 0
; COMPUTE_PGM_RSRC2:TGID_Z_EN: 0
; COMPUTE_PGM_RSRC2:TIDIG_COMP_CNT: 0
; COMPUTE_PGM_RSRC3_GFX90A:ACCUM_OFFSET: 0
; COMPUTE_PGM_RSRC3_GFX90A:TG_SPLIT: 0
	.section	.text._ZN7rocprim17ROCPRIM_400000_NS6detail17trampoline_kernelINS0_14default_configENS1_25transform_config_selectorIN3c104HalfELb1EEEZNS1_14transform_implILb1ES3_S7_PS6_S9_NS0_8identityIS6_EEEE10hipError_tT2_T3_mT4_P12ihipStream_tbEUlT_E_NS1_11comp_targetILNS1_3genE9ELNS1_11target_archE1100ELNS1_3gpuE3ELNS1_3repE0EEENS1_30default_config_static_selectorELNS0_4arch9wavefront6targetE1EEEvT1_,"axG",@progbits,_ZN7rocprim17ROCPRIM_400000_NS6detail17trampoline_kernelINS0_14default_configENS1_25transform_config_selectorIN3c104HalfELb1EEEZNS1_14transform_implILb1ES3_S7_PS6_S9_NS0_8identityIS6_EEEE10hipError_tT2_T3_mT4_P12ihipStream_tbEUlT_E_NS1_11comp_targetILNS1_3genE9ELNS1_11target_archE1100ELNS1_3gpuE3ELNS1_3repE0EEENS1_30default_config_static_selectorELNS0_4arch9wavefront6targetE1EEEvT1_,comdat
	.protected	_ZN7rocprim17ROCPRIM_400000_NS6detail17trampoline_kernelINS0_14default_configENS1_25transform_config_selectorIN3c104HalfELb1EEEZNS1_14transform_implILb1ES3_S7_PS6_S9_NS0_8identityIS6_EEEE10hipError_tT2_T3_mT4_P12ihipStream_tbEUlT_E_NS1_11comp_targetILNS1_3genE9ELNS1_11target_archE1100ELNS1_3gpuE3ELNS1_3repE0EEENS1_30default_config_static_selectorELNS0_4arch9wavefront6targetE1EEEvT1_ ; -- Begin function _ZN7rocprim17ROCPRIM_400000_NS6detail17trampoline_kernelINS0_14default_configENS1_25transform_config_selectorIN3c104HalfELb1EEEZNS1_14transform_implILb1ES3_S7_PS6_S9_NS0_8identityIS6_EEEE10hipError_tT2_T3_mT4_P12ihipStream_tbEUlT_E_NS1_11comp_targetILNS1_3genE9ELNS1_11target_archE1100ELNS1_3gpuE3ELNS1_3repE0EEENS1_30default_config_static_selectorELNS0_4arch9wavefront6targetE1EEEvT1_
	.globl	_ZN7rocprim17ROCPRIM_400000_NS6detail17trampoline_kernelINS0_14default_configENS1_25transform_config_selectorIN3c104HalfELb1EEEZNS1_14transform_implILb1ES3_S7_PS6_S9_NS0_8identityIS6_EEEE10hipError_tT2_T3_mT4_P12ihipStream_tbEUlT_E_NS1_11comp_targetILNS1_3genE9ELNS1_11target_archE1100ELNS1_3gpuE3ELNS1_3repE0EEENS1_30default_config_static_selectorELNS0_4arch9wavefront6targetE1EEEvT1_
	.p2align	8
	.type	_ZN7rocprim17ROCPRIM_400000_NS6detail17trampoline_kernelINS0_14default_configENS1_25transform_config_selectorIN3c104HalfELb1EEEZNS1_14transform_implILb1ES3_S7_PS6_S9_NS0_8identityIS6_EEEE10hipError_tT2_T3_mT4_P12ihipStream_tbEUlT_E_NS1_11comp_targetILNS1_3genE9ELNS1_11target_archE1100ELNS1_3gpuE3ELNS1_3repE0EEENS1_30default_config_static_selectorELNS0_4arch9wavefront6targetE1EEEvT1_,@function
_ZN7rocprim17ROCPRIM_400000_NS6detail17trampoline_kernelINS0_14default_configENS1_25transform_config_selectorIN3c104HalfELb1EEEZNS1_14transform_implILb1ES3_S7_PS6_S9_NS0_8identityIS6_EEEE10hipError_tT2_T3_mT4_P12ihipStream_tbEUlT_E_NS1_11comp_targetILNS1_3genE9ELNS1_11target_archE1100ELNS1_3gpuE3ELNS1_3repE0EEENS1_30default_config_static_selectorELNS0_4arch9wavefront6targetE1EEEvT1_: ; @_ZN7rocprim17ROCPRIM_400000_NS6detail17trampoline_kernelINS0_14default_configENS1_25transform_config_selectorIN3c104HalfELb1EEEZNS1_14transform_implILb1ES3_S7_PS6_S9_NS0_8identityIS6_EEEE10hipError_tT2_T3_mT4_P12ihipStream_tbEUlT_E_NS1_11comp_targetILNS1_3genE9ELNS1_11target_archE1100ELNS1_3gpuE3ELNS1_3repE0EEENS1_30default_config_static_selectorELNS0_4arch9wavefront6targetE1EEEvT1_
; %bb.0:
	.section	.rodata,"a",@progbits
	.p2align	6, 0x0
	.amdhsa_kernel _ZN7rocprim17ROCPRIM_400000_NS6detail17trampoline_kernelINS0_14default_configENS1_25transform_config_selectorIN3c104HalfELb1EEEZNS1_14transform_implILb1ES3_S7_PS6_S9_NS0_8identityIS6_EEEE10hipError_tT2_T3_mT4_P12ihipStream_tbEUlT_E_NS1_11comp_targetILNS1_3genE9ELNS1_11target_archE1100ELNS1_3gpuE3ELNS1_3repE0EEENS1_30default_config_static_selectorELNS0_4arch9wavefront6targetE1EEEvT1_
		.amdhsa_group_segment_fixed_size 0
		.amdhsa_private_segment_fixed_size 0
		.amdhsa_kernarg_size 40
		.amdhsa_user_sgpr_count 2
		.amdhsa_user_sgpr_dispatch_ptr 0
		.amdhsa_user_sgpr_queue_ptr 0
		.amdhsa_user_sgpr_kernarg_segment_ptr 1
		.amdhsa_user_sgpr_dispatch_id 0
		.amdhsa_user_sgpr_kernarg_preload_length 0
		.amdhsa_user_sgpr_kernarg_preload_offset 0
		.amdhsa_user_sgpr_private_segment_size 0
		.amdhsa_uses_dynamic_stack 0
		.amdhsa_enable_private_segment 0
		.amdhsa_system_sgpr_workgroup_id_x 1
		.amdhsa_system_sgpr_workgroup_id_y 0
		.amdhsa_system_sgpr_workgroup_id_z 0
		.amdhsa_system_sgpr_workgroup_info 0
		.amdhsa_system_vgpr_workitem_id 0
		.amdhsa_next_free_vgpr 1
		.amdhsa_next_free_sgpr 0
		.amdhsa_accum_offset 4
		.amdhsa_reserve_vcc 0
		.amdhsa_float_round_mode_32 0
		.amdhsa_float_round_mode_16_64 0
		.amdhsa_float_denorm_mode_32 3
		.amdhsa_float_denorm_mode_16_64 3
		.amdhsa_dx10_clamp 1
		.amdhsa_ieee_mode 1
		.amdhsa_fp16_overflow 0
		.amdhsa_tg_split 0
		.amdhsa_exception_fp_ieee_invalid_op 0
		.amdhsa_exception_fp_denorm_src 0
		.amdhsa_exception_fp_ieee_div_zero 0
		.amdhsa_exception_fp_ieee_overflow 0
		.amdhsa_exception_fp_ieee_underflow 0
		.amdhsa_exception_fp_ieee_inexact 0
		.amdhsa_exception_int_div_zero 0
	.end_amdhsa_kernel
	.section	.text._ZN7rocprim17ROCPRIM_400000_NS6detail17trampoline_kernelINS0_14default_configENS1_25transform_config_selectorIN3c104HalfELb1EEEZNS1_14transform_implILb1ES3_S7_PS6_S9_NS0_8identityIS6_EEEE10hipError_tT2_T3_mT4_P12ihipStream_tbEUlT_E_NS1_11comp_targetILNS1_3genE9ELNS1_11target_archE1100ELNS1_3gpuE3ELNS1_3repE0EEENS1_30default_config_static_selectorELNS0_4arch9wavefront6targetE1EEEvT1_,"axG",@progbits,_ZN7rocprim17ROCPRIM_400000_NS6detail17trampoline_kernelINS0_14default_configENS1_25transform_config_selectorIN3c104HalfELb1EEEZNS1_14transform_implILb1ES3_S7_PS6_S9_NS0_8identityIS6_EEEE10hipError_tT2_T3_mT4_P12ihipStream_tbEUlT_E_NS1_11comp_targetILNS1_3genE9ELNS1_11target_archE1100ELNS1_3gpuE3ELNS1_3repE0EEENS1_30default_config_static_selectorELNS0_4arch9wavefront6targetE1EEEvT1_,comdat
.Lfunc_end366:
	.size	_ZN7rocprim17ROCPRIM_400000_NS6detail17trampoline_kernelINS0_14default_configENS1_25transform_config_selectorIN3c104HalfELb1EEEZNS1_14transform_implILb1ES3_S7_PS6_S9_NS0_8identityIS6_EEEE10hipError_tT2_T3_mT4_P12ihipStream_tbEUlT_E_NS1_11comp_targetILNS1_3genE9ELNS1_11target_archE1100ELNS1_3gpuE3ELNS1_3repE0EEENS1_30default_config_static_selectorELNS0_4arch9wavefront6targetE1EEEvT1_, .Lfunc_end366-_ZN7rocprim17ROCPRIM_400000_NS6detail17trampoline_kernelINS0_14default_configENS1_25transform_config_selectorIN3c104HalfELb1EEEZNS1_14transform_implILb1ES3_S7_PS6_S9_NS0_8identityIS6_EEEE10hipError_tT2_T3_mT4_P12ihipStream_tbEUlT_E_NS1_11comp_targetILNS1_3genE9ELNS1_11target_archE1100ELNS1_3gpuE3ELNS1_3repE0EEENS1_30default_config_static_selectorELNS0_4arch9wavefront6targetE1EEEvT1_
                                        ; -- End function
	.set _ZN7rocprim17ROCPRIM_400000_NS6detail17trampoline_kernelINS0_14default_configENS1_25transform_config_selectorIN3c104HalfELb1EEEZNS1_14transform_implILb1ES3_S7_PS6_S9_NS0_8identityIS6_EEEE10hipError_tT2_T3_mT4_P12ihipStream_tbEUlT_E_NS1_11comp_targetILNS1_3genE9ELNS1_11target_archE1100ELNS1_3gpuE3ELNS1_3repE0EEENS1_30default_config_static_selectorELNS0_4arch9wavefront6targetE1EEEvT1_.num_vgpr, 0
	.set _ZN7rocprim17ROCPRIM_400000_NS6detail17trampoline_kernelINS0_14default_configENS1_25transform_config_selectorIN3c104HalfELb1EEEZNS1_14transform_implILb1ES3_S7_PS6_S9_NS0_8identityIS6_EEEE10hipError_tT2_T3_mT4_P12ihipStream_tbEUlT_E_NS1_11comp_targetILNS1_3genE9ELNS1_11target_archE1100ELNS1_3gpuE3ELNS1_3repE0EEENS1_30default_config_static_selectorELNS0_4arch9wavefront6targetE1EEEvT1_.num_agpr, 0
	.set _ZN7rocprim17ROCPRIM_400000_NS6detail17trampoline_kernelINS0_14default_configENS1_25transform_config_selectorIN3c104HalfELb1EEEZNS1_14transform_implILb1ES3_S7_PS6_S9_NS0_8identityIS6_EEEE10hipError_tT2_T3_mT4_P12ihipStream_tbEUlT_E_NS1_11comp_targetILNS1_3genE9ELNS1_11target_archE1100ELNS1_3gpuE3ELNS1_3repE0EEENS1_30default_config_static_selectorELNS0_4arch9wavefront6targetE1EEEvT1_.numbered_sgpr, 0
	.set _ZN7rocprim17ROCPRIM_400000_NS6detail17trampoline_kernelINS0_14default_configENS1_25transform_config_selectorIN3c104HalfELb1EEEZNS1_14transform_implILb1ES3_S7_PS6_S9_NS0_8identityIS6_EEEE10hipError_tT2_T3_mT4_P12ihipStream_tbEUlT_E_NS1_11comp_targetILNS1_3genE9ELNS1_11target_archE1100ELNS1_3gpuE3ELNS1_3repE0EEENS1_30default_config_static_selectorELNS0_4arch9wavefront6targetE1EEEvT1_.num_named_barrier, 0
	.set _ZN7rocprim17ROCPRIM_400000_NS6detail17trampoline_kernelINS0_14default_configENS1_25transform_config_selectorIN3c104HalfELb1EEEZNS1_14transform_implILb1ES3_S7_PS6_S9_NS0_8identityIS6_EEEE10hipError_tT2_T3_mT4_P12ihipStream_tbEUlT_E_NS1_11comp_targetILNS1_3genE9ELNS1_11target_archE1100ELNS1_3gpuE3ELNS1_3repE0EEENS1_30default_config_static_selectorELNS0_4arch9wavefront6targetE1EEEvT1_.private_seg_size, 0
	.set _ZN7rocprim17ROCPRIM_400000_NS6detail17trampoline_kernelINS0_14default_configENS1_25transform_config_selectorIN3c104HalfELb1EEEZNS1_14transform_implILb1ES3_S7_PS6_S9_NS0_8identityIS6_EEEE10hipError_tT2_T3_mT4_P12ihipStream_tbEUlT_E_NS1_11comp_targetILNS1_3genE9ELNS1_11target_archE1100ELNS1_3gpuE3ELNS1_3repE0EEENS1_30default_config_static_selectorELNS0_4arch9wavefront6targetE1EEEvT1_.uses_vcc, 0
	.set _ZN7rocprim17ROCPRIM_400000_NS6detail17trampoline_kernelINS0_14default_configENS1_25transform_config_selectorIN3c104HalfELb1EEEZNS1_14transform_implILb1ES3_S7_PS6_S9_NS0_8identityIS6_EEEE10hipError_tT2_T3_mT4_P12ihipStream_tbEUlT_E_NS1_11comp_targetILNS1_3genE9ELNS1_11target_archE1100ELNS1_3gpuE3ELNS1_3repE0EEENS1_30default_config_static_selectorELNS0_4arch9wavefront6targetE1EEEvT1_.uses_flat_scratch, 0
	.set _ZN7rocprim17ROCPRIM_400000_NS6detail17trampoline_kernelINS0_14default_configENS1_25transform_config_selectorIN3c104HalfELb1EEEZNS1_14transform_implILb1ES3_S7_PS6_S9_NS0_8identityIS6_EEEE10hipError_tT2_T3_mT4_P12ihipStream_tbEUlT_E_NS1_11comp_targetILNS1_3genE9ELNS1_11target_archE1100ELNS1_3gpuE3ELNS1_3repE0EEENS1_30default_config_static_selectorELNS0_4arch9wavefront6targetE1EEEvT1_.has_dyn_sized_stack, 0
	.set _ZN7rocprim17ROCPRIM_400000_NS6detail17trampoline_kernelINS0_14default_configENS1_25transform_config_selectorIN3c104HalfELb1EEEZNS1_14transform_implILb1ES3_S7_PS6_S9_NS0_8identityIS6_EEEE10hipError_tT2_T3_mT4_P12ihipStream_tbEUlT_E_NS1_11comp_targetILNS1_3genE9ELNS1_11target_archE1100ELNS1_3gpuE3ELNS1_3repE0EEENS1_30default_config_static_selectorELNS0_4arch9wavefront6targetE1EEEvT1_.has_recursion, 0
	.set _ZN7rocprim17ROCPRIM_400000_NS6detail17trampoline_kernelINS0_14default_configENS1_25transform_config_selectorIN3c104HalfELb1EEEZNS1_14transform_implILb1ES3_S7_PS6_S9_NS0_8identityIS6_EEEE10hipError_tT2_T3_mT4_P12ihipStream_tbEUlT_E_NS1_11comp_targetILNS1_3genE9ELNS1_11target_archE1100ELNS1_3gpuE3ELNS1_3repE0EEENS1_30default_config_static_selectorELNS0_4arch9wavefront6targetE1EEEvT1_.has_indirect_call, 0
	.section	.AMDGPU.csdata,"",@progbits
; Kernel info:
; codeLenInByte = 0
; TotalNumSgprs: 6
; NumVgprs: 0
; NumAgprs: 0
; TotalNumVgprs: 0
; ScratchSize: 0
; MemoryBound: 0
; FloatMode: 240
; IeeeMode: 1
; LDSByteSize: 0 bytes/workgroup (compile time only)
; SGPRBlocks: 0
; VGPRBlocks: 0
; NumSGPRsForWavesPerEU: 6
; NumVGPRsForWavesPerEU: 1
; AccumOffset: 4
; Occupancy: 8
; WaveLimiterHint : 0
; COMPUTE_PGM_RSRC2:SCRATCH_EN: 0
; COMPUTE_PGM_RSRC2:USER_SGPR: 2
; COMPUTE_PGM_RSRC2:TRAP_HANDLER: 0
; COMPUTE_PGM_RSRC2:TGID_X_EN: 1
; COMPUTE_PGM_RSRC2:TGID_Y_EN: 0
; COMPUTE_PGM_RSRC2:TGID_Z_EN: 0
; COMPUTE_PGM_RSRC2:TIDIG_COMP_CNT: 0
; COMPUTE_PGM_RSRC3_GFX90A:ACCUM_OFFSET: 0
; COMPUTE_PGM_RSRC3_GFX90A:TG_SPLIT: 0
	.section	.text._ZN7rocprim17ROCPRIM_400000_NS6detail17trampoline_kernelINS0_14default_configENS1_25transform_config_selectorIN3c104HalfELb1EEEZNS1_14transform_implILb1ES3_S7_PS6_S9_NS0_8identityIS6_EEEE10hipError_tT2_T3_mT4_P12ihipStream_tbEUlT_E_NS1_11comp_targetILNS1_3genE8ELNS1_11target_archE1030ELNS1_3gpuE2ELNS1_3repE0EEENS1_30default_config_static_selectorELNS0_4arch9wavefront6targetE1EEEvT1_,"axG",@progbits,_ZN7rocprim17ROCPRIM_400000_NS6detail17trampoline_kernelINS0_14default_configENS1_25transform_config_selectorIN3c104HalfELb1EEEZNS1_14transform_implILb1ES3_S7_PS6_S9_NS0_8identityIS6_EEEE10hipError_tT2_T3_mT4_P12ihipStream_tbEUlT_E_NS1_11comp_targetILNS1_3genE8ELNS1_11target_archE1030ELNS1_3gpuE2ELNS1_3repE0EEENS1_30default_config_static_selectorELNS0_4arch9wavefront6targetE1EEEvT1_,comdat
	.protected	_ZN7rocprim17ROCPRIM_400000_NS6detail17trampoline_kernelINS0_14default_configENS1_25transform_config_selectorIN3c104HalfELb1EEEZNS1_14transform_implILb1ES3_S7_PS6_S9_NS0_8identityIS6_EEEE10hipError_tT2_T3_mT4_P12ihipStream_tbEUlT_E_NS1_11comp_targetILNS1_3genE8ELNS1_11target_archE1030ELNS1_3gpuE2ELNS1_3repE0EEENS1_30default_config_static_selectorELNS0_4arch9wavefront6targetE1EEEvT1_ ; -- Begin function _ZN7rocprim17ROCPRIM_400000_NS6detail17trampoline_kernelINS0_14default_configENS1_25transform_config_selectorIN3c104HalfELb1EEEZNS1_14transform_implILb1ES3_S7_PS6_S9_NS0_8identityIS6_EEEE10hipError_tT2_T3_mT4_P12ihipStream_tbEUlT_E_NS1_11comp_targetILNS1_3genE8ELNS1_11target_archE1030ELNS1_3gpuE2ELNS1_3repE0EEENS1_30default_config_static_selectorELNS0_4arch9wavefront6targetE1EEEvT1_
	.globl	_ZN7rocprim17ROCPRIM_400000_NS6detail17trampoline_kernelINS0_14default_configENS1_25transform_config_selectorIN3c104HalfELb1EEEZNS1_14transform_implILb1ES3_S7_PS6_S9_NS0_8identityIS6_EEEE10hipError_tT2_T3_mT4_P12ihipStream_tbEUlT_E_NS1_11comp_targetILNS1_3genE8ELNS1_11target_archE1030ELNS1_3gpuE2ELNS1_3repE0EEENS1_30default_config_static_selectorELNS0_4arch9wavefront6targetE1EEEvT1_
	.p2align	8
	.type	_ZN7rocprim17ROCPRIM_400000_NS6detail17trampoline_kernelINS0_14default_configENS1_25transform_config_selectorIN3c104HalfELb1EEEZNS1_14transform_implILb1ES3_S7_PS6_S9_NS0_8identityIS6_EEEE10hipError_tT2_T3_mT4_P12ihipStream_tbEUlT_E_NS1_11comp_targetILNS1_3genE8ELNS1_11target_archE1030ELNS1_3gpuE2ELNS1_3repE0EEENS1_30default_config_static_selectorELNS0_4arch9wavefront6targetE1EEEvT1_,@function
_ZN7rocprim17ROCPRIM_400000_NS6detail17trampoline_kernelINS0_14default_configENS1_25transform_config_selectorIN3c104HalfELb1EEEZNS1_14transform_implILb1ES3_S7_PS6_S9_NS0_8identityIS6_EEEE10hipError_tT2_T3_mT4_P12ihipStream_tbEUlT_E_NS1_11comp_targetILNS1_3genE8ELNS1_11target_archE1030ELNS1_3gpuE2ELNS1_3repE0EEENS1_30default_config_static_selectorELNS0_4arch9wavefront6targetE1EEEvT1_: ; @_ZN7rocprim17ROCPRIM_400000_NS6detail17trampoline_kernelINS0_14default_configENS1_25transform_config_selectorIN3c104HalfELb1EEEZNS1_14transform_implILb1ES3_S7_PS6_S9_NS0_8identityIS6_EEEE10hipError_tT2_T3_mT4_P12ihipStream_tbEUlT_E_NS1_11comp_targetILNS1_3genE8ELNS1_11target_archE1030ELNS1_3gpuE2ELNS1_3repE0EEENS1_30default_config_static_selectorELNS0_4arch9wavefront6targetE1EEEvT1_
; %bb.0:
	.section	.rodata,"a",@progbits
	.p2align	6, 0x0
	.amdhsa_kernel _ZN7rocprim17ROCPRIM_400000_NS6detail17trampoline_kernelINS0_14default_configENS1_25transform_config_selectorIN3c104HalfELb1EEEZNS1_14transform_implILb1ES3_S7_PS6_S9_NS0_8identityIS6_EEEE10hipError_tT2_T3_mT4_P12ihipStream_tbEUlT_E_NS1_11comp_targetILNS1_3genE8ELNS1_11target_archE1030ELNS1_3gpuE2ELNS1_3repE0EEENS1_30default_config_static_selectorELNS0_4arch9wavefront6targetE1EEEvT1_
		.amdhsa_group_segment_fixed_size 0
		.amdhsa_private_segment_fixed_size 0
		.amdhsa_kernarg_size 40
		.amdhsa_user_sgpr_count 2
		.amdhsa_user_sgpr_dispatch_ptr 0
		.amdhsa_user_sgpr_queue_ptr 0
		.amdhsa_user_sgpr_kernarg_segment_ptr 1
		.amdhsa_user_sgpr_dispatch_id 0
		.amdhsa_user_sgpr_kernarg_preload_length 0
		.amdhsa_user_sgpr_kernarg_preload_offset 0
		.amdhsa_user_sgpr_private_segment_size 0
		.amdhsa_uses_dynamic_stack 0
		.amdhsa_enable_private_segment 0
		.amdhsa_system_sgpr_workgroup_id_x 1
		.amdhsa_system_sgpr_workgroup_id_y 0
		.amdhsa_system_sgpr_workgroup_id_z 0
		.amdhsa_system_sgpr_workgroup_info 0
		.amdhsa_system_vgpr_workitem_id 0
		.amdhsa_next_free_vgpr 1
		.amdhsa_next_free_sgpr 0
		.amdhsa_accum_offset 4
		.amdhsa_reserve_vcc 0
		.amdhsa_float_round_mode_32 0
		.amdhsa_float_round_mode_16_64 0
		.amdhsa_float_denorm_mode_32 3
		.amdhsa_float_denorm_mode_16_64 3
		.amdhsa_dx10_clamp 1
		.amdhsa_ieee_mode 1
		.amdhsa_fp16_overflow 0
		.amdhsa_tg_split 0
		.amdhsa_exception_fp_ieee_invalid_op 0
		.amdhsa_exception_fp_denorm_src 0
		.amdhsa_exception_fp_ieee_div_zero 0
		.amdhsa_exception_fp_ieee_overflow 0
		.amdhsa_exception_fp_ieee_underflow 0
		.amdhsa_exception_fp_ieee_inexact 0
		.amdhsa_exception_int_div_zero 0
	.end_amdhsa_kernel
	.section	.text._ZN7rocprim17ROCPRIM_400000_NS6detail17trampoline_kernelINS0_14default_configENS1_25transform_config_selectorIN3c104HalfELb1EEEZNS1_14transform_implILb1ES3_S7_PS6_S9_NS0_8identityIS6_EEEE10hipError_tT2_T3_mT4_P12ihipStream_tbEUlT_E_NS1_11comp_targetILNS1_3genE8ELNS1_11target_archE1030ELNS1_3gpuE2ELNS1_3repE0EEENS1_30default_config_static_selectorELNS0_4arch9wavefront6targetE1EEEvT1_,"axG",@progbits,_ZN7rocprim17ROCPRIM_400000_NS6detail17trampoline_kernelINS0_14default_configENS1_25transform_config_selectorIN3c104HalfELb1EEEZNS1_14transform_implILb1ES3_S7_PS6_S9_NS0_8identityIS6_EEEE10hipError_tT2_T3_mT4_P12ihipStream_tbEUlT_E_NS1_11comp_targetILNS1_3genE8ELNS1_11target_archE1030ELNS1_3gpuE2ELNS1_3repE0EEENS1_30default_config_static_selectorELNS0_4arch9wavefront6targetE1EEEvT1_,comdat
.Lfunc_end367:
	.size	_ZN7rocprim17ROCPRIM_400000_NS6detail17trampoline_kernelINS0_14default_configENS1_25transform_config_selectorIN3c104HalfELb1EEEZNS1_14transform_implILb1ES3_S7_PS6_S9_NS0_8identityIS6_EEEE10hipError_tT2_T3_mT4_P12ihipStream_tbEUlT_E_NS1_11comp_targetILNS1_3genE8ELNS1_11target_archE1030ELNS1_3gpuE2ELNS1_3repE0EEENS1_30default_config_static_selectorELNS0_4arch9wavefront6targetE1EEEvT1_, .Lfunc_end367-_ZN7rocprim17ROCPRIM_400000_NS6detail17trampoline_kernelINS0_14default_configENS1_25transform_config_selectorIN3c104HalfELb1EEEZNS1_14transform_implILb1ES3_S7_PS6_S9_NS0_8identityIS6_EEEE10hipError_tT2_T3_mT4_P12ihipStream_tbEUlT_E_NS1_11comp_targetILNS1_3genE8ELNS1_11target_archE1030ELNS1_3gpuE2ELNS1_3repE0EEENS1_30default_config_static_selectorELNS0_4arch9wavefront6targetE1EEEvT1_
                                        ; -- End function
	.set _ZN7rocprim17ROCPRIM_400000_NS6detail17trampoline_kernelINS0_14default_configENS1_25transform_config_selectorIN3c104HalfELb1EEEZNS1_14transform_implILb1ES3_S7_PS6_S9_NS0_8identityIS6_EEEE10hipError_tT2_T3_mT4_P12ihipStream_tbEUlT_E_NS1_11comp_targetILNS1_3genE8ELNS1_11target_archE1030ELNS1_3gpuE2ELNS1_3repE0EEENS1_30default_config_static_selectorELNS0_4arch9wavefront6targetE1EEEvT1_.num_vgpr, 0
	.set _ZN7rocprim17ROCPRIM_400000_NS6detail17trampoline_kernelINS0_14default_configENS1_25transform_config_selectorIN3c104HalfELb1EEEZNS1_14transform_implILb1ES3_S7_PS6_S9_NS0_8identityIS6_EEEE10hipError_tT2_T3_mT4_P12ihipStream_tbEUlT_E_NS1_11comp_targetILNS1_3genE8ELNS1_11target_archE1030ELNS1_3gpuE2ELNS1_3repE0EEENS1_30default_config_static_selectorELNS0_4arch9wavefront6targetE1EEEvT1_.num_agpr, 0
	.set _ZN7rocprim17ROCPRIM_400000_NS6detail17trampoline_kernelINS0_14default_configENS1_25transform_config_selectorIN3c104HalfELb1EEEZNS1_14transform_implILb1ES3_S7_PS6_S9_NS0_8identityIS6_EEEE10hipError_tT2_T3_mT4_P12ihipStream_tbEUlT_E_NS1_11comp_targetILNS1_3genE8ELNS1_11target_archE1030ELNS1_3gpuE2ELNS1_3repE0EEENS1_30default_config_static_selectorELNS0_4arch9wavefront6targetE1EEEvT1_.numbered_sgpr, 0
	.set _ZN7rocprim17ROCPRIM_400000_NS6detail17trampoline_kernelINS0_14default_configENS1_25transform_config_selectorIN3c104HalfELb1EEEZNS1_14transform_implILb1ES3_S7_PS6_S9_NS0_8identityIS6_EEEE10hipError_tT2_T3_mT4_P12ihipStream_tbEUlT_E_NS1_11comp_targetILNS1_3genE8ELNS1_11target_archE1030ELNS1_3gpuE2ELNS1_3repE0EEENS1_30default_config_static_selectorELNS0_4arch9wavefront6targetE1EEEvT1_.num_named_barrier, 0
	.set _ZN7rocprim17ROCPRIM_400000_NS6detail17trampoline_kernelINS0_14default_configENS1_25transform_config_selectorIN3c104HalfELb1EEEZNS1_14transform_implILb1ES3_S7_PS6_S9_NS0_8identityIS6_EEEE10hipError_tT2_T3_mT4_P12ihipStream_tbEUlT_E_NS1_11comp_targetILNS1_3genE8ELNS1_11target_archE1030ELNS1_3gpuE2ELNS1_3repE0EEENS1_30default_config_static_selectorELNS0_4arch9wavefront6targetE1EEEvT1_.private_seg_size, 0
	.set _ZN7rocprim17ROCPRIM_400000_NS6detail17trampoline_kernelINS0_14default_configENS1_25transform_config_selectorIN3c104HalfELb1EEEZNS1_14transform_implILb1ES3_S7_PS6_S9_NS0_8identityIS6_EEEE10hipError_tT2_T3_mT4_P12ihipStream_tbEUlT_E_NS1_11comp_targetILNS1_3genE8ELNS1_11target_archE1030ELNS1_3gpuE2ELNS1_3repE0EEENS1_30default_config_static_selectorELNS0_4arch9wavefront6targetE1EEEvT1_.uses_vcc, 0
	.set _ZN7rocprim17ROCPRIM_400000_NS6detail17trampoline_kernelINS0_14default_configENS1_25transform_config_selectorIN3c104HalfELb1EEEZNS1_14transform_implILb1ES3_S7_PS6_S9_NS0_8identityIS6_EEEE10hipError_tT2_T3_mT4_P12ihipStream_tbEUlT_E_NS1_11comp_targetILNS1_3genE8ELNS1_11target_archE1030ELNS1_3gpuE2ELNS1_3repE0EEENS1_30default_config_static_selectorELNS0_4arch9wavefront6targetE1EEEvT1_.uses_flat_scratch, 0
	.set _ZN7rocprim17ROCPRIM_400000_NS6detail17trampoline_kernelINS0_14default_configENS1_25transform_config_selectorIN3c104HalfELb1EEEZNS1_14transform_implILb1ES3_S7_PS6_S9_NS0_8identityIS6_EEEE10hipError_tT2_T3_mT4_P12ihipStream_tbEUlT_E_NS1_11comp_targetILNS1_3genE8ELNS1_11target_archE1030ELNS1_3gpuE2ELNS1_3repE0EEENS1_30default_config_static_selectorELNS0_4arch9wavefront6targetE1EEEvT1_.has_dyn_sized_stack, 0
	.set _ZN7rocprim17ROCPRIM_400000_NS6detail17trampoline_kernelINS0_14default_configENS1_25transform_config_selectorIN3c104HalfELb1EEEZNS1_14transform_implILb1ES3_S7_PS6_S9_NS0_8identityIS6_EEEE10hipError_tT2_T3_mT4_P12ihipStream_tbEUlT_E_NS1_11comp_targetILNS1_3genE8ELNS1_11target_archE1030ELNS1_3gpuE2ELNS1_3repE0EEENS1_30default_config_static_selectorELNS0_4arch9wavefront6targetE1EEEvT1_.has_recursion, 0
	.set _ZN7rocprim17ROCPRIM_400000_NS6detail17trampoline_kernelINS0_14default_configENS1_25transform_config_selectorIN3c104HalfELb1EEEZNS1_14transform_implILb1ES3_S7_PS6_S9_NS0_8identityIS6_EEEE10hipError_tT2_T3_mT4_P12ihipStream_tbEUlT_E_NS1_11comp_targetILNS1_3genE8ELNS1_11target_archE1030ELNS1_3gpuE2ELNS1_3repE0EEENS1_30default_config_static_selectorELNS0_4arch9wavefront6targetE1EEEvT1_.has_indirect_call, 0
	.section	.AMDGPU.csdata,"",@progbits
; Kernel info:
; codeLenInByte = 0
; TotalNumSgprs: 6
; NumVgprs: 0
; NumAgprs: 0
; TotalNumVgprs: 0
; ScratchSize: 0
; MemoryBound: 0
; FloatMode: 240
; IeeeMode: 1
; LDSByteSize: 0 bytes/workgroup (compile time only)
; SGPRBlocks: 0
; VGPRBlocks: 0
; NumSGPRsForWavesPerEU: 6
; NumVGPRsForWavesPerEU: 1
; AccumOffset: 4
; Occupancy: 8
; WaveLimiterHint : 0
; COMPUTE_PGM_RSRC2:SCRATCH_EN: 0
; COMPUTE_PGM_RSRC2:USER_SGPR: 2
; COMPUTE_PGM_RSRC2:TRAP_HANDLER: 0
; COMPUTE_PGM_RSRC2:TGID_X_EN: 1
; COMPUTE_PGM_RSRC2:TGID_Y_EN: 0
; COMPUTE_PGM_RSRC2:TGID_Z_EN: 0
; COMPUTE_PGM_RSRC2:TIDIG_COMP_CNT: 0
; COMPUTE_PGM_RSRC3_GFX90A:ACCUM_OFFSET: 0
; COMPUTE_PGM_RSRC3_GFX90A:TG_SPLIT: 0
	.section	.text._ZN7rocprim17ROCPRIM_400000_NS6detail17trampoline_kernelINS0_14default_configENS1_20scan_config_selectorIN3c104HalfEEEZZNS1_9scan_implILNS1_25lookback_scan_determinismE0ELb0ELb0ES3_PKS6_PS6_S6_ZZZN2at6native31launch_logcumsumexp_cuda_kernelERKNSD_10TensorBaseESH_lENKUlvE_clEvENKUlvE3_clEvEUlS6_S6_E_S6_EEDaPvRmT3_T4_T5_mT6_P12ihipStream_tbENKUlT_T0_E_clISt17integral_constantIbLb0EESY_EEDaST_SU_EUlST_E0_NS1_11comp_targetILNS1_3genE0ELNS1_11target_archE4294967295ELNS1_3gpuE0ELNS1_3repE0EEENS1_30default_config_static_selectorELNS0_4arch9wavefront6targetE1EEEvT1_,"axG",@progbits,_ZN7rocprim17ROCPRIM_400000_NS6detail17trampoline_kernelINS0_14default_configENS1_20scan_config_selectorIN3c104HalfEEEZZNS1_9scan_implILNS1_25lookback_scan_determinismE0ELb0ELb0ES3_PKS6_PS6_S6_ZZZN2at6native31launch_logcumsumexp_cuda_kernelERKNSD_10TensorBaseESH_lENKUlvE_clEvENKUlvE3_clEvEUlS6_S6_E_S6_EEDaPvRmT3_T4_T5_mT6_P12ihipStream_tbENKUlT_T0_E_clISt17integral_constantIbLb0EESY_EEDaST_SU_EUlST_E0_NS1_11comp_targetILNS1_3genE0ELNS1_11target_archE4294967295ELNS1_3gpuE0ELNS1_3repE0EEENS1_30default_config_static_selectorELNS0_4arch9wavefront6targetE1EEEvT1_,comdat
	.globl	_ZN7rocprim17ROCPRIM_400000_NS6detail17trampoline_kernelINS0_14default_configENS1_20scan_config_selectorIN3c104HalfEEEZZNS1_9scan_implILNS1_25lookback_scan_determinismE0ELb0ELb0ES3_PKS6_PS6_S6_ZZZN2at6native31launch_logcumsumexp_cuda_kernelERKNSD_10TensorBaseESH_lENKUlvE_clEvENKUlvE3_clEvEUlS6_S6_E_S6_EEDaPvRmT3_T4_T5_mT6_P12ihipStream_tbENKUlT_T0_E_clISt17integral_constantIbLb0EESY_EEDaST_SU_EUlST_E0_NS1_11comp_targetILNS1_3genE0ELNS1_11target_archE4294967295ELNS1_3gpuE0ELNS1_3repE0EEENS1_30default_config_static_selectorELNS0_4arch9wavefront6targetE1EEEvT1_ ; -- Begin function _ZN7rocprim17ROCPRIM_400000_NS6detail17trampoline_kernelINS0_14default_configENS1_20scan_config_selectorIN3c104HalfEEEZZNS1_9scan_implILNS1_25lookback_scan_determinismE0ELb0ELb0ES3_PKS6_PS6_S6_ZZZN2at6native31launch_logcumsumexp_cuda_kernelERKNSD_10TensorBaseESH_lENKUlvE_clEvENKUlvE3_clEvEUlS6_S6_E_S6_EEDaPvRmT3_T4_T5_mT6_P12ihipStream_tbENKUlT_T0_E_clISt17integral_constantIbLb0EESY_EEDaST_SU_EUlST_E0_NS1_11comp_targetILNS1_3genE0ELNS1_11target_archE4294967295ELNS1_3gpuE0ELNS1_3repE0EEENS1_30default_config_static_selectorELNS0_4arch9wavefront6targetE1EEEvT1_
	.p2align	8
	.type	_ZN7rocprim17ROCPRIM_400000_NS6detail17trampoline_kernelINS0_14default_configENS1_20scan_config_selectorIN3c104HalfEEEZZNS1_9scan_implILNS1_25lookback_scan_determinismE0ELb0ELb0ES3_PKS6_PS6_S6_ZZZN2at6native31launch_logcumsumexp_cuda_kernelERKNSD_10TensorBaseESH_lENKUlvE_clEvENKUlvE3_clEvEUlS6_S6_E_S6_EEDaPvRmT3_T4_T5_mT6_P12ihipStream_tbENKUlT_T0_E_clISt17integral_constantIbLb0EESY_EEDaST_SU_EUlST_E0_NS1_11comp_targetILNS1_3genE0ELNS1_11target_archE4294967295ELNS1_3gpuE0ELNS1_3repE0EEENS1_30default_config_static_selectorELNS0_4arch9wavefront6targetE1EEEvT1_,@function
_ZN7rocprim17ROCPRIM_400000_NS6detail17trampoline_kernelINS0_14default_configENS1_20scan_config_selectorIN3c104HalfEEEZZNS1_9scan_implILNS1_25lookback_scan_determinismE0ELb0ELb0ES3_PKS6_PS6_S6_ZZZN2at6native31launch_logcumsumexp_cuda_kernelERKNSD_10TensorBaseESH_lENKUlvE_clEvENKUlvE3_clEvEUlS6_S6_E_S6_EEDaPvRmT3_T4_T5_mT6_P12ihipStream_tbENKUlT_T0_E_clISt17integral_constantIbLb0EESY_EEDaST_SU_EUlST_E0_NS1_11comp_targetILNS1_3genE0ELNS1_11target_archE4294967295ELNS1_3gpuE0ELNS1_3repE0EEENS1_30default_config_static_selectorELNS0_4arch9wavefront6targetE1EEEvT1_: ; @_ZN7rocprim17ROCPRIM_400000_NS6detail17trampoline_kernelINS0_14default_configENS1_20scan_config_selectorIN3c104HalfEEEZZNS1_9scan_implILNS1_25lookback_scan_determinismE0ELb0ELb0ES3_PKS6_PS6_S6_ZZZN2at6native31launch_logcumsumexp_cuda_kernelERKNSD_10TensorBaseESH_lENKUlvE_clEvENKUlvE3_clEvEUlS6_S6_E_S6_EEDaPvRmT3_T4_T5_mT6_P12ihipStream_tbENKUlT_T0_E_clISt17integral_constantIbLb0EESY_EEDaST_SU_EUlST_E0_NS1_11comp_targetILNS1_3genE0ELNS1_11target_archE4294967295ELNS1_3gpuE0ELNS1_3repE0EEENS1_30default_config_static_selectorELNS0_4arch9wavefront6targetE1EEEvT1_
; %bb.0:
	s_load_dwordx4 s[28:31], s[0:1], 0x0
	v_mov_b32_e32 v1, 0
	v_lshlrev_b32_e32 v8, 1, v0
	s_waitcnt lgkmcnt(0)
	global_load_ushort v1, v1, s[28:29]
	v_cmp_gt_u32_e32 vcc, s30, v0
	s_waitcnt vmcnt(0)
	v_mov_b32_e32 v2, v1
	s_and_saveexec_b64 s[2:3], vcc
	s_cbranch_execz .LBB368_2
; %bb.1:
	global_load_ushort v2, v8, s[28:29]
.LBB368_2:
	s_or_b64 exec, exec, s[2:3]
	v_or_b32_e32 v3, 0x80, v0
	v_cmp_gt_u32_e64 s[56:57], s30, v3
	v_mov_b32_e32 v3, v1
	s_and_saveexec_b64 s[2:3], s[56:57]
	s_cbranch_execz .LBB368_4
; %bb.3:
	global_load_ushort v3, v8, s[28:29] offset:256
.LBB368_4:
	s_or_b64 exec, exec, s[2:3]
	v_or_b32_e32 v4, 0x100, v0
	v_cmp_gt_u32_e64 s[2:3], s30, v4
	v_mov_b32_e32 v4, v1
	s_and_saveexec_b64 s[4:5], s[2:3]
	s_cbranch_execz .LBB368_6
; %bb.5:
	global_load_ushort v4, v8, s[28:29] offset:512
.LBB368_6:
	;; [unrolled: 9-line block ×12, first 2 shown]
	s_or_b64 exec, exec, s[24:25]
	v_or_b32_e32 v16, 0x680, v0
	v_cmp_gt_u32_e64 s[24:25], s30, v16
	v_cmp_le_u32_e64 s[26:27], s30, v16
	s_and_saveexec_b64 s[30:31], s[26:27]
	s_xor_b64 s[26:27], exec, s[30:31]
	s_andn2_saveexec_b64 s[26:27], s[26:27]
	s_cbranch_execz .LBB368_28
; %bb.27:
	v_lshlrev_b32_e32 v1, 1, v0
	global_load_ushort v1, v1, s[28:29] offset:3328
.LBB368_28:
	s_or_b64 exec, exec, s[26:27]
	s_waitcnt vmcnt(0)
	ds_write_b16 v8, v2
	ds_write_b16 v8, v3 offset:256
	ds_write_b16 v8, v4 offset:512
	ds_write_b16 v8, v5 offset:768
	ds_write_b16 v8, v6 offset:1024
	ds_write_b16 v8, v7 offset:1280
	ds_write_b16 v8, v9 offset:1536
	ds_write_b16 v8, v10 offset:1792
	ds_write_b16 v8, v11 offset:2048
	ds_write_b16 v8, v12 offset:2304
	ds_write_b16 v8, v13 offset:2560
	ds_write_b16 v8, v14 offset:2816
	ds_write_b16 v8, v15 offset:3072
	ds_write_b16 v8, v1 offset:3328
	v_mad_u32_u24 v1, v0, 26, v8
	s_waitcnt lgkmcnt(0)
	s_barrier
	ds_read2_b32 v[2:3], v1 offset1:1
	ds_read2_b32 v[6:7], v1 offset0:2 offset1:3
	ds_read2_b32 v[4:5], v1 offset0:4 offset1:5
	ds_read_b32 v19, v1 offset:24
	s_movk_i32 s33, 0x1f8
	s_waitcnt lgkmcnt(3)
	v_cvt_f32_f16_e32 v1, v2
	v_cvt_f32_f16_sdwa v9, v2 dst_sel:DWORD dst_unused:UNUSED_PAD src0_sel:WORD_1
	v_cmp_u_f16_e64 s[54:55], v2, v2
	v_cmp_u_f16_sdwa s[26:27], v2, v2 src0_sel:WORD_1 src1_sel:WORD_1
	v_mov_b32_e32 v22, v1
	v_min_f32_e32 v17, v1, v9
	v_cndmask_b32_e64 v10, v17, v1, s[54:55]
	v_max_f32_e32 v18, v1, v9
	v_cndmask_b32_e64 v11, v10, v9, s[26:27]
	v_cndmask_b32_e64 v10, v18, v1, s[54:55]
	v_cndmask_b32_e64 v10, v10, v9, s[26:27]
	v_cmp_neq_f32_e64 s[28:29], v11, v10
	v_cmp_class_f32_e64 s[30:31], v11, s33
	s_or_b64 s[28:29], s[28:29], s[30:31]
	v_mov_b32_e32 v20, v2
	v_mov_b32_e32 v21, v2
	s_waitcnt lgkmcnt(0)
	s_barrier
	s_and_saveexec_b64 s[30:31], s[28:29]
	s_cbranch_execz .LBB368_30
; %bb.29:
	v_sub_f32_e32 v11, v11, v10
	s_mov_b32 s28, 0x3fb8aa3b
	v_mul_f32_e32 v12, 0x3fb8aa3b, v11
	v_fma_f32 v13, v11, s28, -v12
	v_rndne_f32_e32 v14, v12
	v_fmamk_f32 v13, v11, 0x32a5705f, v13
	v_sub_f32_e32 v12, v12, v14
	v_add_f32_e32 v12, v12, v13
	v_exp_f32_e32 v12, v12
	v_cvt_i32_f32_e32 v13, v14
	s_mov_b32 s28, 0xc2ce8ed0
	v_cmp_ngt_f32_e64 s[28:29], s28, v11
	v_mov_b32_e32 v16, 0x7f800000
	v_ldexp_f32 v12, v12, v13
	v_cndmask_b32_e64 v12, 0, v12, s[28:29]
	s_mov_b32 s28, 0x42b17218
	v_cmp_nlt_f32_e64 s[28:29], s28, v11
	s_mov_b32 s34, 0x7f800000
	s_nop 0
	v_cndmask_b32_e64 v11, v16, v12, s[28:29]
	v_add_f32_e32 v14, 1.0, v11
	v_add_f32_e32 v12, -1.0, v14
	v_sub_f32_e32 v13, v12, v14
	v_add_f32_e32 v13, 1.0, v13
	v_sub_f32_e32 v12, v11, v12
	v_add_f32_e32 v15, v12, v13
	v_frexp_mant_f32_e32 v20, v14
	s_mov_b32 s28, 0x3f2aaaab
	v_cvt_f64_f32_e32 v[12:13], v14
	v_frexp_exp_i32_f64_e32 v12, v[12:13]
	v_cmp_gt_f32_e64 s[28:29], s28, v20
	s_nop 1
	v_subbrev_co_u32_e64 v24, s[28:29], 0, v12, s[28:29]
	v_sub_u32_e32 v12, 0, v24
	v_ldexp_f32 v13, v14, v12
	v_add_f32_e32 v14, -1.0, v13
	v_add_f32_e32 v20, 1.0, v13
	v_ldexp_f32 v12, v15, v12
	v_add_f32_e32 v15, 1.0, v14
	v_add_f32_e32 v21, -1.0, v20
	v_sub_f32_e32 v15, v13, v15
	v_sub_f32_e32 v13, v13, v21
	v_add_f32_e32 v15, v12, v15
	v_add_f32_e32 v12, v12, v13
	;; [unrolled: 1-line block ×3, first 2 shown]
	v_rcp_f32_e32 v27, v25
	v_sub_f32_e32 v13, v20, v25
	v_add_f32_e32 v26, v12, v13
	v_add_f32_e32 v13, v14, v15
	v_mul_f32_e32 v29, v13, v27
	v_sub_f32_e32 v12, v14, v13
	v_mul_f32_e32 v14, v25, v29
	v_fma_f32 v20, v29, v25, -v14
	v_fmac_f32_e32 v20, v29, v26
	v_add_f32_e32 v28, v15, v12
	v_add_f32_e32 v12, v14, v20
	v_sub_f32_e32 v15, v13, v12
	v_pk_add_f32 v[22:23], v[12:13], v[14:15] neg_lo:[0,1] neg_hi:[0,1]
	v_mov_b32_e32 v21, v12
	v_pk_add_f32 v[12:13], v[22:23], v[20:21] neg_lo:[0,1] neg_hi:[0,1]
	s_mov_b32 s28, 0x3f317218
	v_add_f32_e32 v13, v28, v13
	v_add_f32_e32 v12, v12, v13
	;; [unrolled: 1-line block ×3, first 2 shown]
	v_mul_f32_e32 v28, v27, v13
	v_mul_f32_e32 v14, v25, v28
	v_fma_f32 v20, v28, v25, -v14
	v_fmac_f32_e32 v20, v28, v26
	v_sub_f32_e32 v15, v15, v13
	v_add_f32_e32 v25, v12, v15
	v_add_f32_e32 v12, v14, v20
	v_sub_f32_e32 v15, v13, v12
	v_pk_add_f32 v[22:23], v[12:13], v[14:15] neg_lo:[0,1] neg_hi:[0,1]
	v_mov_b32_e32 v21, v12
	v_pk_add_f32 v[12:13], v[22:23], v[20:21] neg_lo:[0,1] neg_hi:[0,1]
	v_cvt_f32_i32_e32 v14, v24
	v_add_f32_e32 v13, v25, v13
	v_add_f32_e32 v12, v12, v13
	;; [unrolled: 1-line block ×4, first 2 shown]
	v_sub_f32_e32 v13, v15, v29
	v_mul_f32_e32 v12, v27, v12
	v_sub_f32_e32 v13, v28, v13
	v_add_f32_e32 v12, v13, v12
	v_add_f32_e32 v20, v15, v12
	v_mul_f32_e32 v22, v20, v20
	v_mov_b32_e32 v13, 0x3ecc95a3
	v_sub_f32_e32 v15, v20, v15
	v_fmac_f32_e32 v13, 0x3e9b6dac, v22
	v_sub_f32_e32 v12, v12, v15
	v_fmaak_f32 v13, v22, v13, 0x3f2aaada
	v_ldexp_f32 v23, v12, 1
	v_mul_f32_e32 v15, v20, v22
	v_mov_b32_e32 v12, 0x3f317218
	v_pk_mul_f32 v[12:13], v[14:15], v[12:13]
	v_ldexp_f32 v21, v20, 1
	v_fma_f32 v15, v14, s28, -v12
	v_fmamk_f32 v20, v14, 0xb102e308, v15
	v_pk_add_f32 v[14:15], v[12:13], v[20:21]
	v_mov_b32_e32 v22, v12
	v_sub_f32_e32 v21, v15, v21
	v_sub_f32_e32 v21, v13, v21
	v_add_f32_e32 v23, v23, v21
	v_pk_add_f32 v[12:13], v[14:15], v[12:13] neg_lo:[0,1] neg_hi:[0,1]
	v_pk_add_f32 v[24:25], v[14:15], v[22:23]
	v_mov_b32_e32 v21, v14
	v_mov_b32_e32 v13, v25
	v_pk_add_f32 v[26:27], v[20:21], v[12:13] neg_lo:[0,1] neg_hi:[0,1]
	v_pk_add_f32 v[12:13], v[20:21], v[12:13]
	v_mov_b32_e32 v22, v23
	v_pk_add_f32 v[20:21], v[12:13], v[14:15] op_sel:[1,0] op_sel_hi:[0,1] neg_lo:[0,1] neg_hi:[0,1]
	v_pk_add_f32 v[28:29], v[24:25], v[20:21] op_sel_hi:[1,0] neg_lo:[0,1] neg_hi:[0,1]
	v_mov_b32_e32 v24, v25
	v_mov_b32_e32 v25, v13
	v_pk_mov_b32 v[20:21], v[14:15], v[20:21] op_sel:[1,0]
	v_mov_b32_e32 v23, v14
	v_pk_add_f32 v[20:21], v[24:25], v[20:21] neg_lo:[0,1] neg_hi:[0,1]
	v_mov_b32_e32 v28, v26
	v_pk_add_f32 v[14:15], v[22:23], v[20:21] neg_lo:[0,1] neg_hi:[0,1]
	v_mov_b32_e32 v27, v13
	v_pk_add_f32 v[20:21], v[28:29], v[14:15]
	v_cmp_neq_f32_e64 s[28:29], s34, v11
	v_pk_add_f32 v[22:23], v[20:21], v[20:21] op_sel:[0,1] op_sel_hi:[1,0]
	s_nop 0
	v_pk_add_f32 v[12:13], v[12:13], v[22:23] op_sel:[1,0] op_sel_hi:[0,1]
	v_mov_b32_e32 v21, v12
	v_pk_add_f32 v[24:25], v[20:21], v[26:27] neg_lo:[0,1] neg_hi:[0,1]
	v_mov_b32_e32 v15, v22
	v_sub_f32_e32 v13, v20, v24
	v_pk_add_f32 v[14:15], v[14:15], v[24:25] neg_lo:[0,1] neg_hi:[0,1]
	v_sub_f32_e32 v13, v26, v13
	v_add_f32_e32 v13, v14, v13
	v_add_f32_e32 v13, v13, v15
	v_add_f32_e32 v12, v12, v13
	v_cndmask_b32_e64 v12, v16, v12, s[28:29]
	s_mov_b32 s28, 0x33800000
	v_cmp_lt_f32_e64 s[28:29], |v11|, s28
	s_nop 1
	v_cndmask_b32_e64 v11, v12, v11, s[28:29]
	v_add_f32_e32 v10, v10, v11
	v_cvt_f16_f32_e32 v20, v10
	v_cvt_f32_f16_e32 v22, v20
	v_mov_b32_e32 v21, v20
.LBB368_30:
	s_or_b64 exec, exec, s[30:31]
	v_cvt_f32_f16_e32 v10, v3
	v_max_f32_e32 v11, v22, v22
	v_cmp_u_f16_e64 s[30:31], v20, v20
	v_cmp_u_f16_e64 s[28:29], v3, v3
	v_min_f32_e32 v12, v11, v10
	v_max_f32_e32 v11, v11, v10
	v_cndmask_b32_e64 v12, v12, v22, s[30:31]
	v_cndmask_b32_e64 v11, v11, v22, s[30:31]
	;; [unrolled: 1-line block ×4, first 2 shown]
	v_cmp_neq_f32_e64 s[30:31], v12, v11
	v_cmp_class_f32_e64 s[34:35], v12, s33
	s_or_b64 s[30:31], s[30:31], s[34:35]
	s_and_saveexec_b64 s[34:35], s[30:31]
	s_cbranch_execz .LBB368_32
; %bb.31:
	v_sub_f32_e32 v12, v12, v11
	s_mov_b32 s30, 0x3fb8aa3b
	v_mul_f32_e32 v13, 0x3fb8aa3b, v12
	v_fma_f32 v14, v12, s30, -v13
	v_rndne_f32_e32 v15, v13
	v_fmamk_f32 v14, v12, 0x32a5705f, v14
	v_sub_f32_e32 v13, v13, v15
	v_add_f32_e32 v13, v13, v14
	v_exp_f32_e32 v13, v13
	v_cvt_i32_f32_e32 v14, v15
	s_mov_b32 s30, 0xc2ce8ed0
	v_cmp_ngt_f32_e64 s[30:31], s30, v12
	v_mov_b32_e32 v16, 0x7f800000
	v_ldexp_f32 v13, v13, v14
	v_cndmask_b32_e64 v13, 0, v13, s[30:31]
	s_mov_b32 s30, 0x42b17218
	v_cmp_nlt_f32_e64 s[30:31], s30, v12
	s_mov_b32 s33, 0x7f800000
	s_nop 0
	v_cndmask_b32_e64 v30, v16, v13, s[30:31]
	v_add_f32_e32 v14, 1.0, v30
	v_add_f32_e32 v12, -1.0, v14
	v_sub_f32_e32 v13, v12, v14
	v_add_f32_e32 v13, 1.0, v13
	v_sub_f32_e32 v12, v30, v12
	v_add_f32_e32 v15, v12, v13
	v_frexp_mant_f32_e32 v20, v14
	s_mov_b32 s30, 0x3f2aaaab
	v_cvt_f64_f32_e32 v[12:13], v14
	v_frexp_exp_i32_f64_e32 v12, v[12:13]
	v_cmp_gt_f32_e64 s[30:31], s30, v20
	s_nop 1
	v_subbrev_co_u32_e64 v24, s[30:31], 0, v12, s[30:31]
	v_sub_u32_e32 v12, 0, v24
	v_ldexp_f32 v13, v14, v12
	v_add_f32_e32 v14, -1.0, v13
	v_add_f32_e32 v20, 1.0, v13
	v_ldexp_f32 v12, v15, v12
	v_add_f32_e32 v15, 1.0, v14
	v_add_f32_e32 v21, -1.0, v20
	v_sub_f32_e32 v15, v13, v15
	v_sub_f32_e32 v13, v13, v21
	v_add_f32_e32 v15, v12, v15
	v_add_f32_e32 v12, v12, v13
	;; [unrolled: 1-line block ×3, first 2 shown]
	v_rcp_f32_e32 v27, v25
	v_sub_f32_e32 v13, v20, v25
	v_add_f32_e32 v26, v12, v13
	v_add_f32_e32 v13, v14, v15
	v_mul_f32_e32 v29, v13, v27
	v_sub_f32_e32 v12, v14, v13
	v_mul_f32_e32 v14, v25, v29
	v_fma_f32 v20, v29, v25, -v14
	v_fmac_f32_e32 v20, v29, v26
	v_add_f32_e32 v28, v15, v12
	v_add_f32_e32 v12, v14, v20
	v_sub_f32_e32 v15, v13, v12
	v_pk_add_f32 v[22:23], v[12:13], v[14:15] neg_lo:[0,1] neg_hi:[0,1]
	v_mov_b32_e32 v21, v12
	v_pk_add_f32 v[12:13], v[22:23], v[20:21] neg_lo:[0,1] neg_hi:[0,1]
	s_mov_b32 s30, 0x3f317218
	v_add_f32_e32 v13, v28, v13
	v_add_f32_e32 v12, v12, v13
	;; [unrolled: 1-line block ×3, first 2 shown]
	v_mul_f32_e32 v28, v27, v13
	v_mul_f32_e32 v14, v25, v28
	v_fma_f32 v20, v28, v25, -v14
	v_fmac_f32_e32 v20, v28, v26
	v_sub_f32_e32 v15, v15, v13
	v_add_f32_e32 v25, v12, v15
	v_add_f32_e32 v12, v14, v20
	v_sub_f32_e32 v15, v13, v12
	v_pk_add_f32 v[22:23], v[12:13], v[14:15] neg_lo:[0,1] neg_hi:[0,1]
	v_mov_b32_e32 v21, v12
	v_pk_add_f32 v[12:13], v[22:23], v[20:21] neg_lo:[0,1] neg_hi:[0,1]
	v_cvt_f32_i32_e32 v14, v24
	v_add_f32_e32 v13, v25, v13
	v_add_f32_e32 v12, v12, v13
	v_add_f32_e32 v12, v15, v12
	v_add_f32_e32 v15, v29, v28
	v_sub_f32_e32 v13, v15, v29
	v_mul_f32_e32 v12, v27, v12
	v_sub_f32_e32 v13, v28, v13
	v_add_f32_e32 v12, v13, v12
	v_add_f32_e32 v20, v15, v12
	v_mul_f32_e32 v22, v20, v20
	v_mov_b32_e32 v13, 0x3ecc95a3
	v_sub_f32_e32 v15, v20, v15
	v_fmac_f32_e32 v13, 0x3e9b6dac, v22
	v_sub_f32_e32 v12, v12, v15
	v_fmaak_f32 v13, v22, v13, 0x3f2aaada
	v_ldexp_f32 v23, v12, 1
	v_mul_f32_e32 v15, v20, v22
	v_mov_b32_e32 v12, 0x3f317218
	v_pk_mul_f32 v[12:13], v[14:15], v[12:13]
	v_ldexp_f32 v21, v20, 1
	v_fma_f32 v15, v14, s30, -v12
	v_fmamk_f32 v20, v14, 0xb102e308, v15
	v_pk_add_f32 v[14:15], v[12:13], v[20:21]
	v_mov_b32_e32 v22, v12
	v_sub_f32_e32 v21, v15, v21
	v_sub_f32_e32 v21, v13, v21
	v_add_f32_e32 v23, v23, v21
	v_pk_add_f32 v[12:13], v[14:15], v[12:13] neg_lo:[0,1] neg_hi:[0,1]
	v_pk_add_f32 v[24:25], v[14:15], v[22:23]
	v_mov_b32_e32 v21, v14
	v_mov_b32_e32 v13, v25
	v_pk_add_f32 v[26:27], v[20:21], v[12:13] neg_lo:[0,1] neg_hi:[0,1]
	v_pk_add_f32 v[12:13], v[20:21], v[12:13]
	v_mov_b32_e32 v22, v23
	v_pk_add_f32 v[20:21], v[12:13], v[14:15] op_sel:[1,0] op_sel_hi:[0,1] neg_lo:[0,1] neg_hi:[0,1]
	v_pk_add_f32 v[28:29], v[24:25], v[20:21] op_sel_hi:[1,0] neg_lo:[0,1] neg_hi:[0,1]
	v_mov_b32_e32 v24, v25
	v_mov_b32_e32 v25, v13
	v_pk_mov_b32 v[20:21], v[14:15], v[20:21] op_sel:[1,0]
	v_mov_b32_e32 v23, v14
	v_pk_add_f32 v[20:21], v[24:25], v[20:21] neg_lo:[0,1] neg_hi:[0,1]
	v_mov_b32_e32 v28, v26
	v_pk_add_f32 v[14:15], v[22:23], v[20:21] neg_lo:[0,1] neg_hi:[0,1]
	v_mov_b32_e32 v27, v13
	v_pk_add_f32 v[20:21], v[28:29], v[14:15]
	v_cmp_neq_f32_e64 s[30:31], s33, v30
	v_pk_add_f32 v[22:23], v[20:21], v[20:21] op_sel:[0,1] op_sel_hi:[1,0]
	s_nop 0
	v_pk_add_f32 v[12:13], v[12:13], v[22:23] op_sel:[1,0] op_sel_hi:[0,1]
	v_mov_b32_e32 v21, v12
	v_pk_add_f32 v[24:25], v[20:21], v[26:27] neg_lo:[0,1] neg_hi:[0,1]
	v_mov_b32_e32 v15, v22
	v_sub_f32_e32 v13, v20, v24
	v_pk_add_f32 v[14:15], v[14:15], v[24:25] neg_lo:[0,1] neg_hi:[0,1]
	v_sub_f32_e32 v13, v26, v13
	v_add_f32_e32 v13, v14, v13
	v_add_f32_e32 v13, v13, v15
	;; [unrolled: 1-line block ×3, first 2 shown]
	v_cndmask_b32_e64 v12, v16, v12, s[30:31]
	s_mov_b32 s30, 0x33800000
	v_cmp_lt_f32_e64 s[30:31], |v30|, s30
	s_nop 1
	v_cndmask_b32_e64 v12, v12, v30, s[30:31]
	v_add_f32_e32 v11, v11, v12
	v_cvt_f16_f32_e32 v20, v11
	v_cvt_f32_f16_e32 v22, v20
	v_mov_b32_e32 v21, v20
.LBB368_32:
	s_or_b64 exec, exec, s[34:35]
	v_cvt_f32_f16_sdwa v11, v3 dst_sel:DWORD dst_unused:UNUSED_PAD src0_sel:WORD_1
	v_max_f32_e32 v13, v22, v22
	v_cmp_u_f16_e64 s[34:35], v20, v20
	v_cmp_u_f16_sdwa s[30:31], v3, v3 src0_sel:WORD_1 src1_sel:WORD_1
	v_min_f32_e32 v12, v13, v11
	v_max_f32_e32 v3, v13, v11
	v_cndmask_b32_e64 v12, v12, v22, s[34:35]
	v_cndmask_b32_e64 v3, v3, v22, s[34:35]
	v_cndmask_b32_e64 v12, v12, v11, s[30:31]
	v_cndmask_b32_e64 v3, v3, v11, s[30:31]
	s_movk_i32 s33, 0x1f8
	v_cmp_neq_f32_e64 s[34:35], v12, v3
	v_cmp_class_f32_e64 s[36:37], v12, s33
	s_or_b64 s[34:35], s[34:35], s[36:37]
	s_and_saveexec_b64 s[36:37], s[34:35]
	s_cbranch_execz .LBB368_34
; %bb.33:
	v_sub_f32_e32 v12, v12, v3
	s_mov_b32 s34, 0x3fb8aa3b
	v_mul_f32_e32 v13, 0x3fb8aa3b, v12
	v_fma_f32 v14, v12, s34, -v13
	v_rndne_f32_e32 v15, v13
	v_fmamk_f32 v14, v12, 0x32a5705f, v14
	v_sub_f32_e32 v13, v13, v15
	v_add_f32_e32 v13, v13, v14
	v_exp_f32_e32 v13, v13
	v_cvt_i32_f32_e32 v14, v15
	s_mov_b32 s34, 0xc2ce8ed0
	v_cmp_ngt_f32_e64 s[34:35], s34, v12
	v_mov_b32_e32 v16, 0x7f800000
	v_ldexp_f32 v13, v13, v14
	v_cndmask_b32_e64 v13, 0, v13, s[34:35]
	s_mov_b32 s34, 0x42b17218
	v_cmp_nlt_f32_e64 s[34:35], s34, v12
	s_mov_b32 s38, 0x7f800000
	s_nop 0
	v_cndmask_b32_e64 v30, v16, v13, s[34:35]
	v_add_f32_e32 v14, 1.0, v30
	v_add_f32_e32 v12, -1.0, v14
	v_sub_f32_e32 v13, v12, v14
	v_add_f32_e32 v13, 1.0, v13
	v_sub_f32_e32 v12, v30, v12
	v_add_f32_e32 v15, v12, v13
	v_frexp_mant_f32_e32 v20, v14
	s_mov_b32 s34, 0x3f2aaaab
	v_cvt_f64_f32_e32 v[12:13], v14
	v_frexp_exp_i32_f64_e32 v12, v[12:13]
	v_cmp_gt_f32_e64 s[34:35], s34, v20
	s_nop 1
	v_subbrev_co_u32_e64 v24, s[34:35], 0, v12, s[34:35]
	v_sub_u32_e32 v12, 0, v24
	v_ldexp_f32 v13, v14, v12
	v_add_f32_e32 v14, -1.0, v13
	v_add_f32_e32 v20, 1.0, v13
	v_ldexp_f32 v12, v15, v12
	v_add_f32_e32 v15, 1.0, v14
	v_add_f32_e32 v21, -1.0, v20
	v_sub_f32_e32 v15, v13, v15
	v_sub_f32_e32 v13, v13, v21
	v_add_f32_e32 v15, v12, v15
	v_add_f32_e32 v12, v12, v13
	;; [unrolled: 1-line block ×3, first 2 shown]
	v_rcp_f32_e32 v27, v25
	v_sub_f32_e32 v13, v20, v25
	v_add_f32_e32 v26, v12, v13
	v_add_f32_e32 v13, v14, v15
	v_mul_f32_e32 v29, v13, v27
	v_sub_f32_e32 v12, v14, v13
	v_mul_f32_e32 v14, v25, v29
	v_fma_f32 v20, v29, v25, -v14
	v_fmac_f32_e32 v20, v29, v26
	v_add_f32_e32 v28, v15, v12
	v_add_f32_e32 v12, v14, v20
	v_sub_f32_e32 v15, v13, v12
	v_pk_add_f32 v[22:23], v[12:13], v[14:15] neg_lo:[0,1] neg_hi:[0,1]
	v_mov_b32_e32 v21, v12
	v_pk_add_f32 v[12:13], v[22:23], v[20:21] neg_lo:[0,1] neg_hi:[0,1]
	s_mov_b32 s34, 0x3f317218
	v_add_f32_e32 v13, v28, v13
	v_add_f32_e32 v12, v12, v13
	;; [unrolled: 1-line block ×3, first 2 shown]
	v_mul_f32_e32 v28, v27, v13
	v_mul_f32_e32 v14, v25, v28
	v_fma_f32 v20, v28, v25, -v14
	v_fmac_f32_e32 v20, v28, v26
	v_sub_f32_e32 v15, v15, v13
	v_add_f32_e32 v25, v12, v15
	v_add_f32_e32 v12, v14, v20
	v_sub_f32_e32 v15, v13, v12
	v_pk_add_f32 v[22:23], v[12:13], v[14:15] neg_lo:[0,1] neg_hi:[0,1]
	v_mov_b32_e32 v21, v12
	v_pk_add_f32 v[12:13], v[22:23], v[20:21] neg_lo:[0,1] neg_hi:[0,1]
	v_cvt_f32_i32_e32 v14, v24
	v_add_f32_e32 v13, v25, v13
	v_add_f32_e32 v12, v12, v13
	v_add_f32_e32 v12, v15, v12
	v_add_f32_e32 v15, v29, v28
	v_sub_f32_e32 v13, v15, v29
	v_mul_f32_e32 v12, v27, v12
	v_sub_f32_e32 v13, v28, v13
	v_add_f32_e32 v12, v13, v12
	v_add_f32_e32 v20, v15, v12
	v_mul_f32_e32 v22, v20, v20
	v_mov_b32_e32 v13, 0x3ecc95a3
	v_sub_f32_e32 v15, v20, v15
	v_fmac_f32_e32 v13, 0x3e9b6dac, v22
	v_sub_f32_e32 v12, v12, v15
	v_fmaak_f32 v13, v22, v13, 0x3f2aaada
	v_ldexp_f32 v23, v12, 1
	v_mul_f32_e32 v15, v20, v22
	v_mov_b32_e32 v12, 0x3f317218
	v_pk_mul_f32 v[12:13], v[14:15], v[12:13]
	v_ldexp_f32 v21, v20, 1
	v_fma_f32 v15, v14, s34, -v12
	v_fmamk_f32 v20, v14, 0xb102e308, v15
	v_pk_add_f32 v[14:15], v[12:13], v[20:21]
	v_mov_b32_e32 v22, v12
	v_sub_f32_e32 v21, v15, v21
	v_sub_f32_e32 v21, v13, v21
	v_add_f32_e32 v23, v23, v21
	v_pk_add_f32 v[12:13], v[14:15], v[12:13] neg_lo:[0,1] neg_hi:[0,1]
	v_pk_add_f32 v[24:25], v[14:15], v[22:23]
	v_mov_b32_e32 v21, v14
	v_mov_b32_e32 v13, v25
	v_pk_add_f32 v[26:27], v[20:21], v[12:13] neg_lo:[0,1] neg_hi:[0,1]
	v_pk_add_f32 v[12:13], v[20:21], v[12:13]
	v_mov_b32_e32 v22, v23
	v_pk_add_f32 v[20:21], v[12:13], v[14:15] op_sel:[1,0] op_sel_hi:[0,1] neg_lo:[0,1] neg_hi:[0,1]
	v_pk_add_f32 v[28:29], v[24:25], v[20:21] op_sel_hi:[1,0] neg_lo:[0,1] neg_hi:[0,1]
	v_mov_b32_e32 v24, v25
	v_mov_b32_e32 v25, v13
	v_pk_mov_b32 v[20:21], v[14:15], v[20:21] op_sel:[1,0]
	v_mov_b32_e32 v23, v14
	v_pk_add_f32 v[20:21], v[24:25], v[20:21] neg_lo:[0,1] neg_hi:[0,1]
	v_mov_b32_e32 v28, v26
	v_pk_add_f32 v[14:15], v[22:23], v[20:21] neg_lo:[0,1] neg_hi:[0,1]
	v_mov_b32_e32 v27, v13
	v_pk_add_f32 v[20:21], v[28:29], v[14:15]
	v_cmp_neq_f32_e64 s[34:35], s38, v30
	v_pk_add_f32 v[22:23], v[20:21], v[20:21] op_sel:[0,1] op_sel_hi:[1,0]
	s_nop 0
	v_pk_add_f32 v[12:13], v[12:13], v[22:23] op_sel:[1,0] op_sel_hi:[0,1]
	v_mov_b32_e32 v21, v12
	v_pk_add_f32 v[24:25], v[20:21], v[26:27] neg_lo:[0,1] neg_hi:[0,1]
	v_mov_b32_e32 v15, v22
	v_sub_f32_e32 v13, v20, v24
	v_pk_add_f32 v[14:15], v[14:15], v[24:25] neg_lo:[0,1] neg_hi:[0,1]
	v_sub_f32_e32 v13, v26, v13
	v_add_f32_e32 v13, v14, v13
	v_add_f32_e32 v13, v13, v15
	;; [unrolled: 1-line block ×3, first 2 shown]
	v_cndmask_b32_e64 v12, v16, v12, s[34:35]
	s_mov_b32 s34, 0x33800000
	v_cmp_lt_f32_e64 s[34:35], |v30|, s34
	s_nop 1
	v_cndmask_b32_e64 v12, v12, v30, s[34:35]
	v_add_f32_e32 v3, v3, v12
	v_cvt_f16_f32_e32 v20, v3
	v_cvt_f32_f16_e32 v22, v20
	v_mov_b32_e32 v21, v20
.LBB368_34:
	s_or_b64 exec, exec, s[36:37]
	v_cvt_f32_f16_e32 v3, v6
	v_max_f32_e32 v12, v22, v22
	v_cmp_u_f16_e64 s[36:37], v20, v20
	v_cmp_u_f16_e64 s[34:35], v6, v6
	v_min_f32_e32 v13, v12, v3
	v_max_f32_e32 v12, v12, v3
	v_cndmask_b32_e64 v13, v13, v22, s[36:37]
	v_cndmask_b32_e64 v12, v12, v22, s[36:37]
	;; [unrolled: 1-line block ×4, first 2 shown]
	v_cmp_neq_f32_e64 s[36:37], v13, v12
	v_cmp_class_f32_e64 s[38:39], v13, s33
	s_or_b64 s[36:37], s[36:37], s[38:39]
	s_and_saveexec_b64 s[38:39], s[36:37]
	s_cbranch_execz .LBB368_36
; %bb.35:
	v_sub_f32_e32 v13, v13, v12
	s_mov_b32 s33, 0x3fb8aa3b
	v_mul_f32_e32 v14, 0x3fb8aa3b, v13
	v_fma_f32 v15, v13, s33, -v14
	v_rndne_f32_e32 v16, v14
	v_fmamk_f32 v15, v13, 0x32a5705f, v15
	v_sub_f32_e32 v14, v14, v16
	v_add_f32_e32 v14, v14, v15
	v_exp_f32_e32 v14, v14
	v_cvt_i32_f32_e32 v15, v16
	s_mov_b32 s33, 0xc2ce8ed0
	v_cmp_ngt_f32_e64 s[36:37], s33, v13
	s_mov_b32 s33, 0x42b17218
	v_ldexp_f32 v14, v14, v15
	v_cndmask_b32_e64 v14, 0, v14, s[36:37]
	v_mov_b32_e32 v16, 0x7f800000
	v_cmp_nlt_f32_e64 s[36:37], s33, v13
	s_mov_b32 s33, 0x3f2aaaab
	s_mov_b32 s40, 0x7f800000
	v_cndmask_b32_e64 v13, v16, v14, s[36:37]
	v_add_f32_e32 v20, 1.0, v13
	v_add_f32_e32 v14, -1.0, v20
	v_sub_f32_e32 v15, v14, v20
	v_add_f32_e32 v15, 1.0, v15
	v_sub_f32_e32 v14, v13, v14
	v_add_f32_e32 v21, v14, v15
	v_frexp_mant_f32_e32 v22, v20
	v_cvt_f64_f32_e32 v[14:15], v20
	v_frexp_exp_i32_f64_e32 v14, v[14:15]
	v_cmp_gt_f32_e64 s[36:37], s33, v22
	s_mov_b32 s33, 0x3f317218
	s_nop 0
	v_subbrev_co_u32_e64 v26, s[36:37], 0, v14, s[36:37]
	v_sub_u32_e32 v14, 0, v26
	v_ldexp_f32 v15, v20, v14
	v_add_f32_e32 v20, -1.0, v15
	v_add_f32_e32 v22, 1.0, v15
	v_ldexp_f32 v14, v21, v14
	v_add_f32_e32 v21, 1.0, v20
	v_add_f32_e32 v23, -1.0, v22
	v_sub_f32_e32 v21, v15, v21
	v_sub_f32_e32 v15, v15, v23
	v_add_f32_e32 v21, v14, v21
	v_add_f32_e32 v14, v14, v15
	;; [unrolled: 1-line block ×3, first 2 shown]
	v_rcp_f32_e32 v29, v27
	v_sub_f32_e32 v15, v22, v27
	v_add_f32_e32 v28, v14, v15
	v_add_f32_e32 v15, v20, v21
	v_mul_f32_e32 v31, v15, v29
	v_sub_f32_e32 v14, v20, v15
	v_mul_f32_e32 v20, v27, v31
	v_fma_f32 v22, v31, v27, -v20
	v_fmac_f32_e32 v22, v31, v28
	v_add_f32_e32 v30, v21, v14
	v_add_f32_e32 v14, v20, v22
	v_sub_f32_e32 v21, v15, v14
	v_pk_add_f32 v[24:25], v[14:15], v[20:21] neg_lo:[0,1] neg_hi:[0,1]
	v_mov_b32_e32 v23, v14
	v_pk_add_f32 v[14:15], v[24:25], v[22:23] neg_lo:[0,1] neg_hi:[0,1]
	v_cmp_neq_f32_e64 s[36:37], s40, v13
	v_add_f32_e32 v15, v30, v15
	v_add_f32_e32 v14, v14, v15
	;; [unrolled: 1-line block ×3, first 2 shown]
	v_mul_f32_e32 v30, v29, v15
	v_mul_f32_e32 v20, v27, v30
	v_fma_f32 v22, v30, v27, -v20
	v_fmac_f32_e32 v22, v30, v28
	v_sub_f32_e32 v21, v21, v15
	v_add_f32_e32 v27, v14, v21
	v_add_f32_e32 v14, v20, v22
	v_sub_f32_e32 v21, v15, v14
	v_pk_add_f32 v[24:25], v[14:15], v[20:21] neg_lo:[0,1] neg_hi:[0,1]
	v_mov_b32_e32 v23, v14
	v_pk_add_f32 v[14:15], v[24:25], v[22:23] neg_lo:[0,1] neg_hi:[0,1]
	v_cvt_f32_i32_e32 v20, v26
	v_add_f32_e32 v15, v27, v15
	v_add_f32_e32 v14, v14, v15
	;; [unrolled: 1-line block ×4, first 2 shown]
	v_sub_f32_e32 v15, v21, v31
	v_mul_f32_e32 v14, v29, v14
	v_sub_f32_e32 v15, v30, v15
	v_add_f32_e32 v14, v15, v14
	v_add_f32_e32 v22, v21, v14
	v_mul_f32_e32 v24, v22, v22
	v_mov_b32_e32 v15, 0x3ecc95a3
	v_sub_f32_e32 v21, v22, v21
	v_fmac_f32_e32 v15, 0x3e9b6dac, v24
	v_sub_f32_e32 v14, v14, v21
	v_fmaak_f32 v15, v24, v15, 0x3f2aaada
	v_ldexp_f32 v25, v14, 1
	v_mul_f32_e32 v21, v22, v24
	v_mov_b32_e32 v14, 0x3f317218
	v_pk_mul_f32 v[14:15], v[20:21], v[14:15]
	v_ldexp_f32 v23, v22, 1
	v_fma_f32 v21, v20, s33, -v14
	v_fmamk_f32 v22, v20, 0xb102e308, v21
	v_pk_add_f32 v[20:21], v[14:15], v[22:23]
	v_mov_b32_e32 v24, v14
	v_sub_f32_e32 v23, v21, v23
	v_sub_f32_e32 v23, v15, v23
	v_add_f32_e32 v25, v25, v23
	v_pk_add_f32 v[14:15], v[20:21], v[14:15] neg_lo:[0,1] neg_hi:[0,1]
	v_pk_add_f32 v[26:27], v[20:21], v[24:25]
	v_mov_b32_e32 v23, v20
	v_mov_b32_e32 v15, v27
	v_pk_add_f32 v[28:29], v[22:23], v[14:15] neg_lo:[0,1] neg_hi:[0,1]
	v_pk_add_f32 v[14:15], v[22:23], v[14:15]
	v_mov_b32_e32 v24, v25
	v_pk_add_f32 v[22:23], v[14:15], v[20:21] op_sel:[1,0] op_sel_hi:[0,1] neg_lo:[0,1] neg_hi:[0,1]
	v_pk_add_f32 v[30:31], v[26:27], v[22:23] op_sel_hi:[1,0] neg_lo:[0,1] neg_hi:[0,1]
	v_mov_b32_e32 v26, v27
	v_mov_b32_e32 v27, v15
	v_pk_mov_b32 v[22:23], v[20:21], v[22:23] op_sel:[1,0]
	v_mov_b32_e32 v25, v20
	v_pk_add_f32 v[22:23], v[26:27], v[22:23] neg_lo:[0,1] neg_hi:[0,1]
	v_mov_b32_e32 v30, v28
	v_pk_add_f32 v[20:21], v[24:25], v[22:23] neg_lo:[0,1] neg_hi:[0,1]
	v_mov_b32_e32 v29, v15
	v_pk_add_f32 v[22:23], v[30:31], v[20:21]
	s_mov_b32 s33, 0x33800000
	v_pk_add_f32 v[24:25], v[22:23], v[22:23] op_sel:[0,1] op_sel_hi:[1,0]
	s_nop 0
	v_pk_add_f32 v[14:15], v[14:15], v[24:25] op_sel:[1,0] op_sel_hi:[0,1]
	v_mov_b32_e32 v23, v14
	v_pk_add_f32 v[26:27], v[22:23], v[28:29] neg_lo:[0,1] neg_hi:[0,1]
	v_mov_b32_e32 v21, v24
	v_sub_f32_e32 v15, v22, v26
	v_pk_add_f32 v[20:21], v[20:21], v[26:27] neg_lo:[0,1] neg_hi:[0,1]
	v_sub_f32_e32 v15, v28, v15
	v_add_f32_e32 v15, v20, v15
	v_add_f32_e32 v15, v15, v21
	;; [unrolled: 1-line block ×3, first 2 shown]
	v_cndmask_b32_e64 v14, v16, v14, s[36:37]
	v_cmp_lt_f32_e64 s[36:37], |v13|, s33
	s_nop 1
	v_cndmask_b32_e64 v13, v14, v13, s[36:37]
	v_add_f32_e32 v12, v12, v13
	v_cvt_f16_f32_e32 v20, v12
	v_cvt_f32_f16_e32 v22, v20
	v_mov_b32_e32 v21, v20
.LBB368_36:
	s_or_b64 exec, exec, s[38:39]
	v_cvt_f32_f16_sdwa v12, v6 dst_sel:DWORD dst_unused:UNUSED_PAD src0_sel:WORD_1
	v_max_f32_e32 v14, v22, v22
	v_cmp_u_f16_e64 s[38:39], v20, v20
	v_cmp_u_f16_sdwa s[36:37], v6, v6 src0_sel:WORD_1 src1_sel:WORD_1
	v_min_f32_e32 v13, v14, v12
	v_max_f32_e32 v6, v14, v12
	v_cndmask_b32_e64 v13, v13, v22, s[38:39]
	v_cndmask_b32_e64 v6, v6, v22, s[38:39]
	;; [unrolled: 1-line block ×4, first 2 shown]
	s_movk_i32 s33, 0x1f8
	v_cmp_neq_f32_e64 s[38:39], v13, v6
	v_cmp_class_f32_e64 s[40:41], v13, s33
	s_or_b64 s[38:39], s[38:39], s[40:41]
	s_and_saveexec_b64 s[40:41], s[38:39]
	s_cbranch_execz .LBB368_38
; %bb.37:
	v_sub_f32_e32 v13, v13, v6
	s_mov_b32 s38, 0x3fb8aa3b
	v_mul_f32_e32 v14, 0x3fb8aa3b, v13
	v_fma_f32 v15, v13, s38, -v14
	v_rndne_f32_e32 v16, v14
	v_fmamk_f32 v15, v13, 0x32a5705f, v15
	v_sub_f32_e32 v14, v14, v16
	v_add_f32_e32 v14, v14, v15
	v_exp_f32_e32 v14, v14
	v_cvt_i32_f32_e32 v15, v16
	s_mov_b32 s38, 0xc2ce8ed0
	v_cmp_ngt_f32_e64 s[38:39], s38, v13
	v_mov_b32_e32 v16, 0x7f800000
	v_ldexp_f32 v14, v14, v15
	v_cndmask_b32_e64 v14, 0, v14, s[38:39]
	s_mov_b32 s38, 0x42b17218
	v_cmp_nlt_f32_e64 s[38:39], s38, v13
	s_mov_b32 s42, 0x7f800000
	s_nop 0
	v_cndmask_b32_e64 v13, v16, v14, s[38:39]
	v_add_f32_e32 v20, 1.0, v13
	v_add_f32_e32 v14, -1.0, v20
	v_sub_f32_e32 v15, v14, v20
	v_add_f32_e32 v15, 1.0, v15
	v_sub_f32_e32 v14, v13, v14
	v_add_f32_e32 v21, v14, v15
	v_frexp_mant_f32_e32 v22, v20
	s_mov_b32 s38, 0x3f2aaaab
	v_cvt_f64_f32_e32 v[14:15], v20
	v_frexp_exp_i32_f64_e32 v14, v[14:15]
	v_cmp_gt_f32_e64 s[38:39], s38, v22
	s_nop 1
	v_subbrev_co_u32_e64 v26, s[38:39], 0, v14, s[38:39]
	v_sub_u32_e32 v14, 0, v26
	v_ldexp_f32 v15, v20, v14
	v_add_f32_e32 v20, -1.0, v15
	v_add_f32_e32 v22, 1.0, v15
	v_ldexp_f32 v14, v21, v14
	v_add_f32_e32 v21, 1.0, v20
	v_add_f32_e32 v23, -1.0, v22
	v_sub_f32_e32 v21, v15, v21
	v_sub_f32_e32 v15, v15, v23
	v_add_f32_e32 v21, v14, v21
	v_add_f32_e32 v14, v14, v15
	;; [unrolled: 1-line block ×3, first 2 shown]
	v_rcp_f32_e32 v29, v27
	v_sub_f32_e32 v15, v22, v27
	v_add_f32_e32 v28, v14, v15
	v_add_f32_e32 v15, v20, v21
	v_mul_f32_e32 v31, v15, v29
	v_sub_f32_e32 v14, v20, v15
	v_mul_f32_e32 v20, v27, v31
	v_fma_f32 v22, v31, v27, -v20
	v_fmac_f32_e32 v22, v31, v28
	v_add_f32_e32 v30, v21, v14
	v_add_f32_e32 v14, v20, v22
	v_sub_f32_e32 v21, v15, v14
	v_pk_add_f32 v[24:25], v[14:15], v[20:21] neg_lo:[0,1] neg_hi:[0,1]
	v_mov_b32_e32 v23, v14
	v_pk_add_f32 v[14:15], v[24:25], v[22:23] neg_lo:[0,1] neg_hi:[0,1]
	s_mov_b32 s38, 0x3f317218
	v_add_f32_e32 v15, v30, v15
	v_add_f32_e32 v14, v14, v15
	v_add_f32_e32 v15, v21, v14
	v_mul_f32_e32 v30, v29, v15
	v_mul_f32_e32 v20, v27, v30
	v_fma_f32 v22, v30, v27, -v20
	v_fmac_f32_e32 v22, v30, v28
	v_sub_f32_e32 v21, v21, v15
	v_add_f32_e32 v27, v14, v21
	v_add_f32_e32 v14, v20, v22
	v_sub_f32_e32 v21, v15, v14
	v_pk_add_f32 v[24:25], v[14:15], v[20:21] neg_lo:[0,1] neg_hi:[0,1]
	v_mov_b32_e32 v23, v14
	v_pk_add_f32 v[14:15], v[24:25], v[22:23] neg_lo:[0,1] neg_hi:[0,1]
	v_cvt_f32_i32_e32 v20, v26
	v_add_f32_e32 v15, v27, v15
	v_add_f32_e32 v14, v14, v15
	;; [unrolled: 1-line block ×4, first 2 shown]
	v_sub_f32_e32 v15, v21, v31
	v_mul_f32_e32 v14, v29, v14
	v_sub_f32_e32 v15, v30, v15
	v_add_f32_e32 v14, v15, v14
	v_add_f32_e32 v22, v21, v14
	v_mul_f32_e32 v24, v22, v22
	v_mov_b32_e32 v15, 0x3ecc95a3
	v_sub_f32_e32 v21, v22, v21
	v_fmac_f32_e32 v15, 0x3e9b6dac, v24
	v_sub_f32_e32 v14, v14, v21
	v_fmaak_f32 v15, v24, v15, 0x3f2aaada
	v_ldexp_f32 v25, v14, 1
	v_mul_f32_e32 v21, v22, v24
	v_mov_b32_e32 v14, 0x3f317218
	v_pk_mul_f32 v[14:15], v[20:21], v[14:15]
	v_ldexp_f32 v23, v22, 1
	v_fma_f32 v21, v20, s38, -v14
	v_fmamk_f32 v22, v20, 0xb102e308, v21
	v_pk_add_f32 v[20:21], v[14:15], v[22:23]
	v_mov_b32_e32 v24, v14
	v_sub_f32_e32 v23, v21, v23
	v_sub_f32_e32 v23, v15, v23
	v_add_f32_e32 v25, v25, v23
	v_pk_add_f32 v[14:15], v[20:21], v[14:15] neg_lo:[0,1] neg_hi:[0,1]
	v_pk_add_f32 v[26:27], v[20:21], v[24:25]
	v_mov_b32_e32 v23, v20
	v_mov_b32_e32 v15, v27
	v_pk_add_f32 v[28:29], v[22:23], v[14:15] neg_lo:[0,1] neg_hi:[0,1]
	v_pk_add_f32 v[14:15], v[22:23], v[14:15]
	v_mov_b32_e32 v24, v25
	v_pk_add_f32 v[22:23], v[14:15], v[20:21] op_sel:[1,0] op_sel_hi:[0,1] neg_lo:[0,1] neg_hi:[0,1]
	v_pk_add_f32 v[30:31], v[26:27], v[22:23] op_sel_hi:[1,0] neg_lo:[0,1] neg_hi:[0,1]
	v_mov_b32_e32 v26, v27
	v_mov_b32_e32 v27, v15
	v_pk_mov_b32 v[22:23], v[20:21], v[22:23] op_sel:[1,0]
	v_mov_b32_e32 v25, v20
	v_pk_add_f32 v[22:23], v[26:27], v[22:23] neg_lo:[0,1] neg_hi:[0,1]
	v_mov_b32_e32 v30, v28
	v_pk_add_f32 v[20:21], v[24:25], v[22:23] neg_lo:[0,1] neg_hi:[0,1]
	v_mov_b32_e32 v29, v15
	v_pk_add_f32 v[22:23], v[30:31], v[20:21]
	v_cmp_neq_f32_e64 s[38:39], s42, v13
	v_pk_add_f32 v[24:25], v[22:23], v[22:23] op_sel:[0,1] op_sel_hi:[1,0]
	s_nop 0
	v_pk_add_f32 v[14:15], v[14:15], v[24:25] op_sel:[1,0] op_sel_hi:[0,1]
	v_mov_b32_e32 v23, v14
	v_pk_add_f32 v[26:27], v[22:23], v[28:29] neg_lo:[0,1] neg_hi:[0,1]
	v_mov_b32_e32 v21, v24
	v_sub_f32_e32 v15, v22, v26
	v_pk_add_f32 v[20:21], v[20:21], v[26:27] neg_lo:[0,1] neg_hi:[0,1]
	v_sub_f32_e32 v15, v28, v15
	v_add_f32_e32 v15, v20, v15
	v_add_f32_e32 v15, v15, v21
	;; [unrolled: 1-line block ×3, first 2 shown]
	v_cndmask_b32_e64 v14, v16, v14, s[38:39]
	s_mov_b32 s38, 0x33800000
	v_cmp_lt_f32_e64 s[38:39], |v13|, s38
	s_nop 1
	v_cndmask_b32_e64 v13, v14, v13, s[38:39]
	v_add_f32_e32 v6, v6, v13
	v_cvt_f16_f32_e32 v20, v6
	v_cvt_f32_f16_e32 v22, v20
	v_mov_b32_e32 v21, v20
.LBB368_38:
	s_or_b64 exec, exec, s[40:41]
	v_cvt_f32_f16_e32 v6, v7
	v_max_f32_e32 v13, v22, v22
	v_cmp_u_f16_e64 s[40:41], v20, v20
	v_cmp_u_f16_e64 s[38:39], v7, v7
	v_min_f32_e32 v14, v13, v6
	v_max_f32_e32 v13, v13, v6
	v_cndmask_b32_e64 v14, v14, v22, s[40:41]
	v_cndmask_b32_e64 v13, v13, v22, s[40:41]
	;; [unrolled: 1-line block ×4, first 2 shown]
	v_cmp_neq_f32_e64 s[40:41], v14, v13
	v_cmp_class_f32_e64 s[42:43], v14, s33
	s_or_b64 s[40:41], s[40:41], s[42:43]
	s_and_saveexec_b64 s[42:43], s[40:41]
	s_cbranch_execz .LBB368_40
; %bb.39:
	v_sub_f32_e32 v14, v14, v13
	s_mov_b32 s33, 0x3fb8aa3b
	v_mul_f32_e32 v15, 0x3fb8aa3b, v14
	v_fma_f32 v16, v14, s33, -v15
	v_rndne_f32_e32 v20, v15
	v_fmamk_f32 v16, v14, 0x32a5705f, v16
	v_sub_f32_e32 v15, v15, v20
	v_add_f32_e32 v15, v15, v16
	v_exp_f32_e32 v15, v15
	v_cvt_i32_f32_e32 v16, v20
	s_mov_b32 s33, 0xc2ce8ed0
	v_cmp_ngt_f32_e64 s[40:41], s33, v14
	s_mov_b32 s33, 0x42b17218
	v_ldexp_f32 v15, v15, v16
	v_cndmask_b32_e64 v15, 0, v15, s[40:41]
	v_mov_b32_e32 v16, 0x7f800000
	v_cmp_nlt_f32_e64 s[40:41], s33, v14
	s_mov_b32 s33, 0x3f2aaaab
	s_mov_b32 s44, 0x7f800000
	v_cndmask_b32_e64 v32, v16, v15, s[40:41]
	v_add_f32_e32 v20, 1.0, v32
	v_add_f32_e32 v14, -1.0, v20
	v_sub_f32_e32 v15, v14, v20
	v_add_f32_e32 v15, 1.0, v15
	v_sub_f32_e32 v14, v32, v14
	v_add_f32_e32 v21, v14, v15
	v_frexp_mant_f32_e32 v22, v20
	v_cvt_f64_f32_e32 v[14:15], v20
	v_frexp_exp_i32_f64_e32 v14, v[14:15]
	v_cmp_gt_f32_e64 s[40:41], s33, v22
	s_mov_b32 s33, 0x3f317218
	s_nop 0
	v_subbrev_co_u32_e64 v26, s[40:41], 0, v14, s[40:41]
	v_sub_u32_e32 v14, 0, v26
	v_ldexp_f32 v15, v20, v14
	v_add_f32_e32 v20, -1.0, v15
	v_add_f32_e32 v22, 1.0, v15
	v_ldexp_f32 v14, v21, v14
	v_add_f32_e32 v21, 1.0, v20
	v_add_f32_e32 v23, -1.0, v22
	v_sub_f32_e32 v21, v15, v21
	v_sub_f32_e32 v15, v15, v23
	v_add_f32_e32 v21, v14, v21
	v_add_f32_e32 v14, v14, v15
	;; [unrolled: 1-line block ×3, first 2 shown]
	v_rcp_f32_e32 v29, v27
	v_sub_f32_e32 v15, v22, v27
	v_add_f32_e32 v28, v14, v15
	v_add_f32_e32 v15, v20, v21
	v_mul_f32_e32 v31, v15, v29
	v_sub_f32_e32 v14, v20, v15
	v_mul_f32_e32 v20, v27, v31
	v_fma_f32 v22, v31, v27, -v20
	v_fmac_f32_e32 v22, v31, v28
	v_add_f32_e32 v30, v21, v14
	v_add_f32_e32 v14, v20, v22
	v_sub_f32_e32 v21, v15, v14
	v_pk_add_f32 v[24:25], v[14:15], v[20:21] neg_lo:[0,1] neg_hi:[0,1]
	v_mov_b32_e32 v23, v14
	v_pk_add_f32 v[14:15], v[24:25], v[22:23] neg_lo:[0,1] neg_hi:[0,1]
	v_cmp_neq_f32_e64 s[40:41], s44, v32
	v_add_f32_e32 v15, v30, v15
	v_add_f32_e32 v14, v14, v15
	;; [unrolled: 1-line block ×3, first 2 shown]
	v_mul_f32_e32 v30, v29, v15
	v_mul_f32_e32 v20, v27, v30
	v_fma_f32 v22, v30, v27, -v20
	v_fmac_f32_e32 v22, v30, v28
	v_sub_f32_e32 v21, v21, v15
	v_add_f32_e32 v27, v14, v21
	v_add_f32_e32 v14, v20, v22
	v_sub_f32_e32 v21, v15, v14
	v_pk_add_f32 v[24:25], v[14:15], v[20:21] neg_lo:[0,1] neg_hi:[0,1]
	v_mov_b32_e32 v23, v14
	v_pk_add_f32 v[14:15], v[24:25], v[22:23] neg_lo:[0,1] neg_hi:[0,1]
	v_cvt_f32_i32_e32 v20, v26
	v_add_f32_e32 v15, v27, v15
	v_add_f32_e32 v14, v14, v15
	;; [unrolled: 1-line block ×4, first 2 shown]
	v_sub_f32_e32 v15, v21, v31
	v_mul_f32_e32 v14, v29, v14
	v_sub_f32_e32 v15, v30, v15
	v_add_f32_e32 v14, v15, v14
	v_add_f32_e32 v22, v21, v14
	v_mul_f32_e32 v24, v22, v22
	v_mov_b32_e32 v15, 0x3ecc95a3
	v_sub_f32_e32 v21, v22, v21
	v_fmac_f32_e32 v15, 0x3e9b6dac, v24
	v_sub_f32_e32 v14, v14, v21
	v_fmaak_f32 v15, v24, v15, 0x3f2aaada
	v_ldexp_f32 v25, v14, 1
	v_mul_f32_e32 v21, v22, v24
	v_mov_b32_e32 v14, 0x3f317218
	v_pk_mul_f32 v[14:15], v[20:21], v[14:15]
	v_ldexp_f32 v23, v22, 1
	v_fma_f32 v21, v20, s33, -v14
	v_fmamk_f32 v22, v20, 0xb102e308, v21
	v_pk_add_f32 v[20:21], v[14:15], v[22:23]
	v_mov_b32_e32 v24, v14
	v_sub_f32_e32 v23, v21, v23
	v_sub_f32_e32 v23, v15, v23
	v_add_f32_e32 v25, v25, v23
	v_pk_add_f32 v[14:15], v[20:21], v[14:15] neg_lo:[0,1] neg_hi:[0,1]
	v_pk_add_f32 v[26:27], v[20:21], v[24:25]
	v_mov_b32_e32 v23, v20
	v_mov_b32_e32 v15, v27
	v_pk_add_f32 v[28:29], v[22:23], v[14:15] neg_lo:[0,1] neg_hi:[0,1]
	v_pk_add_f32 v[14:15], v[22:23], v[14:15]
	v_mov_b32_e32 v24, v25
	v_pk_add_f32 v[22:23], v[14:15], v[20:21] op_sel:[1,0] op_sel_hi:[0,1] neg_lo:[0,1] neg_hi:[0,1]
	v_pk_add_f32 v[30:31], v[26:27], v[22:23] op_sel_hi:[1,0] neg_lo:[0,1] neg_hi:[0,1]
	v_mov_b32_e32 v26, v27
	v_mov_b32_e32 v27, v15
	v_pk_mov_b32 v[22:23], v[20:21], v[22:23] op_sel:[1,0]
	v_mov_b32_e32 v25, v20
	v_pk_add_f32 v[22:23], v[26:27], v[22:23] neg_lo:[0,1] neg_hi:[0,1]
	v_mov_b32_e32 v30, v28
	v_pk_add_f32 v[20:21], v[24:25], v[22:23] neg_lo:[0,1] neg_hi:[0,1]
	v_mov_b32_e32 v29, v15
	v_pk_add_f32 v[22:23], v[30:31], v[20:21]
	s_mov_b32 s33, 0x33800000
	v_pk_add_f32 v[24:25], v[22:23], v[22:23] op_sel:[0,1] op_sel_hi:[1,0]
	s_nop 0
	v_pk_add_f32 v[14:15], v[14:15], v[24:25] op_sel:[1,0] op_sel_hi:[0,1]
	v_mov_b32_e32 v23, v14
	v_pk_add_f32 v[26:27], v[22:23], v[28:29] neg_lo:[0,1] neg_hi:[0,1]
	v_mov_b32_e32 v21, v24
	v_sub_f32_e32 v15, v22, v26
	v_pk_add_f32 v[20:21], v[20:21], v[26:27] neg_lo:[0,1] neg_hi:[0,1]
	v_sub_f32_e32 v15, v28, v15
	v_add_f32_e32 v15, v20, v15
	v_add_f32_e32 v15, v15, v21
	v_add_f32_e32 v14, v14, v15
	v_cndmask_b32_e64 v14, v16, v14, s[40:41]
	v_cmp_lt_f32_e64 s[40:41], |v32|, s33
	s_nop 1
	v_cndmask_b32_e64 v14, v14, v32, s[40:41]
	v_add_f32_e32 v13, v13, v14
	v_cvt_f16_f32_e32 v20, v13
	v_cvt_f32_f16_e32 v22, v20
	v_mov_b32_e32 v21, v20
.LBB368_40:
	s_or_b64 exec, exec, s[42:43]
	v_cvt_f32_f16_sdwa v13, v7 dst_sel:DWORD dst_unused:UNUSED_PAD src0_sel:WORD_1
	v_max_f32_e32 v15, v22, v22
	v_cmp_u_f16_e64 s[42:43], v20, v20
	v_cmp_u_f16_sdwa s[40:41], v7, v7 src0_sel:WORD_1 src1_sel:WORD_1
	v_min_f32_e32 v14, v15, v13
	v_max_f32_e32 v7, v15, v13
	v_cndmask_b32_e64 v14, v14, v22, s[42:43]
	v_cndmask_b32_e64 v7, v7, v22, s[42:43]
	v_cndmask_b32_e64 v14, v14, v13, s[40:41]
	v_cndmask_b32_e64 v7, v7, v13, s[40:41]
	s_movk_i32 s33, 0x1f8
	v_cmp_neq_f32_e64 s[42:43], v14, v7
	v_cmp_class_f32_e64 s[44:45], v14, s33
	s_or_b64 s[42:43], s[42:43], s[44:45]
	s_and_saveexec_b64 s[44:45], s[42:43]
	s_cbranch_execz .LBB368_42
; %bb.41:
	v_sub_f32_e32 v14, v14, v7
	s_mov_b32 s42, 0x3fb8aa3b
	v_mul_f32_e32 v15, 0x3fb8aa3b, v14
	v_fma_f32 v16, v14, s42, -v15
	v_rndne_f32_e32 v20, v15
	v_fmamk_f32 v16, v14, 0x32a5705f, v16
	v_sub_f32_e32 v15, v15, v20
	v_add_f32_e32 v15, v15, v16
	v_exp_f32_e32 v15, v15
	v_cvt_i32_f32_e32 v16, v20
	s_mov_b32 s42, 0xc2ce8ed0
	v_cmp_ngt_f32_e64 s[42:43], s42, v14
	s_mov_b32 s46, 0x7f800000
	v_ldexp_f32 v15, v15, v16
	v_cndmask_b32_e64 v15, 0, v15, s[42:43]
	s_mov_b32 s42, 0x42b17218
	v_mov_b32_e32 v16, 0x7f800000
	v_cmp_nlt_f32_e64 s[42:43], s42, v14
	s_nop 1
	v_cndmask_b32_e64 v32, v16, v15, s[42:43]
	v_add_f32_e32 v20, 1.0, v32
	v_add_f32_e32 v14, -1.0, v20
	v_sub_f32_e32 v15, v14, v20
	v_add_f32_e32 v15, 1.0, v15
	v_sub_f32_e32 v14, v32, v14
	v_add_f32_e32 v21, v14, v15
	v_frexp_mant_f32_e32 v22, v20
	s_mov_b32 s42, 0x3f2aaaab
	v_cvt_f64_f32_e32 v[14:15], v20
	v_frexp_exp_i32_f64_e32 v14, v[14:15]
	v_cmp_gt_f32_e64 s[42:43], s42, v22
	s_nop 1
	v_subbrev_co_u32_e64 v26, s[42:43], 0, v14, s[42:43]
	v_sub_u32_e32 v14, 0, v26
	v_ldexp_f32 v15, v20, v14
	v_add_f32_e32 v20, -1.0, v15
	v_add_f32_e32 v22, 1.0, v15
	v_ldexp_f32 v14, v21, v14
	v_add_f32_e32 v21, 1.0, v20
	v_add_f32_e32 v23, -1.0, v22
	v_sub_f32_e32 v21, v15, v21
	v_sub_f32_e32 v15, v15, v23
	v_add_f32_e32 v21, v14, v21
	v_add_f32_e32 v14, v14, v15
	;; [unrolled: 1-line block ×3, first 2 shown]
	v_rcp_f32_e32 v29, v27
	v_sub_f32_e32 v15, v22, v27
	v_add_f32_e32 v28, v14, v15
	v_add_f32_e32 v15, v20, v21
	v_mul_f32_e32 v31, v15, v29
	v_sub_f32_e32 v14, v20, v15
	v_mul_f32_e32 v20, v27, v31
	v_fma_f32 v22, v31, v27, -v20
	v_fmac_f32_e32 v22, v31, v28
	v_add_f32_e32 v30, v21, v14
	v_add_f32_e32 v14, v20, v22
	v_sub_f32_e32 v21, v15, v14
	v_pk_add_f32 v[24:25], v[14:15], v[20:21] neg_lo:[0,1] neg_hi:[0,1]
	v_mov_b32_e32 v23, v14
	v_pk_add_f32 v[14:15], v[24:25], v[22:23] neg_lo:[0,1] neg_hi:[0,1]
	s_mov_b32 s42, 0x3f317218
	v_add_f32_e32 v15, v30, v15
	v_add_f32_e32 v14, v14, v15
	;; [unrolled: 1-line block ×3, first 2 shown]
	v_mul_f32_e32 v30, v29, v15
	v_mul_f32_e32 v20, v27, v30
	v_fma_f32 v22, v30, v27, -v20
	v_fmac_f32_e32 v22, v30, v28
	v_sub_f32_e32 v21, v21, v15
	v_add_f32_e32 v27, v14, v21
	v_add_f32_e32 v14, v20, v22
	v_sub_f32_e32 v21, v15, v14
	v_pk_add_f32 v[24:25], v[14:15], v[20:21] neg_lo:[0,1] neg_hi:[0,1]
	v_mov_b32_e32 v23, v14
	v_pk_add_f32 v[14:15], v[24:25], v[22:23] neg_lo:[0,1] neg_hi:[0,1]
	v_cvt_f32_i32_e32 v20, v26
	v_add_f32_e32 v15, v27, v15
	v_add_f32_e32 v14, v14, v15
	;; [unrolled: 1-line block ×4, first 2 shown]
	v_sub_f32_e32 v15, v21, v31
	v_mul_f32_e32 v14, v29, v14
	v_sub_f32_e32 v15, v30, v15
	v_add_f32_e32 v14, v15, v14
	v_add_f32_e32 v22, v21, v14
	v_mul_f32_e32 v24, v22, v22
	v_mov_b32_e32 v15, 0x3ecc95a3
	v_sub_f32_e32 v21, v22, v21
	v_fmac_f32_e32 v15, 0x3e9b6dac, v24
	v_sub_f32_e32 v14, v14, v21
	v_fmaak_f32 v15, v24, v15, 0x3f2aaada
	v_ldexp_f32 v25, v14, 1
	v_mul_f32_e32 v21, v22, v24
	v_mov_b32_e32 v14, 0x3f317218
	v_pk_mul_f32 v[14:15], v[20:21], v[14:15]
	v_ldexp_f32 v23, v22, 1
	v_fma_f32 v21, v20, s42, -v14
	v_fmamk_f32 v22, v20, 0xb102e308, v21
	v_pk_add_f32 v[20:21], v[14:15], v[22:23]
	v_mov_b32_e32 v24, v14
	v_sub_f32_e32 v23, v21, v23
	v_sub_f32_e32 v23, v15, v23
	v_add_f32_e32 v25, v25, v23
	v_pk_add_f32 v[14:15], v[20:21], v[14:15] neg_lo:[0,1] neg_hi:[0,1]
	v_pk_add_f32 v[26:27], v[20:21], v[24:25]
	v_mov_b32_e32 v23, v20
	v_mov_b32_e32 v15, v27
	v_pk_add_f32 v[28:29], v[22:23], v[14:15] neg_lo:[0,1] neg_hi:[0,1]
	v_pk_add_f32 v[14:15], v[22:23], v[14:15]
	v_mov_b32_e32 v24, v25
	v_pk_add_f32 v[22:23], v[14:15], v[20:21] op_sel:[1,0] op_sel_hi:[0,1] neg_lo:[0,1] neg_hi:[0,1]
	v_pk_add_f32 v[30:31], v[26:27], v[22:23] op_sel_hi:[1,0] neg_lo:[0,1] neg_hi:[0,1]
	v_mov_b32_e32 v26, v27
	v_mov_b32_e32 v27, v15
	v_pk_mov_b32 v[22:23], v[20:21], v[22:23] op_sel:[1,0]
	v_mov_b32_e32 v25, v20
	v_pk_add_f32 v[22:23], v[26:27], v[22:23] neg_lo:[0,1] neg_hi:[0,1]
	v_mov_b32_e32 v30, v28
	v_pk_add_f32 v[20:21], v[24:25], v[22:23] neg_lo:[0,1] neg_hi:[0,1]
	v_mov_b32_e32 v29, v15
	v_pk_add_f32 v[22:23], v[30:31], v[20:21]
	v_cmp_neq_f32_e64 s[42:43], s46, v32
	v_pk_add_f32 v[24:25], v[22:23], v[22:23] op_sel:[0,1] op_sel_hi:[1,0]
	s_nop 0
	v_pk_add_f32 v[14:15], v[14:15], v[24:25] op_sel:[1,0] op_sel_hi:[0,1]
	v_mov_b32_e32 v23, v14
	v_pk_add_f32 v[26:27], v[22:23], v[28:29] neg_lo:[0,1] neg_hi:[0,1]
	v_mov_b32_e32 v21, v24
	v_sub_f32_e32 v15, v22, v26
	v_pk_add_f32 v[20:21], v[20:21], v[26:27] neg_lo:[0,1] neg_hi:[0,1]
	v_sub_f32_e32 v15, v28, v15
	v_add_f32_e32 v15, v20, v15
	v_add_f32_e32 v15, v15, v21
	;; [unrolled: 1-line block ×3, first 2 shown]
	v_cndmask_b32_e64 v14, v16, v14, s[42:43]
	s_mov_b32 s42, 0x33800000
	v_cmp_lt_f32_e64 s[42:43], |v32|, s42
	s_nop 1
	v_cndmask_b32_e64 v14, v14, v32, s[42:43]
	v_add_f32_e32 v7, v7, v14
	v_cvt_f16_f32_e32 v20, v7
	v_cvt_f32_f16_e32 v22, v20
	v_mov_b32_e32 v21, v20
.LBB368_42:
	s_or_b64 exec, exec, s[44:45]
	v_cvt_f32_f16_e32 v7, v4
	v_max_f32_e32 v14, v22, v22
	v_cmp_u_f16_e64 s[44:45], v20, v20
	v_cmp_u_f16_e64 s[42:43], v4, v4
	v_min_f32_e32 v15, v14, v7
	v_max_f32_e32 v14, v14, v7
	v_cndmask_b32_e64 v15, v15, v22, s[44:45]
	v_cndmask_b32_e64 v14, v14, v22, s[44:45]
	;; [unrolled: 1-line block ×4, first 2 shown]
	v_cmp_neq_f32_e64 s[44:45], v15, v14
	v_cmp_class_f32_e64 s[46:47], v15, s33
	s_or_b64 s[44:45], s[44:45], s[46:47]
	s_and_saveexec_b64 s[46:47], s[44:45]
	s_cbranch_execz .LBB368_44
; %bb.43:
	v_sub_f32_e32 v15, v15, v14
	s_mov_b32 s33, 0x3fb8aa3b
	v_mul_f32_e32 v16, 0x3fb8aa3b, v15
	v_fma_f32 v20, v15, s33, -v16
	v_rndne_f32_e32 v21, v16
	v_fmamk_f32 v20, v15, 0x32a5705f, v20
	v_sub_f32_e32 v16, v16, v21
	v_add_f32_e32 v16, v16, v20
	v_exp_f32_e32 v16, v16
	v_cvt_i32_f32_e32 v20, v21
	s_mov_b32 s33, 0xc2ce8ed0
	v_cmp_ngt_f32_e64 s[44:45], s33, v15
	s_mov_b32 s33, 0x42b17218
	v_ldexp_f32 v16, v16, v20
	v_cndmask_b32_e64 v16, 0, v16, s[44:45]
	v_mov_b32_e32 v34, 0x7f800000
	v_cmp_nlt_f32_e64 s[44:45], s33, v15
	s_mov_b32 s33, 0x3f2aaaab
	s_mov_b32 s48, 0x7f800000
	v_cndmask_b32_e64 v15, v34, v16, s[44:45]
	v_add_f32_e32 v16, 1.0, v15
	v_add_f32_e32 v20, -1.0, v16
	v_sub_f32_e32 v21, v20, v16
	v_add_f32_e32 v21, 1.0, v21
	v_sub_f32_e32 v20, v15, v20
	v_add_f32_e32 v22, v20, v21
	v_frexp_mant_f32_e32 v23, v16
	v_cvt_f64_f32_e32 v[20:21], v16
	v_frexp_exp_i32_f64_e32 v20, v[20:21]
	v_cmp_gt_f32_e64 s[44:45], s33, v23
	s_mov_b32 s33, 0x3f317218
	s_nop 0
	v_subbrev_co_u32_e64 v28, s[44:45], 0, v20, s[44:45]
	v_sub_u32_e32 v20, 0, v28
	v_ldexp_f32 v16, v16, v20
	v_ldexp_f32 v20, v22, v20
	v_add_f32_e32 v22, -1.0, v16
	v_add_f32_e32 v21, 1.0, v22
	v_sub_f32_e32 v21, v16, v21
	v_add_f32_e32 v23, v20, v21
	v_add_f32_e32 v21, 1.0, v16
	v_add_f32_e32 v24, -1.0, v21
	v_sub_f32_e32 v16, v16, v24
	v_add_f32_e32 v16, v20, v16
	v_add_f32_e32 v29, v21, v16
	v_rcp_f32_e32 v30, v29
	v_sub_f32_e32 v20, v21, v29
	v_add_f32_e32 v21, v22, v23
	v_add_f32_e32 v16, v16, v20
	v_mul_f32_e32 v32, v21, v30
	v_sub_f32_e32 v20, v22, v21
	v_mul_f32_e32 v22, v29, v32
	v_fma_f32 v24, v32, v29, -v22
	v_fmac_f32_e32 v24, v32, v16
	v_add_f32_e32 v31, v23, v20
	v_add_f32_e32 v20, v22, v24
	v_sub_f32_e32 v23, v21, v20
	v_pk_add_f32 v[26:27], v[20:21], v[22:23] neg_lo:[0,1] neg_hi:[0,1]
	v_mov_b32_e32 v25, v20
	v_pk_add_f32 v[20:21], v[26:27], v[24:25] neg_lo:[0,1] neg_hi:[0,1]
	v_cmp_neq_f32_e64 s[44:45], s48, v15
	v_add_f32_e32 v21, v31, v21
	v_add_f32_e32 v20, v20, v21
	;; [unrolled: 1-line block ×3, first 2 shown]
	v_mul_f32_e32 v31, v30, v21
	v_mul_f32_e32 v22, v29, v31
	v_fma_f32 v24, v31, v29, -v22
	v_fmac_f32_e32 v24, v31, v16
	v_sub_f32_e32 v16, v23, v21
	v_add_f32_e32 v16, v20, v16
	v_add_f32_e32 v20, v22, v24
	v_sub_f32_e32 v23, v21, v20
	v_pk_add_f32 v[26:27], v[20:21], v[22:23] neg_lo:[0,1] neg_hi:[0,1]
	v_mov_b32_e32 v25, v20
	v_pk_add_f32 v[20:21], v[26:27], v[24:25] neg_lo:[0,1] neg_hi:[0,1]
	v_cvt_f32_i32_e32 v22, v28
	v_add_f32_e32 v16, v16, v21
	v_add_f32_e32 v16, v20, v16
	;; [unrolled: 1-line block ×4, first 2 shown]
	v_sub_f32_e32 v21, v20, v32
	v_mul_f32_e32 v16, v30, v16
	v_sub_f32_e32 v21, v31, v21
	v_add_f32_e32 v16, v21, v16
	v_add_f32_e32 v23, v20, v16
	v_mul_f32_e32 v24, v23, v23
	v_mov_b32_e32 v21, 0x3ecc95a3
	v_fmac_f32_e32 v21, 0x3e9b6dac, v24
	v_sub_f32_e32 v20, v23, v20
	v_fmaak_f32 v21, v24, v21, 0x3f2aaada
	v_sub_f32_e32 v16, v16, v20
	v_ldexp_f32 v25, v23, 1
	v_mul_f32_e32 v23, v23, v24
	v_mov_b32_e32 v20, 0x3f317218
	v_pk_mul_f32 v[20:21], v[22:23], v[20:21]
	v_ldexp_f32 v16, v16, 1
	v_fma_f32 v23, v22, s33, -v20
	v_fmamk_f32 v24, v22, 0xb102e308, v23
	v_pk_add_f32 v[22:23], v[20:21], v[24:25]
	v_mov_b32_e32 v26, v20
	v_sub_f32_e32 v25, v23, v25
	v_sub_f32_e32 v25, v21, v25
	v_add_f32_e32 v27, v16, v25
	v_pk_add_f32 v[20:21], v[22:23], v[20:21] neg_lo:[0,1] neg_hi:[0,1]
	v_pk_add_f32 v[28:29], v[22:23], v[26:27]
	v_mov_b32_e32 v25, v22
	v_mov_b32_e32 v21, v29
	v_pk_add_f32 v[30:31], v[24:25], v[20:21] neg_lo:[0,1] neg_hi:[0,1]
	v_pk_add_f32 v[20:21], v[24:25], v[20:21]
	v_mov_b32_e32 v26, v27
	v_pk_add_f32 v[24:25], v[20:21], v[22:23] op_sel:[1,0] op_sel_hi:[0,1] neg_lo:[0,1] neg_hi:[0,1]
	v_pk_add_f32 v[32:33], v[28:29], v[24:25] op_sel_hi:[1,0] neg_lo:[0,1] neg_hi:[0,1]
	v_mov_b32_e32 v28, v29
	v_mov_b32_e32 v29, v21
	v_pk_mov_b32 v[24:25], v[22:23], v[24:25] op_sel:[1,0]
	v_mov_b32_e32 v27, v22
	v_pk_add_f32 v[24:25], v[28:29], v[24:25] neg_lo:[0,1] neg_hi:[0,1]
	v_mov_b32_e32 v32, v30
	v_pk_add_f32 v[22:23], v[26:27], v[24:25] neg_lo:[0,1] neg_hi:[0,1]
	v_mov_b32_e32 v31, v21
	v_pk_add_f32 v[24:25], v[32:33], v[22:23]
	s_mov_b32 s33, 0x33800000
	v_pk_add_f32 v[26:27], v[24:25], v[24:25] op_sel:[0,1] op_sel_hi:[1,0]
	s_nop 0
	v_pk_add_f32 v[20:21], v[20:21], v[26:27] op_sel:[1,0] op_sel_hi:[0,1]
	v_mov_b32_e32 v25, v20
	v_pk_add_f32 v[28:29], v[24:25], v[30:31] neg_lo:[0,1] neg_hi:[0,1]
	v_mov_b32_e32 v23, v26
	v_sub_f32_e32 v16, v24, v28
	v_pk_add_f32 v[22:23], v[22:23], v[28:29] neg_lo:[0,1] neg_hi:[0,1]
	v_sub_f32_e32 v16, v30, v16
	v_add_f32_e32 v16, v22, v16
	v_add_f32_e32 v16, v16, v23
	;; [unrolled: 1-line block ×3, first 2 shown]
	v_cndmask_b32_e64 v16, v34, v16, s[44:45]
	v_cmp_lt_f32_e64 s[44:45], |v15|, s33
	s_nop 1
	v_cndmask_b32_e64 v15, v16, v15, s[44:45]
	v_add_f32_e32 v14, v14, v15
	v_cvt_f16_f32_e32 v20, v14
	v_cvt_f32_f16_e32 v22, v20
	v_mov_b32_e32 v21, v20
.LBB368_44:
	s_or_b64 exec, exec, s[46:47]
	v_cvt_f32_f16_sdwa v14, v4 dst_sel:DWORD dst_unused:UNUSED_PAD src0_sel:WORD_1
	v_max_f32_e32 v16, v22, v22
	v_cmp_u_f16_e64 s[46:47], v20, v20
	v_cmp_u_f16_sdwa s[44:45], v4, v4 src0_sel:WORD_1 src1_sel:WORD_1
	v_min_f32_e32 v15, v16, v14
	v_max_f32_e32 v4, v16, v14
	v_cndmask_b32_e64 v15, v15, v22, s[46:47]
	v_cndmask_b32_e64 v4, v4, v22, s[46:47]
	;; [unrolled: 1-line block ×4, first 2 shown]
	s_movk_i32 s33, 0x1f8
	v_cmp_neq_f32_e64 s[46:47], v15, v4
	v_cmp_class_f32_e64 s[48:49], v15, s33
	s_or_b64 s[46:47], s[46:47], s[48:49]
	s_and_saveexec_b64 s[48:49], s[46:47]
	s_cbranch_execz .LBB368_46
; %bb.45:
	v_sub_f32_e32 v15, v15, v4
	s_mov_b32 s46, 0x3fb8aa3b
	v_mul_f32_e32 v16, 0x3fb8aa3b, v15
	v_fma_f32 v20, v15, s46, -v16
	v_rndne_f32_e32 v21, v16
	v_fmamk_f32 v20, v15, 0x32a5705f, v20
	v_sub_f32_e32 v16, v16, v21
	v_add_f32_e32 v16, v16, v20
	v_exp_f32_e32 v16, v16
	v_cvt_i32_f32_e32 v20, v21
	s_mov_b32 s46, 0xc2ce8ed0
	v_cmp_ngt_f32_e64 s[46:47], s46, v15
	v_mov_b32_e32 v34, 0x7f800000
	v_ldexp_f32 v16, v16, v20
	v_cndmask_b32_e64 v16, 0, v16, s[46:47]
	s_mov_b32 s46, 0x42b17218
	v_cmp_nlt_f32_e64 s[46:47], s46, v15
	s_mov_b32 s50, 0x7f800000
	s_nop 0
	v_cndmask_b32_e64 v15, v34, v16, s[46:47]
	v_add_f32_e32 v16, 1.0, v15
	v_add_f32_e32 v20, -1.0, v16
	v_sub_f32_e32 v21, v20, v16
	v_add_f32_e32 v21, 1.0, v21
	v_sub_f32_e32 v20, v15, v20
	v_add_f32_e32 v22, v20, v21
	v_frexp_mant_f32_e32 v23, v16
	s_mov_b32 s46, 0x3f2aaaab
	v_cvt_f64_f32_e32 v[20:21], v16
	v_frexp_exp_i32_f64_e32 v20, v[20:21]
	v_cmp_gt_f32_e64 s[46:47], s46, v23
	s_nop 1
	v_subbrev_co_u32_e64 v28, s[46:47], 0, v20, s[46:47]
	v_sub_u32_e32 v20, 0, v28
	v_ldexp_f32 v16, v16, v20
	v_ldexp_f32 v20, v22, v20
	v_add_f32_e32 v22, -1.0, v16
	v_add_f32_e32 v21, 1.0, v22
	v_sub_f32_e32 v21, v16, v21
	v_add_f32_e32 v23, v20, v21
	v_add_f32_e32 v21, 1.0, v16
	v_add_f32_e32 v24, -1.0, v21
	v_sub_f32_e32 v16, v16, v24
	v_add_f32_e32 v16, v20, v16
	v_add_f32_e32 v29, v21, v16
	v_rcp_f32_e32 v30, v29
	v_sub_f32_e32 v20, v21, v29
	v_add_f32_e32 v21, v22, v23
	v_add_f32_e32 v16, v16, v20
	v_mul_f32_e32 v32, v21, v30
	v_sub_f32_e32 v20, v22, v21
	v_mul_f32_e32 v22, v29, v32
	v_fma_f32 v24, v32, v29, -v22
	v_fmac_f32_e32 v24, v32, v16
	v_add_f32_e32 v31, v23, v20
	v_add_f32_e32 v20, v22, v24
	v_sub_f32_e32 v23, v21, v20
	v_pk_add_f32 v[26:27], v[20:21], v[22:23] neg_lo:[0,1] neg_hi:[0,1]
	v_mov_b32_e32 v25, v20
	v_pk_add_f32 v[20:21], v[26:27], v[24:25] neg_lo:[0,1] neg_hi:[0,1]
	s_mov_b32 s46, 0x3f317218
	v_add_f32_e32 v21, v31, v21
	v_add_f32_e32 v20, v20, v21
	;; [unrolled: 1-line block ×3, first 2 shown]
	v_mul_f32_e32 v31, v30, v21
	v_mul_f32_e32 v22, v29, v31
	v_fma_f32 v24, v31, v29, -v22
	v_fmac_f32_e32 v24, v31, v16
	v_sub_f32_e32 v16, v23, v21
	v_add_f32_e32 v16, v20, v16
	v_add_f32_e32 v20, v22, v24
	v_sub_f32_e32 v23, v21, v20
	v_pk_add_f32 v[26:27], v[20:21], v[22:23] neg_lo:[0,1] neg_hi:[0,1]
	v_mov_b32_e32 v25, v20
	v_pk_add_f32 v[20:21], v[26:27], v[24:25] neg_lo:[0,1] neg_hi:[0,1]
	v_cvt_f32_i32_e32 v22, v28
	v_add_f32_e32 v16, v16, v21
	v_add_f32_e32 v16, v20, v16
	;; [unrolled: 1-line block ×4, first 2 shown]
	v_sub_f32_e32 v21, v20, v32
	v_mul_f32_e32 v16, v30, v16
	v_sub_f32_e32 v21, v31, v21
	v_add_f32_e32 v16, v21, v16
	v_add_f32_e32 v23, v20, v16
	v_mul_f32_e32 v24, v23, v23
	v_mov_b32_e32 v21, 0x3ecc95a3
	v_fmac_f32_e32 v21, 0x3e9b6dac, v24
	v_sub_f32_e32 v20, v23, v20
	v_fmaak_f32 v21, v24, v21, 0x3f2aaada
	v_sub_f32_e32 v16, v16, v20
	v_ldexp_f32 v25, v23, 1
	v_mul_f32_e32 v23, v23, v24
	v_mov_b32_e32 v20, 0x3f317218
	v_pk_mul_f32 v[20:21], v[22:23], v[20:21]
	v_ldexp_f32 v16, v16, 1
	v_fma_f32 v23, v22, s46, -v20
	v_fmamk_f32 v24, v22, 0xb102e308, v23
	v_pk_add_f32 v[22:23], v[20:21], v[24:25]
	v_mov_b32_e32 v26, v20
	v_sub_f32_e32 v25, v23, v25
	v_sub_f32_e32 v25, v21, v25
	v_add_f32_e32 v27, v16, v25
	v_pk_add_f32 v[20:21], v[22:23], v[20:21] neg_lo:[0,1] neg_hi:[0,1]
	v_pk_add_f32 v[28:29], v[22:23], v[26:27]
	v_mov_b32_e32 v25, v22
	v_mov_b32_e32 v21, v29
	v_pk_add_f32 v[30:31], v[24:25], v[20:21] neg_lo:[0,1] neg_hi:[0,1]
	v_pk_add_f32 v[20:21], v[24:25], v[20:21]
	v_mov_b32_e32 v26, v27
	v_pk_add_f32 v[24:25], v[20:21], v[22:23] op_sel:[1,0] op_sel_hi:[0,1] neg_lo:[0,1] neg_hi:[0,1]
	v_pk_add_f32 v[32:33], v[28:29], v[24:25] op_sel_hi:[1,0] neg_lo:[0,1] neg_hi:[0,1]
	v_mov_b32_e32 v28, v29
	v_mov_b32_e32 v29, v21
	v_pk_mov_b32 v[24:25], v[22:23], v[24:25] op_sel:[1,0]
	v_mov_b32_e32 v27, v22
	v_pk_add_f32 v[24:25], v[28:29], v[24:25] neg_lo:[0,1] neg_hi:[0,1]
	v_mov_b32_e32 v32, v30
	v_pk_add_f32 v[22:23], v[26:27], v[24:25] neg_lo:[0,1] neg_hi:[0,1]
	v_mov_b32_e32 v31, v21
	v_pk_add_f32 v[24:25], v[32:33], v[22:23]
	v_cmp_neq_f32_e64 s[46:47], s50, v15
	v_pk_add_f32 v[26:27], v[24:25], v[24:25] op_sel:[0,1] op_sel_hi:[1,0]
	s_nop 0
	v_pk_add_f32 v[20:21], v[20:21], v[26:27] op_sel:[1,0] op_sel_hi:[0,1]
	v_mov_b32_e32 v25, v20
	v_pk_add_f32 v[28:29], v[24:25], v[30:31] neg_lo:[0,1] neg_hi:[0,1]
	v_mov_b32_e32 v23, v26
	v_sub_f32_e32 v16, v24, v28
	v_pk_add_f32 v[22:23], v[22:23], v[28:29] neg_lo:[0,1] neg_hi:[0,1]
	v_sub_f32_e32 v16, v30, v16
	v_add_f32_e32 v16, v22, v16
	v_add_f32_e32 v16, v16, v23
	;; [unrolled: 1-line block ×3, first 2 shown]
	v_cndmask_b32_e64 v16, v34, v16, s[46:47]
	s_mov_b32 s46, 0x33800000
	v_cmp_lt_f32_e64 s[46:47], |v15|, s46
	s_nop 1
	v_cndmask_b32_e64 v15, v16, v15, s[46:47]
	v_add_f32_e32 v4, v4, v15
	v_cvt_f16_f32_e32 v20, v4
	v_cvt_f32_f16_e32 v22, v20
	v_mov_b32_e32 v21, v20
.LBB368_46:
	s_or_b64 exec, exec, s[48:49]
	v_cvt_f32_f16_e32 v4, v5
	v_max_f32_e32 v15, v22, v22
	v_cmp_u_f16_e64 s[48:49], v20, v20
	v_cmp_u_f16_e64 s[46:47], v5, v5
	v_min_f32_e32 v16, v15, v4
	v_max_f32_e32 v15, v15, v4
	v_cndmask_b32_e64 v16, v16, v22, s[48:49]
	v_cndmask_b32_e64 v15, v15, v22, s[48:49]
	v_cndmask_b32_e64 v16, v16, v4, s[46:47]
	v_cndmask_b32_e64 v15, v15, v4, s[46:47]
	v_cmp_neq_f32_e64 s[48:49], v16, v15
	v_cmp_class_f32_e64 s[50:51], v16, s33
	s_or_b64 s[48:49], s[48:49], s[50:51]
	s_and_saveexec_b64 s[50:51], s[48:49]
	s_cbranch_execz .LBB368_48
; %bb.47:
	v_sub_f32_e32 v16, v16, v15
	s_mov_b32 s33, 0x3fb8aa3b
	v_mul_f32_e32 v20, 0x3fb8aa3b, v16
	v_fma_f32 v21, v16, s33, -v20
	v_rndne_f32_e32 v22, v20
	v_fmamk_f32 v21, v16, 0x32a5705f, v21
	v_sub_f32_e32 v20, v20, v22
	v_add_f32_e32 v20, v20, v21
	v_exp_f32_e32 v20, v20
	v_cvt_i32_f32_e32 v21, v22
	s_mov_b32 s33, 0xc2ce8ed0
	v_cmp_ngt_f32_e64 s[48:49], s33, v16
	s_mov_b32 s33, 0x42b17218
	v_ldexp_f32 v20, v20, v21
	v_cndmask_b32_e64 v20, 0, v20, s[48:49]
	v_mov_b32_e32 v34, 0x7f800000
	v_cmp_nlt_f32_e64 s[48:49], s33, v16
	s_mov_b32 s33, 0x3f2aaaab
	s_mov_b32 s52, 0x7f800000
	v_cndmask_b32_e64 v16, v34, v20, s[48:49]
	v_add_f32_e32 v22, 1.0, v16
	v_add_f32_e32 v20, -1.0, v22
	v_sub_f32_e32 v21, v20, v22
	v_add_f32_e32 v21, 1.0, v21
	v_sub_f32_e32 v20, v16, v20
	v_add_f32_e32 v23, v20, v21
	v_frexp_mant_f32_e32 v24, v22
	v_cvt_f64_f32_e32 v[20:21], v22
	v_frexp_exp_i32_f64_e32 v20, v[20:21]
	v_cmp_gt_f32_e64 s[48:49], s33, v24
	s_mov_b32 s33, 0x3f317218
	s_nop 0
	v_subbrev_co_u32_e64 v28, s[48:49], 0, v20, s[48:49]
	v_sub_u32_e32 v20, 0, v28
	v_ldexp_f32 v21, v22, v20
	v_add_f32_e32 v22, -1.0, v21
	v_add_f32_e32 v24, 1.0, v21
	v_ldexp_f32 v20, v23, v20
	v_add_f32_e32 v23, 1.0, v22
	v_add_f32_e32 v25, -1.0, v24
	v_sub_f32_e32 v23, v21, v23
	v_sub_f32_e32 v21, v21, v25
	v_add_f32_e32 v23, v20, v23
	v_add_f32_e32 v20, v20, v21
	;; [unrolled: 1-line block ×3, first 2 shown]
	v_rcp_f32_e32 v31, v29
	v_sub_f32_e32 v21, v24, v29
	v_add_f32_e32 v30, v20, v21
	v_add_f32_e32 v21, v22, v23
	v_mul_f32_e32 v33, v21, v31
	v_sub_f32_e32 v20, v22, v21
	v_mul_f32_e32 v22, v29, v33
	v_fma_f32 v24, v33, v29, -v22
	v_fmac_f32_e32 v24, v33, v30
	v_add_f32_e32 v32, v23, v20
	v_add_f32_e32 v20, v22, v24
	v_sub_f32_e32 v23, v21, v20
	v_pk_add_f32 v[26:27], v[20:21], v[22:23] neg_lo:[0,1] neg_hi:[0,1]
	v_mov_b32_e32 v25, v20
	v_pk_add_f32 v[20:21], v[26:27], v[24:25] neg_lo:[0,1] neg_hi:[0,1]
	v_cmp_neq_f32_e64 s[48:49], s52, v16
	v_add_f32_e32 v21, v32, v21
	v_add_f32_e32 v20, v20, v21
	;; [unrolled: 1-line block ×3, first 2 shown]
	v_mul_f32_e32 v32, v31, v21
	v_mul_f32_e32 v22, v29, v32
	v_fma_f32 v24, v32, v29, -v22
	v_fmac_f32_e32 v24, v32, v30
	v_sub_f32_e32 v23, v23, v21
	v_add_f32_e32 v29, v20, v23
	v_add_f32_e32 v20, v22, v24
	v_sub_f32_e32 v23, v21, v20
	v_pk_add_f32 v[26:27], v[20:21], v[22:23] neg_lo:[0,1] neg_hi:[0,1]
	v_mov_b32_e32 v25, v20
	v_pk_add_f32 v[20:21], v[26:27], v[24:25] neg_lo:[0,1] neg_hi:[0,1]
	v_cvt_f32_i32_e32 v22, v28
	v_add_f32_e32 v21, v29, v21
	v_add_f32_e32 v20, v20, v21
	;; [unrolled: 1-line block ×4, first 2 shown]
	v_sub_f32_e32 v21, v23, v33
	v_mul_f32_e32 v20, v31, v20
	v_sub_f32_e32 v21, v32, v21
	v_add_f32_e32 v20, v21, v20
	v_add_f32_e32 v24, v23, v20
	v_mul_f32_e32 v26, v24, v24
	v_mov_b32_e32 v21, 0x3ecc95a3
	v_sub_f32_e32 v23, v24, v23
	v_fmac_f32_e32 v21, 0x3e9b6dac, v26
	v_sub_f32_e32 v20, v20, v23
	v_fmaak_f32 v21, v26, v21, 0x3f2aaada
	v_ldexp_f32 v27, v20, 1
	v_mul_f32_e32 v23, v24, v26
	v_mov_b32_e32 v20, 0x3f317218
	v_pk_mul_f32 v[20:21], v[22:23], v[20:21]
	v_ldexp_f32 v25, v24, 1
	v_fma_f32 v23, v22, s33, -v20
	v_fmamk_f32 v24, v22, 0xb102e308, v23
	v_pk_add_f32 v[22:23], v[20:21], v[24:25]
	v_mov_b32_e32 v26, v20
	v_sub_f32_e32 v25, v23, v25
	v_sub_f32_e32 v25, v21, v25
	v_add_f32_e32 v27, v27, v25
	v_pk_add_f32 v[20:21], v[22:23], v[20:21] neg_lo:[0,1] neg_hi:[0,1]
	v_pk_add_f32 v[28:29], v[22:23], v[26:27]
	v_mov_b32_e32 v25, v22
	v_mov_b32_e32 v21, v29
	v_pk_add_f32 v[30:31], v[24:25], v[20:21] neg_lo:[0,1] neg_hi:[0,1]
	v_pk_add_f32 v[20:21], v[24:25], v[20:21]
	v_mov_b32_e32 v26, v27
	v_pk_add_f32 v[24:25], v[20:21], v[22:23] op_sel:[1,0] op_sel_hi:[0,1] neg_lo:[0,1] neg_hi:[0,1]
	v_pk_add_f32 v[32:33], v[28:29], v[24:25] op_sel_hi:[1,0] neg_lo:[0,1] neg_hi:[0,1]
	v_mov_b32_e32 v28, v29
	v_mov_b32_e32 v29, v21
	v_pk_mov_b32 v[24:25], v[22:23], v[24:25] op_sel:[1,0]
	v_mov_b32_e32 v27, v22
	v_pk_add_f32 v[24:25], v[28:29], v[24:25] neg_lo:[0,1] neg_hi:[0,1]
	v_mov_b32_e32 v32, v30
	v_pk_add_f32 v[22:23], v[26:27], v[24:25] neg_lo:[0,1] neg_hi:[0,1]
	v_mov_b32_e32 v31, v21
	v_pk_add_f32 v[24:25], v[32:33], v[22:23]
	s_mov_b32 s33, 0x33800000
	v_pk_add_f32 v[26:27], v[24:25], v[24:25] op_sel:[0,1] op_sel_hi:[1,0]
	s_nop 0
	v_pk_add_f32 v[20:21], v[20:21], v[26:27] op_sel:[1,0] op_sel_hi:[0,1]
	v_mov_b32_e32 v25, v20
	v_pk_add_f32 v[28:29], v[24:25], v[30:31] neg_lo:[0,1] neg_hi:[0,1]
	v_mov_b32_e32 v23, v26
	v_sub_f32_e32 v21, v24, v28
	v_pk_add_f32 v[22:23], v[22:23], v[28:29] neg_lo:[0,1] neg_hi:[0,1]
	v_sub_f32_e32 v21, v30, v21
	v_add_f32_e32 v21, v22, v21
	v_add_f32_e32 v21, v21, v23
	;; [unrolled: 1-line block ×3, first 2 shown]
	v_cndmask_b32_e64 v20, v34, v20, s[48:49]
	v_cmp_lt_f32_e64 s[48:49], |v16|, s33
	s_nop 1
	v_cndmask_b32_e64 v16, v20, v16, s[48:49]
	v_add_f32_e32 v15, v15, v16
	v_cvt_f16_f32_e32 v20, v15
	v_cvt_f32_f16_e32 v22, v20
	v_mov_b32_e32 v21, v20
.LBB368_48:
	s_or_b64 exec, exec, s[50:51]
	v_cvt_f32_f16_sdwa v15, v5 dst_sel:DWORD dst_unused:UNUSED_PAD src0_sel:WORD_1
	v_max_f32_e32 v23, v22, v22
	v_cmp_u_f16_e64 s[50:51], v20, v20
	v_cmp_u_f16_sdwa s[48:49], v5, v5 src0_sel:WORD_1 src1_sel:WORD_1
	v_min_f32_e32 v16, v23, v15
	v_max_f32_e32 v5, v23, v15
	v_cndmask_b32_e64 v16, v16, v22, s[50:51]
	v_cndmask_b32_e64 v5, v5, v22, s[50:51]
	;; [unrolled: 1-line block ×4, first 2 shown]
	s_movk_i32 s33, 0x1f8
	v_cmp_neq_f32_e64 s[50:51], v16, v5
	v_cmp_class_f32_e64 s[52:53], v16, s33
	s_or_b64 s[50:51], s[50:51], s[52:53]
	s_and_saveexec_b64 s[52:53], s[50:51]
	s_cbranch_execz .LBB368_50
; %bb.49:
	v_sub_f32_e32 v16, v16, v5
	s_mov_b32 s50, 0x3fb8aa3b
	v_mul_f32_e32 v20, 0x3fb8aa3b, v16
	v_fma_f32 v21, v16, s50, -v20
	v_rndne_f32_e32 v22, v20
	v_fmamk_f32 v21, v16, 0x32a5705f, v21
	v_sub_f32_e32 v20, v20, v22
	v_add_f32_e32 v20, v20, v21
	v_exp_f32_e32 v20, v20
	v_cvt_i32_f32_e32 v21, v22
	s_mov_b32 s50, 0xc2ce8ed0
	v_cmp_ngt_f32_e64 s[50:51], s50, v16
	v_mov_b32_e32 v34, 0x7f800000
	v_ldexp_f32 v20, v20, v21
	v_cndmask_b32_e64 v20, 0, v20, s[50:51]
	s_mov_b32 s50, 0x42b17218
	v_cmp_nlt_f32_e64 s[50:51], s50, v16
	s_mov_b32 s58, 0x7f800000
	s_nop 0
	v_cndmask_b32_e64 v16, v34, v20, s[50:51]
	v_add_f32_e32 v22, 1.0, v16
	v_add_f32_e32 v20, -1.0, v22
	v_sub_f32_e32 v21, v20, v22
	v_add_f32_e32 v21, 1.0, v21
	v_sub_f32_e32 v20, v16, v20
	v_add_f32_e32 v23, v20, v21
	v_frexp_mant_f32_e32 v24, v22
	s_mov_b32 s50, 0x3f2aaaab
	v_cvt_f64_f32_e32 v[20:21], v22
	v_frexp_exp_i32_f64_e32 v20, v[20:21]
	v_cmp_gt_f32_e64 s[50:51], s50, v24
	s_nop 1
	v_subbrev_co_u32_e64 v28, s[50:51], 0, v20, s[50:51]
	v_sub_u32_e32 v20, 0, v28
	v_ldexp_f32 v21, v22, v20
	v_add_f32_e32 v22, -1.0, v21
	v_add_f32_e32 v24, 1.0, v21
	v_ldexp_f32 v20, v23, v20
	v_add_f32_e32 v23, 1.0, v22
	v_add_f32_e32 v25, -1.0, v24
	v_sub_f32_e32 v23, v21, v23
	v_sub_f32_e32 v21, v21, v25
	v_add_f32_e32 v23, v20, v23
	v_add_f32_e32 v20, v20, v21
	v_add_f32_e32 v29, v24, v20
	v_rcp_f32_e32 v31, v29
	v_sub_f32_e32 v21, v24, v29
	v_add_f32_e32 v30, v20, v21
	v_add_f32_e32 v21, v22, v23
	v_mul_f32_e32 v33, v21, v31
	v_sub_f32_e32 v20, v22, v21
	v_mul_f32_e32 v22, v29, v33
	v_fma_f32 v24, v33, v29, -v22
	v_fmac_f32_e32 v24, v33, v30
	v_add_f32_e32 v32, v23, v20
	v_add_f32_e32 v20, v22, v24
	v_sub_f32_e32 v23, v21, v20
	v_pk_add_f32 v[26:27], v[20:21], v[22:23] neg_lo:[0,1] neg_hi:[0,1]
	v_mov_b32_e32 v25, v20
	v_pk_add_f32 v[20:21], v[26:27], v[24:25] neg_lo:[0,1] neg_hi:[0,1]
	s_mov_b32 s50, 0x3f317218
	v_add_f32_e32 v21, v32, v21
	v_add_f32_e32 v20, v20, v21
	;; [unrolled: 1-line block ×3, first 2 shown]
	v_mul_f32_e32 v32, v31, v21
	v_mul_f32_e32 v22, v29, v32
	v_fma_f32 v24, v32, v29, -v22
	v_fmac_f32_e32 v24, v32, v30
	v_sub_f32_e32 v23, v23, v21
	v_add_f32_e32 v29, v20, v23
	v_add_f32_e32 v20, v22, v24
	v_sub_f32_e32 v23, v21, v20
	v_pk_add_f32 v[26:27], v[20:21], v[22:23] neg_lo:[0,1] neg_hi:[0,1]
	v_mov_b32_e32 v25, v20
	v_pk_add_f32 v[20:21], v[26:27], v[24:25] neg_lo:[0,1] neg_hi:[0,1]
	v_cvt_f32_i32_e32 v22, v28
	v_add_f32_e32 v21, v29, v21
	v_add_f32_e32 v20, v20, v21
	;; [unrolled: 1-line block ×4, first 2 shown]
	v_sub_f32_e32 v21, v23, v33
	v_mul_f32_e32 v20, v31, v20
	v_sub_f32_e32 v21, v32, v21
	v_add_f32_e32 v20, v21, v20
	v_add_f32_e32 v24, v23, v20
	v_mul_f32_e32 v26, v24, v24
	v_mov_b32_e32 v21, 0x3ecc95a3
	v_sub_f32_e32 v23, v24, v23
	v_fmac_f32_e32 v21, 0x3e9b6dac, v26
	v_sub_f32_e32 v20, v20, v23
	v_fmaak_f32 v21, v26, v21, 0x3f2aaada
	v_ldexp_f32 v27, v20, 1
	v_mul_f32_e32 v23, v24, v26
	v_mov_b32_e32 v20, 0x3f317218
	v_pk_mul_f32 v[20:21], v[22:23], v[20:21]
	v_ldexp_f32 v25, v24, 1
	v_fma_f32 v23, v22, s50, -v20
	v_fmamk_f32 v24, v22, 0xb102e308, v23
	v_pk_add_f32 v[22:23], v[20:21], v[24:25]
	v_mov_b32_e32 v26, v20
	v_sub_f32_e32 v25, v23, v25
	v_sub_f32_e32 v25, v21, v25
	v_add_f32_e32 v27, v27, v25
	v_pk_add_f32 v[20:21], v[22:23], v[20:21] neg_lo:[0,1] neg_hi:[0,1]
	v_pk_add_f32 v[28:29], v[22:23], v[26:27]
	v_mov_b32_e32 v25, v22
	v_mov_b32_e32 v21, v29
	v_pk_add_f32 v[30:31], v[24:25], v[20:21] neg_lo:[0,1] neg_hi:[0,1]
	v_pk_add_f32 v[20:21], v[24:25], v[20:21]
	v_mov_b32_e32 v26, v27
	v_pk_add_f32 v[24:25], v[20:21], v[22:23] op_sel:[1,0] op_sel_hi:[0,1] neg_lo:[0,1] neg_hi:[0,1]
	v_pk_add_f32 v[32:33], v[28:29], v[24:25] op_sel_hi:[1,0] neg_lo:[0,1] neg_hi:[0,1]
	v_mov_b32_e32 v28, v29
	v_mov_b32_e32 v29, v21
	v_pk_mov_b32 v[24:25], v[22:23], v[24:25] op_sel:[1,0]
	v_mov_b32_e32 v27, v22
	v_pk_add_f32 v[24:25], v[28:29], v[24:25] neg_lo:[0,1] neg_hi:[0,1]
	v_mov_b32_e32 v32, v30
	v_pk_add_f32 v[22:23], v[26:27], v[24:25] neg_lo:[0,1] neg_hi:[0,1]
	v_mov_b32_e32 v31, v21
	v_pk_add_f32 v[24:25], v[32:33], v[22:23]
	v_cmp_neq_f32_e64 s[50:51], s58, v16
	v_pk_add_f32 v[26:27], v[24:25], v[24:25] op_sel:[0,1] op_sel_hi:[1,0]
	s_nop 0
	v_pk_add_f32 v[20:21], v[20:21], v[26:27] op_sel:[1,0] op_sel_hi:[0,1]
	v_mov_b32_e32 v25, v20
	v_pk_add_f32 v[28:29], v[24:25], v[30:31] neg_lo:[0,1] neg_hi:[0,1]
	v_mov_b32_e32 v23, v26
	v_sub_f32_e32 v21, v24, v28
	v_pk_add_f32 v[22:23], v[22:23], v[28:29] neg_lo:[0,1] neg_hi:[0,1]
	v_sub_f32_e32 v21, v30, v21
	v_add_f32_e32 v21, v22, v21
	v_add_f32_e32 v21, v21, v23
	;; [unrolled: 1-line block ×3, first 2 shown]
	v_cndmask_b32_e64 v20, v34, v20, s[50:51]
	s_mov_b32 s50, 0x33800000
	v_cmp_lt_f32_e64 s[50:51], |v16|, s50
	s_nop 1
	v_cndmask_b32_e64 v16, v20, v16, s[50:51]
	v_add_f32_e32 v5, v5, v16
	v_cvt_f16_f32_e32 v20, v5
	v_cvt_f32_f16_e32 v22, v20
	v_mov_b32_e32 v21, v20
.LBB368_50:
	s_or_b64 exec, exec, s[52:53]
	v_cvt_f32_f16_e32 v5, v19
	v_max_f32_e32 v16, v22, v22
	v_cmp_u_f16_e64 s[52:53], v20, v20
	v_cmp_u_f16_e64 s[50:51], v19, v19
	v_min_f32_e32 v23, v16, v5
	v_max_f32_e32 v16, v16, v5
	v_cndmask_b32_e64 v23, v23, v22, s[52:53]
	v_cndmask_b32_e64 v16, v16, v22, s[52:53]
	;; [unrolled: 1-line block ×4, first 2 shown]
	v_cmp_neq_f32_e64 s[52:53], v23, v16
	v_cmp_class_f32_e64 s[58:59], v23, s33
	s_or_b64 s[52:53], s[52:53], s[58:59]
	s_and_saveexec_b64 s[58:59], s[52:53]
	s_cbranch_execz .LBB368_52
; %bb.51:
	v_sub_f32_e32 v20, v23, v16
	s_mov_b32 s33, 0x3fb8aa3b
	v_mul_f32_e32 v21, 0x3fb8aa3b, v20
	v_fma_f32 v22, v20, s33, -v21
	v_rndne_f32_e32 v23, v21
	v_fmamk_f32 v22, v20, 0x32a5705f, v22
	v_sub_f32_e32 v21, v21, v23
	v_add_f32_e32 v21, v21, v22
	v_exp_f32_e32 v21, v21
	v_cvt_i32_f32_e32 v22, v23
	s_mov_b32 s33, 0xc2ce8ed0
	v_cmp_ngt_f32_e64 s[52:53], s33, v20
	s_mov_b32 s33, 0x42b17218
	v_ldexp_f32 v21, v21, v22
	v_cndmask_b32_e64 v21, 0, v21, s[52:53]
	v_mov_b32_e32 v34, 0x7f800000
	v_cmp_nlt_f32_e64 s[52:53], s33, v20
	s_mov_b32 s33, 0x3f2aaaab
	s_mov_b32 s60, 0x7f800000
	v_cndmask_b32_e64 v35, v34, v21, s[52:53]
	v_add_f32_e32 v22, 1.0, v35
	v_add_f32_e32 v20, -1.0, v22
	v_sub_f32_e32 v21, v20, v22
	v_add_f32_e32 v21, 1.0, v21
	v_sub_f32_e32 v20, v35, v20
	v_add_f32_e32 v23, v20, v21
	v_frexp_mant_f32_e32 v24, v22
	v_cvt_f64_f32_e32 v[20:21], v22
	v_frexp_exp_i32_f64_e32 v20, v[20:21]
	v_cmp_gt_f32_e64 s[52:53], s33, v24
	s_mov_b32 s33, 0x3f317218
	s_nop 0
	v_subbrev_co_u32_e64 v28, s[52:53], 0, v20, s[52:53]
	v_sub_u32_e32 v20, 0, v28
	v_ldexp_f32 v21, v22, v20
	v_add_f32_e32 v22, -1.0, v21
	v_add_f32_e32 v24, 1.0, v21
	v_ldexp_f32 v20, v23, v20
	v_add_f32_e32 v23, 1.0, v22
	v_add_f32_e32 v25, -1.0, v24
	v_sub_f32_e32 v23, v21, v23
	v_sub_f32_e32 v21, v21, v25
	v_add_f32_e32 v23, v20, v23
	v_add_f32_e32 v20, v20, v21
	;; [unrolled: 1-line block ×3, first 2 shown]
	v_rcp_f32_e32 v31, v29
	v_sub_f32_e32 v21, v24, v29
	v_add_f32_e32 v30, v20, v21
	v_add_f32_e32 v21, v22, v23
	v_mul_f32_e32 v33, v21, v31
	v_sub_f32_e32 v20, v22, v21
	v_mul_f32_e32 v22, v29, v33
	v_fma_f32 v24, v33, v29, -v22
	v_fmac_f32_e32 v24, v33, v30
	v_add_f32_e32 v32, v23, v20
	v_add_f32_e32 v20, v22, v24
	v_sub_f32_e32 v23, v21, v20
	v_pk_add_f32 v[26:27], v[20:21], v[22:23] neg_lo:[0,1] neg_hi:[0,1]
	v_mov_b32_e32 v25, v20
	v_pk_add_f32 v[20:21], v[26:27], v[24:25] neg_lo:[0,1] neg_hi:[0,1]
	v_cmp_neq_f32_e64 s[52:53], s60, v35
	v_add_f32_e32 v21, v32, v21
	v_add_f32_e32 v20, v20, v21
	;; [unrolled: 1-line block ×3, first 2 shown]
	v_mul_f32_e32 v32, v31, v21
	v_mul_f32_e32 v22, v29, v32
	v_fma_f32 v24, v32, v29, -v22
	v_fmac_f32_e32 v24, v32, v30
	v_sub_f32_e32 v23, v23, v21
	v_add_f32_e32 v29, v20, v23
	v_add_f32_e32 v20, v22, v24
	v_sub_f32_e32 v23, v21, v20
	v_pk_add_f32 v[26:27], v[20:21], v[22:23] neg_lo:[0,1] neg_hi:[0,1]
	v_mov_b32_e32 v25, v20
	v_pk_add_f32 v[20:21], v[26:27], v[24:25] neg_lo:[0,1] neg_hi:[0,1]
	v_cvt_f32_i32_e32 v22, v28
	v_add_f32_e32 v21, v29, v21
	v_add_f32_e32 v20, v20, v21
	;; [unrolled: 1-line block ×4, first 2 shown]
	v_sub_f32_e32 v21, v23, v33
	v_mul_f32_e32 v20, v31, v20
	v_sub_f32_e32 v21, v32, v21
	v_add_f32_e32 v20, v21, v20
	v_add_f32_e32 v24, v23, v20
	v_mul_f32_e32 v26, v24, v24
	v_mov_b32_e32 v21, 0x3ecc95a3
	v_sub_f32_e32 v23, v24, v23
	v_fmac_f32_e32 v21, 0x3e9b6dac, v26
	v_sub_f32_e32 v20, v20, v23
	v_fmaak_f32 v21, v26, v21, 0x3f2aaada
	v_ldexp_f32 v27, v20, 1
	v_mul_f32_e32 v23, v24, v26
	v_mov_b32_e32 v20, 0x3f317218
	v_pk_mul_f32 v[20:21], v[22:23], v[20:21]
	v_ldexp_f32 v25, v24, 1
	v_fma_f32 v23, v22, s33, -v20
	v_fmamk_f32 v24, v22, 0xb102e308, v23
	v_pk_add_f32 v[22:23], v[20:21], v[24:25]
	v_mov_b32_e32 v26, v20
	v_sub_f32_e32 v25, v23, v25
	v_sub_f32_e32 v25, v21, v25
	v_add_f32_e32 v27, v27, v25
	v_pk_add_f32 v[20:21], v[22:23], v[20:21] neg_lo:[0,1] neg_hi:[0,1]
	v_pk_add_f32 v[28:29], v[22:23], v[26:27]
	v_mov_b32_e32 v25, v22
	v_mov_b32_e32 v21, v29
	v_pk_add_f32 v[30:31], v[24:25], v[20:21] neg_lo:[0,1] neg_hi:[0,1]
	v_pk_add_f32 v[20:21], v[24:25], v[20:21]
	v_mov_b32_e32 v26, v27
	v_pk_add_f32 v[24:25], v[20:21], v[22:23] op_sel:[1,0] op_sel_hi:[0,1] neg_lo:[0,1] neg_hi:[0,1]
	v_pk_add_f32 v[32:33], v[28:29], v[24:25] op_sel_hi:[1,0] neg_lo:[0,1] neg_hi:[0,1]
	v_mov_b32_e32 v28, v29
	v_mov_b32_e32 v29, v21
	v_pk_mov_b32 v[24:25], v[22:23], v[24:25] op_sel:[1,0]
	v_mov_b32_e32 v27, v22
	v_pk_add_f32 v[24:25], v[28:29], v[24:25] neg_lo:[0,1] neg_hi:[0,1]
	v_mov_b32_e32 v32, v30
	v_pk_add_f32 v[22:23], v[26:27], v[24:25] neg_lo:[0,1] neg_hi:[0,1]
	v_mov_b32_e32 v31, v21
	v_pk_add_f32 v[24:25], v[32:33], v[22:23]
	s_mov_b32 s33, 0x33800000
	v_pk_add_f32 v[26:27], v[24:25], v[24:25] op_sel:[0,1] op_sel_hi:[1,0]
	s_nop 0
	v_pk_add_f32 v[20:21], v[20:21], v[26:27] op_sel:[1,0] op_sel_hi:[0,1]
	v_mov_b32_e32 v25, v20
	v_pk_add_f32 v[28:29], v[24:25], v[30:31] neg_lo:[0,1] neg_hi:[0,1]
	v_mov_b32_e32 v23, v26
	v_sub_f32_e32 v21, v24, v28
	v_pk_add_f32 v[22:23], v[22:23], v[28:29] neg_lo:[0,1] neg_hi:[0,1]
	v_sub_f32_e32 v21, v30, v21
	v_add_f32_e32 v21, v22, v21
	v_add_f32_e32 v21, v21, v23
	;; [unrolled: 1-line block ×3, first 2 shown]
	v_cndmask_b32_e64 v20, v34, v20, s[52:53]
	v_cmp_lt_f32_e64 s[52:53], |v35|, s33
	s_nop 1
	v_cndmask_b32_e64 v20, v20, v35, s[52:53]
	v_add_f32_e32 v16, v16, v20
	v_cvt_f16_f32_e32 v20, v16
	v_cvt_f32_f16_e32 v22, v20
	v_mov_b32_e32 v21, v20
.LBB368_52:
	s_or_b64 exec, exec, s[58:59]
	v_cvt_f32_f16_sdwa v16, v19 dst_sel:DWORD dst_unused:UNUSED_PAD src0_sel:WORD_1
	v_max_f32_e32 v23, v22, v22
	v_cmp_u_f16_e64 s[58:59], v20, v20
	v_cmp_u_f16_sdwa s[52:53], v19, v19 src0_sel:WORD_1 src1_sel:WORD_1
	v_min_f32_e32 v24, v23, v16
	v_max_f32_e32 v19, v23, v16
	v_cndmask_b32_e64 v20, v24, v22, s[58:59]
	v_cndmask_b32_e64 v19, v19, v22, s[58:59]
	;; [unrolled: 1-line block ×4, first 2 shown]
	s_movk_i32 s33, 0x1f8
	v_cmp_neq_f32_e64 s[58:59], v20, v19
	v_cmp_class_f32_e64 s[60:61], v20, s33
	s_or_b64 s[58:59], s[58:59], s[60:61]
	s_and_saveexec_b64 s[60:61], s[58:59]
	s_cbranch_execz .LBB368_54
; %bb.53:
	v_sub_f32_e32 v20, v20, v19
	s_mov_b32 s33, 0x3fb8aa3b
	v_mul_f32_e32 v21, 0x3fb8aa3b, v20
	v_fma_f32 v22, v20, s33, -v21
	v_rndne_f32_e32 v23, v21
	v_fmamk_f32 v22, v20, 0x32a5705f, v22
	v_sub_f32_e32 v21, v21, v23
	v_add_f32_e32 v21, v21, v22
	v_exp_f32_e32 v21, v21
	v_cvt_i32_f32_e32 v22, v23
	s_mov_b32 s33, 0xc2ce8ed0
	v_cmp_ngt_f32_e64 s[58:59], s33, v20
	s_mov_b32 s33, 0x42b17218
	v_ldexp_f32 v21, v21, v22
	v_cndmask_b32_e64 v21, 0, v21, s[58:59]
	v_mov_b32_e32 v34, 0x7f800000
	v_cmp_nlt_f32_e64 s[58:59], s33, v20
	s_mov_b32 s33, 0x3f2aaaab
	s_mov_b32 s62, 0x7f800000
	v_cndmask_b32_e64 v35, v34, v21, s[58:59]
	v_add_f32_e32 v22, 1.0, v35
	v_add_f32_e32 v20, -1.0, v22
	v_sub_f32_e32 v21, v20, v22
	v_add_f32_e32 v21, 1.0, v21
	v_sub_f32_e32 v20, v35, v20
	v_add_f32_e32 v23, v20, v21
	v_frexp_mant_f32_e32 v24, v22
	v_cvt_f64_f32_e32 v[20:21], v22
	v_frexp_exp_i32_f64_e32 v20, v[20:21]
	v_cmp_gt_f32_e64 s[58:59], s33, v24
	s_mov_b32 s33, 0x3f317218
	s_nop 0
	v_subbrev_co_u32_e64 v28, s[58:59], 0, v20, s[58:59]
	v_sub_u32_e32 v20, 0, v28
	v_ldexp_f32 v21, v22, v20
	v_add_f32_e32 v22, -1.0, v21
	v_add_f32_e32 v24, 1.0, v21
	v_ldexp_f32 v20, v23, v20
	v_add_f32_e32 v23, 1.0, v22
	v_add_f32_e32 v25, -1.0, v24
	v_sub_f32_e32 v23, v21, v23
	v_sub_f32_e32 v21, v21, v25
	v_add_f32_e32 v23, v20, v23
	v_add_f32_e32 v20, v20, v21
	;; [unrolled: 1-line block ×3, first 2 shown]
	v_rcp_f32_e32 v31, v29
	v_sub_f32_e32 v21, v24, v29
	v_add_f32_e32 v30, v20, v21
	v_add_f32_e32 v21, v22, v23
	v_mul_f32_e32 v33, v21, v31
	v_sub_f32_e32 v20, v22, v21
	v_mul_f32_e32 v22, v29, v33
	v_fma_f32 v24, v33, v29, -v22
	v_fmac_f32_e32 v24, v33, v30
	v_add_f32_e32 v32, v23, v20
	v_add_f32_e32 v20, v22, v24
	v_sub_f32_e32 v23, v21, v20
	v_pk_add_f32 v[26:27], v[20:21], v[22:23] neg_lo:[0,1] neg_hi:[0,1]
	v_mov_b32_e32 v25, v20
	v_pk_add_f32 v[20:21], v[26:27], v[24:25] neg_lo:[0,1] neg_hi:[0,1]
	v_cmp_neq_f32_e64 s[58:59], s62, v35
	v_add_f32_e32 v21, v32, v21
	v_add_f32_e32 v20, v20, v21
	;; [unrolled: 1-line block ×3, first 2 shown]
	v_mul_f32_e32 v32, v31, v21
	v_mul_f32_e32 v22, v29, v32
	v_fma_f32 v24, v32, v29, -v22
	v_fmac_f32_e32 v24, v32, v30
	v_sub_f32_e32 v23, v23, v21
	v_add_f32_e32 v29, v20, v23
	v_add_f32_e32 v20, v22, v24
	v_sub_f32_e32 v23, v21, v20
	v_pk_add_f32 v[26:27], v[20:21], v[22:23] neg_lo:[0,1] neg_hi:[0,1]
	v_mov_b32_e32 v25, v20
	v_pk_add_f32 v[20:21], v[26:27], v[24:25] neg_lo:[0,1] neg_hi:[0,1]
	v_cvt_f32_i32_e32 v22, v28
	v_add_f32_e32 v21, v29, v21
	v_add_f32_e32 v20, v20, v21
	;; [unrolled: 1-line block ×4, first 2 shown]
	v_sub_f32_e32 v21, v23, v33
	v_mul_f32_e32 v20, v31, v20
	v_sub_f32_e32 v21, v32, v21
	v_add_f32_e32 v20, v21, v20
	v_add_f32_e32 v24, v23, v20
	v_mul_f32_e32 v26, v24, v24
	v_mov_b32_e32 v21, 0x3ecc95a3
	v_sub_f32_e32 v23, v24, v23
	v_fmac_f32_e32 v21, 0x3e9b6dac, v26
	v_sub_f32_e32 v20, v20, v23
	v_fmaak_f32 v21, v26, v21, 0x3f2aaada
	v_ldexp_f32 v27, v20, 1
	v_mul_f32_e32 v23, v24, v26
	v_mov_b32_e32 v20, 0x3f317218
	v_pk_mul_f32 v[20:21], v[22:23], v[20:21]
	v_ldexp_f32 v25, v24, 1
	v_fma_f32 v23, v22, s33, -v20
	v_fmamk_f32 v24, v22, 0xb102e308, v23
	v_pk_add_f32 v[22:23], v[20:21], v[24:25]
	v_mov_b32_e32 v26, v20
	v_sub_f32_e32 v25, v23, v25
	v_sub_f32_e32 v25, v21, v25
	v_add_f32_e32 v27, v27, v25
	v_pk_add_f32 v[20:21], v[22:23], v[20:21] neg_lo:[0,1] neg_hi:[0,1]
	v_pk_add_f32 v[28:29], v[22:23], v[26:27]
	v_mov_b32_e32 v25, v22
	v_mov_b32_e32 v21, v29
	v_pk_add_f32 v[30:31], v[24:25], v[20:21] neg_lo:[0,1] neg_hi:[0,1]
	v_pk_add_f32 v[20:21], v[24:25], v[20:21]
	v_mov_b32_e32 v26, v27
	v_pk_add_f32 v[24:25], v[20:21], v[22:23] op_sel:[1,0] op_sel_hi:[0,1] neg_lo:[0,1] neg_hi:[0,1]
	v_pk_add_f32 v[32:33], v[28:29], v[24:25] op_sel_hi:[1,0] neg_lo:[0,1] neg_hi:[0,1]
	v_mov_b32_e32 v28, v29
	v_mov_b32_e32 v29, v21
	v_pk_mov_b32 v[24:25], v[22:23], v[24:25] op_sel:[1,0]
	v_mov_b32_e32 v27, v22
	v_pk_add_f32 v[24:25], v[28:29], v[24:25] neg_lo:[0,1] neg_hi:[0,1]
	v_mov_b32_e32 v32, v30
	v_pk_add_f32 v[22:23], v[26:27], v[24:25] neg_lo:[0,1] neg_hi:[0,1]
	v_mov_b32_e32 v31, v21
	v_pk_add_f32 v[24:25], v[32:33], v[22:23]
	s_mov_b32 s33, 0x33800000
	v_pk_add_f32 v[26:27], v[24:25], v[24:25] op_sel:[0,1] op_sel_hi:[1,0]
	s_nop 0
	v_pk_add_f32 v[20:21], v[20:21], v[26:27] op_sel:[1,0] op_sel_hi:[0,1]
	v_mov_b32_e32 v25, v20
	v_pk_add_f32 v[28:29], v[24:25], v[30:31] neg_lo:[0,1] neg_hi:[0,1]
	v_mov_b32_e32 v23, v26
	v_sub_f32_e32 v21, v24, v28
	v_pk_add_f32 v[22:23], v[22:23], v[28:29] neg_lo:[0,1] neg_hi:[0,1]
	v_sub_f32_e32 v21, v30, v21
	v_add_f32_e32 v21, v22, v21
	v_add_f32_e32 v21, v21, v23
	v_add_f32_e32 v20, v20, v21
	v_cndmask_b32_e64 v20, v34, v20, s[58:59]
	v_cmp_lt_f32_e64 s[58:59], |v35|, s33
	s_nop 1
	v_cndmask_b32_e64 v20, v20, v35, s[58:59]
	v_add_f32_e32 v19, v19, v20
	v_cvt_f16_f32_e32 v21, v19
.LBB368_54:
	s_or_b64 exec, exec, s[60:61]
	v_mbcnt_lo_u32_b32 v19, -1, 0
	v_mbcnt_hi_u32_b32 v20, -1, v19
	v_and_b32_e32 v22, 15, v20
	v_and_b32_e32 v23, 0xffff, v21
	v_cmp_ne_u32_e64 s[58:59], 0, v22
	s_nop 0
	v_mov_b32_dpp v24, v23 row_shr:1 row_mask:0xf bank_mask:0xf
	s_and_saveexec_b64 s[62:63], s[58:59]
	s_cbranch_execz .LBB368_58
; %bb.55:
	v_cvt_f32_f16_e32 v19, v24
	v_cvt_f32_f16_e32 v23, v21
	v_cmp_u_f16_e64 s[58:59], v24, v24
	v_cmp_u_f16_e64 s[60:61], v21, v21
	s_movk_i32 s33, 0x1f8
	v_min_f32_e32 v25, v19, v23
	v_cndmask_b32_e64 v25, v25, v19, s[58:59]
	v_cndmask_b32_e64 v21, v25, v23, s[60:61]
	v_max_f32_e32 v25, v19, v23
	v_cndmask_b32_e64 v19, v25, v19, s[58:59]
	v_cndmask_b32_e64 v19, v19, v23, s[60:61]
	v_cmp_neq_f32_e64 s[58:59], v21, v19
	v_cmp_class_f32_e64 s[60:61], v21, s33
	s_or_b64 s[58:59], s[58:59], s[60:61]
	s_and_saveexec_b64 s[60:61], s[58:59]
	s_cbranch_execz .LBB368_57
; %bb.56:
	v_sub_f32_e32 v21, v21, v19
	s_mov_b32 s33, 0x3fb8aa3b
	v_mul_f32_e32 v23, 0x3fb8aa3b, v21
	v_fma_f32 v24, v21, s33, -v23
	v_rndne_f32_e32 v25, v23
	v_fmamk_f32 v24, v21, 0x32a5705f, v24
	v_sub_f32_e32 v23, v23, v25
	v_add_f32_e32 v23, v23, v24
	v_exp_f32_e32 v23, v23
	v_cvt_i32_f32_e32 v24, v25
	s_mov_b32 s33, 0xc2ce8ed0
	v_cmp_ngt_f32_e64 s[58:59], s33, v21
	s_mov_b32 s33, 0x42b17218
	v_ldexp_f32 v23, v23, v24
	v_cndmask_b32_e64 v23, 0, v23, s[58:59]
	v_mov_b32_e32 v38, 0x7f800000
	v_cmp_nlt_f32_e64 s[58:59], s33, v21
	s_mov_b32 s33, 0x3f2aaaab
	s_mov_b32 s64, 0x7f800000
	v_cndmask_b32_e64 v21, v38, v23, s[58:59]
	v_add_f32_e32 v23, 1.0, v21
	v_add_f32_e32 v24, -1.0, v23
	v_sub_f32_e32 v25, v24, v23
	v_add_f32_e32 v25, 1.0, v25
	v_sub_f32_e32 v24, v21, v24
	v_add_f32_e32 v26, v24, v25
	v_frexp_mant_f32_e32 v27, v23
	v_cvt_f64_f32_e32 v[24:25], v23
	v_frexp_exp_i32_f64_e32 v24, v[24:25]
	v_cmp_gt_f32_e64 s[58:59], s33, v27
	s_mov_b32 s33, 0x3f317218
	s_nop 0
	v_subbrev_co_u32_e64 v32, s[58:59], 0, v24, s[58:59]
	v_sub_u32_e32 v24, 0, v32
	v_ldexp_f32 v23, v23, v24
	v_ldexp_f32 v24, v26, v24
	v_add_f32_e32 v26, -1.0, v23
	v_add_f32_e32 v25, 1.0, v26
	v_sub_f32_e32 v25, v23, v25
	v_add_f32_e32 v27, v24, v25
	v_add_f32_e32 v25, 1.0, v23
	v_add_f32_e32 v28, -1.0, v25
	v_sub_f32_e32 v23, v23, v28
	v_add_f32_e32 v23, v24, v23
	v_add_f32_e32 v33, v25, v23
	v_rcp_f32_e32 v34, v33
	v_sub_f32_e32 v24, v25, v33
	v_add_f32_e32 v25, v26, v27
	v_add_f32_e32 v23, v23, v24
	v_mul_f32_e32 v36, v25, v34
	v_sub_f32_e32 v24, v26, v25
	v_mul_f32_e32 v26, v33, v36
	v_fma_f32 v28, v36, v33, -v26
	v_fmac_f32_e32 v28, v36, v23
	v_add_f32_e32 v35, v27, v24
	v_add_f32_e32 v24, v26, v28
	v_sub_f32_e32 v27, v25, v24
	v_pk_add_f32 v[30:31], v[24:25], v[26:27] neg_lo:[0,1] neg_hi:[0,1]
	v_mov_b32_e32 v29, v24
	v_pk_add_f32 v[24:25], v[30:31], v[28:29] neg_lo:[0,1] neg_hi:[0,1]
	v_cmp_neq_f32_e64 s[58:59], s64, v21
	v_add_f32_e32 v25, v35, v25
	v_add_f32_e32 v24, v24, v25
	;; [unrolled: 1-line block ×3, first 2 shown]
	v_mul_f32_e32 v35, v34, v25
	v_mul_f32_e32 v26, v33, v35
	v_fma_f32 v28, v35, v33, -v26
	v_fmac_f32_e32 v28, v35, v23
	v_sub_f32_e32 v23, v27, v25
	v_add_f32_e32 v23, v24, v23
	v_add_f32_e32 v24, v26, v28
	v_sub_f32_e32 v27, v25, v24
	v_pk_add_f32 v[30:31], v[24:25], v[26:27] neg_lo:[0,1] neg_hi:[0,1]
	v_mov_b32_e32 v29, v24
	v_pk_add_f32 v[24:25], v[30:31], v[28:29] neg_lo:[0,1] neg_hi:[0,1]
	v_cvt_f32_i32_e32 v26, v32
	v_add_f32_e32 v23, v23, v25
	v_add_f32_e32 v23, v24, v23
	;; [unrolled: 1-line block ×4, first 2 shown]
	v_sub_f32_e32 v25, v24, v36
	v_mul_f32_e32 v23, v34, v23
	v_sub_f32_e32 v25, v35, v25
	v_add_f32_e32 v23, v25, v23
	v_add_f32_e32 v27, v24, v23
	v_mul_f32_e32 v28, v27, v27
	v_mov_b32_e32 v25, 0x3ecc95a3
	v_fmac_f32_e32 v25, 0x3e9b6dac, v28
	v_sub_f32_e32 v24, v27, v24
	v_fmaak_f32 v25, v28, v25, 0x3f2aaada
	v_sub_f32_e32 v23, v23, v24
	v_ldexp_f32 v29, v27, 1
	v_mul_f32_e32 v27, v27, v28
	v_mov_b32_e32 v24, 0x3f317218
	v_pk_mul_f32 v[24:25], v[26:27], v[24:25]
	v_ldexp_f32 v23, v23, 1
	v_fma_f32 v27, v26, s33, -v24
	v_fmamk_f32 v28, v26, 0xb102e308, v27
	v_pk_add_f32 v[26:27], v[24:25], v[28:29]
	v_mov_b32_e32 v30, v24
	v_sub_f32_e32 v29, v27, v29
	v_sub_f32_e32 v29, v25, v29
	v_add_f32_e32 v31, v23, v29
	v_pk_add_f32 v[24:25], v[26:27], v[24:25] neg_lo:[0,1] neg_hi:[0,1]
	v_pk_add_f32 v[32:33], v[26:27], v[30:31]
	v_mov_b32_e32 v29, v26
	v_mov_b32_e32 v25, v33
	v_pk_add_f32 v[34:35], v[28:29], v[24:25] neg_lo:[0,1] neg_hi:[0,1]
	v_pk_add_f32 v[24:25], v[28:29], v[24:25]
	v_mov_b32_e32 v30, v31
	v_pk_add_f32 v[28:29], v[24:25], v[26:27] op_sel:[1,0] op_sel_hi:[0,1] neg_lo:[0,1] neg_hi:[0,1]
	v_pk_add_f32 v[36:37], v[32:33], v[28:29] op_sel_hi:[1,0] neg_lo:[0,1] neg_hi:[0,1]
	v_mov_b32_e32 v32, v33
	v_mov_b32_e32 v33, v25
	v_pk_mov_b32 v[28:29], v[26:27], v[28:29] op_sel:[1,0]
	v_mov_b32_e32 v31, v26
	v_pk_add_f32 v[28:29], v[32:33], v[28:29] neg_lo:[0,1] neg_hi:[0,1]
	v_mov_b32_e32 v36, v34
	v_pk_add_f32 v[26:27], v[30:31], v[28:29] neg_lo:[0,1] neg_hi:[0,1]
	v_mov_b32_e32 v35, v25
	v_pk_add_f32 v[28:29], v[36:37], v[26:27]
	s_mov_b32 s33, 0x33800000
	v_pk_add_f32 v[30:31], v[28:29], v[28:29] op_sel:[0,1] op_sel_hi:[1,0]
	s_nop 0
	v_pk_add_f32 v[24:25], v[24:25], v[30:31] op_sel:[1,0] op_sel_hi:[0,1]
	v_mov_b32_e32 v29, v24
	v_pk_add_f32 v[32:33], v[28:29], v[34:35] neg_lo:[0,1] neg_hi:[0,1]
	v_mov_b32_e32 v27, v30
	v_sub_f32_e32 v23, v28, v32
	v_pk_add_f32 v[26:27], v[26:27], v[32:33] neg_lo:[0,1] neg_hi:[0,1]
	v_sub_f32_e32 v23, v34, v23
	v_add_f32_e32 v23, v26, v23
	v_add_f32_e32 v23, v23, v27
	;; [unrolled: 1-line block ×3, first 2 shown]
	v_cndmask_b32_e64 v23, v38, v23, s[58:59]
	v_cmp_lt_f32_e64 s[58:59], |v21|, s33
	s_nop 1
	v_cndmask_b32_e64 v21, v23, v21, s[58:59]
	v_add_f32_e32 v19, v19, v21
	v_cvt_f16_f32_e32 v24, v19
.LBB368_57:
	s_or_b64 exec, exec, s[60:61]
	v_and_b32_e32 v23, 0xffff, v24
	v_mov_b32_e32 v21, v24
.LBB368_58:
	s_or_b64 exec, exec, s[62:63]
	s_load_dwordx2 s[60:61], s[0:1], 0x18
	v_mul_u32_u24_e32 v19, 26, v0
	v_mov_b32_dpp v24, v23 row_shr:2 row_mask:0xf bank_mask:0xf
	v_cmp_lt_u32_e64 s[0:1], 1, v22
	s_and_saveexec_b64 s[62:63], s[0:1]
	s_cbranch_execz .LBB368_62
; %bb.59:
	v_cvt_f32_f16_e32 v25, v24
	v_cvt_f32_f16_e32 v26, v21
	v_cmp_u_f16_e64 s[0:1], v24, v24
	v_cmp_u_f16_e64 s[58:59], v21, v21
	s_movk_i32 s33, 0x1f8
	v_min_f32_e32 v23, v25, v26
	v_max_f32_e32 v21, v25, v26
	v_cndmask_b32_e64 v23, v23, v25, s[0:1]
	v_cndmask_b32_e64 v21, v21, v25, s[0:1]
	;; [unrolled: 1-line block ×4, first 2 shown]
	v_cmp_neq_f32_e64 s[0:1], v23, v21
	v_cmp_class_f32_e64 s[58:59], v23, s33
	s_or_b64 s[0:1], s[0:1], s[58:59]
	s_and_saveexec_b64 s[58:59], s[0:1]
	s_cbranch_execz .LBB368_61
; %bb.60:
	v_sub_f32_e32 v23, v23, v21
	s_mov_b32 s0, 0x3fb8aa3b
	v_mul_f32_e32 v24, 0x3fb8aa3b, v23
	v_fma_f32 v25, v23, s0, -v24
	v_rndne_f32_e32 v26, v24
	v_fmamk_f32 v25, v23, 0x32a5705f, v25
	v_sub_f32_e32 v24, v24, v26
	v_add_f32_e32 v24, v24, v25
	v_exp_f32_e32 v24, v24
	v_cvt_i32_f32_e32 v25, v26
	s_mov_b32 s0, 0xc2ce8ed0
	v_cmp_ngt_f32_e64 s[0:1], s0, v23
	v_mov_b32_e32 v38, 0x7f800000
	v_ldexp_f32 v24, v24, v25
	v_cndmask_b32_e64 v24, 0, v24, s[0:1]
	s_mov_b32 s0, 0x42b17218
	v_cmp_nlt_f32_e64 s[0:1], s0, v23
	s_mov_b32 s33, 0x7f800000
	s_nop 0
	v_cndmask_b32_e64 v23, v38, v24, s[0:1]
	v_add_f32_e32 v26, 1.0, v23
	v_add_f32_e32 v24, -1.0, v26
	v_sub_f32_e32 v25, v24, v26
	v_add_f32_e32 v25, 1.0, v25
	v_sub_f32_e32 v24, v23, v24
	v_add_f32_e32 v27, v24, v25
	v_frexp_mant_f32_e32 v28, v26
	s_mov_b32 s0, 0x3f2aaaab
	v_cvt_f64_f32_e32 v[24:25], v26
	v_frexp_exp_i32_f64_e32 v24, v[24:25]
	v_cmp_gt_f32_e64 s[0:1], s0, v28
	s_nop 1
	v_subbrev_co_u32_e64 v32, s[0:1], 0, v24, s[0:1]
	v_sub_u32_e32 v24, 0, v32
	v_ldexp_f32 v25, v26, v24
	v_add_f32_e32 v26, -1.0, v25
	v_add_f32_e32 v28, 1.0, v25
	v_ldexp_f32 v24, v27, v24
	v_add_f32_e32 v27, 1.0, v26
	v_add_f32_e32 v29, -1.0, v28
	v_sub_f32_e32 v27, v25, v27
	v_sub_f32_e32 v25, v25, v29
	v_add_f32_e32 v27, v24, v27
	v_add_f32_e32 v24, v24, v25
	;; [unrolled: 1-line block ×3, first 2 shown]
	v_rcp_f32_e32 v35, v33
	v_sub_f32_e32 v25, v28, v33
	v_add_f32_e32 v34, v24, v25
	v_add_f32_e32 v25, v26, v27
	v_mul_f32_e32 v37, v25, v35
	v_sub_f32_e32 v24, v26, v25
	v_mul_f32_e32 v26, v33, v37
	v_fma_f32 v28, v37, v33, -v26
	v_fmac_f32_e32 v28, v37, v34
	v_add_f32_e32 v36, v27, v24
	v_add_f32_e32 v24, v26, v28
	v_sub_f32_e32 v27, v25, v24
	v_pk_add_f32 v[30:31], v[24:25], v[26:27] neg_lo:[0,1] neg_hi:[0,1]
	v_mov_b32_e32 v29, v24
	v_pk_add_f32 v[24:25], v[30:31], v[28:29] neg_lo:[0,1] neg_hi:[0,1]
	s_mov_b32 s0, 0x3f317218
	v_add_f32_e32 v25, v36, v25
	v_add_f32_e32 v24, v24, v25
	;; [unrolled: 1-line block ×3, first 2 shown]
	v_mul_f32_e32 v36, v35, v25
	v_mul_f32_e32 v26, v33, v36
	v_fma_f32 v28, v36, v33, -v26
	v_fmac_f32_e32 v28, v36, v34
	v_sub_f32_e32 v27, v27, v25
	v_add_f32_e32 v33, v24, v27
	v_add_f32_e32 v24, v26, v28
	v_sub_f32_e32 v27, v25, v24
	v_pk_add_f32 v[30:31], v[24:25], v[26:27] neg_lo:[0,1] neg_hi:[0,1]
	v_mov_b32_e32 v29, v24
	v_pk_add_f32 v[24:25], v[30:31], v[28:29] neg_lo:[0,1] neg_hi:[0,1]
	v_cvt_f32_i32_e32 v26, v32
	v_add_f32_e32 v25, v33, v25
	v_add_f32_e32 v24, v24, v25
	;; [unrolled: 1-line block ×4, first 2 shown]
	v_sub_f32_e32 v25, v27, v37
	v_mul_f32_e32 v24, v35, v24
	v_sub_f32_e32 v25, v36, v25
	v_add_f32_e32 v24, v25, v24
	v_add_f32_e32 v28, v27, v24
	v_mul_f32_e32 v30, v28, v28
	v_mov_b32_e32 v25, 0x3ecc95a3
	v_sub_f32_e32 v27, v28, v27
	v_fmac_f32_e32 v25, 0x3e9b6dac, v30
	v_sub_f32_e32 v24, v24, v27
	v_fmaak_f32 v25, v30, v25, 0x3f2aaada
	v_ldexp_f32 v31, v24, 1
	v_mul_f32_e32 v27, v28, v30
	v_mov_b32_e32 v24, 0x3f317218
	v_pk_mul_f32 v[24:25], v[26:27], v[24:25]
	v_ldexp_f32 v29, v28, 1
	v_fma_f32 v27, v26, s0, -v24
	v_fmamk_f32 v28, v26, 0xb102e308, v27
	v_pk_add_f32 v[26:27], v[24:25], v[28:29]
	v_mov_b32_e32 v30, v24
	v_sub_f32_e32 v29, v27, v29
	v_sub_f32_e32 v29, v25, v29
	v_add_f32_e32 v31, v31, v29
	v_pk_add_f32 v[24:25], v[26:27], v[24:25] neg_lo:[0,1] neg_hi:[0,1]
	v_pk_add_f32 v[32:33], v[26:27], v[30:31]
	v_mov_b32_e32 v29, v26
	v_mov_b32_e32 v25, v33
	v_pk_add_f32 v[34:35], v[28:29], v[24:25] neg_lo:[0,1] neg_hi:[0,1]
	v_pk_add_f32 v[24:25], v[28:29], v[24:25]
	v_mov_b32_e32 v30, v31
	v_pk_add_f32 v[28:29], v[24:25], v[26:27] op_sel:[1,0] op_sel_hi:[0,1] neg_lo:[0,1] neg_hi:[0,1]
	v_pk_add_f32 v[36:37], v[32:33], v[28:29] op_sel_hi:[1,0] neg_lo:[0,1] neg_hi:[0,1]
	v_mov_b32_e32 v32, v33
	v_mov_b32_e32 v33, v25
	v_pk_mov_b32 v[28:29], v[26:27], v[28:29] op_sel:[1,0]
	v_mov_b32_e32 v31, v26
	v_pk_add_f32 v[28:29], v[32:33], v[28:29] neg_lo:[0,1] neg_hi:[0,1]
	v_mov_b32_e32 v36, v34
	v_pk_add_f32 v[26:27], v[30:31], v[28:29] neg_lo:[0,1] neg_hi:[0,1]
	v_mov_b32_e32 v35, v25
	v_pk_add_f32 v[28:29], v[36:37], v[26:27]
	v_cmp_neq_f32_e64 s[0:1], s33, v23
	v_pk_add_f32 v[30:31], v[28:29], v[28:29] op_sel:[0,1] op_sel_hi:[1,0]
	s_nop 0
	v_pk_add_f32 v[24:25], v[24:25], v[30:31] op_sel:[1,0] op_sel_hi:[0,1]
	v_mov_b32_e32 v29, v24
	v_pk_add_f32 v[32:33], v[28:29], v[34:35] neg_lo:[0,1] neg_hi:[0,1]
	v_mov_b32_e32 v27, v30
	v_sub_f32_e32 v25, v28, v32
	v_pk_add_f32 v[26:27], v[26:27], v[32:33] neg_lo:[0,1] neg_hi:[0,1]
	v_sub_f32_e32 v25, v34, v25
	v_add_f32_e32 v25, v26, v25
	v_add_f32_e32 v25, v25, v27
	;; [unrolled: 1-line block ×3, first 2 shown]
	v_cndmask_b32_e64 v24, v38, v24, s[0:1]
	s_mov_b32 s0, 0x33800000
	v_cmp_lt_f32_e64 s[0:1], |v23|, s0
	s_nop 1
	v_cndmask_b32_e64 v23, v24, v23, s[0:1]
	v_add_f32_e32 v21, v21, v23
	v_cvt_f16_f32_e32 v24, v21
.LBB368_61:
	s_or_b64 exec, exec, s[58:59]
	v_and_b32_e32 v23, 0xffff, v24
	v_mov_b32_e32 v21, v24
.LBB368_62:
	s_or_b64 exec, exec, s[62:63]
	v_mov_b32_dpp v24, v23 row_shr:4 row_mask:0xf bank_mask:0xf
	v_cmp_lt_u32_e64 s[0:1], 3, v22
	s_and_saveexec_b64 s[62:63], s[0:1]
	s_cbranch_execz .LBB368_66
; %bb.63:
	v_cvt_f32_f16_e32 v25, v24
	v_cvt_f32_f16_e32 v26, v21
	v_cmp_u_f16_e64 s[0:1], v24, v24
	v_cmp_u_f16_e64 s[58:59], v21, v21
	s_movk_i32 s33, 0x1f8
	v_min_f32_e32 v23, v25, v26
	v_max_f32_e32 v21, v25, v26
	v_cndmask_b32_e64 v23, v23, v25, s[0:1]
	v_cndmask_b32_e64 v21, v21, v25, s[0:1]
	;; [unrolled: 1-line block ×4, first 2 shown]
	v_cmp_neq_f32_e64 s[0:1], v23, v21
	v_cmp_class_f32_e64 s[58:59], v23, s33
	s_or_b64 s[0:1], s[0:1], s[58:59]
	s_and_saveexec_b64 s[58:59], s[0:1]
	s_cbranch_execz .LBB368_65
; %bb.64:
	v_sub_f32_e32 v23, v23, v21
	s_mov_b32 s0, 0x3fb8aa3b
	v_mul_f32_e32 v24, 0x3fb8aa3b, v23
	v_fma_f32 v25, v23, s0, -v24
	v_rndne_f32_e32 v26, v24
	v_fmamk_f32 v25, v23, 0x32a5705f, v25
	v_sub_f32_e32 v24, v24, v26
	v_add_f32_e32 v24, v24, v25
	v_exp_f32_e32 v24, v24
	v_cvt_i32_f32_e32 v25, v26
	s_mov_b32 s0, 0xc2ce8ed0
	v_cmp_ngt_f32_e64 s[0:1], s0, v23
	v_mov_b32_e32 v38, 0x7f800000
	v_ldexp_f32 v24, v24, v25
	v_cndmask_b32_e64 v24, 0, v24, s[0:1]
	s_mov_b32 s0, 0x42b17218
	v_cmp_nlt_f32_e64 s[0:1], s0, v23
	s_mov_b32 s33, 0x7f800000
	s_nop 0
	v_cndmask_b32_e64 v23, v38, v24, s[0:1]
	v_add_f32_e32 v26, 1.0, v23
	v_add_f32_e32 v24, -1.0, v26
	v_sub_f32_e32 v25, v24, v26
	v_add_f32_e32 v25, 1.0, v25
	v_sub_f32_e32 v24, v23, v24
	v_add_f32_e32 v27, v24, v25
	v_frexp_mant_f32_e32 v28, v26
	s_mov_b32 s0, 0x3f2aaaab
	v_cvt_f64_f32_e32 v[24:25], v26
	v_frexp_exp_i32_f64_e32 v24, v[24:25]
	v_cmp_gt_f32_e64 s[0:1], s0, v28
	s_nop 1
	v_subbrev_co_u32_e64 v32, s[0:1], 0, v24, s[0:1]
	v_sub_u32_e32 v24, 0, v32
	v_ldexp_f32 v25, v26, v24
	v_add_f32_e32 v26, -1.0, v25
	v_add_f32_e32 v28, 1.0, v25
	v_ldexp_f32 v24, v27, v24
	v_add_f32_e32 v27, 1.0, v26
	v_add_f32_e32 v29, -1.0, v28
	v_sub_f32_e32 v27, v25, v27
	v_sub_f32_e32 v25, v25, v29
	v_add_f32_e32 v27, v24, v27
	v_add_f32_e32 v24, v24, v25
	;; [unrolled: 1-line block ×3, first 2 shown]
	v_rcp_f32_e32 v35, v33
	v_sub_f32_e32 v25, v28, v33
	v_add_f32_e32 v34, v24, v25
	v_add_f32_e32 v25, v26, v27
	v_mul_f32_e32 v37, v25, v35
	v_sub_f32_e32 v24, v26, v25
	v_mul_f32_e32 v26, v33, v37
	v_fma_f32 v28, v37, v33, -v26
	v_fmac_f32_e32 v28, v37, v34
	v_add_f32_e32 v36, v27, v24
	v_add_f32_e32 v24, v26, v28
	v_sub_f32_e32 v27, v25, v24
	v_pk_add_f32 v[30:31], v[24:25], v[26:27] neg_lo:[0,1] neg_hi:[0,1]
	v_mov_b32_e32 v29, v24
	v_pk_add_f32 v[24:25], v[30:31], v[28:29] neg_lo:[0,1] neg_hi:[0,1]
	s_mov_b32 s0, 0x3f317218
	v_add_f32_e32 v25, v36, v25
	v_add_f32_e32 v24, v24, v25
	;; [unrolled: 1-line block ×3, first 2 shown]
	v_mul_f32_e32 v36, v35, v25
	v_mul_f32_e32 v26, v33, v36
	v_fma_f32 v28, v36, v33, -v26
	v_fmac_f32_e32 v28, v36, v34
	v_sub_f32_e32 v27, v27, v25
	v_add_f32_e32 v33, v24, v27
	v_add_f32_e32 v24, v26, v28
	v_sub_f32_e32 v27, v25, v24
	v_pk_add_f32 v[30:31], v[24:25], v[26:27] neg_lo:[0,1] neg_hi:[0,1]
	v_mov_b32_e32 v29, v24
	v_pk_add_f32 v[24:25], v[30:31], v[28:29] neg_lo:[0,1] neg_hi:[0,1]
	v_cvt_f32_i32_e32 v26, v32
	v_add_f32_e32 v25, v33, v25
	v_add_f32_e32 v24, v24, v25
	;; [unrolled: 1-line block ×4, first 2 shown]
	v_sub_f32_e32 v25, v27, v37
	v_mul_f32_e32 v24, v35, v24
	v_sub_f32_e32 v25, v36, v25
	v_add_f32_e32 v24, v25, v24
	v_add_f32_e32 v28, v27, v24
	v_mul_f32_e32 v30, v28, v28
	v_mov_b32_e32 v25, 0x3ecc95a3
	v_sub_f32_e32 v27, v28, v27
	v_fmac_f32_e32 v25, 0x3e9b6dac, v30
	v_sub_f32_e32 v24, v24, v27
	v_fmaak_f32 v25, v30, v25, 0x3f2aaada
	v_ldexp_f32 v31, v24, 1
	v_mul_f32_e32 v27, v28, v30
	v_mov_b32_e32 v24, 0x3f317218
	v_pk_mul_f32 v[24:25], v[26:27], v[24:25]
	v_ldexp_f32 v29, v28, 1
	v_fma_f32 v27, v26, s0, -v24
	v_fmamk_f32 v28, v26, 0xb102e308, v27
	v_pk_add_f32 v[26:27], v[24:25], v[28:29]
	v_mov_b32_e32 v30, v24
	v_sub_f32_e32 v29, v27, v29
	v_sub_f32_e32 v29, v25, v29
	v_add_f32_e32 v31, v31, v29
	v_pk_add_f32 v[24:25], v[26:27], v[24:25] neg_lo:[0,1] neg_hi:[0,1]
	v_pk_add_f32 v[32:33], v[26:27], v[30:31]
	v_mov_b32_e32 v29, v26
	v_mov_b32_e32 v25, v33
	v_pk_add_f32 v[34:35], v[28:29], v[24:25] neg_lo:[0,1] neg_hi:[0,1]
	v_pk_add_f32 v[24:25], v[28:29], v[24:25]
	v_mov_b32_e32 v30, v31
	v_pk_add_f32 v[28:29], v[24:25], v[26:27] op_sel:[1,0] op_sel_hi:[0,1] neg_lo:[0,1] neg_hi:[0,1]
	v_pk_add_f32 v[36:37], v[32:33], v[28:29] op_sel_hi:[1,0] neg_lo:[0,1] neg_hi:[0,1]
	v_mov_b32_e32 v32, v33
	v_mov_b32_e32 v33, v25
	v_pk_mov_b32 v[28:29], v[26:27], v[28:29] op_sel:[1,0]
	v_mov_b32_e32 v31, v26
	v_pk_add_f32 v[28:29], v[32:33], v[28:29] neg_lo:[0,1] neg_hi:[0,1]
	v_mov_b32_e32 v36, v34
	v_pk_add_f32 v[26:27], v[30:31], v[28:29] neg_lo:[0,1] neg_hi:[0,1]
	v_mov_b32_e32 v35, v25
	v_pk_add_f32 v[28:29], v[36:37], v[26:27]
	v_cmp_neq_f32_e64 s[0:1], s33, v23
	v_pk_add_f32 v[30:31], v[28:29], v[28:29] op_sel:[0,1] op_sel_hi:[1,0]
	s_nop 0
	v_pk_add_f32 v[24:25], v[24:25], v[30:31] op_sel:[1,0] op_sel_hi:[0,1]
	v_mov_b32_e32 v29, v24
	v_pk_add_f32 v[32:33], v[28:29], v[34:35] neg_lo:[0,1] neg_hi:[0,1]
	v_mov_b32_e32 v27, v30
	v_sub_f32_e32 v25, v28, v32
	v_pk_add_f32 v[26:27], v[26:27], v[32:33] neg_lo:[0,1] neg_hi:[0,1]
	v_sub_f32_e32 v25, v34, v25
	v_add_f32_e32 v25, v26, v25
	v_add_f32_e32 v25, v25, v27
	;; [unrolled: 1-line block ×3, first 2 shown]
	v_cndmask_b32_e64 v24, v38, v24, s[0:1]
	s_mov_b32 s0, 0x33800000
	v_cmp_lt_f32_e64 s[0:1], |v23|, s0
	s_nop 1
	v_cndmask_b32_e64 v23, v24, v23, s[0:1]
	v_add_f32_e32 v21, v21, v23
	v_cvt_f16_f32_e32 v24, v21
.LBB368_65:
	s_or_b64 exec, exec, s[58:59]
	v_and_b32_e32 v23, 0xffff, v24
	v_mov_b32_e32 v21, v24
.LBB368_66:
	s_or_b64 exec, exec, s[62:63]
	v_mov_b32_dpp v24, v23 row_shr:8 row_mask:0xf bank_mask:0xf
	v_cmp_lt_u32_e64 s[0:1], 7, v22
	s_and_saveexec_b64 s[62:63], s[0:1]
	s_cbranch_execz .LBB368_70
; %bb.67:
	v_cvt_f32_f16_e32 v23, v24
	v_cvt_f32_f16_e32 v25, v21
	v_cmp_u_f16_e64 s[0:1], v24, v24
	v_cmp_u_f16_e64 s[58:59], v21, v21
	s_movk_i32 s33, 0x1f8
	v_min_f32_e32 v22, v23, v25
	v_max_f32_e32 v21, v23, v25
	v_cndmask_b32_e64 v22, v22, v23, s[0:1]
	v_cndmask_b32_e64 v21, v21, v23, s[0:1]
	;; [unrolled: 1-line block ×4, first 2 shown]
	v_cmp_neq_f32_e64 s[0:1], v22, v21
	v_cmp_class_f32_e64 s[58:59], v22, s33
	s_or_b64 s[0:1], s[0:1], s[58:59]
	s_and_saveexec_b64 s[58:59], s[0:1]
	s_cbranch_execz .LBB368_69
; %bb.68:
	v_sub_f32_e32 v22, v22, v21
	s_mov_b32 s0, 0x3fb8aa3b
	v_mul_f32_e32 v23, 0x3fb8aa3b, v22
	v_fma_f32 v24, v22, s0, -v23
	v_rndne_f32_e32 v25, v23
	v_fmamk_f32 v24, v22, 0x32a5705f, v24
	v_sub_f32_e32 v23, v23, v25
	v_add_f32_e32 v23, v23, v24
	v_exp_f32_e32 v23, v23
	v_cvt_i32_f32_e32 v24, v25
	s_mov_b32 s0, 0xc2ce8ed0
	v_cmp_ngt_f32_e64 s[0:1], s0, v22
	v_mov_b32_e32 v36, 0x7f800000
	v_ldexp_f32 v23, v23, v24
	v_cndmask_b32_e64 v23, 0, v23, s[0:1]
	s_mov_b32 s0, 0x42b17218
	v_cmp_nlt_f32_e64 s[0:1], s0, v22
	s_mov_b32 s33, 0x7f800000
	s_nop 0
	v_cndmask_b32_e64 v37, v36, v23, s[0:1]
	v_add_f32_e32 v24, 1.0, v37
	v_add_f32_e32 v22, -1.0, v24
	v_sub_f32_e32 v23, v22, v24
	v_add_f32_e32 v23, 1.0, v23
	v_sub_f32_e32 v22, v37, v22
	v_add_f32_e32 v25, v22, v23
	v_frexp_mant_f32_e32 v26, v24
	s_mov_b32 s0, 0x3f2aaaab
	v_cvt_f64_f32_e32 v[22:23], v24
	v_frexp_exp_i32_f64_e32 v22, v[22:23]
	v_cmp_gt_f32_e64 s[0:1], s0, v26
	s_nop 1
	v_subbrev_co_u32_e64 v30, s[0:1], 0, v22, s[0:1]
	v_sub_u32_e32 v22, 0, v30
	v_ldexp_f32 v23, v24, v22
	v_add_f32_e32 v24, -1.0, v23
	v_add_f32_e32 v26, 1.0, v23
	v_ldexp_f32 v22, v25, v22
	v_add_f32_e32 v25, 1.0, v24
	v_add_f32_e32 v27, -1.0, v26
	v_sub_f32_e32 v25, v23, v25
	v_sub_f32_e32 v23, v23, v27
	v_add_f32_e32 v25, v22, v25
	v_add_f32_e32 v22, v22, v23
	;; [unrolled: 1-line block ×3, first 2 shown]
	v_rcp_f32_e32 v33, v31
	v_sub_f32_e32 v23, v26, v31
	v_add_f32_e32 v32, v22, v23
	v_add_f32_e32 v23, v24, v25
	v_mul_f32_e32 v35, v23, v33
	v_sub_f32_e32 v22, v24, v23
	v_mul_f32_e32 v24, v31, v35
	v_fma_f32 v26, v35, v31, -v24
	v_fmac_f32_e32 v26, v35, v32
	v_add_f32_e32 v34, v25, v22
	v_add_f32_e32 v22, v24, v26
	v_sub_f32_e32 v25, v23, v22
	v_pk_add_f32 v[28:29], v[22:23], v[24:25] neg_lo:[0,1] neg_hi:[0,1]
	v_mov_b32_e32 v27, v22
	v_pk_add_f32 v[22:23], v[28:29], v[26:27] neg_lo:[0,1] neg_hi:[0,1]
	s_mov_b32 s0, 0x3f317218
	v_add_f32_e32 v23, v34, v23
	v_add_f32_e32 v22, v22, v23
	;; [unrolled: 1-line block ×3, first 2 shown]
	v_mul_f32_e32 v34, v33, v23
	v_mul_f32_e32 v24, v31, v34
	v_fma_f32 v26, v34, v31, -v24
	v_fmac_f32_e32 v26, v34, v32
	v_sub_f32_e32 v25, v25, v23
	v_add_f32_e32 v31, v22, v25
	v_add_f32_e32 v22, v24, v26
	v_sub_f32_e32 v25, v23, v22
	v_pk_add_f32 v[28:29], v[22:23], v[24:25] neg_lo:[0,1] neg_hi:[0,1]
	v_mov_b32_e32 v27, v22
	v_pk_add_f32 v[22:23], v[28:29], v[26:27] neg_lo:[0,1] neg_hi:[0,1]
	v_cvt_f32_i32_e32 v24, v30
	v_add_f32_e32 v23, v31, v23
	v_add_f32_e32 v22, v22, v23
	;; [unrolled: 1-line block ×4, first 2 shown]
	v_sub_f32_e32 v23, v25, v35
	v_mul_f32_e32 v22, v33, v22
	v_sub_f32_e32 v23, v34, v23
	v_add_f32_e32 v22, v23, v22
	v_add_f32_e32 v26, v25, v22
	v_mul_f32_e32 v28, v26, v26
	v_mov_b32_e32 v23, 0x3ecc95a3
	v_sub_f32_e32 v25, v26, v25
	v_fmac_f32_e32 v23, 0x3e9b6dac, v28
	v_sub_f32_e32 v22, v22, v25
	v_fmaak_f32 v23, v28, v23, 0x3f2aaada
	v_ldexp_f32 v29, v22, 1
	v_mul_f32_e32 v25, v26, v28
	v_mov_b32_e32 v22, 0x3f317218
	v_pk_mul_f32 v[22:23], v[24:25], v[22:23]
	v_ldexp_f32 v27, v26, 1
	v_fma_f32 v25, v24, s0, -v22
	v_fmamk_f32 v26, v24, 0xb102e308, v25
	v_pk_add_f32 v[24:25], v[22:23], v[26:27]
	v_mov_b32_e32 v28, v22
	v_sub_f32_e32 v27, v25, v27
	v_sub_f32_e32 v27, v23, v27
	v_add_f32_e32 v29, v29, v27
	v_pk_add_f32 v[22:23], v[24:25], v[22:23] neg_lo:[0,1] neg_hi:[0,1]
	v_pk_add_f32 v[30:31], v[24:25], v[28:29]
	v_mov_b32_e32 v27, v24
	v_mov_b32_e32 v23, v31
	v_pk_add_f32 v[32:33], v[26:27], v[22:23] neg_lo:[0,1] neg_hi:[0,1]
	v_pk_add_f32 v[22:23], v[26:27], v[22:23]
	v_mov_b32_e32 v28, v29
	v_pk_add_f32 v[26:27], v[22:23], v[24:25] op_sel:[1,0] op_sel_hi:[0,1] neg_lo:[0,1] neg_hi:[0,1]
	v_pk_add_f32 v[34:35], v[30:31], v[26:27] op_sel_hi:[1,0] neg_lo:[0,1] neg_hi:[0,1]
	v_mov_b32_e32 v30, v31
	v_mov_b32_e32 v31, v23
	v_pk_mov_b32 v[26:27], v[24:25], v[26:27] op_sel:[1,0]
	v_mov_b32_e32 v29, v24
	v_pk_add_f32 v[26:27], v[30:31], v[26:27] neg_lo:[0,1] neg_hi:[0,1]
	v_mov_b32_e32 v34, v32
	v_pk_add_f32 v[24:25], v[28:29], v[26:27] neg_lo:[0,1] neg_hi:[0,1]
	v_mov_b32_e32 v33, v23
	v_pk_add_f32 v[26:27], v[34:35], v[24:25]
	v_cmp_neq_f32_e64 s[0:1], s33, v37
	v_pk_add_f32 v[28:29], v[26:27], v[26:27] op_sel:[0,1] op_sel_hi:[1,0]
	s_nop 0
	v_pk_add_f32 v[22:23], v[22:23], v[28:29] op_sel:[1,0] op_sel_hi:[0,1]
	v_mov_b32_e32 v27, v22
	v_pk_add_f32 v[30:31], v[26:27], v[32:33] neg_lo:[0,1] neg_hi:[0,1]
	v_mov_b32_e32 v25, v28
	v_sub_f32_e32 v23, v26, v30
	v_pk_add_f32 v[24:25], v[24:25], v[30:31] neg_lo:[0,1] neg_hi:[0,1]
	v_sub_f32_e32 v23, v32, v23
	v_add_f32_e32 v23, v24, v23
	v_add_f32_e32 v23, v23, v25
	;; [unrolled: 1-line block ×3, first 2 shown]
	v_cndmask_b32_e64 v22, v36, v22, s[0:1]
	s_mov_b32 s0, 0x33800000
	v_cmp_lt_f32_e64 s[0:1], |v37|, s0
	s_nop 1
	v_cndmask_b32_e64 v22, v22, v37, s[0:1]
	v_add_f32_e32 v21, v21, v22
	v_cvt_f16_f32_e32 v24, v21
.LBB368_69:
	s_or_b64 exec, exec, s[58:59]
	v_and_b32_e32 v23, 0xffff, v24
	v_mov_b32_e32 v21, v24
.LBB368_70:
	s_or_b64 exec, exec, s[62:63]
	v_and_b32_e32 v24, 16, v20
	v_mov_b32_dpp v22, v23 row_bcast:15 row_mask:0xf bank_mask:0xf
	v_cmp_ne_u32_e64 s[0:1], 0, v24
	s_and_saveexec_b64 s[62:63], s[0:1]
	s_cbranch_execz .LBB368_74
; %bb.71:
	v_cvt_f32_f16_e32 v24, v22
	v_cvt_f32_f16_e32 v25, v21
	v_cmp_u_f16_e64 s[0:1], v22, v22
	v_cmp_u_f16_e64 s[58:59], v21, v21
	s_movk_i32 s33, 0x1f8
	v_min_f32_e32 v23, v24, v25
	v_max_f32_e32 v21, v24, v25
	v_cndmask_b32_e64 v23, v23, v24, s[0:1]
	v_cndmask_b32_e64 v21, v21, v24, s[0:1]
	;; [unrolled: 1-line block ×4, first 2 shown]
	v_cmp_neq_f32_e64 s[0:1], v23, v21
	v_cmp_class_f32_e64 s[58:59], v23, s33
	s_or_b64 s[0:1], s[0:1], s[58:59]
	s_and_saveexec_b64 s[58:59], s[0:1]
	s_cbranch_execz .LBB368_73
; %bb.72:
	v_sub_f32_e32 v22, v23, v21
	s_mov_b32 s0, 0x3fb8aa3b
	v_mul_f32_e32 v23, 0x3fb8aa3b, v22
	v_fma_f32 v24, v22, s0, -v23
	v_rndne_f32_e32 v25, v23
	v_fmamk_f32 v24, v22, 0x32a5705f, v24
	v_sub_f32_e32 v23, v23, v25
	v_add_f32_e32 v23, v23, v24
	v_exp_f32_e32 v23, v23
	v_cvt_i32_f32_e32 v24, v25
	s_mov_b32 s0, 0xc2ce8ed0
	v_cmp_ngt_f32_e64 s[0:1], s0, v22
	v_mov_b32_e32 v36, 0x7f800000
	v_ldexp_f32 v23, v23, v24
	v_cndmask_b32_e64 v23, 0, v23, s[0:1]
	s_mov_b32 s0, 0x42b17218
	v_cmp_nlt_f32_e64 s[0:1], s0, v22
	s_mov_b32 s33, 0x7f800000
	s_nop 0
	v_cndmask_b32_e64 v37, v36, v23, s[0:1]
	v_add_f32_e32 v24, 1.0, v37
	v_add_f32_e32 v22, -1.0, v24
	v_sub_f32_e32 v23, v22, v24
	v_add_f32_e32 v23, 1.0, v23
	v_sub_f32_e32 v22, v37, v22
	v_add_f32_e32 v25, v22, v23
	v_frexp_mant_f32_e32 v26, v24
	s_mov_b32 s0, 0x3f2aaaab
	v_cvt_f64_f32_e32 v[22:23], v24
	v_frexp_exp_i32_f64_e32 v22, v[22:23]
	v_cmp_gt_f32_e64 s[0:1], s0, v26
	s_nop 1
	v_subbrev_co_u32_e64 v30, s[0:1], 0, v22, s[0:1]
	v_sub_u32_e32 v22, 0, v30
	v_ldexp_f32 v23, v24, v22
	v_add_f32_e32 v24, -1.0, v23
	v_add_f32_e32 v26, 1.0, v23
	v_ldexp_f32 v22, v25, v22
	v_add_f32_e32 v25, 1.0, v24
	v_add_f32_e32 v27, -1.0, v26
	v_sub_f32_e32 v25, v23, v25
	v_sub_f32_e32 v23, v23, v27
	v_add_f32_e32 v25, v22, v25
	v_add_f32_e32 v22, v22, v23
	;; [unrolled: 1-line block ×3, first 2 shown]
	v_rcp_f32_e32 v33, v31
	v_sub_f32_e32 v23, v26, v31
	v_add_f32_e32 v32, v22, v23
	v_add_f32_e32 v23, v24, v25
	v_mul_f32_e32 v35, v23, v33
	v_sub_f32_e32 v22, v24, v23
	v_mul_f32_e32 v24, v31, v35
	v_fma_f32 v26, v35, v31, -v24
	v_fmac_f32_e32 v26, v35, v32
	v_add_f32_e32 v34, v25, v22
	v_add_f32_e32 v22, v24, v26
	v_sub_f32_e32 v25, v23, v22
	v_pk_add_f32 v[28:29], v[22:23], v[24:25] neg_lo:[0,1] neg_hi:[0,1]
	v_mov_b32_e32 v27, v22
	v_pk_add_f32 v[22:23], v[28:29], v[26:27] neg_lo:[0,1] neg_hi:[0,1]
	s_mov_b32 s0, 0x3f317218
	v_add_f32_e32 v23, v34, v23
	v_add_f32_e32 v22, v22, v23
	v_add_f32_e32 v23, v25, v22
	v_mul_f32_e32 v34, v33, v23
	v_mul_f32_e32 v24, v31, v34
	v_fma_f32 v26, v34, v31, -v24
	v_fmac_f32_e32 v26, v34, v32
	v_sub_f32_e32 v25, v25, v23
	v_add_f32_e32 v31, v22, v25
	v_add_f32_e32 v22, v24, v26
	v_sub_f32_e32 v25, v23, v22
	v_pk_add_f32 v[28:29], v[22:23], v[24:25] neg_lo:[0,1] neg_hi:[0,1]
	v_mov_b32_e32 v27, v22
	v_pk_add_f32 v[22:23], v[28:29], v[26:27] neg_lo:[0,1] neg_hi:[0,1]
	v_cvt_f32_i32_e32 v24, v30
	v_add_f32_e32 v23, v31, v23
	v_add_f32_e32 v22, v22, v23
	;; [unrolled: 1-line block ×4, first 2 shown]
	v_sub_f32_e32 v23, v25, v35
	v_mul_f32_e32 v22, v33, v22
	v_sub_f32_e32 v23, v34, v23
	v_add_f32_e32 v22, v23, v22
	v_add_f32_e32 v26, v25, v22
	v_mul_f32_e32 v28, v26, v26
	v_mov_b32_e32 v23, 0x3ecc95a3
	v_sub_f32_e32 v25, v26, v25
	v_fmac_f32_e32 v23, 0x3e9b6dac, v28
	v_sub_f32_e32 v22, v22, v25
	v_fmaak_f32 v23, v28, v23, 0x3f2aaada
	v_ldexp_f32 v29, v22, 1
	v_mul_f32_e32 v25, v26, v28
	v_mov_b32_e32 v22, 0x3f317218
	v_pk_mul_f32 v[22:23], v[24:25], v[22:23]
	v_ldexp_f32 v27, v26, 1
	v_fma_f32 v25, v24, s0, -v22
	v_fmamk_f32 v26, v24, 0xb102e308, v25
	v_pk_add_f32 v[24:25], v[22:23], v[26:27]
	v_mov_b32_e32 v28, v22
	v_sub_f32_e32 v27, v25, v27
	v_sub_f32_e32 v27, v23, v27
	v_add_f32_e32 v29, v29, v27
	v_pk_add_f32 v[22:23], v[24:25], v[22:23] neg_lo:[0,1] neg_hi:[0,1]
	v_pk_add_f32 v[30:31], v[24:25], v[28:29]
	v_mov_b32_e32 v27, v24
	v_mov_b32_e32 v23, v31
	v_pk_add_f32 v[32:33], v[26:27], v[22:23] neg_lo:[0,1] neg_hi:[0,1]
	v_pk_add_f32 v[22:23], v[26:27], v[22:23]
	v_mov_b32_e32 v28, v29
	v_pk_add_f32 v[26:27], v[22:23], v[24:25] op_sel:[1,0] op_sel_hi:[0,1] neg_lo:[0,1] neg_hi:[0,1]
	v_pk_add_f32 v[34:35], v[30:31], v[26:27] op_sel_hi:[1,0] neg_lo:[0,1] neg_hi:[0,1]
	v_mov_b32_e32 v30, v31
	v_mov_b32_e32 v31, v23
	v_pk_mov_b32 v[26:27], v[24:25], v[26:27] op_sel:[1,0]
	v_mov_b32_e32 v29, v24
	v_pk_add_f32 v[26:27], v[30:31], v[26:27] neg_lo:[0,1] neg_hi:[0,1]
	v_mov_b32_e32 v34, v32
	v_pk_add_f32 v[24:25], v[28:29], v[26:27] neg_lo:[0,1] neg_hi:[0,1]
	v_mov_b32_e32 v33, v23
	v_pk_add_f32 v[26:27], v[34:35], v[24:25]
	v_cmp_neq_f32_e64 s[0:1], s33, v37
	v_pk_add_f32 v[28:29], v[26:27], v[26:27] op_sel:[0,1] op_sel_hi:[1,0]
	s_nop 0
	v_pk_add_f32 v[22:23], v[22:23], v[28:29] op_sel:[1,0] op_sel_hi:[0,1]
	v_mov_b32_e32 v27, v22
	v_pk_add_f32 v[30:31], v[26:27], v[32:33] neg_lo:[0,1] neg_hi:[0,1]
	v_mov_b32_e32 v25, v28
	v_sub_f32_e32 v23, v26, v30
	v_pk_add_f32 v[24:25], v[24:25], v[30:31] neg_lo:[0,1] neg_hi:[0,1]
	v_sub_f32_e32 v23, v32, v23
	v_add_f32_e32 v23, v24, v23
	v_add_f32_e32 v23, v23, v25
	;; [unrolled: 1-line block ×3, first 2 shown]
	v_cndmask_b32_e64 v22, v36, v22, s[0:1]
	s_mov_b32 s0, 0x33800000
	v_cmp_lt_f32_e64 s[0:1], |v37|, s0
	s_nop 1
	v_cndmask_b32_e64 v22, v22, v37, s[0:1]
	v_add_f32_e32 v21, v21, v22
	v_cvt_f16_f32_e32 v22, v21
.LBB368_73:
	s_or_b64 exec, exec, s[58:59]
	v_and_b32_e32 v23, 0xffff, v22
	v_mov_b32_e32 v21, v22
.LBB368_74:
	s_or_b64 exec, exec, s[62:63]
	v_mov_b32_dpp v22, v23 row_bcast:31 row_mask:0xf bank_mask:0xf
	v_cmp_lt_u32_e64 s[0:1], 31, v20
	s_and_saveexec_b64 s[62:63], s[0:1]
	s_cbranch_execz .LBB368_78
; %bb.75:
	v_cvt_f32_f16_e32 v24, v22
	v_cvt_f32_f16_e32 v25, v21
	v_cmp_u_f16_e64 s[0:1], v22, v22
	v_cmp_u_f16_e64 s[58:59], v21, v21
	s_movk_i32 s33, 0x1f8
	v_min_f32_e32 v23, v24, v25
	v_max_f32_e32 v21, v24, v25
	v_cndmask_b32_e64 v23, v23, v24, s[0:1]
	v_cndmask_b32_e64 v21, v21, v24, s[0:1]
	;; [unrolled: 1-line block ×4, first 2 shown]
	v_cmp_neq_f32_e64 s[0:1], v23, v21
	v_cmp_class_f32_e64 s[58:59], v23, s33
	s_or_b64 s[0:1], s[0:1], s[58:59]
	s_and_saveexec_b64 s[58:59], s[0:1]
	s_cbranch_execz .LBB368_77
; %bb.76:
	v_sub_f32_e32 v22, v23, v21
	s_mov_b32 s0, 0x3fb8aa3b
	v_mul_f32_e32 v23, 0x3fb8aa3b, v22
	v_fma_f32 v24, v22, s0, -v23
	v_rndne_f32_e32 v25, v23
	v_fmamk_f32 v24, v22, 0x32a5705f, v24
	v_sub_f32_e32 v23, v23, v25
	v_add_f32_e32 v23, v23, v24
	v_exp_f32_e32 v23, v23
	v_cvt_i32_f32_e32 v24, v25
	s_mov_b32 s0, 0xc2ce8ed0
	v_cmp_ngt_f32_e64 s[0:1], s0, v22
	v_mov_b32_e32 v36, 0x7f800000
	v_ldexp_f32 v23, v23, v24
	v_cndmask_b32_e64 v23, 0, v23, s[0:1]
	s_mov_b32 s0, 0x42b17218
	v_cmp_nlt_f32_e64 s[0:1], s0, v22
	s_mov_b32 s33, 0x7f800000
	s_nop 0
	v_cndmask_b32_e64 v37, v36, v23, s[0:1]
	v_add_f32_e32 v24, 1.0, v37
	v_add_f32_e32 v22, -1.0, v24
	v_sub_f32_e32 v23, v22, v24
	v_add_f32_e32 v23, 1.0, v23
	v_sub_f32_e32 v22, v37, v22
	v_add_f32_e32 v25, v22, v23
	v_frexp_mant_f32_e32 v26, v24
	s_mov_b32 s0, 0x3f2aaaab
	v_cvt_f64_f32_e32 v[22:23], v24
	v_frexp_exp_i32_f64_e32 v22, v[22:23]
	v_cmp_gt_f32_e64 s[0:1], s0, v26
	s_nop 1
	v_subbrev_co_u32_e64 v30, s[0:1], 0, v22, s[0:1]
	v_sub_u32_e32 v22, 0, v30
	v_ldexp_f32 v23, v24, v22
	v_add_f32_e32 v24, -1.0, v23
	v_add_f32_e32 v26, 1.0, v23
	v_ldexp_f32 v22, v25, v22
	v_add_f32_e32 v25, 1.0, v24
	v_add_f32_e32 v27, -1.0, v26
	v_sub_f32_e32 v25, v23, v25
	v_sub_f32_e32 v23, v23, v27
	v_add_f32_e32 v25, v22, v25
	v_add_f32_e32 v22, v22, v23
	;; [unrolled: 1-line block ×3, first 2 shown]
	v_rcp_f32_e32 v33, v31
	v_sub_f32_e32 v23, v26, v31
	v_add_f32_e32 v32, v22, v23
	v_add_f32_e32 v23, v24, v25
	v_mul_f32_e32 v35, v23, v33
	v_sub_f32_e32 v22, v24, v23
	v_mul_f32_e32 v24, v31, v35
	v_fma_f32 v26, v35, v31, -v24
	v_fmac_f32_e32 v26, v35, v32
	v_add_f32_e32 v34, v25, v22
	v_add_f32_e32 v22, v24, v26
	v_sub_f32_e32 v25, v23, v22
	v_pk_add_f32 v[28:29], v[22:23], v[24:25] neg_lo:[0,1] neg_hi:[0,1]
	v_mov_b32_e32 v27, v22
	v_pk_add_f32 v[22:23], v[28:29], v[26:27] neg_lo:[0,1] neg_hi:[0,1]
	s_mov_b32 s0, 0x3f317218
	v_add_f32_e32 v23, v34, v23
	v_add_f32_e32 v22, v22, v23
	;; [unrolled: 1-line block ×3, first 2 shown]
	v_mul_f32_e32 v34, v33, v23
	v_mul_f32_e32 v24, v31, v34
	v_fma_f32 v26, v34, v31, -v24
	v_fmac_f32_e32 v26, v34, v32
	v_sub_f32_e32 v25, v25, v23
	v_add_f32_e32 v31, v22, v25
	v_add_f32_e32 v22, v24, v26
	v_sub_f32_e32 v25, v23, v22
	v_pk_add_f32 v[28:29], v[22:23], v[24:25] neg_lo:[0,1] neg_hi:[0,1]
	v_mov_b32_e32 v27, v22
	v_pk_add_f32 v[22:23], v[28:29], v[26:27] neg_lo:[0,1] neg_hi:[0,1]
	v_cvt_f32_i32_e32 v24, v30
	v_add_f32_e32 v23, v31, v23
	v_add_f32_e32 v22, v22, v23
	;; [unrolled: 1-line block ×4, first 2 shown]
	v_sub_f32_e32 v23, v25, v35
	v_mul_f32_e32 v22, v33, v22
	v_sub_f32_e32 v23, v34, v23
	v_add_f32_e32 v22, v23, v22
	v_add_f32_e32 v26, v25, v22
	v_mul_f32_e32 v28, v26, v26
	v_mov_b32_e32 v23, 0x3ecc95a3
	v_sub_f32_e32 v25, v26, v25
	v_fmac_f32_e32 v23, 0x3e9b6dac, v28
	v_sub_f32_e32 v22, v22, v25
	v_fmaak_f32 v23, v28, v23, 0x3f2aaada
	v_ldexp_f32 v29, v22, 1
	v_mul_f32_e32 v25, v26, v28
	v_mov_b32_e32 v22, 0x3f317218
	v_pk_mul_f32 v[22:23], v[24:25], v[22:23]
	v_ldexp_f32 v27, v26, 1
	v_fma_f32 v25, v24, s0, -v22
	v_fmamk_f32 v26, v24, 0xb102e308, v25
	v_pk_add_f32 v[24:25], v[22:23], v[26:27]
	v_mov_b32_e32 v28, v22
	v_sub_f32_e32 v27, v25, v27
	v_sub_f32_e32 v27, v23, v27
	v_add_f32_e32 v29, v29, v27
	v_pk_add_f32 v[22:23], v[24:25], v[22:23] neg_lo:[0,1] neg_hi:[0,1]
	v_pk_add_f32 v[30:31], v[24:25], v[28:29]
	v_mov_b32_e32 v27, v24
	v_mov_b32_e32 v23, v31
	v_pk_add_f32 v[32:33], v[26:27], v[22:23] neg_lo:[0,1] neg_hi:[0,1]
	v_pk_add_f32 v[22:23], v[26:27], v[22:23]
	v_mov_b32_e32 v28, v29
	v_pk_add_f32 v[26:27], v[22:23], v[24:25] op_sel:[1,0] op_sel_hi:[0,1] neg_lo:[0,1] neg_hi:[0,1]
	v_pk_add_f32 v[34:35], v[30:31], v[26:27] op_sel_hi:[1,0] neg_lo:[0,1] neg_hi:[0,1]
	v_mov_b32_e32 v30, v31
	v_mov_b32_e32 v31, v23
	v_pk_mov_b32 v[26:27], v[24:25], v[26:27] op_sel:[1,0]
	v_mov_b32_e32 v29, v24
	v_pk_add_f32 v[26:27], v[30:31], v[26:27] neg_lo:[0,1] neg_hi:[0,1]
	v_mov_b32_e32 v34, v32
	v_pk_add_f32 v[24:25], v[28:29], v[26:27] neg_lo:[0,1] neg_hi:[0,1]
	v_mov_b32_e32 v33, v23
	v_pk_add_f32 v[26:27], v[34:35], v[24:25]
	v_cmp_neq_f32_e64 s[0:1], s33, v37
	v_pk_add_f32 v[28:29], v[26:27], v[26:27] op_sel:[0,1] op_sel_hi:[1,0]
	s_nop 0
	v_pk_add_f32 v[22:23], v[22:23], v[28:29] op_sel:[1,0] op_sel_hi:[0,1]
	v_mov_b32_e32 v27, v22
	v_pk_add_f32 v[30:31], v[26:27], v[32:33] neg_lo:[0,1] neg_hi:[0,1]
	v_mov_b32_e32 v25, v28
	v_sub_f32_e32 v23, v26, v30
	v_pk_add_f32 v[24:25], v[24:25], v[30:31] neg_lo:[0,1] neg_hi:[0,1]
	v_sub_f32_e32 v23, v32, v23
	v_add_f32_e32 v23, v24, v23
	v_add_f32_e32 v23, v23, v25
	;; [unrolled: 1-line block ×3, first 2 shown]
	v_cndmask_b32_e64 v22, v36, v22, s[0:1]
	s_mov_b32 s0, 0x33800000
	v_cmp_lt_f32_e64 s[0:1], |v37|, s0
	s_nop 1
	v_cndmask_b32_e64 v22, v22, v37, s[0:1]
	v_add_f32_e32 v21, v21, v22
	v_cvt_f16_f32_e32 v22, v21
.LBB368_77:
	s_or_b64 exec, exec, s[58:59]
	v_mov_b32_e32 v21, v22
.LBB368_78:
	s_or_b64 exec, exec, s[62:63]
	v_or_b32_e32 v23, 63, v0
	v_lshrrev_b32_e32 v22, 6, v0
	v_cmp_eq_u32_e64 s[0:1], v0, v23
	s_and_saveexec_b64 s[58:59], s[0:1]
; %bb.79:
	v_lshlrev_b32_e32 v23, 1, v22
	ds_write_b16 v23, v21
; %bb.80:
	s_or_b64 exec, exec, s[58:59]
	v_cmp_gt_u32_e64 s[0:1], 2, v0
	s_waitcnt lgkmcnt(0)
	s_barrier
	s_and_saveexec_b64 s[62:63], s[0:1]
	s_cbranch_execz .LBB368_86
; %bb.81:
	ds_read_u16 v23, v8
	v_and_b32_e32 v25, 1, v20
	v_cmp_eq_u32_e64 s[0:1], 1, v25
	s_waitcnt lgkmcnt(0)
	v_and_b32_e32 v24, 0xffff, v23
	s_nop 1
	v_mov_b32_dpp v24, v24 row_shr:1 row_mask:0xf bank_mask:0xf
	s_and_saveexec_b64 s[64:65], s[0:1]
	s_cbranch_execz .LBB368_85
; %bb.82:
	v_cvt_f32_f16_e32 v26, v24
	v_cvt_f32_f16_e32 v27, v23
	v_cmp_u_f16_e64 s[0:1], v24, v24
	v_cmp_u_f16_e64 s[58:59], v23, v23
	s_movk_i32 s33, 0x1f8
	v_min_f32_e32 v25, v26, v27
	v_max_f32_e32 v23, v26, v27
	v_cndmask_b32_e64 v25, v25, v26, s[0:1]
	v_cndmask_b32_e64 v23, v23, v26, s[0:1]
	;; [unrolled: 1-line block ×4, first 2 shown]
	v_cmp_neq_f32_e64 s[0:1], v25, v23
	v_cmp_class_f32_e64 s[58:59], v25, s33
	s_or_b64 s[0:1], s[0:1], s[58:59]
	s_and_saveexec_b64 s[58:59], s[0:1]
	s_cbranch_execz .LBB368_84
; %bb.83:
	v_sub_f32_e32 v24, v25, v23
	s_mov_b32 s0, 0x3fb8aa3b
	v_mul_f32_e32 v25, 0x3fb8aa3b, v24
	v_fma_f32 v26, v24, s0, -v25
	v_rndne_f32_e32 v27, v25
	v_fmamk_f32 v26, v24, 0x32a5705f, v26
	v_sub_f32_e32 v25, v25, v27
	v_add_f32_e32 v25, v25, v26
	v_exp_f32_e32 v25, v25
	v_cvt_i32_f32_e32 v26, v27
	s_mov_b32 s0, 0xc2ce8ed0
	v_cmp_ngt_f32_e64 s[0:1], s0, v24
	v_mov_b32_e32 v38, 0x7f800000
	v_ldexp_f32 v25, v25, v26
	v_cndmask_b32_e64 v25, 0, v25, s[0:1]
	s_mov_b32 s0, 0x42b17218
	v_cmp_nlt_f32_e64 s[0:1], s0, v24
	s_mov_b32 s33, 0x7f800000
	s_nop 0
	v_cndmask_b32_e64 v39, v38, v25, s[0:1]
	v_add_f32_e32 v26, 1.0, v39
	v_add_f32_e32 v24, -1.0, v26
	v_sub_f32_e32 v25, v24, v26
	v_add_f32_e32 v25, 1.0, v25
	v_sub_f32_e32 v24, v39, v24
	v_add_f32_e32 v27, v24, v25
	v_frexp_mant_f32_e32 v28, v26
	s_mov_b32 s0, 0x3f2aaaab
	v_cvt_f64_f32_e32 v[24:25], v26
	v_frexp_exp_i32_f64_e32 v24, v[24:25]
	v_cmp_gt_f32_e64 s[0:1], s0, v28
	s_nop 1
	v_subbrev_co_u32_e64 v32, s[0:1], 0, v24, s[0:1]
	v_sub_u32_e32 v24, 0, v32
	v_ldexp_f32 v25, v26, v24
	v_add_f32_e32 v26, -1.0, v25
	v_add_f32_e32 v28, 1.0, v25
	v_ldexp_f32 v24, v27, v24
	v_add_f32_e32 v27, 1.0, v26
	v_add_f32_e32 v29, -1.0, v28
	v_sub_f32_e32 v27, v25, v27
	v_sub_f32_e32 v25, v25, v29
	v_add_f32_e32 v27, v24, v27
	v_add_f32_e32 v24, v24, v25
	;; [unrolled: 1-line block ×3, first 2 shown]
	v_rcp_f32_e32 v35, v33
	v_sub_f32_e32 v25, v28, v33
	v_add_f32_e32 v34, v24, v25
	v_add_f32_e32 v25, v26, v27
	v_mul_f32_e32 v37, v25, v35
	v_sub_f32_e32 v24, v26, v25
	v_mul_f32_e32 v26, v33, v37
	v_fma_f32 v28, v37, v33, -v26
	v_fmac_f32_e32 v28, v37, v34
	v_add_f32_e32 v36, v27, v24
	v_add_f32_e32 v24, v26, v28
	v_sub_f32_e32 v27, v25, v24
	v_pk_add_f32 v[30:31], v[24:25], v[26:27] neg_lo:[0,1] neg_hi:[0,1]
	v_mov_b32_e32 v29, v24
	v_pk_add_f32 v[24:25], v[30:31], v[28:29] neg_lo:[0,1] neg_hi:[0,1]
	s_mov_b32 s0, 0x3f317218
	v_add_f32_e32 v25, v36, v25
	v_add_f32_e32 v24, v24, v25
	;; [unrolled: 1-line block ×3, first 2 shown]
	v_mul_f32_e32 v36, v35, v25
	v_mul_f32_e32 v26, v33, v36
	v_fma_f32 v28, v36, v33, -v26
	v_fmac_f32_e32 v28, v36, v34
	v_sub_f32_e32 v27, v27, v25
	v_add_f32_e32 v33, v24, v27
	v_add_f32_e32 v24, v26, v28
	v_sub_f32_e32 v27, v25, v24
	v_pk_add_f32 v[30:31], v[24:25], v[26:27] neg_lo:[0,1] neg_hi:[0,1]
	v_mov_b32_e32 v29, v24
	v_pk_add_f32 v[24:25], v[30:31], v[28:29] neg_lo:[0,1] neg_hi:[0,1]
	v_cvt_f32_i32_e32 v26, v32
	v_add_f32_e32 v25, v33, v25
	v_add_f32_e32 v24, v24, v25
	;; [unrolled: 1-line block ×4, first 2 shown]
	v_sub_f32_e32 v25, v27, v37
	v_mul_f32_e32 v24, v35, v24
	v_sub_f32_e32 v25, v36, v25
	v_add_f32_e32 v24, v25, v24
	v_add_f32_e32 v28, v27, v24
	v_mul_f32_e32 v30, v28, v28
	v_mov_b32_e32 v25, 0x3ecc95a3
	v_sub_f32_e32 v27, v28, v27
	v_fmac_f32_e32 v25, 0x3e9b6dac, v30
	v_sub_f32_e32 v24, v24, v27
	v_fmaak_f32 v25, v30, v25, 0x3f2aaada
	v_ldexp_f32 v31, v24, 1
	v_mul_f32_e32 v27, v28, v30
	v_mov_b32_e32 v24, 0x3f317218
	v_pk_mul_f32 v[24:25], v[26:27], v[24:25]
	v_ldexp_f32 v29, v28, 1
	v_fma_f32 v27, v26, s0, -v24
	v_fmamk_f32 v28, v26, 0xb102e308, v27
	v_pk_add_f32 v[26:27], v[24:25], v[28:29]
	v_mov_b32_e32 v30, v24
	v_sub_f32_e32 v29, v27, v29
	v_sub_f32_e32 v29, v25, v29
	v_add_f32_e32 v31, v31, v29
	v_pk_add_f32 v[24:25], v[26:27], v[24:25] neg_lo:[0,1] neg_hi:[0,1]
	v_pk_add_f32 v[32:33], v[26:27], v[30:31]
	v_mov_b32_e32 v29, v26
	v_mov_b32_e32 v25, v33
	v_pk_add_f32 v[34:35], v[28:29], v[24:25] neg_lo:[0,1] neg_hi:[0,1]
	v_pk_add_f32 v[24:25], v[28:29], v[24:25]
	v_mov_b32_e32 v30, v31
	v_pk_add_f32 v[28:29], v[24:25], v[26:27] op_sel:[1,0] op_sel_hi:[0,1] neg_lo:[0,1] neg_hi:[0,1]
	v_pk_add_f32 v[36:37], v[32:33], v[28:29] op_sel_hi:[1,0] neg_lo:[0,1] neg_hi:[0,1]
	v_mov_b32_e32 v32, v33
	v_mov_b32_e32 v33, v25
	v_pk_mov_b32 v[28:29], v[26:27], v[28:29] op_sel:[1,0]
	v_mov_b32_e32 v31, v26
	v_pk_add_f32 v[28:29], v[32:33], v[28:29] neg_lo:[0,1] neg_hi:[0,1]
	v_mov_b32_e32 v36, v34
	v_pk_add_f32 v[26:27], v[30:31], v[28:29] neg_lo:[0,1] neg_hi:[0,1]
	v_mov_b32_e32 v35, v25
	v_pk_add_f32 v[28:29], v[36:37], v[26:27]
	v_cmp_neq_f32_e64 s[0:1], s33, v39
	v_pk_add_f32 v[30:31], v[28:29], v[28:29] op_sel:[0,1] op_sel_hi:[1,0]
	s_nop 0
	v_pk_add_f32 v[24:25], v[24:25], v[30:31] op_sel:[1,0] op_sel_hi:[0,1]
	v_mov_b32_e32 v29, v24
	v_pk_add_f32 v[32:33], v[28:29], v[34:35] neg_lo:[0,1] neg_hi:[0,1]
	v_mov_b32_e32 v27, v30
	v_sub_f32_e32 v25, v28, v32
	v_pk_add_f32 v[26:27], v[26:27], v[32:33] neg_lo:[0,1] neg_hi:[0,1]
	v_sub_f32_e32 v25, v34, v25
	v_add_f32_e32 v25, v26, v25
	v_add_f32_e32 v25, v25, v27
	;; [unrolled: 1-line block ×3, first 2 shown]
	v_cndmask_b32_e64 v24, v38, v24, s[0:1]
	s_mov_b32 s0, 0x33800000
	v_cmp_lt_f32_e64 s[0:1], |v39|, s0
	s_nop 1
	v_cndmask_b32_e64 v24, v24, v39, s[0:1]
	v_add_f32_e32 v23, v23, v24
	v_cvt_f16_f32_e32 v24, v23
.LBB368_84:
	s_or_b64 exec, exec, s[58:59]
	v_mov_b32_e32 v23, v24
.LBB368_85:
	s_or_b64 exec, exec, s[64:65]
	ds_write_b16 v8, v23
.LBB368_86:
	s_or_b64 exec, exec, s[62:63]
	v_cmp_lt_u32_e64 s[0:1], 63, v0
	s_waitcnt lgkmcnt(0)
	s_barrier
                                        ; implicit-def: $vgpr23
	s_and_saveexec_b64 s[58:59], s[0:1]
	s_cbranch_execz .LBB368_90
; %bb.87:
	v_lshl_add_u32 v22, v22, 1, -2
	ds_read_u16 v23, v22
	v_cvt_f32_f16_e32 v22, v21
	s_movk_i32 s33, 0x1f8
	s_waitcnt lgkmcnt(0)
	v_cvt_f32_f16_e32 v24, v23
	v_cmp_u_f16_e64 s[0:1], v23, v23
	v_min_f32_e32 v25, v24, v22
	v_max_f32_e32 v26, v24, v22
	v_cndmask_b32_e64 v25, v25, v24, s[0:1]
	v_cndmask_b32_e64 v26, v26, v24, s[0:1]
	v_cmp_u_f16_e64 s[0:1], v21, v21
	v_mov_b32_e32 v21, v23
	s_nop 0
	v_cndmask_b32_e64 v24, v25, v22, s[0:1]
	v_cndmask_b32_e64 v22, v26, v22, s[0:1]
	v_cmp_neq_f32_e64 s[0:1], v24, v22
	v_cmp_class_f32_e64 s[62:63], v24, s33
	s_or_b64 s[0:1], s[0:1], s[62:63]
	s_and_saveexec_b64 s[62:63], s[0:1]
	s_cbranch_execz .LBB368_89
; %bb.88:
	v_sub_f32_e32 v21, v24, v22
	s_mov_b32 s0, 0x3fb8aa3b
	v_mul_f32_e32 v24, 0x3fb8aa3b, v21
	v_fma_f32 v25, v21, s0, -v24
	v_rndne_f32_e32 v26, v24
	v_fmamk_f32 v25, v21, 0x32a5705f, v25
	v_sub_f32_e32 v24, v24, v26
	v_add_f32_e32 v24, v24, v25
	v_exp_f32_e32 v24, v24
	v_cvt_i32_f32_e32 v25, v26
	s_mov_b32 s0, 0xc2ce8ed0
	v_cmp_ngt_f32_e64 s[0:1], s0, v21
	v_mov_b32_e32 v38, 0x7f800000
	v_ldexp_f32 v24, v24, v25
	v_cndmask_b32_e64 v24, 0, v24, s[0:1]
	s_mov_b32 s0, 0x42b17218
	v_cmp_nlt_f32_e64 s[0:1], s0, v21
	s_mov_b32 s33, 0x7f800000
	s_nop 0
	v_cndmask_b32_e64 v21, v38, v24, s[0:1]
	v_add_f32_e32 v26, 1.0, v21
	v_add_f32_e32 v24, -1.0, v26
	v_sub_f32_e32 v25, v24, v26
	v_add_f32_e32 v25, 1.0, v25
	v_sub_f32_e32 v24, v21, v24
	v_add_f32_e32 v27, v24, v25
	v_frexp_mant_f32_e32 v28, v26
	s_mov_b32 s0, 0x3f2aaaab
	v_cvt_f64_f32_e32 v[24:25], v26
	v_frexp_exp_i32_f64_e32 v24, v[24:25]
	v_cmp_gt_f32_e64 s[0:1], s0, v28
	s_nop 1
	v_subbrev_co_u32_e64 v32, s[0:1], 0, v24, s[0:1]
	v_sub_u32_e32 v24, 0, v32
	v_ldexp_f32 v25, v26, v24
	v_add_f32_e32 v26, -1.0, v25
	v_add_f32_e32 v28, 1.0, v25
	v_ldexp_f32 v24, v27, v24
	v_add_f32_e32 v27, 1.0, v26
	v_add_f32_e32 v29, -1.0, v28
	v_sub_f32_e32 v27, v25, v27
	v_sub_f32_e32 v25, v25, v29
	v_add_f32_e32 v27, v24, v27
	v_add_f32_e32 v24, v24, v25
	;; [unrolled: 1-line block ×3, first 2 shown]
	v_rcp_f32_e32 v35, v33
	v_sub_f32_e32 v25, v28, v33
	v_add_f32_e32 v34, v24, v25
	v_add_f32_e32 v25, v26, v27
	v_mul_f32_e32 v37, v25, v35
	v_sub_f32_e32 v24, v26, v25
	v_mul_f32_e32 v26, v33, v37
	v_fma_f32 v28, v37, v33, -v26
	v_fmac_f32_e32 v28, v37, v34
	v_add_f32_e32 v36, v27, v24
	v_add_f32_e32 v24, v26, v28
	v_sub_f32_e32 v27, v25, v24
	v_pk_add_f32 v[30:31], v[24:25], v[26:27] neg_lo:[0,1] neg_hi:[0,1]
	v_mov_b32_e32 v29, v24
	v_pk_add_f32 v[24:25], v[30:31], v[28:29] neg_lo:[0,1] neg_hi:[0,1]
	s_mov_b32 s0, 0x3f317218
	v_add_f32_e32 v25, v36, v25
	v_add_f32_e32 v24, v24, v25
	;; [unrolled: 1-line block ×3, first 2 shown]
	v_mul_f32_e32 v36, v35, v25
	v_mul_f32_e32 v26, v33, v36
	v_fma_f32 v28, v36, v33, -v26
	v_fmac_f32_e32 v28, v36, v34
	v_sub_f32_e32 v27, v27, v25
	v_add_f32_e32 v33, v24, v27
	v_add_f32_e32 v24, v26, v28
	v_sub_f32_e32 v27, v25, v24
	v_pk_add_f32 v[30:31], v[24:25], v[26:27] neg_lo:[0,1] neg_hi:[0,1]
	v_mov_b32_e32 v29, v24
	v_pk_add_f32 v[24:25], v[30:31], v[28:29] neg_lo:[0,1] neg_hi:[0,1]
	v_cvt_f32_i32_e32 v26, v32
	v_add_f32_e32 v25, v33, v25
	v_add_f32_e32 v24, v24, v25
	;; [unrolled: 1-line block ×4, first 2 shown]
	v_sub_f32_e32 v25, v27, v37
	v_mul_f32_e32 v24, v35, v24
	v_sub_f32_e32 v25, v36, v25
	v_add_f32_e32 v24, v25, v24
	v_add_f32_e32 v28, v27, v24
	v_mul_f32_e32 v30, v28, v28
	v_mov_b32_e32 v25, 0x3ecc95a3
	v_sub_f32_e32 v27, v28, v27
	v_fmac_f32_e32 v25, 0x3e9b6dac, v30
	v_sub_f32_e32 v24, v24, v27
	v_fmaak_f32 v25, v30, v25, 0x3f2aaada
	v_ldexp_f32 v31, v24, 1
	v_mul_f32_e32 v27, v28, v30
	v_mov_b32_e32 v24, 0x3f317218
	v_pk_mul_f32 v[24:25], v[26:27], v[24:25]
	v_ldexp_f32 v29, v28, 1
	v_fma_f32 v27, v26, s0, -v24
	v_fmamk_f32 v28, v26, 0xb102e308, v27
	v_pk_add_f32 v[26:27], v[24:25], v[28:29]
	v_mov_b32_e32 v30, v24
	v_sub_f32_e32 v29, v27, v29
	v_sub_f32_e32 v29, v25, v29
	v_add_f32_e32 v31, v31, v29
	v_pk_add_f32 v[24:25], v[26:27], v[24:25] neg_lo:[0,1] neg_hi:[0,1]
	v_pk_add_f32 v[32:33], v[26:27], v[30:31]
	v_mov_b32_e32 v29, v26
	v_mov_b32_e32 v25, v33
	v_pk_add_f32 v[34:35], v[28:29], v[24:25] neg_lo:[0,1] neg_hi:[0,1]
	v_pk_add_f32 v[24:25], v[28:29], v[24:25]
	v_mov_b32_e32 v30, v31
	v_pk_add_f32 v[28:29], v[24:25], v[26:27] op_sel:[1,0] op_sel_hi:[0,1] neg_lo:[0,1] neg_hi:[0,1]
	v_pk_add_f32 v[36:37], v[32:33], v[28:29] op_sel_hi:[1,0] neg_lo:[0,1] neg_hi:[0,1]
	v_mov_b32_e32 v32, v33
	v_mov_b32_e32 v33, v25
	v_pk_mov_b32 v[28:29], v[26:27], v[28:29] op_sel:[1,0]
	v_mov_b32_e32 v31, v26
	v_pk_add_f32 v[28:29], v[32:33], v[28:29] neg_lo:[0,1] neg_hi:[0,1]
	v_mov_b32_e32 v36, v34
	v_pk_add_f32 v[26:27], v[30:31], v[28:29] neg_lo:[0,1] neg_hi:[0,1]
	v_mov_b32_e32 v35, v25
	v_pk_add_f32 v[28:29], v[36:37], v[26:27]
	v_cmp_neq_f32_e64 s[0:1], s33, v21
	v_pk_add_f32 v[30:31], v[28:29], v[28:29] op_sel:[0,1] op_sel_hi:[1,0]
	s_nop 0
	v_pk_add_f32 v[24:25], v[24:25], v[30:31] op_sel:[1,0] op_sel_hi:[0,1]
	v_mov_b32_e32 v29, v24
	v_pk_add_f32 v[32:33], v[28:29], v[34:35] neg_lo:[0,1] neg_hi:[0,1]
	v_mov_b32_e32 v27, v30
	v_sub_f32_e32 v25, v28, v32
	v_pk_add_f32 v[26:27], v[26:27], v[32:33] neg_lo:[0,1] neg_hi:[0,1]
	v_sub_f32_e32 v25, v34, v25
	v_add_f32_e32 v25, v26, v25
	v_add_f32_e32 v25, v25, v27
	;; [unrolled: 1-line block ×3, first 2 shown]
	v_cndmask_b32_e64 v24, v38, v24, s[0:1]
	s_mov_b32 s0, 0x33800000
	v_cmp_lt_f32_e64 s[0:1], |v21|, s0
	s_nop 1
	v_cndmask_b32_e64 v21, v24, v21, s[0:1]
	v_add_f32_e32 v21, v22, v21
	v_cvt_f16_f32_e32 v21, v21
.LBB368_89:
	s_or_b64 exec, exec, s[62:63]
.LBB368_90:
	s_or_b64 exec, exec, s[58:59]
	v_add_u32_e32 v22, -1, v20
	v_and_b32_e32 v24, 64, v20
	v_cmp_lt_i32_e64 s[0:1], v22, v24
	v_and_b32_e32 v21, 0xffff, v21
	s_nop 0
	v_cndmask_b32_e64 v22, v22, v20, s[0:1]
	v_lshlrev_b32_e32 v22, 2, v22
	ds_bpermute_b32 v22, v22, v21
	v_cmp_ne_u32_e64 s[0:1], 0, v0
	v_mov_b32_e32 v21, v2
	s_and_saveexec_b64 s[58:59], s[0:1]
	s_cbranch_execz .LBB368_94
; %bb.91:
	v_cmp_eq_u32_e64 s[0:1], 0, v20
	v_max_f32_e32 v18, v1, v1
	s_movk_i32 s33, 0x1f8
	s_waitcnt lgkmcnt(0)
	v_cndmask_b32_e64 v2, v22, v23, s[0:1]
	v_cvt_f32_f16_e32 v20, v2
	v_cmp_u_f16_e64 s[0:1], v2, v2
	v_min_f32_e32 v17, v20, v18
	v_max_f32_e32 v18, v20, v18
	v_cndmask_b32_e64 v17, v17, v20, s[0:1]
	v_cndmask_b32_e64 v18, v18, v20, s[0:1]
	;; [unrolled: 1-line block ×4, first 2 shown]
	v_cmp_neq_f32_e64 s[0:1], v17, v1
	v_cmp_class_f32_e64 s[54:55], v17, s33
	s_or_b64 s[0:1], s[0:1], s[54:55]
	s_and_saveexec_b64 s[54:55], s[0:1]
	s_cbranch_execz .LBB368_93
; %bb.92:
	v_sub_f32_e32 v2, v17, v1
	s_mov_b32 s0, 0x3fb8aa3b
	v_mul_f32_e32 v17, 0x3fb8aa3b, v2
	v_fma_f32 v18, v2, s0, -v17
	v_rndne_f32_e32 v20, v17
	v_fmamk_f32 v18, v2, 0x32a5705f, v18
	v_sub_f32_e32 v17, v17, v20
	v_add_f32_e32 v17, v17, v18
	v_exp_f32_e32 v17, v17
	v_cvt_i32_f32_e32 v18, v20
	s_mov_b32 s0, 0xc2ce8ed0
	v_cmp_ngt_f32_e64 s[0:1], s0, v2
	s_mov_b32 s33, 0x7f800000
	v_ldexp_f32 v17, v17, v18
	v_cndmask_b32_e64 v17, 0, v17, s[0:1]
	s_mov_b32 s0, 0x42b17218
	v_mov_b32_e32 v18, 0x7f800000
	v_cmp_nlt_f32_e64 s[0:1], s0, v2
	s_nop 1
	v_cndmask_b32_e64 v2, v18, v17, s[0:1]
	v_add_f32_e32 v17, 1.0, v2
	v_add_f32_e32 v20, -1.0, v17
	v_sub_f32_e32 v21, v20, v17
	v_add_f32_e32 v21, 1.0, v21
	v_sub_f32_e32 v20, v2, v20
	v_add_f32_e32 v22, v20, v21
	v_frexp_mant_f32_e32 v23, v17
	s_mov_b32 s0, 0x3f2aaaab
	v_cvt_f64_f32_e32 v[20:21], v17
	v_frexp_exp_i32_f64_e32 v20, v[20:21]
	v_cmp_gt_f32_e64 s[0:1], s0, v23
	s_nop 1
	v_subbrev_co_u32_e64 v28, s[0:1], 0, v20, s[0:1]
	v_sub_u32_e32 v20, 0, v28
	v_ldexp_f32 v17, v17, v20
	v_ldexp_f32 v20, v22, v20
	v_add_f32_e32 v22, -1.0, v17
	v_add_f32_e32 v21, 1.0, v22
	v_sub_f32_e32 v21, v17, v21
	v_add_f32_e32 v23, v20, v21
	v_add_f32_e32 v21, 1.0, v17
	v_add_f32_e32 v24, -1.0, v21
	v_sub_f32_e32 v17, v17, v24
	v_add_f32_e32 v17, v20, v17
	v_add_f32_e32 v29, v21, v17
	v_rcp_f32_e32 v30, v29
	v_sub_f32_e32 v20, v21, v29
	v_add_f32_e32 v21, v22, v23
	v_add_f32_e32 v17, v17, v20
	v_mul_f32_e32 v32, v21, v30
	v_sub_f32_e32 v20, v22, v21
	v_mul_f32_e32 v22, v29, v32
	v_fma_f32 v24, v32, v29, -v22
	v_fmac_f32_e32 v24, v32, v17
	v_add_f32_e32 v31, v23, v20
	v_add_f32_e32 v20, v22, v24
	v_sub_f32_e32 v23, v21, v20
	v_pk_add_f32 v[26:27], v[20:21], v[22:23] neg_lo:[0,1] neg_hi:[0,1]
	v_mov_b32_e32 v25, v20
	v_pk_add_f32 v[20:21], v[26:27], v[24:25] neg_lo:[0,1] neg_hi:[0,1]
	s_mov_b32 s0, 0x3f317218
	v_add_f32_e32 v21, v31, v21
	v_add_f32_e32 v20, v20, v21
	;; [unrolled: 1-line block ×3, first 2 shown]
	v_mul_f32_e32 v31, v30, v21
	v_mul_f32_e32 v22, v29, v31
	v_fma_f32 v24, v31, v29, -v22
	v_fmac_f32_e32 v24, v31, v17
	v_sub_f32_e32 v17, v23, v21
	v_add_f32_e32 v17, v20, v17
	v_add_f32_e32 v20, v22, v24
	v_sub_f32_e32 v23, v21, v20
	v_pk_add_f32 v[26:27], v[20:21], v[22:23] neg_lo:[0,1] neg_hi:[0,1]
	v_mov_b32_e32 v25, v20
	v_pk_add_f32 v[20:21], v[26:27], v[24:25] neg_lo:[0,1] neg_hi:[0,1]
	v_cvt_f32_i32_e32 v22, v28
	v_add_f32_e32 v17, v17, v21
	v_add_f32_e32 v17, v20, v17
	v_add_f32_e32 v20, v32, v31
	v_add_f32_e32 v17, v23, v17
	v_sub_f32_e32 v21, v20, v32
	v_mul_f32_e32 v17, v30, v17
	v_sub_f32_e32 v21, v31, v21
	v_add_f32_e32 v17, v21, v17
	v_add_f32_e32 v23, v20, v17
	v_mul_f32_e32 v24, v23, v23
	v_mov_b32_e32 v21, 0x3ecc95a3
	v_fmac_f32_e32 v21, 0x3e9b6dac, v24
	v_sub_f32_e32 v20, v23, v20
	v_fmaak_f32 v21, v24, v21, 0x3f2aaada
	v_sub_f32_e32 v17, v17, v20
	v_ldexp_f32 v25, v23, 1
	v_mul_f32_e32 v23, v23, v24
	v_mov_b32_e32 v20, 0x3f317218
	v_pk_mul_f32 v[20:21], v[22:23], v[20:21]
	v_ldexp_f32 v17, v17, 1
	v_fma_f32 v23, v22, s0, -v20
	v_fmamk_f32 v24, v22, 0xb102e308, v23
	v_pk_add_f32 v[22:23], v[20:21], v[24:25]
	v_mov_b32_e32 v26, v20
	v_sub_f32_e32 v25, v23, v25
	v_sub_f32_e32 v25, v21, v25
	v_add_f32_e32 v27, v17, v25
	v_pk_add_f32 v[20:21], v[22:23], v[20:21] neg_lo:[0,1] neg_hi:[0,1]
	v_pk_add_f32 v[28:29], v[22:23], v[26:27]
	v_mov_b32_e32 v25, v22
	v_mov_b32_e32 v21, v29
	v_pk_add_f32 v[30:31], v[24:25], v[20:21] neg_lo:[0,1] neg_hi:[0,1]
	v_pk_add_f32 v[20:21], v[24:25], v[20:21]
	v_mov_b32_e32 v26, v27
	v_pk_add_f32 v[24:25], v[20:21], v[22:23] op_sel:[1,0] op_sel_hi:[0,1] neg_lo:[0,1] neg_hi:[0,1]
	v_pk_add_f32 v[32:33], v[28:29], v[24:25] op_sel_hi:[1,0] neg_lo:[0,1] neg_hi:[0,1]
	v_mov_b32_e32 v28, v29
	v_mov_b32_e32 v29, v21
	v_pk_mov_b32 v[24:25], v[22:23], v[24:25] op_sel:[1,0]
	v_mov_b32_e32 v27, v22
	v_pk_add_f32 v[24:25], v[28:29], v[24:25] neg_lo:[0,1] neg_hi:[0,1]
	v_mov_b32_e32 v32, v30
	v_pk_add_f32 v[22:23], v[26:27], v[24:25] neg_lo:[0,1] neg_hi:[0,1]
	v_mov_b32_e32 v31, v21
	v_pk_add_f32 v[24:25], v[32:33], v[22:23]
	v_cmp_neq_f32_e64 s[0:1], s33, v2
	v_pk_add_f32 v[26:27], v[24:25], v[24:25] op_sel:[0,1] op_sel_hi:[1,0]
	s_nop 0
	v_pk_add_f32 v[20:21], v[20:21], v[26:27] op_sel:[1,0] op_sel_hi:[0,1]
	v_mov_b32_e32 v25, v20
	v_pk_add_f32 v[28:29], v[24:25], v[30:31] neg_lo:[0,1] neg_hi:[0,1]
	v_mov_b32_e32 v23, v26
	v_sub_f32_e32 v17, v24, v28
	v_pk_add_f32 v[22:23], v[22:23], v[28:29] neg_lo:[0,1] neg_hi:[0,1]
	v_sub_f32_e32 v17, v30, v17
	v_add_f32_e32 v17, v22, v17
	v_add_f32_e32 v17, v17, v23
	;; [unrolled: 1-line block ×3, first 2 shown]
	v_cndmask_b32_e64 v17, v18, v17, s[0:1]
	s_mov_b32 s0, 0x33800000
	v_cmp_lt_f32_e64 s[0:1], |v2|, s0
	s_nop 1
	v_cndmask_b32_e64 v2, v17, v2, s[0:1]
	v_add_f32_e32 v1, v1, v2
	v_cvt_f16_f32_e32 v2, v1
	v_cvt_f32_f16_e32 v20, v2
.LBB368_93:
	s_or_b64 exec, exec, s[54:55]
	v_max_f32_e32 v1, v9, v9
	v_max_f32_e32 v18, v20, v20
	v_min_f32_e32 v17, v18, v1
	v_max_f32_e32 v18, v18, v1
	v_mov_b32_e32 v21, v2
	v_mov_b32_e32 v1, v20
	;;#ASMSTART
	;;#ASMEND
.LBB368_94:
	s_or_b64 exec, exec, s[58:59]
	v_cmp_u_f16_e64 s[0:1], v21, v21
	s_movk_i32 s33, 0x1f8
	s_nop 0
	v_cndmask_b32_e64 v17, v17, v1, s[0:1]
	v_cndmask_b32_e64 v20, v17, v9, s[26:27]
	;; [unrolled: 1-line block ×4, first 2 shown]
	v_cmp_neq_f32_e64 s[0:1], v20, v17
	v_cmp_class_f32_e64 s[26:27], v20, s33
	s_or_b64 s[0:1], s[0:1], s[26:27]
	v_mov_b32_e32 v9, v2
	s_and_saveexec_b64 s[26:27], s[0:1]
	s_cbranch_execz .LBB368_96
; %bb.95:
	v_sub_f32_e32 v1, v20, v17
	s_mov_b32 s0, 0x3fb8aa3b
	v_mul_f32_e32 v9, 0x3fb8aa3b, v1
	v_fma_f32 v18, v1, s0, -v9
	v_rndne_f32_e32 v20, v9
	v_fmamk_f32 v18, v1, 0x32a5705f, v18
	v_sub_f32_e32 v9, v9, v20
	v_add_f32_e32 v9, v9, v18
	v_exp_f32_e32 v9, v9
	v_cvt_i32_f32_e32 v18, v20
	s_mov_b32 s0, 0xc2ce8ed0
	v_cmp_ngt_f32_e64 s[0:1], s0, v1
	s_mov_b32 s54, 0x7f800000
	v_ldexp_f32 v9, v9, v18
	v_cndmask_b32_e64 v9, 0, v9, s[0:1]
	s_mov_b32 s0, 0x42b17218
	v_mov_b32_e32 v18, 0x7f800000
	v_cmp_nlt_f32_e64 s[0:1], s0, v1
	s_nop 1
	v_cndmask_b32_e64 v1, v18, v9, s[0:1]
	v_add_f32_e32 v9, 1.0, v1
	v_add_f32_e32 v20, -1.0, v9
	v_sub_f32_e32 v21, v20, v9
	v_add_f32_e32 v21, 1.0, v21
	v_sub_f32_e32 v20, v1, v20
	s_waitcnt lgkmcnt(0)
	v_add_f32_e32 v22, v20, v21
	v_frexp_mant_f32_e32 v23, v9
	s_mov_b32 s0, 0x3f2aaaab
	v_cvt_f64_f32_e32 v[20:21], v9
	v_frexp_exp_i32_f64_e32 v20, v[20:21]
	v_cmp_gt_f32_e64 s[0:1], s0, v23
	s_nop 1
	v_subbrev_co_u32_e64 v28, s[0:1], 0, v20, s[0:1]
	v_sub_u32_e32 v20, 0, v28
	v_ldexp_f32 v9, v9, v20
	v_ldexp_f32 v20, v22, v20
	v_add_f32_e32 v22, -1.0, v9
	v_add_f32_e32 v21, 1.0, v22
	v_sub_f32_e32 v21, v9, v21
	v_add_f32_e32 v23, v20, v21
	v_add_f32_e32 v21, 1.0, v9
	v_add_f32_e32 v24, -1.0, v21
	v_sub_f32_e32 v9, v9, v24
	v_add_f32_e32 v9, v20, v9
	v_add_f32_e32 v29, v21, v9
	v_rcp_f32_e32 v30, v29
	v_sub_f32_e32 v20, v21, v29
	v_add_f32_e32 v21, v22, v23
	v_add_f32_e32 v9, v9, v20
	v_mul_f32_e32 v32, v21, v30
	v_sub_f32_e32 v20, v22, v21
	v_mul_f32_e32 v22, v29, v32
	v_fma_f32 v24, v32, v29, -v22
	v_fmac_f32_e32 v24, v32, v9
	v_add_f32_e32 v31, v23, v20
	v_add_f32_e32 v20, v22, v24
	v_sub_f32_e32 v23, v21, v20
	v_pk_add_f32 v[26:27], v[20:21], v[22:23] neg_lo:[0,1] neg_hi:[0,1]
	v_mov_b32_e32 v25, v20
	v_pk_add_f32 v[20:21], v[26:27], v[24:25] neg_lo:[0,1] neg_hi:[0,1]
	s_mov_b32 s0, 0x3f317218
	v_add_f32_e32 v21, v31, v21
	v_add_f32_e32 v20, v20, v21
	;; [unrolled: 1-line block ×3, first 2 shown]
	v_mul_f32_e32 v31, v30, v21
	v_mul_f32_e32 v22, v29, v31
	v_fma_f32 v24, v31, v29, -v22
	v_fmac_f32_e32 v24, v31, v9
	v_sub_f32_e32 v9, v23, v21
	v_add_f32_e32 v9, v20, v9
	v_add_f32_e32 v20, v22, v24
	v_sub_f32_e32 v23, v21, v20
	v_pk_add_f32 v[26:27], v[20:21], v[22:23] neg_lo:[0,1] neg_hi:[0,1]
	v_mov_b32_e32 v25, v20
	v_pk_add_f32 v[20:21], v[26:27], v[24:25] neg_lo:[0,1] neg_hi:[0,1]
	v_cvt_f32_i32_e32 v22, v28
	v_add_f32_e32 v9, v9, v21
	v_add_f32_e32 v9, v20, v9
	;; [unrolled: 1-line block ×4, first 2 shown]
	v_sub_f32_e32 v21, v20, v32
	v_mul_f32_e32 v9, v30, v9
	v_sub_f32_e32 v21, v31, v21
	v_add_f32_e32 v9, v21, v9
	v_add_f32_e32 v23, v20, v9
	v_mul_f32_e32 v24, v23, v23
	v_mov_b32_e32 v21, 0x3ecc95a3
	v_fmac_f32_e32 v21, 0x3e9b6dac, v24
	v_sub_f32_e32 v20, v23, v20
	v_fmaak_f32 v21, v24, v21, 0x3f2aaada
	v_sub_f32_e32 v9, v9, v20
	v_ldexp_f32 v25, v23, 1
	v_mul_f32_e32 v23, v23, v24
	v_mov_b32_e32 v20, 0x3f317218
	v_pk_mul_f32 v[20:21], v[22:23], v[20:21]
	v_ldexp_f32 v9, v9, 1
	v_fma_f32 v23, v22, s0, -v20
	v_fmamk_f32 v24, v22, 0xb102e308, v23
	v_pk_add_f32 v[22:23], v[20:21], v[24:25]
	v_mov_b32_e32 v26, v20
	v_sub_f32_e32 v25, v23, v25
	v_sub_f32_e32 v25, v21, v25
	v_add_f32_e32 v27, v9, v25
	v_pk_add_f32 v[20:21], v[22:23], v[20:21] neg_lo:[0,1] neg_hi:[0,1]
	v_pk_add_f32 v[28:29], v[22:23], v[26:27]
	v_mov_b32_e32 v25, v22
	v_mov_b32_e32 v21, v29
	v_pk_add_f32 v[30:31], v[24:25], v[20:21] neg_lo:[0,1] neg_hi:[0,1]
	v_pk_add_f32 v[20:21], v[24:25], v[20:21]
	v_mov_b32_e32 v26, v27
	v_pk_add_f32 v[24:25], v[20:21], v[22:23] op_sel:[1,0] op_sel_hi:[0,1] neg_lo:[0,1] neg_hi:[0,1]
	v_pk_add_f32 v[32:33], v[28:29], v[24:25] op_sel_hi:[1,0] neg_lo:[0,1] neg_hi:[0,1]
	v_mov_b32_e32 v28, v29
	v_mov_b32_e32 v29, v21
	v_pk_mov_b32 v[24:25], v[22:23], v[24:25] op_sel:[1,0]
	v_mov_b32_e32 v27, v22
	v_pk_add_f32 v[24:25], v[28:29], v[24:25] neg_lo:[0,1] neg_hi:[0,1]
	v_mov_b32_e32 v32, v30
	v_pk_add_f32 v[22:23], v[26:27], v[24:25] neg_lo:[0,1] neg_hi:[0,1]
	v_mov_b32_e32 v31, v21
	v_pk_add_f32 v[24:25], v[32:33], v[22:23]
	v_cmp_neq_f32_e64 s[0:1], s54, v1
	v_pk_add_f32 v[26:27], v[24:25], v[24:25] op_sel:[0,1] op_sel_hi:[1,0]
	s_nop 0
	v_pk_add_f32 v[20:21], v[20:21], v[26:27] op_sel:[1,0] op_sel_hi:[0,1]
	v_mov_b32_e32 v25, v20
	v_pk_add_f32 v[28:29], v[24:25], v[30:31] neg_lo:[0,1] neg_hi:[0,1]
	v_mov_b32_e32 v23, v26
	v_sub_f32_e32 v9, v24, v28
	v_pk_add_f32 v[22:23], v[22:23], v[28:29] neg_lo:[0,1] neg_hi:[0,1]
	v_sub_f32_e32 v9, v30, v9
	v_add_f32_e32 v9, v22, v9
	v_add_f32_e32 v9, v9, v23
	;; [unrolled: 1-line block ×3, first 2 shown]
	v_cndmask_b32_e64 v9, v18, v9, s[0:1]
	s_mov_b32 s0, 0x33800000
	v_cmp_lt_f32_e64 s[0:1], |v1|, s0
	s_nop 1
	v_cndmask_b32_e64 v1, v9, v1, s[0:1]
	v_add_f32_e32 v1, v17, v1
	v_cvt_f16_f32_e32 v21, v1
	v_cvt_f32_f16_e32 v1, v21
	v_mov_b32_e32 v9, v21
.LBB368_96:
	s_or_b64 exec, exec, s[26:27]
	v_max_f32_e32 v17, v10, v10
	v_max_f32_e32 v20, v1, v1
	v_min_f32_e32 v18, v20, v17
	v_cmp_u_f16_e64 s[0:1], v21, v21
	v_max_f32_e32 v17, v20, v17
	s_nop 0
	v_cndmask_b32_e64 v18, v18, v1, s[0:1]
	v_cndmask_b32_e64 v17, v17, v1, s[0:1]
	;; [unrolled: 1-line block ×4, first 2 shown]
	v_cmp_neq_f32_e64 s[0:1], v18, v17
	v_cmp_class_f32_e64 s[26:27], v18, s33
	s_or_b64 s[0:1], s[0:1], s[26:27]
	v_mov_b32_e32 v10, v9
	s_and_saveexec_b64 s[26:27], s[0:1]
	s_cbranch_execz .LBB368_98
; %bb.97:
	v_sub_f32_e32 v1, v18, v17
	s_mov_b32 s0, 0x3fb8aa3b
	v_mul_f32_e32 v10, 0x3fb8aa3b, v1
	v_fma_f32 v18, v1, s0, -v10
	v_rndne_f32_e32 v20, v10
	v_fmamk_f32 v18, v1, 0x32a5705f, v18
	v_sub_f32_e32 v10, v10, v20
	v_add_f32_e32 v10, v10, v18
	v_exp_f32_e32 v10, v10
	v_cvt_i32_f32_e32 v18, v20
	s_mov_b32 s0, 0xc2ce8ed0
	v_cmp_ngt_f32_e64 s[0:1], s0, v1
	s_mov_b32 s28, 0x7f800000
	v_ldexp_f32 v10, v10, v18
	v_cndmask_b32_e64 v10, 0, v10, s[0:1]
	s_mov_b32 s0, 0x42b17218
	v_mov_b32_e32 v18, 0x7f800000
	v_cmp_nlt_f32_e64 s[0:1], s0, v1
	s_nop 1
	v_cndmask_b32_e64 v1, v18, v10, s[0:1]
	v_add_f32_e32 v10, 1.0, v1
	v_add_f32_e32 v20, -1.0, v10
	v_sub_f32_e32 v21, v20, v10
	v_add_f32_e32 v21, 1.0, v21
	v_sub_f32_e32 v20, v1, v20
	s_waitcnt lgkmcnt(0)
	v_add_f32_e32 v22, v20, v21
	v_frexp_mant_f32_e32 v23, v10
	s_mov_b32 s0, 0x3f2aaaab
	v_cvt_f64_f32_e32 v[20:21], v10
	v_frexp_exp_i32_f64_e32 v20, v[20:21]
	v_cmp_gt_f32_e64 s[0:1], s0, v23
	s_nop 1
	v_subbrev_co_u32_e64 v28, s[0:1], 0, v20, s[0:1]
	v_sub_u32_e32 v20, 0, v28
	v_ldexp_f32 v10, v10, v20
	v_ldexp_f32 v20, v22, v20
	v_add_f32_e32 v22, -1.0, v10
	v_add_f32_e32 v21, 1.0, v22
	v_sub_f32_e32 v21, v10, v21
	v_add_f32_e32 v23, v20, v21
	v_add_f32_e32 v21, 1.0, v10
	v_add_f32_e32 v24, -1.0, v21
	v_sub_f32_e32 v10, v10, v24
	v_add_f32_e32 v10, v20, v10
	v_add_f32_e32 v29, v21, v10
	v_rcp_f32_e32 v30, v29
	v_sub_f32_e32 v20, v21, v29
	v_add_f32_e32 v21, v22, v23
	v_add_f32_e32 v10, v10, v20
	v_mul_f32_e32 v32, v21, v30
	v_sub_f32_e32 v20, v22, v21
	v_mul_f32_e32 v22, v29, v32
	v_fma_f32 v24, v32, v29, -v22
	v_fmac_f32_e32 v24, v32, v10
	v_add_f32_e32 v31, v23, v20
	v_add_f32_e32 v20, v22, v24
	v_sub_f32_e32 v23, v21, v20
	v_pk_add_f32 v[26:27], v[20:21], v[22:23] neg_lo:[0,1] neg_hi:[0,1]
	v_mov_b32_e32 v25, v20
	v_pk_add_f32 v[20:21], v[26:27], v[24:25] neg_lo:[0,1] neg_hi:[0,1]
	s_mov_b32 s0, 0x3f317218
	v_add_f32_e32 v21, v31, v21
	v_add_f32_e32 v20, v20, v21
	;; [unrolled: 1-line block ×3, first 2 shown]
	v_mul_f32_e32 v31, v30, v21
	v_mul_f32_e32 v22, v29, v31
	v_fma_f32 v24, v31, v29, -v22
	v_fmac_f32_e32 v24, v31, v10
	v_sub_f32_e32 v10, v23, v21
	v_add_f32_e32 v10, v20, v10
	v_add_f32_e32 v20, v22, v24
	v_sub_f32_e32 v23, v21, v20
	v_pk_add_f32 v[26:27], v[20:21], v[22:23] neg_lo:[0,1] neg_hi:[0,1]
	v_mov_b32_e32 v25, v20
	v_pk_add_f32 v[20:21], v[26:27], v[24:25] neg_lo:[0,1] neg_hi:[0,1]
	v_cvt_f32_i32_e32 v22, v28
	v_add_f32_e32 v10, v10, v21
	v_add_f32_e32 v10, v20, v10
	;; [unrolled: 1-line block ×4, first 2 shown]
	v_sub_f32_e32 v21, v20, v32
	v_mul_f32_e32 v10, v30, v10
	v_sub_f32_e32 v21, v31, v21
	v_add_f32_e32 v10, v21, v10
	v_add_f32_e32 v23, v20, v10
	v_mul_f32_e32 v24, v23, v23
	v_mov_b32_e32 v21, 0x3ecc95a3
	v_fmac_f32_e32 v21, 0x3e9b6dac, v24
	v_sub_f32_e32 v20, v23, v20
	v_fmaak_f32 v21, v24, v21, 0x3f2aaada
	v_sub_f32_e32 v10, v10, v20
	v_ldexp_f32 v25, v23, 1
	v_mul_f32_e32 v23, v23, v24
	v_mov_b32_e32 v20, 0x3f317218
	v_pk_mul_f32 v[20:21], v[22:23], v[20:21]
	v_ldexp_f32 v10, v10, 1
	v_fma_f32 v23, v22, s0, -v20
	v_fmamk_f32 v24, v22, 0xb102e308, v23
	v_pk_add_f32 v[22:23], v[20:21], v[24:25]
	v_mov_b32_e32 v26, v20
	v_sub_f32_e32 v25, v23, v25
	v_sub_f32_e32 v25, v21, v25
	v_add_f32_e32 v27, v10, v25
	v_pk_add_f32 v[20:21], v[22:23], v[20:21] neg_lo:[0,1] neg_hi:[0,1]
	v_pk_add_f32 v[28:29], v[22:23], v[26:27]
	v_mov_b32_e32 v25, v22
	v_mov_b32_e32 v21, v29
	v_pk_add_f32 v[30:31], v[24:25], v[20:21] neg_lo:[0,1] neg_hi:[0,1]
	v_pk_add_f32 v[20:21], v[24:25], v[20:21]
	v_mov_b32_e32 v26, v27
	v_pk_add_f32 v[24:25], v[20:21], v[22:23] op_sel:[1,0] op_sel_hi:[0,1] neg_lo:[0,1] neg_hi:[0,1]
	v_pk_add_f32 v[32:33], v[28:29], v[24:25] op_sel_hi:[1,0] neg_lo:[0,1] neg_hi:[0,1]
	v_mov_b32_e32 v28, v29
	v_mov_b32_e32 v29, v21
	v_pk_mov_b32 v[24:25], v[22:23], v[24:25] op_sel:[1,0]
	v_mov_b32_e32 v27, v22
	v_pk_add_f32 v[24:25], v[28:29], v[24:25] neg_lo:[0,1] neg_hi:[0,1]
	v_mov_b32_e32 v32, v30
	v_pk_add_f32 v[22:23], v[26:27], v[24:25] neg_lo:[0,1] neg_hi:[0,1]
	v_mov_b32_e32 v31, v21
	v_pk_add_f32 v[24:25], v[32:33], v[22:23]
	v_cmp_neq_f32_e64 s[0:1], s28, v1
	v_pk_add_f32 v[26:27], v[24:25], v[24:25] op_sel:[0,1] op_sel_hi:[1,0]
	s_nop 0
	v_pk_add_f32 v[20:21], v[20:21], v[26:27] op_sel:[1,0] op_sel_hi:[0,1]
	v_mov_b32_e32 v25, v20
	v_pk_add_f32 v[28:29], v[24:25], v[30:31] neg_lo:[0,1] neg_hi:[0,1]
	v_mov_b32_e32 v23, v26
	v_sub_f32_e32 v10, v24, v28
	v_pk_add_f32 v[22:23], v[22:23], v[28:29] neg_lo:[0,1] neg_hi:[0,1]
	v_sub_f32_e32 v10, v30, v10
	v_add_f32_e32 v10, v22, v10
	v_add_f32_e32 v10, v10, v23
	;; [unrolled: 1-line block ×3, first 2 shown]
	v_cndmask_b32_e64 v10, v18, v10, s[0:1]
	s_mov_b32 s0, 0x33800000
	v_cmp_lt_f32_e64 s[0:1], |v1|, s0
	s_nop 1
	v_cndmask_b32_e64 v1, v10, v1, s[0:1]
	v_add_f32_e32 v1, v17, v1
	v_cvt_f16_f32_e32 v21, v1
	v_cvt_f32_f16_e32 v1, v21
	v_mov_b32_e32 v10, v21
.LBB368_98:
	s_or_b64 exec, exec, s[26:27]
	v_max_f32_e32 v17, v11, v11
	v_max_f32_e32 v20, v1, v1
	v_min_f32_e32 v18, v20, v17
	v_cmp_u_f16_e64 s[0:1], v21, v21
	v_max_f32_e32 v17, v20, v17
	s_movk_i32 s28, 0x1f8
	v_cndmask_b32_e64 v18, v18, v1, s[0:1]
	v_cndmask_b32_e64 v17, v17, v1, s[0:1]
	;; [unrolled: 1-line block ×4, first 2 shown]
	v_cmp_neq_f32_e64 s[0:1], v18, v17
	v_cmp_class_f32_e64 s[26:27], v18, s28
	s_or_b64 s[0:1], s[0:1], s[26:27]
	v_mov_b32_e32 v11, v10
	s_and_saveexec_b64 s[26:27], s[0:1]
	s_cbranch_execz .LBB368_100
; %bb.99:
	v_sub_f32_e32 v1, v18, v17
	s_mov_b32 s0, 0x3fb8aa3b
	v_mul_f32_e32 v11, 0x3fb8aa3b, v1
	v_fma_f32 v18, v1, s0, -v11
	v_rndne_f32_e32 v20, v11
	v_fmamk_f32 v18, v1, 0x32a5705f, v18
	v_sub_f32_e32 v11, v11, v20
	v_add_f32_e32 v11, v11, v18
	v_exp_f32_e32 v11, v11
	v_cvt_i32_f32_e32 v18, v20
	s_mov_b32 s0, 0xc2ce8ed0
	v_cmp_ngt_f32_e64 s[0:1], s0, v1
	s_mov_b32 s29, 0x7f800000
	v_ldexp_f32 v11, v11, v18
	v_cndmask_b32_e64 v11, 0, v11, s[0:1]
	s_mov_b32 s0, 0x42b17218
	v_mov_b32_e32 v18, 0x7f800000
	v_cmp_nlt_f32_e64 s[0:1], s0, v1
	s_nop 1
	v_cndmask_b32_e64 v1, v18, v11, s[0:1]
	v_add_f32_e32 v11, 1.0, v1
	v_add_f32_e32 v20, -1.0, v11
	v_sub_f32_e32 v21, v20, v11
	v_add_f32_e32 v21, 1.0, v21
	v_sub_f32_e32 v20, v1, v20
	s_waitcnt lgkmcnt(0)
	v_add_f32_e32 v22, v20, v21
	v_frexp_mant_f32_e32 v23, v11
	s_mov_b32 s0, 0x3f2aaaab
	v_cvt_f64_f32_e32 v[20:21], v11
	v_frexp_exp_i32_f64_e32 v20, v[20:21]
	v_cmp_gt_f32_e64 s[0:1], s0, v23
	s_nop 1
	v_subbrev_co_u32_e64 v28, s[0:1], 0, v20, s[0:1]
	v_sub_u32_e32 v20, 0, v28
	v_ldexp_f32 v11, v11, v20
	v_ldexp_f32 v20, v22, v20
	v_add_f32_e32 v22, -1.0, v11
	v_add_f32_e32 v21, 1.0, v22
	v_sub_f32_e32 v21, v11, v21
	v_add_f32_e32 v23, v20, v21
	v_add_f32_e32 v21, 1.0, v11
	v_add_f32_e32 v24, -1.0, v21
	v_sub_f32_e32 v11, v11, v24
	v_add_f32_e32 v11, v20, v11
	v_add_f32_e32 v29, v21, v11
	v_rcp_f32_e32 v30, v29
	v_sub_f32_e32 v20, v21, v29
	v_add_f32_e32 v21, v22, v23
	v_add_f32_e32 v11, v11, v20
	v_mul_f32_e32 v32, v21, v30
	v_sub_f32_e32 v20, v22, v21
	v_mul_f32_e32 v22, v29, v32
	v_fma_f32 v24, v32, v29, -v22
	v_fmac_f32_e32 v24, v32, v11
	v_add_f32_e32 v31, v23, v20
	v_add_f32_e32 v20, v22, v24
	v_sub_f32_e32 v23, v21, v20
	v_pk_add_f32 v[26:27], v[20:21], v[22:23] neg_lo:[0,1] neg_hi:[0,1]
	v_mov_b32_e32 v25, v20
	v_pk_add_f32 v[20:21], v[26:27], v[24:25] neg_lo:[0,1] neg_hi:[0,1]
	s_mov_b32 s0, 0x3f317218
	v_add_f32_e32 v21, v31, v21
	v_add_f32_e32 v20, v20, v21
	v_add_f32_e32 v21, v23, v20
	v_mul_f32_e32 v31, v30, v21
	v_mul_f32_e32 v22, v29, v31
	v_fma_f32 v24, v31, v29, -v22
	v_fmac_f32_e32 v24, v31, v11
	v_sub_f32_e32 v11, v23, v21
	v_add_f32_e32 v11, v20, v11
	v_add_f32_e32 v20, v22, v24
	v_sub_f32_e32 v23, v21, v20
	v_pk_add_f32 v[26:27], v[20:21], v[22:23] neg_lo:[0,1] neg_hi:[0,1]
	v_mov_b32_e32 v25, v20
	v_pk_add_f32 v[20:21], v[26:27], v[24:25] neg_lo:[0,1] neg_hi:[0,1]
	v_cvt_f32_i32_e32 v22, v28
	v_add_f32_e32 v11, v11, v21
	v_add_f32_e32 v11, v20, v11
	;; [unrolled: 1-line block ×4, first 2 shown]
	v_sub_f32_e32 v21, v20, v32
	v_mul_f32_e32 v11, v30, v11
	v_sub_f32_e32 v21, v31, v21
	v_add_f32_e32 v11, v21, v11
	v_add_f32_e32 v23, v20, v11
	v_mul_f32_e32 v24, v23, v23
	v_mov_b32_e32 v21, 0x3ecc95a3
	v_fmac_f32_e32 v21, 0x3e9b6dac, v24
	v_sub_f32_e32 v20, v23, v20
	v_fmaak_f32 v21, v24, v21, 0x3f2aaada
	v_sub_f32_e32 v11, v11, v20
	v_ldexp_f32 v25, v23, 1
	v_mul_f32_e32 v23, v23, v24
	v_mov_b32_e32 v20, 0x3f317218
	v_pk_mul_f32 v[20:21], v[22:23], v[20:21]
	v_ldexp_f32 v11, v11, 1
	v_fma_f32 v23, v22, s0, -v20
	v_fmamk_f32 v24, v22, 0xb102e308, v23
	v_pk_add_f32 v[22:23], v[20:21], v[24:25]
	v_mov_b32_e32 v26, v20
	v_sub_f32_e32 v25, v23, v25
	v_sub_f32_e32 v25, v21, v25
	v_add_f32_e32 v27, v11, v25
	v_pk_add_f32 v[20:21], v[22:23], v[20:21] neg_lo:[0,1] neg_hi:[0,1]
	v_pk_add_f32 v[28:29], v[22:23], v[26:27]
	v_mov_b32_e32 v25, v22
	v_mov_b32_e32 v21, v29
	v_pk_add_f32 v[30:31], v[24:25], v[20:21] neg_lo:[0,1] neg_hi:[0,1]
	v_pk_add_f32 v[20:21], v[24:25], v[20:21]
	v_mov_b32_e32 v26, v27
	v_pk_add_f32 v[24:25], v[20:21], v[22:23] op_sel:[1,0] op_sel_hi:[0,1] neg_lo:[0,1] neg_hi:[0,1]
	v_pk_add_f32 v[32:33], v[28:29], v[24:25] op_sel_hi:[1,0] neg_lo:[0,1] neg_hi:[0,1]
	v_mov_b32_e32 v28, v29
	v_mov_b32_e32 v29, v21
	v_pk_mov_b32 v[24:25], v[22:23], v[24:25] op_sel:[1,0]
	v_mov_b32_e32 v27, v22
	v_pk_add_f32 v[24:25], v[28:29], v[24:25] neg_lo:[0,1] neg_hi:[0,1]
	v_mov_b32_e32 v32, v30
	v_pk_add_f32 v[22:23], v[26:27], v[24:25] neg_lo:[0,1] neg_hi:[0,1]
	v_mov_b32_e32 v31, v21
	v_pk_add_f32 v[24:25], v[32:33], v[22:23]
	v_cmp_neq_f32_e64 s[0:1], s29, v1
	v_pk_add_f32 v[26:27], v[24:25], v[24:25] op_sel:[0,1] op_sel_hi:[1,0]
	s_nop 0
	v_pk_add_f32 v[20:21], v[20:21], v[26:27] op_sel:[1,0] op_sel_hi:[0,1]
	v_mov_b32_e32 v25, v20
	v_pk_add_f32 v[28:29], v[24:25], v[30:31] neg_lo:[0,1] neg_hi:[0,1]
	v_mov_b32_e32 v23, v26
	v_sub_f32_e32 v11, v24, v28
	v_pk_add_f32 v[22:23], v[22:23], v[28:29] neg_lo:[0,1] neg_hi:[0,1]
	v_sub_f32_e32 v11, v30, v11
	v_add_f32_e32 v11, v22, v11
	v_add_f32_e32 v11, v11, v23
	;; [unrolled: 1-line block ×3, first 2 shown]
	v_cndmask_b32_e64 v11, v18, v11, s[0:1]
	s_mov_b32 s0, 0x33800000
	v_cmp_lt_f32_e64 s[0:1], |v1|, s0
	s_nop 1
	v_cndmask_b32_e64 v1, v11, v1, s[0:1]
	v_add_f32_e32 v1, v17, v1
	v_cvt_f16_f32_e32 v21, v1
	v_cvt_f32_f16_e32 v1, v21
	v_mov_b32_e32 v11, v21
.LBB368_100:
	s_or_b64 exec, exec, s[26:27]
	v_max_f32_e32 v17, v3, v3
	v_max_f32_e32 v20, v1, v1
	v_min_f32_e32 v18, v20, v17
	v_cmp_u_f16_e64 s[0:1], v21, v21
	v_max_f32_e32 v17, v20, v17
	s_nop 0
	v_cndmask_b32_e64 v18, v18, v1, s[0:1]
	v_cndmask_b32_e64 v17, v17, v1, s[0:1]
	;; [unrolled: 1-line block ×4, first 2 shown]
	v_cmp_neq_f32_e64 s[0:1], v18, v17
	v_cmp_class_f32_e64 s[26:27], v18, s28
	s_or_b64 s[0:1], s[0:1], s[26:27]
	v_mov_b32_e32 v3, v11
	s_and_saveexec_b64 s[26:27], s[0:1]
	s_cbranch_execz .LBB368_102
; %bb.101:
	v_sub_f32_e32 v1, v18, v17
	s_mov_b32 s0, 0x3fb8aa3b
	v_mul_f32_e32 v3, 0x3fb8aa3b, v1
	v_fma_f32 v18, v1, s0, -v3
	v_rndne_f32_e32 v20, v3
	v_fmamk_f32 v18, v1, 0x32a5705f, v18
	v_sub_f32_e32 v3, v3, v20
	v_add_f32_e32 v3, v3, v18
	v_exp_f32_e32 v3, v3
	v_cvt_i32_f32_e32 v18, v20
	s_mov_b32 s0, 0xc2ce8ed0
	v_cmp_ngt_f32_e64 s[0:1], s0, v1
	s_mov_b32 s28, 0x7f800000
	v_ldexp_f32 v3, v3, v18
	v_cndmask_b32_e64 v3, 0, v3, s[0:1]
	s_mov_b32 s0, 0x42b17218
	v_mov_b32_e32 v18, 0x7f800000
	v_cmp_nlt_f32_e64 s[0:1], s0, v1
	s_nop 1
	v_cndmask_b32_e64 v1, v18, v3, s[0:1]
	v_add_f32_e32 v3, 1.0, v1
	v_add_f32_e32 v20, -1.0, v3
	v_sub_f32_e32 v21, v20, v3
	v_add_f32_e32 v21, 1.0, v21
	v_sub_f32_e32 v20, v1, v20
	s_waitcnt lgkmcnt(0)
	v_add_f32_e32 v22, v20, v21
	v_frexp_mant_f32_e32 v23, v3
	s_mov_b32 s0, 0x3f2aaaab
	v_cvt_f64_f32_e32 v[20:21], v3
	v_frexp_exp_i32_f64_e32 v20, v[20:21]
	v_cmp_gt_f32_e64 s[0:1], s0, v23
	s_nop 1
	v_subbrev_co_u32_e64 v28, s[0:1], 0, v20, s[0:1]
	v_sub_u32_e32 v20, 0, v28
	v_ldexp_f32 v3, v3, v20
	v_ldexp_f32 v20, v22, v20
	v_add_f32_e32 v22, -1.0, v3
	v_add_f32_e32 v21, 1.0, v22
	v_sub_f32_e32 v21, v3, v21
	v_add_f32_e32 v23, v20, v21
	v_add_f32_e32 v21, 1.0, v3
	v_add_f32_e32 v24, -1.0, v21
	v_sub_f32_e32 v3, v3, v24
	v_add_f32_e32 v3, v20, v3
	v_add_f32_e32 v29, v21, v3
	v_rcp_f32_e32 v30, v29
	v_sub_f32_e32 v20, v21, v29
	v_add_f32_e32 v21, v22, v23
	v_add_f32_e32 v3, v3, v20
	v_mul_f32_e32 v32, v21, v30
	v_sub_f32_e32 v20, v22, v21
	v_mul_f32_e32 v22, v29, v32
	v_fma_f32 v24, v32, v29, -v22
	v_fmac_f32_e32 v24, v32, v3
	v_add_f32_e32 v31, v23, v20
	v_add_f32_e32 v20, v22, v24
	v_sub_f32_e32 v23, v21, v20
	v_pk_add_f32 v[26:27], v[20:21], v[22:23] neg_lo:[0,1] neg_hi:[0,1]
	v_mov_b32_e32 v25, v20
	v_pk_add_f32 v[20:21], v[26:27], v[24:25] neg_lo:[0,1] neg_hi:[0,1]
	s_mov_b32 s0, 0x3f317218
	v_add_f32_e32 v21, v31, v21
	v_add_f32_e32 v20, v20, v21
	v_add_f32_e32 v21, v23, v20
	v_mul_f32_e32 v31, v30, v21
	v_mul_f32_e32 v22, v29, v31
	v_fma_f32 v24, v31, v29, -v22
	v_fmac_f32_e32 v24, v31, v3
	v_sub_f32_e32 v3, v23, v21
	v_add_f32_e32 v3, v20, v3
	v_add_f32_e32 v20, v22, v24
	v_sub_f32_e32 v23, v21, v20
	v_pk_add_f32 v[26:27], v[20:21], v[22:23] neg_lo:[0,1] neg_hi:[0,1]
	v_mov_b32_e32 v25, v20
	v_pk_add_f32 v[20:21], v[26:27], v[24:25] neg_lo:[0,1] neg_hi:[0,1]
	v_cvt_f32_i32_e32 v22, v28
	v_add_f32_e32 v3, v3, v21
	v_add_f32_e32 v3, v20, v3
	v_add_f32_e32 v20, v32, v31
	v_add_f32_e32 v3, v23, v3
	v_sub_f32_e32 v21, v20, v32
	v_mul_f32_e32 v3, v30, v3
	v_sub_f32_e32 v21, v31, v21
	v_add_f32_e32 v3, v21, v3
	v_add_f32_e32 v23, v20, v3
	v_mul_f32_e32 v24, v23, v23
	v_mov_b32_e32 v21, 0x3ecc95a3
	v_fmac_f32_e32 v21, 0x3e9b6dac, v24
	v_sub_f32_e32 v20, v23, v20
	v_fmaak_f32 v21, v24, v21, 0x3f2aaada
	v_sub_f32_e32 v3, v3, v20
	v_ldexp_f32 v25, v23, 1
	v_mul_f32_e32 v23, v23, v24
	v_mov_b32_e32 v20, 0x3f317218
	v_pk_mul_f32 v[20:21], v[22:23], v[20:21]
	v_ldexp_f32 v3, v3, 1
	v_fma_f32 v23, v22, s0, -v20
	v_fmamk_f32 v24, v22, 0xb102e308, v23
	v_pk_add_f32 v[22:23], v[20:21], v[24:25]
	v_mov_b32_e32 v26, v20
	v_sub_f32_e32 v25, v23, v25
	v_sub_f32_e32 v25, v21, v25
	v_add_f32_e32 v27, v3, v25
	v_pk_add_f32 v[20:21], v[22:23], v[20:21] neg_lo:[0,1] neg_hi:[0,1]
	v_pk_add_f32 v[28:29], v[22:23], v[26:27]
	v_mov_b32_e32 v25, v22
	v_mov_b32_e32 v21, v29
	v_pk_add_f32 v[30:31], v[24:25], v[20:21] neg_lo:[0,1] neg_hi:[0,1]
	v_pk_add_f32 v[20:21], v[24:25], v[20:21]
	v_mov_b32_e32 v26, v27
	v_pk_add_f32 v[24:25], v[20:21], v[22:23] op_sel:[1,0] op_sel_hi:[0,1] neg_lo:[0,1] neg_hi:[0,1]
	v_pk_add_f32 v[32:33], v[28:29], v[24:25] op_sel_hi:[1,0] neg_lo:[0,1] neg_hi:[0,1]
	v_mov_b32_e32 v28, v29
	v_mov_b32_e32 v29, v21
	v_pk_mov_b32 v[24:25], v[22:23], v[24:25] op_sel:[1,0]
	v_mov_b32_e32 v27, v22
	v_pk_add_f32 v[24:25], v[28:29], v[24:25] neg_lo:[0,1] neg_hi:[0,1]
	v_mov_b32_e32 v32, v30
	v_pk_add_f32 v[22:23], v[26:27], v[24:25] neg_lo:[0,1] neg_hi:[0,1]
	v_mov_b32_e32 v31, v21
	v_pk_add_f32 v[24:25], v[32:33], v[22:23]
	v_cmp_neq_f32_e64 s[0:1], s28, v1
	v_pk_add_f32 v[26:27], v[24:25], v[24:25] op_sel:[0,1] op_sel_hi:[1,0]
	s_nop 0
	v_pk_add_f32 v[20:21], v[20:21], v[26:27] op_sel:[1,0] op_sel_hi:[0,1]
	v_mov_b32_e32 v25, v20
	v_pk_add_f32 v[28:29], v[24:25], v[30:31] neg_lo:[0,1] neg_hi:[0,1]
	v_mov_b32_e32 v23, v26
	v_sub_f32_e32 v3, v24, v28
	v_pk_add_f32 v[22:23], v[22:23], v[28:29] neg_lo:[0,1] neg_hi:[0,1]
	v_sub_f32_e32 v3, v30, v3
	v_add_f32_e32 v3, v22, v3
	v_add_f32_e32 v3, v3, v23
	;; [unrolled: 1-line block ×3, first 2 shown]
	v_cndmask_b32_e64 v3, v18, v3, s[0:1]
	s_mov_b32 s0, 0x33800000
	v_cmp_lt_f32_e64 s[0:1], |v1|, s0
	s_nop 1
	v_cndmask_b32_e64 v1, v3, v1, s[0:1]
	v_add_f32_e32 v1, v17, v1
	v_cvt_f16_f32_e32 v21, v1
	v_cvt_f32_f16_e32 v1, v21
	v_mov_b32_e32 v3, v21
.LBB368_102:
	s_or_b64 exec, exec, s[26:27]
	v_max_f32_e32 v17, v12, v12
	v_max_f32_e32 v20, v1, v1
	v_min_f32_e32 v18, v20, v17
	v_cmp_u_f16_e64 s[0:1], v21, v21
	v_max_f32_e32 v17, v20, v17
	s_movk_i32 s28, 0x1f8
	v_cndmask_b32_e64 v18, v18, v1, s[0:1]
	v_cndmask_b32_e64 v17, v17, v1, s[0:1]
	;; [unrolled: 1-line block ×4, first 2 shown]
	v_cmp_neq_f32_e64 s[0:1], v18, v17
	v_cmp_class_f32_e64 s[26:27], v18, s28
	s_or_b64 s[0:1], s[0:1], s[26:27]
	v_mov_b32_e32 v12, v3
	s_and_saveexec_b64 s[26:27], s[0:1]
	s_cbranch_execz .LBB368_104
; %bb.103:
	v_sub_f32_e32 v1, v18, v17
	s_mov_b32 s0, 0x3fb8aa3b
	v_mul_f32_e32 v12, 0x3fb8aa3b, v1
	v_fma_f32 v18, v1, s0, -v12
	v_rndne_f32_e32 v20, v12
	v_fmamk_f32 v18, v1, 0x32a5705f, v18
	v_sub_f32_e32 v12, v12, v20
	v_add_f32_e32 v12, v12, v18
	v_exp_f32_e32 v12, v12
	v_cvt_i32_f32_e32 v18, v20
	s_mov_b32 s0, 0xc2ce8ed0
	v_cmp_ngt_f32_e64 s[0:1], s0, v1
	s_mov_b32 s29, 0x7f800000
	v_ldexp_f32 v12, v12, v18
	v_cndmask_b32_e64 v12, 0, v12, s[0:1]
	s_mov_b32 s0, 0x42b17218
	v_mov_b32_e32 v18, 0x7f800000
	v_cmp_nlt_f32_e64 s[0:1], s0, v1
	s_nop 1
	v_cndmask_b32_e64 v1, v18, v12, s[0:1]
	v_add_f32_e32 v12, 1.0, v1
	v_add_f32_e32 v20, -1.0, v12
	v_sub_f32_e32 v21, v20, v12
	v_add_f32_e32 v21, 1.0, v21
	v_sub_f32_e32 v20, v1, v20
	s_waitcnt lgkmcnt(0)
	v_add_f32_e32 v22, v20, v21
	v_frexp_mant_f32_e32 v23, v12
	s_mov_b32 s0, 0x3f2aaaab
	v_cvt_f64_f32_e32 v[20:21], v12
	v_frexp_exp_i32_f64_e32 v20, v[20:21]
	v_cmp_gt_f32_e64 s[0:1], s0, v23
	s_nop 1
	v_subbrev_co_u32_e64 v28, s[0:1], 0, v20, s[0:1]
	v_sub_u32_e32 v20, 0, v28
	v_ldexp_f32 v12, v12, v20
	v_ldexp_f32 v20, v22, v20
	v_add_f32_e32 v22, -1.0, v12
	v_add_f32_e32 v21, 1.0, v22
	v_sub_f32_e32 v21, v12, v21
	v_add_f32_e32 v23, v20, v21
	v_add_f32_e32 v21, 1.0, v12
	v_add_f32_e32 v24, -1.0, v21
	v_sub_f32_e32 v12, v12, v24
	v_add_f32_e32 v12, v20, v12
	v_add_f32_e32 v29, v21, v12
	v_rcp_f32_e32 v30, v29
	v_sub_f32_e32 v20, v21, v29
	v_add_f32_e32 v21, v22, v23
	v_add_f32_e32 v12, v12, v20
	v_mul_f32_e32 v32, v21, v30
	v_sub_f32_e32 v20, v22, v21
	v_mul_f32_e32 v22, v29, v32
	v_fma_f32 v24, v32, v29, -v22
	v_fmac_f32_e32 v24, v32, v12
	v_add_f32_e32 v31, v23, v20
	v_add_f32_e32 v20, v22, v24
	v_sub_f32_e32 v23, v21, v20
	v_pk_add_f32 v[26:27], v[20:21], v[22:23] neg_lo:[0,1] neg_hi:[0,1]
	v_mov_b32_e32 v25, v20
	v_pk_add_f32 v[20:21], v[26:27], v[24:25] neg_lo:[0,1] neg_hi:[0,1]
	s_mov_b32 s0, 0x3f317218
	v_add_f32_e32 v21, v31, v21
	v_add_f32_e32 v20, v20, v21
	;; [unrolled: 1-line block ×3, first 2 shown]
	v_mul_f32_e32 v31, v30, v21
	v_mul_f32_e32 v22, v29, v31
	v_fma_f32 v24, v31, v29, -v22
	v_fmac_f32_e32 v24, v31, v12
	v_sub_f32_e32 v12, v23, v21
	v_add_f32_e32 v12, v20, v12
	v_add_f32_e32 v20, v22, v24
	v_sub_f32_e32 v23, v21, v20
	v_pk_add_f32 v[26:27], v[20:21], v[22:23] neg_lo:[0,1] neg_hi:[0,1]
	v_mov_b32_e32 v25, v20
	v_pk_add_f32 v[20:21], v[26:27], v[24:25] neg_lo:[0,1] neg_hi:[0,1]
	v_cvt_f32_i32_e32 v22, v28
	v_add_f32_e32 v12, v12, v21
	v_add_f32_e32 v12, v20, v12
	;; [unrolled: 1-line block ×4, first 2 shown]
	v_sub_f32_e32 v21, v20, v32
	v_mul_f32_e32 v12, v30, v12
	v_sub_f32_e32 v21, v31, v21
	v_add_f32_e32 v12, v21, v12
	v_add_f32_e32 v23, v20, v12
	v_mul_f32_e32 v24, v23, v23
	v_mov_b32_e32 v21, 0x3ecc95a3
	v_fmac_f32_e32 v21, 0x3e9b6dac, v24
	v_sub_f32_e32 v20, v23, v20
	v_fmaak_f32 v21, v24, v21, 0x3f2aaada
	v_sub_f32_e32 v12, v12, v20
	v_ldexp_f32 v25, v23, 1
	v_mul_f32_e32 v23, v23, v24
	v_mov_b32_e32 v20, 0x3f317218
	v_pk_mul_f32 v[20:21], v[22:23], v[20:21]
	v_ldexp_f32 v12, v12, 1
	v_fma_f32 v23, v22, s0, -v20
	v_fmamk_f32 v24, v22, 0xb102e308, v23
	v_pk_add_f32 v[22:23], v[20:21], v[24:25]
	v_mov_b32_e32 v26, v20
	v_sub_f32_e32 v25, v23, v25
	v_sub_f32_e32 v25, v21, v25
	v_add_f32_e32 v27, v12, v25
	v_pk_add_f32 v[20:21], v[22:23], v[20:21] neg_lo:[0,1] neg_hi:[0,1]
	v_pk_add_f32 v[28:29], v[22:23], v[26:27]
	v_mov_b32_e32 v25, v22
	v_mov_b32_e32 v21, v29
	v_pk_add_f32 v[30:31], v[24:25], v[20:21] neg_lo:[0,1] neg_hi:[0,1]
	v_pk_add_f32 v[20:21], v[24:25], v[20:21]
	v_mov_b32_e32 v26, v27
	v_pk_add_f32 v[24:25], v[20:21], v[22:23] op_sel:[1,0] op_sel_hi:[0,1] neg_lo:[0,1] neg_hi:[0,1]
	v_pk_add_f32 v[32:33], v[28:29], v[24:25] op_sel_hi:[1,0] neg_lo:[0,1] neg_hi:[0,1]
	v_mov_b32_e32 v28, v29
	v_mov_b32_e32 v29, v21
	v_pk_mov_b32 v[24:25], v[22:23], v[24:25] op_sel:[1,0]
	v_mov_b32_e32 v27, v22
	v_pk_add_f32 v[24:25], v[28:29], v[24:25] neg_lo:[0,1] neg_hi:[0,1]
	v_mov_b32_e32 v32, v30
	v_pk_add_f32 v[22:23], v[26:27], v[24:25] neg_lo:[0,1] neg_hi:[0,1]
	v_mov_b32_e32 v31, v21
	v_pk_add_f32 v[24:25], v[32:33], v[22:23]
	v_cmp_neq_f32_e64 s[0:1], s29, v1
	v_pk_add_f32 v[26:27], v[24:25], v[24:25] op_sel:[0,1] op_sel_hi:[1,0]
	s_nop 0
	v_pk_add_f32 v[20:21], v[20:21], v[26:27] op_sel:[1,0] op_sel_hi:[0,1]
	v_mov_b32_e32 v25, v20
	v_pk_add_f32 v[28:29], v[24:25], v[30:31] neg_lo:[0,1] neg_hi:[0,1]
	v_mov_b32_e32 v23, v26
	v_sub_f32_e32 v12, v24, v28
	v_pk_add_f32 v[22:23], v[22:23], v[28:29] neg_lo:[0,1] neg_hi:[0,1]
	v_sub_f32_e32 v12, v30, v12
	v_add_f32_e32 v12, v22, v12
	v_add_f32_e32 v12, v12, v23
	;; [unrolled: 1-line block ×3, first 2 shown]
	v_cndmask_b32_e64 v12, v18, v12, s[0:1]
	s_mov_b32 s0, 0x33800000
	v_cmp_lt_f32_e64 s[0:1], |v1|, s0
	s_nop 1
	v_cndmask_b32_e64 v1, v12, v1, s[0:1]
	v_add_f32_e32 v1, v17, v1
	v_cvt_f16_f32_e32 v21, v1
	v_cvt_f32_f16_e32 v1, v21
	v_mov_b32_e32 v12, v21
.LBB368_104:
	s_or_b64 exec, exec, s[26:27]
	v_max_f32_e32 v17, v6, v6
	v_max_f32_e32 v20, v1, v1
	v_min_f32_e32 v18, v20, v17
	v_cmp_u_f16_e64 s[0:1], v21, v21
	v_max_f32_e32 v17, v20, v17
	s_nop 0
	v_cndmask_b32_e64 v18, v18, v1, s[0:1]
	v_cndmask_b32_e64 v17, v17, v1, s[0:1]
	;; [unrolled: 1-line block ×4, first 2 shown]
	v_cmp_neq_f32_e64 s[0:1], v18, v17
	v_cmp_class_f32_e64 s[26:27], v18, s28
	s_or_b64 s[0:1], s[0:1], s[26:27]
	v_mov_b32_e32 v6, v12
	s_and_saveexec_b64 s[26:27], s[0:1]
	s_cbranch_execz .LBB368_106
; %bb.105:
	v_sub_f32_e32 v1, v18, v17
	s_mov_b32 s0, 0x3fb8aa3b
	v_mul_f32_e32 v6, 0x3fb8aa3b, v1
	v_fma_f32 v18, v1, s0, -v6
	v_rndne_f32_e32 v20, v6
	v_fmamk_f32 v18, v1, 0x32a5705f, v18
	v_sub_f32_e32 v6, v6, v20
	v_add_f32_e32 v6, v6, v18
	v_exp_f32_e32 v6, v6
	v_cvt_i32_f32_e32 v18, v20
	s_mov_b32 s0, 0xc2ce8ed0
	v_cmp_ngt_f32_e64 s[0:1], s0, v1
	s_mov_b32 s28, 0x7f800000
	v_ldexp_f32 v6, v6, v18
	v_cndmask_b32_e64 v6, 0, v6, s[0:1]
	s_mov_b32 s0, 0x42b17218
	v_mov_b32_e32 v18, 0x7f800000
	v_cmp_nlt_f32_e64 s[0:1], s0, v1
	s_nop 1
	v_cndmask_b32_e64 v1, v18, v6, s[0:1]
	v_add_f32_e32 v6, 1.0, v1
	v_add_f32_e32 v20, -1.0, v6
	v_sub_f32_e32 v21, v20, v6
	v_add_f32_e32 v21, 1.0, v21
	v_sub_f32_e32 v20, v1, v20
	s_waitcnt lgkmcnt(0)
	v_add_f32_e32 v22, v20, v21
	v_frexp_mant_f32_e32 v23, v6
	s_mov_b32 s0, 0x3f2aaaab
	v_cvt_f64_f32_e32 v[20:21], v6
	v_frexp_exp_i32_f64_e32 v20, v[20:21]
	v_cmp_gt_f32_e64 s[0:1], s0, v23
	s_nop 1
	v_subbrev_co_u32_e64 v28, s[0:1], 0, v20, s[0:1]
	v_sub_u32_e32 v20, 0, v28
	v_ldexp_f32 v6, v6, v20
	v_ldexp_f32 v20, v22, v20
	v_add_f32_e32 v22, -1.0, v6
	v_add_f32_e32 v21, 1.0, v22
	v_sub_f32_e32 v21, v6, v21
	v_add_f32_e32 v23, v20, v21
	v_add_f32_e32 v21, 1.0, v6
	v_add_f32_e32 v24, -1.0, v21
	v_sub_f32_e32 v6, v6, v24
	v_add_f32_e32 v6, v20, v6
	v_add_f32_e32 v29, v21, v6
	v_rcp_f32_e32 v30, v29
	v_sub_f32_e32 v20, v21, v29
	v_add_f32_e32 v21, v22, v23
	v_add_f32_e32 v6, v6, v20
	v_mul_f32_e32 v32, v21, v30
	v_sub_f32_e32 v20, v22, v21
	v_mul_f32_e32 v22, v29, v32
	v_fma_f32 v24, v32, v29, -v22
	v_fmac_f32_e32 v24, v32, v6
	v_add_f32_e32 v31, v23, v20
	v_add_f32_e32 v20, v22, v24
	v_sub_f32_e32 v23, v21, v20
	v_pk_add_f32 v[26:27], v[20:21], v[22:23] neg_lo:[0,1] neg_hi:[0,1]
	v_mov_b32_e32 v25, v20
	v_pk_add_f32 v[20:21], v[26:27], v[24:25] neg_lo:[0,1] neg_hi:[0,1]
	s_mov_b32 s0, 0x3f317218
	v_add_f32_e32 v21, v31, v21
	v_add_f32_e32 v20, v20, v21
	;; [unrolled: 1-line block ×3, first 2 shown]
	v_mul_f32_e32 v31, v30, v21
	v_mul_f32_e32 v22, v29, v31
	v_fma_f32 v24, v31, v29, -v22
	v_fmac_f32_e32 v24, v31, v6
	v_sub_f32_e32 v6, v23, v21
	v_add_f32_e32 v6, v20, v6
	v_add_f32_e32 v20, v22, v24
	v_sub_f32_e32 v23, v21, v20
	v_pk_add_f32 v[26:27], v[20:21], v[22:23] neg_lo:[0,1] neg_hi:[0,1]
	v_mov_b32_e32 v25, v20
	v_pk_add_f32 v[20:21], v[26:27], v[24:25] neg_lo:[0,1] neg_hi:[0,1]
	v_cvt_f32_i32_e32 v22, v28
	v_add_f32_e32 v6, v6, v21
	v_add_f32_e32 v6, v20, v6
	;; [unrolled: 1-line block ×4, first 2 shown]
	v_sub_f32_e32 v21, v20, v32
	v_mul_f32_e32 v6, v30, v6
	v_sub_f32_e32 v21, v31, v21
	v_add_f32_e32 v6, v21, v6
	v_add_f32_e32 v23, v20, v6
	v_mul_f32_e32 v24, v23, v23
	v_mov_b32_e32 v21, 0x3ecc95a3
	v_fmac_f32_e32 v21, 0x3e9b6dac, v24
	v_sub_f32_e32 v20, v23, v20
	v_fmaak_f32 v21, v24, v21, 0x3f2aaada
	v_sub_f32_e32 v6, v6, v20
	v_ldexp_f32 v25, v23, 1
	v_mul_f32_e32 v23, v23, v24
	v_mov_b32_e32 v20, 0x3f317218
	v_pk_mul_f32 v[20:21], v[22:23], v[20:21]
	v_ldexp_f32 v6, v6, 1
	v_fma_f32 v23, v22, s0, -v20
	v_fmamk_f32 v24, v22, 0xb102e308, v23
	v_pk_add_f32 v[22:23], v[20:21], v[24:25]
	v_mov_b32_e32 v26, v20
	v_sub_f32_e32 v25, v23, v25
	v_sub_f32_e32 v25, v21, v25
	v_add_f32_e32 v27, v6, v25
	v_pk_add_f32 v[20:21], v[22:23], v[20:21] neg_lo:[0,1] neg_hi:[0,1]
	v_pk_add_f32 v[28:29], v[22:23], v[26:27]
	v_mov_b32_e32 v25, v22
	v_mov_b32_e32 v21, v29
	v_pk_add_f32 v[30:31], v[24:25], v[20:21] neg_lo:[0,1] neg_hi:[0,1]
	v_pk_add_f32 v[20:21], v[24:25], v[20:21]
	v_mov_b32_e32 v26, v27
	v_pk_add_f32 v[24:25], v[20:21], v[22:23] op_sel:[1,0] op_sel_hi:[0,1] neg_lo:[0,1] neg_hi:[0,1]
	v_pk_add_f32 v[32:33], v[28:29], v[24:25] op_sel_hi:[1,0] neg_lo:[0,1] neg_hi:[0,1]
	v_mov_b32_e32 v28, v29
	v_mov_b32_e32 v29, v21
	v_pk_mov_b32 v[24:25], v[22:23], v[24:25] op_sel:[1,0]
	v_mov_b32_e32 v27, v22
	v_pk_add_f32 v[24:25], v[28:29], v[24:25] neg_lo:[0,1] neg_hi:[0,1]
	v_mov_b32_e32 v32, v30
	v_pk_add_f32 v[22:23], v[26:27], v[24:25] neg_lo:[0,1] neg_hi:[0,1]
	v_mov_b32_e32 v31, v21
	v_pk_add_f32 v[24:25], v[32:33], v[22:23]
	v_cmp_neq_f32_e64 s[0:1], s28, v1
	v_pk_add_f32 v[26:27], v[24:25], v[24:25] op_sel:[0,1] op_sel_hi:[1,0]
	s_nop 0
	v_pk_add_f32 v[20:21], v[20:21], v[26:27] op_sel:[1,0] op_sel_hi:[0,1]
	v_mov_b32_e32 v25, v20
	v_pk_add_f32 v[28:29], v[24:25], v[30:31] neg_lo:[0,1] neg_hi:[0,1]
	v_mov_b32_e32 v23, v26
	v_sub_f32_e32 v6, v24, v28
	v_pk_add_f32 v[22:23], v[22:23], v[28:29] neg_lo:[0,1] neg_hi:[0,1]
	v_sub_f32_e32 v6, v30, v6
	v_add_f32_e32 v6, v22, v6
	v_add_f32_e32 v6, v6, v23
	;; [unrolled: 1-line block ×3, first 2 shown]
	v_cndmask_b32_e64 v6, v18, v6, s[0:1]
	s_mov_b32 s0, 0x33800000
	v_cmp_lt_f32_e64 s[0:1], |v1|, s0
	s_nop 1
	v_cndmask_b32_e64 v1, v6, v1, s[0:1]
	v_add_f32_e32 v1, v17, v1
	v_cvt_f16_f32_e32 v21, v1
	v_cvt_f32_f16_e32 v1, v21
	v_mov_b32_e32 v6, v21
.LBB368_106:
	s_or_b64 exec, exec, s[26:27]
	v_max_f32_e32 v17, v13, v13
	v_max_f32_e32 v20, v1, v1
	v_min_f32_e32 v18, v20, v17
	v_cmp_u_f16_e64 s[0:1], v21, v21
	v_max_f32_e32 v17, v20, v17
	s_movk_i32 s28, 0x1f8
	v_cndmask_b32_e64 v18, v18, v1, s[0:1]
	v_cndmask_b32_e64 v17, v17, v1, s[0:1]
	v_cndmask_b32_e64 v18, v18, v13, s[40:41]
	v_cndmask_b32_e64 v17, v17, v13, s[40:41]
	v_cmp_neq_f32_e64 s[0:1], v18, v17
	v_cmp_class_f32_e64 s[26:27], v18, s28
	s_or_b64 s[0:1], s[0:1], s[26:27]
	v_mov_b32_e32 v13, v6
	s_and_saveexec_b64 s[26:27], s[0:1]
	s_cbranch_execz .LBB368_108
; %bb.107:
	v_sub_f32_e32 v1, v18, v17
	s_mov_b32 s0, 0x3fb8aa3b
	v_mul_f32_e32 v13, 0x3fb8aa3b, v1
	v_fma_f32 v18, v1, s0, -v13
	v_rndne_f32_e32 v20, v13
	v_fmamk_f32 v18, v1, 0x32a5705f, v18
	v_sub_f32_e32 v13, v13, v20
	v_add_f32_e32 v13, v13, v18
	v_exp_f32_e32 v13, v13
	v_cvt_i32_f32_e32 v18, v20
	s_mov_b32 s0, 0xc2ce8ed0
	v_cmp_ngt_f32_e64 s[0:1], s0, v1
	s_mov_b32 s29, 0x7f800000
	v_ldexp_f32 v13, v13, v18
	v_cndmask_b32_e64 v13, 0, v13, s[0:1]
	s_mov_b32 s0, 0x42b17218
	v_mov_b32_e32 v18, 0x7f800000
	v_cmp_nlt_f32_e64 s[0:1], s0, v1
	s_nop 1
	v_cndmask_b32_e64 v1, v18, v13, s[0:1]
	v_add_f32_e32 v13, 1.0, v1
	v_add_f32_e32 v20, -1.0, v13
	v_sub_f32_e32 v21, v20, v13
	v_add_f32_e32 v21, 1.0, v21
	v_sub_f32_e32 v20, v1, v20
	s_waitcnt lgkmcnt(0)
	v_add_f32_e32 v22, v20, v21
	v_frexp_mant_f32_e32 v23, v13
	s_mov_b32 s0, 0x3f2aaaab
	v_cvt_f64_f32_e32 v[20:21], v13
	v_frexp_exp_i32_f64_e32 v20, v[20:21]
	v_cmp_gt_f32_e64 s[0:1], s0, v23
	s_nop 1
	v_subbrev_co_u32_e64 v28, s[0:1], 0, v20, s[0:1]
	v_sub_u32_e32 v20, 0, v28
	v_ldexp_f32 v13, v13, v20
	v_ldexp_f32 v20, v22, v20
	v_add_f32_e32 v22, -1.0, v13
	v_add_f32_e32 v21, 1.0, v22
	v_sub_f32_e32 v21, v13, v21
	v_add_f32_e32 v23, v20, v21
	v_add_f32_e32 v21, 1.0, v13
	v_add_f32_e32 v24, -1.0, v21
	v_sub_f32_e32 v13, v13, v24
	v_add_f32_e32 v13, v20, v13
	v_add_f32_e32 v29, v21, v13
	v_rcp_f32_e32 v30, v29
	v_sub_f32_e32 v20, v21, v29
	v_add_f32_e32 v21, v22, v23
	v_add_f32_e32 v13, v13, v20
	v_mul_f32_e32 v32, v21, v30
	v_sub_f32_e32 v20, v22, v21
	v_mul_f32_e32 v22, v29, v32
	v_fma_f32 v24, v32, v29, -v22
	v_fmac_f32_e32 v24, v32, v13
	v_add_f32_e32 v31, v23, v20
	v_add_f32_e32 v20, v22, v24
	v_sub_f32_e32 v23, v21, v20
	v_pk_add_f32 v[26:27], v[20:21], v[22:23] neg_lo:[0,1] neg_hi:[0,1]
	v_mov_b32_e32 v25, v20
	v_pk_add_f32 v[20:21], v[26:27], v[24:25] neg_lo:[0,1] neg_hi:[0,1]
	s_mov_b32 s0, 0x3f317218
	v_add_f32_e32 v21, v31, v21
	v_add_f32_e32 v20, v20, v21
	;; [unrolled: 1-line block ×3, first 2 shown]
	v_mul_f32_e32 v31, v30, v21
	v_mul_f32_e32 v22, v29, v31
	v_fma_f32 v24, v31, v29, -v22
	v_fmac_f32_e32 v24, v31, v13
	v_sub_f32_e32 v13, v23, v21
	v_add_f32_e32 v13, v20, v13
	v_add_f32_e32 v20, v22, v24
	v_sub_f32_e32 v23, v21, v20
	v_pk_add_f32 v[26:27], v[20:21], v[22:23] neg_lo:[0,1] neg_hi:[0,1]
	v_mov_b32_e32 v25, v20
	v_pk_add_f32 v[20:21], v[26:27], v[24:25] neg_lo:[0,1] neg_hi:[0,1]
	v_cvt_f32_i32_e32 v22, v28
	v_add_f32_e32 v13, v13, v21
	v_add_f32_e32 v13, v20, v13
	;; [unrolled: 1-line block ×4, first 2 shown]
	v_sub_f32_e32 v21, v20, v32
	v_mul_f32_e32 v13, v30, v13
	v_sub_f32_e32 v21, v31, v21
	v_add_f32_e32 v13, v21, v13
	v_add_f32_e32 v23, v20, v13
	v_mul_f32_e32 v24, v23, v23
	v_mov_b32_e32 v21, 0x3ecc95a3
	v_fmac_f32_e32 v21, 0x3e9b6dac, v24
	v_sub_f32_e32 v20, v23, v20
	v_fmaak_f32 v21, v24, v21, 0x3f2aaada
	v_sub_f32_e32 v13, v13, v20
	v_ldexp_f32 v25, v23, 1
	v_mul_f32_e32 v23, v23, v24
	v_mov_b32_e32 v20, 0x3f317218
	v_pk_mul_f32 v[20:21], v[22:23], v[20:21]
	v_ldexp_f32 v13, v13, 1
	v_fma_f32 v23, v22, s0, -v20
	v_fmamk_f32 v24, v22, 0xb102e308, v23
	v_pk_add_f32 v[22:23], v[20:21], v[24:25]
	v_mov_b32_e32 v26, v20
	v_sub_f32_e32 v25, v23, v25
	v_sub_f32_e32 v25, v21, v25
	v_add_f32_e32 v27, v13, v25
	v_pk_add_f32 v[20:21], v[22:23], v[20:21] neg_lo:[0,1] neg_hi:[0,1]
	v_pk_add_f32 v[28:29], v[22:23], v[26:27]
	v_mov_b32_e32 v25, v22
	v_mov_b32_e32 v21, v29
	v_pk_add_f32 v[30:31], v[24:25], v[20:21] neg_lo:[0,1] neg_hi:[0,1]
	v_pk_add_f32 v[20:21], v[24:25], v[20:21]
	v_mov_b32_e32 v26, v27
	v_pk_add_f32 v[24:25], v[20:21], v[22:23] op_sel:[1,0] op_sel_hi:[0,1] neg_lo:[0,1] neg_hi:[0,1]
	v_pk_add_f32 v[32:33], v[28:29], v[24:25] op_sel_hi:[1,0] neg_lo:[0,1] neg_hi:[0,1]
	v_mov_b32_e32 v28, v29
	v_mov_b32_e32 v29, v21
	v_pk_mov_b32 v[24:25], v[22:23], v[24:25] op_sel:[1,0]
	v_mov_b32_e32 v27, v22
	v_pk_add_f32 v[24:25], v[28:29], v[24:25] neg_lo:[0,1] neg_hi:[0,1]
	v_mov_b32_e32 v32, v30
	v_pk_add_f32 v[22:23], v[26:27], v[24:25] neg_lo:[0,1] neg_hi:[0,1]
	v_mov_b32_e32 v31, v21
	v_pk_add_f32 v[24:25], v[32:33], v[22:23]
	v_cmp_neq_f32_e64 s[0:1], s29, v1
	v_pk_add_f32 v[26:27], v[24:25], v[24:25] op_sel:[0,1] op_sel_hi:[1,0]
	s_nop 0
	v_pk_add_f32 v[20:21], v[20:21], v[26:27] op_sel:[1,0] op_sel_hi:[0,1]
	v_mov_b32_e32 v25, v20
	v_pk_add_f32 v[28:29], v[24:25], v[30:31] neg_lo:[0,1] neg_hi:[0,1]
	v_mov_b32_e32 v23, v26
	v_sub_f32_e32 v13, v24, v28
	v_pk_add_f32 v[22:23], v[22:23], v[28:29] neg_lo:[0,1] neg_hi:[0,1]
	v_sub_f32_e32 v13, v30, v13
	v_add_f32_e32 v13, v22, v13
	v_add_f32_e32 v13, v13, v23
	;; [unrolled: 1-line block ×3, first 2 shown]
	v_cndmask_b32_e64 v13, v18, v13, s[0:1]
	s_mov_b32 s0, 0x33800000
	v_cmp_lt_f32_e64 s[0:1], |v1|, s0
	s_nop 1
	v_cndmask_b32_e64 v1, v13, v1, s[0:1]
	v_add_f32_e32 v1, v17, v1
	v_cvt_f16_f32_e32 v21, v1
	v_cvt_f32_f16_e32 v1, v21
	v_mov_b32_e32 v13, v21
.LBB368_108:
	s_or_b64 exec, exec, s[26:27]
	v_max_f32_e32 v17, v7, v7
	v_max_f32_e32 v20, v1, v1
	v_min_f32_e32 v18, v20, v17
	v_cmp_u_f16_e64 s[0:1], v21, v21
	v_max_f32_e32 v17, v20, v17
	s_nop 0
	v_cndmask_b32_e64 v18, v18, v1, s[0:1]
	v_cndmask_b32_e64 v17, v17, v1, s[0:1]
	;; [unrolled: 1-line block ×4, first 2 shown]
	v_cmp_neq_f32_e64 s[0:1], v18, v17
	v_cmp_class_f32_e64 s[26:27], v18, s28
	s_or_b64 s[0:1], s[0:1], s[26:27]
	v_mov_b32_e32 v7, v13
	s_and_saveexec_b64 s[26:27], s[0:1]
	s_cbranch_execz .LBB368_110
; %bb.109:
	v_sub_f32_e32 v1, v18, v17
	s_mov_b32 s0, 0x3fb8aa3b
	v_mul_f32_e32 v7, 0x3fb8aa3b, v1
	v_fma_f32 v18, v1, s0, -v7
	v_rndne_f32_e32 v20, v7
	v_fmamk_f32 v18, v1, 0x32a5705f, v18
	v_sub_f32_e32 v7, v7, v20
	v_add_f32_e32 v7, v7, v18
	v_exp_f32_e32 v7, v7
	v_cvt_i32_f32_e32 v18, v20
	s_mov_b32 s0, 0xc2ce8ed0
	v_cmp_ngt_f32_e64 s[0:1], s0, v1
	s_mov_b32 s28, 0x7f800000
	v_ldexp_f32 v7, v7, v18
	v_cndmask_b32_e64 v7, 0, v7, s[0:1]
	s_mov_b32 s0, 0x42b17218
	v_mov_b32_e32 v18, 0x7f800000
	v_cmp_nlt_f32_e64 s[0:1], s0, v1
	s_nop 1
	v_cndmask_b32_e64 v1, v18, v7, s[0:1]
	v_add_f32_e32 v7, 1.0, v1
	v_add_f32_e32 v20, -1.0, v7
	v_sub_f32_e32 v21, v20, v7
	v_add_f32_e32 v21, 1.0, v21
	v_sub_f32_e32 v20, v1, v20
	s_waitcnt lgkmcnt(0)
	v_add_f32_e32 v22, v20, v21
	v_frexp_mant_f32_e32 v23, v7
	s_mov_b32 s0, 0x3f2aaaab
	v_cvt_f64_f32_e32 v[20:21], v7
	v_frexp_exp_i32_f64_e32 v20, v[20:21]
	v_cmp_gt_f32_e64 s[0:1], s0, v23
	s_nop 1
	v_subbrev_co_u32_e64 v28, s[0:1], 0, v20, s[0:1]
	v_sub_u32_e32 v20, 0, v28
	v_ldexp_f32 v7, v7, v20
	v_ldexp_f32 v20, v22, v20
	v_add_f32_e32 v22, -1.0, v7
	v_add_f32_e32 v21, 1.0, v22
	v_sub_f32_e32 v21, v7, v21
	v_add_f32_e32 v23, v20, v21
	v_add_f32_e32 v21, 1.0, v7
	v_add_f32_e32 v24, -1.0, v21
	v_sub_f32_e32 v7, v7, v24
	v_add_f32_e32 v7, v20, v7
	v_add_f32_e32 v29, v21, v7
	v_rcp_f32_e32 v30, v29
	v_sub_f32_e32 v20, v21, v29
	v_add_f32_e32 v21, v22, v23
	v_add_f32_e32 v7, v7, v20
	v_mul_f32_e32 v32, v21, v30
	v_sub_f32_e32 v20, v22, v21
	v_mul_f32_e32 v22, v29, v32
	v_fma_f32 v24, v32, v29, -v22
	v_fmac_f32_e32 v24, v32, v7
	v_add_f32_e32 v31, v23, v20
	v_add_f32_e32 v20, v22, v24
	v_sub_f32_e32 v23, v21, v20
	v_pk_add_f32 v[26:27], v[20:21], v[22:23] neg_lo:[0,1] neg_hi:[0,1]
	v_mov_b32_e32 v25, v20
	v_pk_add_f32 v[20:21], v[26:27], v[24:25] neg_lo:[0,1] neg_hi:[0,1]
	s_mov_b32 s0, 0x3f317218
	v_add_f32_e32 v21, v31, v21
	v_add_f32_e32 v20, v20, v21
	;; [unrolled: 1-line block ×3, first 2 shown]
	v_mul_f32_e32 v31, v30, v21
	v_mul_f32_e32 v22, v29, v31
	v_fma_f32 v24, v31, v29, -v22
	v_fmac_f32_e32 v24, v31, v7
	v_sub_f32_e32 v7, v23, v21
	v_add_f32_e32 v7, v20, v7
	v_add_f32_e32 v20, v22, v24
	v_sub_f32_e32 v23, v21, v20
	v_pk_add_f32 v[26:27], v[20:21], v[22:23] neg_lo:[0,1] neg_hi:[0,1]
	v_mov_b32_e32 v25, v20
	v_pk_add_f32 v[20:21], v[26:27], v[24:25] neg_lo:[0,1] neg_hi:[0,1]
	v_cvt_f32_i32_e32 v22, v28
	v_add_f32_e32 v7, v7, v21
	v_add_f32_e32 v7, v20, v7
	;; [unrolled: 1-line block ×4, first 2 shown]
	v_sub_f32_e32 v21, v20, v32
	v_mul_f32_e32 v7, v30, v7
	v_sub_f32_e32 v21, v31, v21
	v_add_f32_e32 v7, v21, v7
	v_add_f32_e32 v23, v20, v7
	v_mul_f32_e32 v24, v23, v23
	v_mov_b32_e32 v21, 0x3ecc95a3
	v_fmac_f32_e32 v21, 0x3e9b6dac, v24
	v_sub_f32_e32 v20, v23, v20
	v_fmaak_f32 v21, v24, v21, 0x3f2aaada
	v_sub_f32_e32 v7, v7, v20
	v_ldexp_f32 v25, v23, 1
	v_mul_f32_e32 v23, v23, v24
	v_mov_b32_e32 v20, 0x3f317218
	v_pk_mul_f32 v[20:21], v[22:23], v[20:21]
	v_ldexp_f32 v7, v7, 1
	v_fma_f32 v23, v22, s0, -v20
	v_fmamk_f32 v24, v22, 0xb102e308, v23
	v_pk_add_f32 v[22:23], v[20:21], v[24:25]
	v_mov_b32_e32 v26, v20
	v_sub_f32_e32 v25, v23, v25
	v_sub_f32_e32 v25, v21, v25
	v_add_f32_e32 v27, v7, v25
	v_pk_add_f32 v[20:21], v[22:23], v[20:21] neg_lo:[0,1] neg_hi:[0,1]
	v_pk_add_f32 v[28:29], v[22:23], v[26:27]
	v_mov_b32_e32 v25, v22
	v_mov_b32_e32 v21, v29
	v_pk_add_f32 v[30:31], v[24:25], v[20:21] neg_lo:[0,1] neg_hi:[0,1]
	v_pk_add_f32 v[20:21], v[24:25], v[20:21]
	v_mov_b32_e32 v26, v27
	v_pk_add_f32 v[24:25], v[20:21], v[22:23] op_sel:[1,0] op_sel_hi:[0,1] neg_lo:[0,1] neg_hi:[0,1]
	v_pk_add_f32 v[32:33], v[28:29], v[24:25] op_sel_hi:[1,0] neg_lo:[0,1] neg_hi:[0,1]
	v_mov_b32_e32 v28, v29
	v_mov_b32_e32 v29, v21
	v_pk_mov_b32 v[24:25], v[22:23], v[24:25] op_sel:[1,0]
	v_mov_b32_e32 v27, v22
	v_pk_add_f32 v[24:25], v[28:29], v[24:25] neg_lo:[0,1] neg_hi:[0,1]
	v_mov_b32_e32 v32, v30
	v_pk_add_f32 v[22:23], v[26:27], v[24:25] neg_lo:[0,1] neg_hi:[0,1]
	v_mov_b32_e32 v31, v21
	v_pk_add_f32 v[24:25], v[32:33], v[22:23]
	v_cmp_neq_f32_e64 s[0:1], s28, v1
	v_pk_add_f32 v[26:27], v[24:25], v[24:25] op_sel:[0,1] op_sel_hi:[1,0]
	s_nop 0
	v_pk_add_f32 v[20:21], v[20:21], v[26:27] op_sel:[1,0] op_sel_hi:[0,1]
	v_mov_b32_e32 v25, v20
	v_pk_add_f32 v[28:29], v[24:25], v[30:31] neg_lo:[0,1] neg_hi:[0,1]
	v_mov_b32_e32 v23, v26
	v_sub_f32_e32 v7, v24, v28
	v_pk_add_f32 v[22:23], v[22:23], v[28:29] neg_lo:[0,1] neg_hi:[0,1]
	v_sub_f32_e32 v7, v30, v7
	v_add_f32_e32 v7, v22, v7
	v_add_f32_e32 v7, v7, v23
	;; [unrolled: 1-line block ×3, first 2 shown]
	v_cndmask_b32_e64 v7, v18, v7, s[0:1]
	s_mov_b32 s0, 0x33800000
	v_cmp_lt_f32_e64 s[0:1], |v1|, s0
	s_nop 1
	v_cndmask_b32_e64 v1, v7, v1, s[0:1]
	v_add_f32_e32 v1, v17, v1
	v_cvt_f16_f32_e32 v21, v1
	v_cvt_f32_f16_e32 v1, v21
	v_mov_b32_e32 v7, v21
.LBB368_110:
	s_or_b64 exec, exec, s[26:27]
	v_max_f32_e32 v17, v14, v14
	v_max_f32_e32 v20, v1, v1
	v_min_f32_e32 v18, v20, v17
	v_cmp_u_f16_e64 s[0:1], v21, v21
	v_max_f32_e32 v17, v20, v17
	s_movk_i32 s28, 0x1f8
	v_cndmask_b32_e64 v18, v18, v1, s[0:1]
	v_cndmask_b32_e64 v17, v17, v1, s[0:1]
	;; [unrolled: 1-line block ×4, first 2 shown]
	v_cmp_neq_f32_e64 s[0:1], v18, v17
	v_cmp_class_f32_e64 s[26:27], v18, s28
	s_or_b64 s[0:1], s[0:1], s[26:27]
	v_mov_b32_e32 v14, v7
	s_and_saveexec_b64 s[26:27], s[0:1]
	s_cbranch_execz .LBB368_112
; %bb.111:
	v_sub_f32_e32 v1, v18, v17
	s_mov_b32 s0, 0x3fb8aa3b
	v_mul_f32_e32 v14, 0x3fb8aa3b, v1
	v_fma_f32 v18, v1, s0, -v14
	v_rndne_f32_e32 v20, v14
	v_fmamk_f32 v18, v1, 0x32a5705f, v18
	v_sub_f32_e32 v14, v14, v20
	v_add_f32_e32 v14, v14, v18
	v_exp_f32_e32 v14, v14
	v_cvt_i32_f32_e32 v18, v20
	s_mov_b32 s0, 0xc2ce8ed0
	v_cmp_ngt_f32_e64 s[0:1], s0, v1
	s_mov_b32 s29, 0x7f800000
	v_ldexp_f32 v14, v14, v18
	v_cndmask_b32_e64 v14, 0, v14, s[0:1]
	s_mov_b32 s0, 0x42b17218
	v_mov_b32_e32 v18, 0x7f800000
	v_cmp_nlt_f32_e64 s[0:1], s0, v1
	s_nop 1
	v_cndmask_b32_e64 v1, v18, v14, s[0:1]
	v_add_f32_e32 v14, 1.0, v1
	v_add_f32_e32 v20, -1.0, v14
	v_sub_f32_e32 v21, v20, v14
	v_add_f32_e32 v21, 1.0, v21
	v_sub_f32_e32 v20, v1, v20
	s_waitcnt lgkmcnt(0)
	v_add_f32_e32 v22, v20, v21
	v_frexp_mant_f32_e32 v23, v14
	s_mov_b32 s0, 0x3f2aaaab
	v_cvt_f64_f32_e32 v[20:21], v14
	v_frexp_exp_i32_f64_e32 v20, v[20:21]
	v_cmp_gt_f32_e64 s[0:1], s0, v23
	s_nop 1
	v_subbrev_co_u32_e64 v28, s[0:1], 0, v20, s[0:1]
	v_sub_u32_e32 v20, 0, v28
	v_ldexp_f32 v14, v14, v20
	v_ldexp_f32 v20, v22, v20
	v_add_f32_e32 v22, -1.0, v14
	v_add_f32_e32 v21, 1.0, v22
	v_sub_f32_e32 v21, v14, v21
	v_add_f32_e32 v23, v20, v21
	v_add_f32_e32 v21, 1.0, v14
	v_add_f32_e32 v24, -1.0, v21
	v_sub_f32_e32 v14, v14, v24
	v_add_f32_e32 v14, v20, v14
	v_add_f32_e32 v29, v21, v14
	v_rcp_f32_e32 v30, v29
	v_sub_f32_e32 v20, v21, v29
	v_add_f32_e32 v21, v22, v23
	v_add_f32_e32 v14, v14, v20
	v_mul_f32_e32 v32, v21, v30
	v_sub_f32_e32 v20, v22, v21
	v_mul_f32_e32 v22, v29, v32
	v_fma_f32 v24, v32, v29, -v22
	v_fmac_f32_e32 v24, v32, v14
	v_add_f32_e32 v31, v23, v20
	v_add_f32_e32 v20, v22, v24
	v_sub_f32_e32 v23, v21, v20
	v_pk_add_f32 v[26:27], v[20:21], v[22:23] neg_lo:[0,1] neg_hi:[0,1]
	v_mov_b32_e32 v25, v20
	v_pk_add_f32 v[20:21], v[26:27], v[24:25] neg_lo:[0,1] neg_hi:[0,1]
	s_mov_b32 s0, 0x3f317218
	v_add_f32_e32 v21, v31, v21
	v_add_f32_e32 v20, v20, v21
	;; [unrolled: 1-line block ×3, first 2 shown]
	v_mul_f32_e32 v31, v30, v21
	v_mul_f32_e32 v22, v29, v31
	v_fma_f32 v24, v31, v29, -v22
	v_fmac_f32_e32 v24, v31, v14
	v_sub_f32_e32 v14, v23, v21
	v_add_f32_e32 v14, v20, v14
	v_add_f32_e32 v20, v22, v24
	v_sub_f32_e32 v23, v21, v20
	v_pk_add_f32 v[26:27], v[20:21], v[22:23] neg_lo:[0,1] neg_hi:[0,1]
	v_mov_b32_e32 v25, v20
	v_pk_add_f32 v[20:21], v[26:27], v[24:25] neg_lo:[0,1] neg_hi:[0,1]
	v_cvt_f32_i32_e32 v22, v28
	v_add_f32_e32 v14, v14, v21
	v_add_f32_e32 v14, v20, v14
	;; [unrolled: 1-line block ×4, first 2 shown]
	v_sub_f32_e32 v21, v20, v32
	v_mul_f32_e32 v14, v30, v14
	v_sub_f32_e32 v21, v31, v21
	v_add_f32_e32 v14, v21, v14
	v_add_f32_e32 v23, v20, v14
	v_mul_f32_e32 v24, v23, v23
	v_mov_b32_e32 v21, 0x3ecc95a3
	v_fmac_f32_e32 v21, 0x3e9b6dac, v24
	v_sub_f32_e32 v20, v23, v20
	v_fmaak_f32 v21, v24, v21, 0x3f2aaada
	v_sub_f32_e32 v14, v14, v20
	v_ldexp_f32 v25, v23, 1
	v_mul_f32_e32 v23, v23, v24
	v_mov_b32_e32 v20, 0x3f317218
	v_pk_mul_f32 v[20:21], v[22:23], v[20:21]
	v_ldexp_f32 v14, v14, 1
	v_fma_f32 v23, v22, s0, -v20
	v_fmamk_f32 v24, v22, 0xb102e308, v23
	v_pk_add_f32 v[22:23], v[20:21], v[24:25]
	v_mov_b32_e32 v26, v20
	v_sub_f32_e32 v25, v23, v25
	v_sub_f32_e32 v25, v21, v25
	v_add_f32_e32 v27, v14, v25
	v_pk_add_f32 v[20:21], v[22:23], v[20:21] neg_lo:[0,1] neg_hi:[0,1]
	v_pk_add_f32 v[28:29], v[22:23], v[26:27]
	v_mov_b32_e32 v25, v22
	v_mov_b32_e32 v21, v29
	v_pk_add_f32 v[30:31], v[24:25], v[20:21] neg_lo:[0,1] neg_hi:[0,1]
	v_pk_add_f32 v[20:21], v[24:25], v[20:21]
	v_mov_b32_e32 v26, v27
	v_pk_add_f32 v[24:25], v[20:21], v[22:23] op_sel:[1,0] op_sel_hi:[0,1] neg_lo:[0,1] neg_hi:[0,1]
	v_pk_add_f32 v[32:33], v[28:29], v[24:25] op_sel_hi:[1,0] neg_lo:[0,1] neg_hi:[0,1]
	v_mov_b32_e32 v28, v29
	v_mov_b32_e32 v29, v21
	v_pk_mov_b32 v[24:25], v[22:23], v[24:25] op_sel:[1,0]
	v_mov_b32_e32 v27, v22
	v_pk_add_f32 v[24:25], v[28:29], v[24:25] neg_lo:[0,1] neg_hi:[0,1]
	v_mov_b32_e32 v32, v30
	v_pk_add_f32 v[22:23], v[26:27], v[24:25] neg_lo:[0,1] neg_hi:[0,1]
	v_mov_b32_e32 v31, v21
	v_pk_add_f32 v[24:25], v[32:33], v[22:23]
	v_cmp_neq_f32_e64 s[0:1], s29, v1
	v_pk_add_f32 v[26:27], v[24:25], v[24:25] op_sel:[0,1] op_sel_hi:[1,0]
	s_nop 0
	v_pk_add_f32 v[20:21], v[20:21], v[26:27] op_sel:[1,0] op_sel_hi:[0,1]
	v_mov_b32_e32 v25, v20
	v_pk_add_f32 v[28:29], v[24:25], v[30:31] neg_lo:[0,1] neg_hi:[0,1]
	v_mov_b32_e32 v23, v26
	v_sub_f32_e32 v14, v24, v28
	v_pk_add_f32 v[22:23], v[22:23], v[28:29] neg_lo:[0,1] neg_hi:[0,1]
	v_sub_f32_e32 v14, v30, v14
	v_add_f32_e32 v14, v22, v14
	v_add_f32_e32 v14, v14, v23
	;; [unrolled: 1-line block ×3, first 2 shown]
	v_cndmask_b32_e64 v14, v18, v14, s[0:1]
	s_mov_b32 s0, 0x33800000
	v_cmp_lt_f32_e64 s[0:1], |v1|, s0
	s_nop 1
	v_cndmask_b32_e64 v1, v14, v1, s[0:1]
	v_add_f32_e32 v1, v17, v1
	v_cvt_f16_f32_e32 v21, v1
	v_cvt_f32_f16_e32 v1, v21
	v_mov_b32_e32 v14, v21
.LBB368_112:
	s_or_b64 exec, exec, s[26:27]
	v_max_f32_e32 v17, v4, v4
	v_max_f32_e32 v20, v1, v1
	v_min_f32_e32 v18, v20, v17
	v_cmp_u_f16_e64 s[0:1], v21, v21
	v_max_f32_e32 v17, v20, v17
	s_nop 0
	v_cndmask_b32_e64 v18, v18, v1, s[0:1]
	v_cndmask_b32_e64 v17, v17, v1, s[0:1]
	;; [unrolled: 1-line block ×4, first 2 shown]
	v_cmp_neq_f32_e64 s[0:1], v18, v17
	v_cmp_class_f32_e64 s[26:27], v18, s28
	s_or_b64 s[0:1], s[0:1], s[26:27]
	v_mov_b32_e32 v4, v14
	s_and_saveexec_b64 s[26:27], s[0:1]
	s_cbranch_execz .LBB368_114
; %bb.113:
	v_sub_f32_e32 v1, v18, v17
	s_mov_b32 s0, 0x3fb8aa3b
	v_mul_f32_e32 v4, 0x3fb8aa3b, v1
	v_fma_f32 v18, v1, s0, -v4
	v_rndne_f32_e32 v20, v4
	v_fmamk_f32 v18, v1, 0x32a5705f, v18
	v_sub_f32_e32 v4, v4, v20
	v_add_f32_e32 v4, v4, v18
	v_exp_f32_e32 v4, v4
	v_cvt_i32_f32_e32 v18, v20
	s_mov_b32 s0, 0xc2ce8ed0
	v_cmp_ngt_f32_e64 s[0:1], s0, v1
	s_mov_b32 s28, 0x7f800000
	v_ldexp_f32 v4, v4, v18
	v_cndmask_b32_e64 v4, 0, v4, s[0:1]
	s_mov_b32 s0, 0x42b17218
	v_mov_b32_e32 v18, 0x7f800000
	v_cmp_nlt_f32_e64 s[0:1], s0, v1
	s_nop 1
	v_cndmask_b32_e64 v1, v18, v4, s[0:1]
	v_add_f32_e32 v4, 1.0, v1
	v_add_f32_e32 v20, -1.0, v4
	v_sub_f32_e32 v21, v20, v4
	v_add_f32_e32 v21, 1.0, v21
	v_sub_f32_e32 v20, v1, v20
	s_waitcnt lgkmcnt(0)
	v_add_f32_e32 v22, v20, v21
	v_frexp_mant_f32_e32 v23, v4
	s_mov_b32 s0, 0x3f2aaaab
	v_cvt_f64_f32_e32 v[20:21], v4
	v_frexp_exp_i32_f64_e32 v20, v[20:21]
	v_cmp_gt_f32_e64 s[0:1], s0, v23
	s_nop 1
	v_subbrev_co_u32_e64 v28, s[0:1], 0, v20, s[0:1]
	v_sub_u32_e32 v20, 0, v28
	v_ldexp_f32 v4, v4, v20
	v_ldexp_f32 v20, v22, v20
	v_add_f32_e32 v22, -1.0, v4
	v_add_f32_e32 v21, 1.0, v22
	v_sub_f32_e32 v21, v4, v21
	v_add_f32_e32 v23, v20, v21
	v_add_f32_e32 v21, 1.0, v4
	v_add_f32_e32 v24, -1.0, v21
	v_sub_f32_e32 v4, v4, v24
	v_add_f32_e32 v4, v20, v4
	v_add_f32_e32 v29, v21, v4
	v_rcp_f32_e32 v30, v29
	v_sub_f32_e32 v20, v21, v29
	v_add_f32_e32 v21, v22, v23
	v_add_f32_e32 v4, v4, v20
	v_mul_f32_e32 v32, v21, v30
	v_sub_f32_e32 v20, v22, v21
	v_mul_f32_e32 v22, v29, v32
	v_fma_f32 v24, v32, v29, -v22
	v_fmac_f32_e32 v24, v32, v4
	v_add_f32_e32 v31, v23, v20
	v_add_f32_e32 v20, v22, v24
	v_sub_f32_e32 v23, v21, v20
	v_pk_add_f32 v[26:27], v[20:21], v[22:23] neg_lo:[0,1] neg_hi:[0,1]
	v_mov_b32_e32 v25, v20
	v_pk_add_f32 v[20:21], v[26:27], v[24:25] neg_lo:[0,1] neg_hi:[0,1]
	s_mov_b32 s0, 0x3f317218
	v_add_f32_e32 v21, v31, v21
	v_add_f32_e32 v20, v20, v21
	;; [unrolled: 1-line block ×3, first 2 shown]
	v_mul_f32_e32 v31, v30, v21
	v_mul_f32_e32 v22, v29, v31
	v_fma_f32 v24, v31, v29, -v22
	v_fmac_f32_e32 v24, v31, v4
	v_sub_f32_e32 v4, v23, v21
	v_add_f32_e32 v4, v20, v4
	v_add_f32_e32 v20, v22, v24
	v_sub_f32_e32 v23, v21, v20
	v_pk_add_f32 v[26:27], v[20:21], v[22:23] neg_lo:[0,1] neg_hi:[0,1]
	v_mov_b32_e32 v25, v20
	v_pk_add_f32 v[20:21], v[26:27], v[24:25] neg_lo:[0,1] neg_hi:[0,1]
	v_cvt_f32_i32_e32 v22, v28
	v_add_f32_e32 v4, v4, v21
	v_add_f32_e32 v4, v20, v4
	;; [unrolled: 1-line block ×4, first 2 shown]
	v_sub_f32_e32 v21, v20, v32
	v_mul_f32_e32 v4, v30, v4
	v_sub_f32_e32 v21, v31, v21
	v_add_f32_e32 v4, v21, v4
	v_add_f32_e32 v23, v20, v4
	v_mul_f32_e32 v24, v23, v23
	v_mov_b32_e32 v21, 0x3ecc95a3
	v_fmac_f32_e32 v21, 0x3e9b6dac, v24
	v_sub_f32_e32 v20, v23, v20
	v_fmaak_f32 v21, v24, v21, 0x3f2aaada
	v_sub_f32_e32 v4, v4, v20
	v_ldexp_f32 v25, v23, 1
	v_mul_f32_e32 v23, v23, v24
	v_mov_b32_e32 v20, 0x3f317218
	v_pk_mul_f32 v[20:21], v[22:23], v[20:21]
	v_ldexp_f32 v4, v4, 1
	v_fma_f32 v23, v22, s0, -v20
	v_fmamk_f32 v24, v22, 0xb102e308, v23
	v_pk_add_f32 v[22:23], v[20:21], v[24:25]
	v_mov_b32_e32 v26, v20
	v_sub_f32_e32 v25, v23, v25
	v_sub_f32_e32 v25, v21, v25
	v_add_f32_e32 v27, v4, v25
	v_pk_add_f32 v[20:21], v[22:23], v[20:21] neg_lo:[0,1] neg_hi:[0,1]
	v_pk_add_f32 v[28:29], v[22:23], v[26:27]
	v_mov_b32_e32 v25, v22
	v_mov_b32_e32 v21, v29
	v_pk_add_f32 v[30:31], v[24:25], v[20:21] neg_lo:[0,1] neg_hi:[0,1]
	v_pk_add_f32 v[20:21], v[24:25], v[20:21]
	v_mov_b32_e32 v26, v27
	v_pk_add_f32 v[24:25], v[20:21], v[22:23] op_sel:[1,0] op_sel_hi:[0,1] neg_lo:[0,1] neg_hi:[0,1]
	v_pk_add_f32 v[32:33], v[28:29], v[24:25] op_sel_hi:[1,0] neg_lo:[0,1] neg_hi:[0,1]
	v_mov_b32_e32 v28, v29
	v_mov_b32_e32 v29, v21
	v_pk_mov_b32 v[24:25], v[22:23], v[24:25] op_sel:[1,0]
	v_mov_b32_e32 v27, v22
	v_pk_add_f32 v[24:25], v[28:29], v[24:25] neg_lo:[0,1] neg_hi:[0,1]
	v_mov_b32_e32 v32, v30
	v_pk_add_f32 v[22:23], v[26:27], v[24:25] neg_lo:[0,1] neg_hi:[0,1]
	v_mov_b32_e32 v31, v21
	v_pk_add_f32 v[24:25], v[32:33], v[22:23]
	v_cmp_neq_f32_e64 s[0:1], s28, v1
	v_pk_add_f32 v[26:27], v[24:25], v[24:25] op_sel:[0,1] op_sel_hi:[1,0]
	s_nop 0
	v_pk_add_f32 v[20:21], v[20:21], v[26:27] op_sel:[1,0] op_sel_hi:[0,1]
	v_mov_b32_e32 v25, v20
	v_pk_add_f32 v[28:29], v[24:25], v[30:31] neg_lo:[0,1] neg_hi:[0,1]
	v_mov_b32_e32 v23, v26
	v_sub_f32_e32 v4, v24, v28
	v_pk_add_f32 v[22:23], v[22:23], v[28:29] neg_lo:[0,1] neg_hi:[0,1]
	v_sub_f32_e32 v4, v30, v4
	v_add_f32_e32 v4, v22, v4
	v_add_f32_e32 v4, v4, v23
	;; [unrolled: 1-line block ×3, first 2 shown]
	v_cndmask_b32_e64 v4, v18, v4, s[0:1]
	s_mov_b32 s0, 0x33800000
	v_cmp_lt_f32_e64 s[0:1], |v1|, s0
	s_nop 1
	v_cndmask_b32_e64 v1, v4, v1, s[0:1]
	v_add_f32_e32 v1, v17, v1
	v_cvt_f16_f32_e32 v21, v1
	v_cvt_f32_f16_e32 v1, v21
	v_mov_b32_e32 v4, v21
.LBB368_114:
	s_or_b64 exec, exec, s[26:27]
	v_max_f32_e32 v17, v15, v15
	v_max_f32_e32 v20, v1, v1
	v_min_f32_e32 v18, v20, v17
	v_cmp_u_f16_e64 s[0:1], v21, v21
	v_max_f32_e32 v17, v20, v17
	s_movk_i32 s28, 0x1f8
	v_cndmask_b32_e64 v18, v18, v1, s[0:1]
	v_cndmask_b32_e64 v17, v17, v1, s[0:1]
	;; [unrolled: 1-line block ×4, first 2 shown]
	v_cmp_neq_f32_e64 s[0:1], v18, v17
	v_cmp_class_f32_e64 s[26:27], v18, s28
	s_or_b64 s[0:1], s[0:1], s[26:27]
	v_mov_b32_e32 v15, v4
	s_and_saveexec_b64 s[26:27], s[0:1]
	s_cbranch_execz .LBB368_116
; %bb.115:
	v_sub_f32_e32 v1, v18, v17
	s_mov_b32 s0, 0x3fb8aa3b
	v_mul_f32_e32 v15, 0x3fb8aa3b, v1
	v_fma_f32 v18, v1, s0, -v15
	v_rndne_f32_e32 v20, v15
	v_fmamk_f32 v18, v1, 0x32a5705f, v18
	v_sub_f32_e32 v15, v15, v20
	v_add_f32_e32 v15, v15, v18
	v_exp_f32_e32 v15, v15
	v_cvt_i32_f32_e32 v18, v20
	s_mov_b32 s0, 0xc2ce8ed0
	v_cmp_ngt_f32_e64 s[0:1], s0, v1
	s_mov_b32 s29, 0x7f800000
	v_ldexp_f32 v15, v15, v18
	v_cndmask_b32_e64 v15, 0, v15, s[0:1]
	s_mov_b32 s0, 0x42b17218
	v_mov_b32_e32 v18, 0x7f800000
	v_cmp_nlt_f32_e64 s[0:1], s0, v1
	s_nop 1
	v_cndmask_b32_e64 v1, v18, v15, s[0:1]
	v_add_f32_e32 v15, 1.0, v1
	v_add_f32_e32 v20, -1.0, v15
	v_sub_f32_e32 v21, v20, v15
	v_add_f32_e32 v21, 1.0, v21
	v_sub_f32_e32 v20, v1, v20
	s_waitcnt lgkmcnt(0)
	v_add_f32_e32 v22, v20, v21
	v_frexp_mant_f32_e32 v23, v15
	s_mov_b32 s0, 0x3f2aaaab
	v_cvt_f64_f32_e32 v[20:21], v15
	v_frexp_exp_i32_f64_e32 v20, v[20:21]
	v_cmp_gt_f32_e64 s[0:1], s0, v23
	s_nop 1
	v_subbrev_co_u32_e64 v28, s[0:1], 0, v20, s[0:1]
	v_sub_u32_e32 v20, 0, v28
	v_ldexp_f32 v15, v15, v20
	v_ldexp_f32 v20, v22, v20
	v_add_f32_e32 v22, -1.0, v15
	v_add_f32_e32 v21, 1.0, v22
	v_sub_f32_e32 v21, v15, v21
	v_add_f32_e32 v23, v20, v21
	v_add_f32_e32 v21, 1.0, v15
	v_add_f32_e32 v24, -1.0, v21
	v_sub_f32_e32 v15, v15, v24
	v_add_f32_e32 v15, v20, v15
	v_add_f32_e32 v29, v21, v15
	v_rcp_f32_e32 v30, v29
	v_sub_f32_e32 v20, v21, v29
	v_add_f32_e32 v21, v22, v23
	v_add_f32_e32 v15, v15, v20
	v_mul_f32_e32 v32, v21, v30
	v_sub_f32_e32 v20, v22, v21
	v_mul_f32_e32 v22, v29, v32
	v_fma_f32 v24, v32, v29, -v22
	v_fmac_f32_e32 v24, v32, v15
	v_add_f32_e32 v31, v23, v20
	v_add_f32_e32 v20, v22, v24
	v_sub_f32_e32 v23, v21, v20
	v_pk_add_f32 v[26:27], v[20:21], v[22:23] neg_lo:[0,1] neg_hi:[0,1]
	v_mov_b32_e32 v25, v20
	v_pk_add_f32 v[20:21], v[26:27], v[24:25] neg_lo:[0,1] neg_hi:[0,1]
	s_mov_b32 s0, 0x3f317218
	v_add_f32_e32 v21, v31, v21
	v_add_f32_e32 v20, v20, v21
	;; [unrolled: 1-line block ×3, first 2 shown]
	v_mul_f32_e32 v31, v30, v21
	v_mul_f32_e32 v22, v29, v31
	v_fma_f32 v24, v31, v29, -v22
	v_fmac_f32_e32 v24, v31, v15
	v_sub_f32_e32 v15, v23, v21
	v_add_f32_e32 v15, v20, v15
	v_add_f32_e32 v20, v22, v24
	v_sub_f32_e32 v23, v21, v20
	v_pk_add_f32 v[26:27], v[20:21], v[22:23] neg_lo:[0,1] neg_hi:[0,1]
	v_mov_b32_e32 v25, v20
	v_pk_add_f32 v[20:21], v[26:27], v[24:25] neg_lo:[0,1] neg_hi:[0,1]
	v_cvt_f32_i32_e32 v22, v28
	v_add_f32_e32 v15, v15, v21
	v_add_f32_e32 v15, v20, v15
	;; [unrolled: 1-line block ×4, first 2 shown]
	v_sub_f32_e32 v21, v20, v32
	v_mul_f32_e32 v15, v30, v15
	v_sub_f32_e32 v21, v31, v21
	v_add_f32_e32 v15, v21, v15
	v_add_f32_e32 v23, v20, v15
	v_mul_f32_e32 v24, v23, v23
	v_mov_b32_e32 v21, 0x3ecc95a3
	v_fmac_f32_e32 v21, 0x3e9b6dac, v24
	v_sub_f32_e32 v20, v23, v20
	v_fmaak_f32 v21, v24, v21, 0x3f2aaada
	v_sub_f32_e32 v15, v15, v20
	v_ldexp_f32 v25, v23, 1
	v_mul_f32_e32 v23, v23, v24
	v_mov_b32_e32 v20, 0x3f317218
	v_pk_mul_f32 v[20:21], v[22:23], v[20:21]
	v_ldexp_f32 v15, v15, 1
	v_fma_f32 v23, v22, s0, -v20
	v_fmamk_f32 v24, v22, 0xb102e308, v23
	v_pk_add_f32 v[22:23], v[20:21], v[24:25]
	v_mov_b32_e32 v26, v20
	v_sub_f32_e32 v25, v23, v25
	v_sub_f32_e32 v25, v21, v25
	v_add_f32_e32 v27, v15, v25
	v_pk_add_f32 v[20:21], v[22:23], v[20:21] neg_lo:[0,1] neg_hi:[0,1]
	v_pk_add_f32 v[28:29], v[22:23], v[26:27]
	v_mov_b32_e32 v25, v22
	v_mov_b32_e32 v21, v29
	v_pk_add_f32 v[30:31], v[24:25], v[20:21] neg_lo:[0,1] neg_hi:[0,1]
	v_pk_add_f32 v[20:21], v[24:25], v[20:21]
	v_mov_b32_e32 v26, v27
	v_pk_add_f32 v[24:25], v[20:21], v[22:23] op_sel:[1,0] op_sel_hi:[0,1] neg_lo:[0,1] neg_hi:[0,1]
	v_pk_add_f32 v[32:33], v[28:29], v[24:25] op_sel_hi:[1,0] neg_lo:[0,1] neg_hi:[0,1]
	v_mov_b32_e32 v28, v29
	v_mov_b32_e32 v29, v21
	v_pk_mov_b32 v[24:25], v[22:23], v[24:25] op_sel:[1,0]
	v_mov_b32_e32 v27, v22
	v_pk_add_f32 v[24:25], v[28:29], v[24:25] neg_lo:[0,1] neg_hi:[0,1]
	v_mov_b32_e32 v32, v30
	v_pk_add_f32 v[22:23], v[26:27], v[24:25] neg_lo:[0,1] neg_hi:[0,1]
	v_mov_b32_e32 v31, v21
	v_pk_add_f32 v[24:25], v[32:33], v[22:23]
	v_cmp_neq_f32_e64 s[0:1], s29, v1
	v_pk_add_f32 v[26:27], v[24:25], v[24:25] op_sel:[0,1] op_sel_hi:[1,0]
	s_nop 0
	v_pk_add_f32 v[20:21], v[20:21], v[26:27] op_sel:[1,0] op_sel_hi:[0,1]
	v_mov_b32_e32 v25, v20
	v_pk_add_f32 v[28:29], v[24:25], v[30:31] neg_lo:[0,1] neg_hi:[0,1]
	v_mov_b32_e32 v23, v26
	v_sub_f32_e32 v15, v24, v28
	v_pk_add_f32 v[22:23], v[22:23], v[28:29] neg_lo:[0,1] neg_hi:[0,1]
	v_sub_f32_e32 v15, v30, v15
	v_add_f32_e32 v15, v22, v15
	v_add_f32_e32 v15, v15, v23
	;; [unrolled: 1-line block ×3, first 2 shown]
	v_cndmask_b32_e64 v15, v18, v15, s[0:1]
	s_mov_b32 s0, 0x33800000
	v_cmp_lt_f32_e64 s[0:1], |v1|, s0
	s_nop 1
	v_cndmask_b32_e64 v1, v15, v1, s[0:1]
	v_add_f32_e32 v1, v17, v1
	v_cvt_f16_f32_e32 v21, v1
	v_cvt_f32_f16_e32 v1, v21
	v_mov_b32_e32 v15, v21
.LBB368_116:
	s_or_b64 exec, exec, s[26:27]
	v_max_f32_e32 v17, v5, v5
	v_max_f32_e32 v20, v1, v1
	v_min_f32_e32 v18, v20, v17
	v_cmp_u_f16_e64 s[0:1], v21, v21
	v_max_f32_e32 v17, v20, v17
	s_nop 0
	v_cndmask_b32_e64 v18, v18, v1, s[0:1]
	v_cndmask_b32_e64 v17, v17, v1, s[0:1]
	;; [unrolled: 1-line block ×4, first 2 shown]
	v_cmp_neq_f32_e64 s[0:1], v18, v17
	v_cmp_class_f32_e64 s[26:27], v18, s28
	s_or_b64 s[0:1], s[0:1], s[26:27]
	v_mov_b32_e32 v5, v15
	s_and_saveexec_b64 s[26:27], s[0:1]
	s_cbranch_execz .LBB368_118
; %bb.117:
	v_sub_f32_e32 v1, v18, v17
	s_mov_b32 s0, 0x3fb8aa3b
	v_mul_f32_e32 v5, 0x3fb8aa3b, v1
	v_fma_f32 v18, v1, s0, -v5
	v_rndne_f32_e32 v20, v5
	v_fmamk_f32 v18, v1, 0x32a5705f, v18
	v_sub_f32_e32 v5, v5, v20
	v_add_f32_e32 v5, v5, v18
	v_exp_f32_e32 v5, v5
	v_cvt_i32_f32_e32 v18, v20
	s_mov_b32 s0, 0xc2ce8ed0
	v_cmp_ngt_f32_e64 s[0:1], s0, v1
	s_mov_b32 s28, 0x7f800000
	v_ldexp_f32 v5, v5, v18
	v_cndmask_b32_e64 v5, 0, v5, s[0:1]
	s_mov_b32 s0, 0x42b17218
	v_mov_b32_e32 v18, 0x7f800000
	v_cmp_nlt_f32_e64 s[0:1], s0, v1
	s_nop 1
	v_cndmask_b32_e64 v1, v18, v5, s[0:1]
	v_add_f32_e32 v5, 1.0, v1
	v_add_f32_e32 v20, -1.0, v5
	v_sub_f32_e32 v21, v20, v5
	v_add_f32_e32 v21, 1.0, v21
	v_sub_f32_e32 v20, v1, v20
	s_waitcnt lgkmcnt(0)
	v_add_f32_e32 v22, v20, v21
	v_frexp_mant_f32_e32 v23, v5
	s_mov_b32 s0, 0x3f2aaaab
	v_cvt_f64_f32_e32 v[20:21], v5
	v_frexp_exp_i32_f64_e32 v20, v[20:21]
	v_cmp_gt_f32_e64 s[0:1], s0, v23
	s_nop 1
	v_subbrev_co_u32_e64 v28, s[0:1], 0, v20, s[0:1]
	v_sub_u32_e32 v20, 0, v28
	v_ldexp_f32 v5, v5, v20
	v_ldexp_f32 v20, v22, v20
	v_add_f32_e32 v22, -1.0, v5
	v_add_f32_e32 v21, 1.0, v22
	v_sub_f32_e32 v21, v5, v21
	v_add_f32_e32 v23, v20, v21
	v_add_f32_e32 v21, 1.0, v5
	v_add_f32_e32 v24, -1.0, v21
	v_sub_f32_e32 v5, v5, v24
	v_add_f32_e32 v5, v20, v5
	v_add_f32_e32 v29, v21, v5
	v_rcp_f32_e32 v30, v29
	v_sub_f32_e32 v20, v21, v29
	v_add_f32_e32 v21, v22, v23
	v_add_f32_e32 v5, v5, v20
	v_mul_f32_e32 v32, v21, v30
	v_sub_f32_e32 v20, v22, v21
	v_mul_f32_e32 v22, v29, v32
	v_fma_f32 v24, v32, v29, -v22
	v_fmac_f32_e32 v24, v32, v5
	v_add_f32_e32 v31, v23, v20
	v_add_f32_e32 v20, v22, v24
	v_sub_f32_e32 v23, v21, v20
	v_pk_add_f32 v[26:27], v[20:21], v[22:23] neg_lo:[0,1] neg_hi:[0,1]
	v_mov_b32_e32 v25, v20
	v_pk_add_f32 v[20:21], v[26:27], v[24:25] neg_lo:[0,1] neg_hi:[0,1]
	s_mov_b32 s0, 0x3f317218
	v_add_f32_e32 v21, v31, v21
	v_add_f32_e32 v20, v20, v21
	;; [unrolled: 1-line block ×3, first 2 shown]
	v_mul_f32_e32 v31, v30, v21
	v_mul_f32_e32 v22, v29, v31
	v_fma_f32 v24, v31, v29, -v22
	v_fmac_f32_e32 v24, v31, v5
	v_sub_f32_e32 v5, v23, v21
	v_add_f32_e32 v5, v20, v5
	v_add_f32_e32 v20, v22, v24
	v_sub_f32_e32 v23, v21, v20
	v_pk_add_f32 v[26:27], v[20:21], v[22:23] neg_lo:[0,1] neg_hi:[0,1]
	v_mov_b32_e32 v25, v20
	v_pk_add_f32 v[20:21], v[26:27], v[24:25] neg_lo:[0,1] neg_hi:[0,1]
	v_cvt_f32_i32_e32 v22, v28
	v_add_f32_e32 v5, v5, v21
	v_add_f32_e32 v5, v20, v5
	;; [unrolled: 1-line block ×4, first 2 shown]
	v_sub_f32_e32 v21, v20, v32
	v_mul_f32_e32 v5, v30, v5
	v_sub_f32_e32 v21, v31, v21
	v_add_f32_e32 v5, v21, v5
	v_add_f32_e32 v23, v20, v5
	v_mul_f32_e32 v24, v23, v23
	v_mov_b32_e32 v21, 0x3ecc95a3
	v_fmac_f32_e32 v21, 0x3e9b6dac, v24
	v_sub_f32_e32 v20, v23, v20
	v_fmaak_f32 v21, v24, v21, 0x3f2aaada
	v_sub_f32_e32 v5, v5, v20
	v_ldexp_f32 v25, v23, 1
	v_mul_f32_e32 v23, v23, v24
	v_mov_b32_e32 v20, 0x3f317218
	v_pk_mul_f32 v[20:21], v[22:23], v[20:21]
	v_ldexp_f32 v5, v5, 1
	v_fma_f32 v23, v22, s0, -v20
	v_fmamk_f32 v24, v22, 0xb102e308, v23
	v_pk_add_f32 v[22:23], v[20:21], v[24:25]
	v_mov_b32_e32 v26, v20
	v_sub_f32_e32 v25, v23, v25
	v_sub_f32_e32 v25, v21, v25
	v_add_f32_e32 v27, v5, v25
	v_pk_add_f32 v[20:21], v[22:23], v[20:21] neg_lo:[0,1] neg_hi:[0,1]
	v_pk_add_f32 v[28:29], v[22:23], v[26:27]
	v_mov_b32_e32 v25, v22
	v_mov_b32_e32 v21, v29
	v_pk_add_f32 v[30:31], v[24:25], v[20:21] neg_lo:[0,1] neg_hi:[0,1]
	v_pk_add_f32 v[20:21], v[24:25], v[20:21]
	v_mov_b32_e32 v26, v27
	v_pk_add_f32 v[24:25], v[20:21], v[22:23] op_sel:[1,0] op_sel_hi:[0,1] neg_lo:[0,1] neg_hi:[0,1]
	v_pk_add_f32 v[32:33], v[28:29], v[24:25] op_sel_hi:[1,0] neg_lo:[0,1] neg_hi:[0,1]
	v_mov_b32_e32 v28, v29
	v_mov_b32_e32 v29, v21
	v_pk_mov_b32 v[24:25], v[22:23], v[24:25] op_sel:[1,0]
	v_mov_b32_e32 v27, v22
	v_pk_add_f32 v[24:25], v[28:29], v[24:25] neg_lo:[0,1] neg_hi:[0,1]
	v_mov_b32_e32 v32, v30
	v_pk_add_f32 v[22:23], v[26:27], v[24:25] neg_lo:[0,1] neg_hi:[0,1]
	v_mov_b32_e32 v31, v21
	v_pk_add_f32 v[24:25], v[32:33], v[22:23]
	v_cmp_neq_f32_e64 s[0:1], s28, v1
	v_pk_add_f32 v[26:27], v[24:25], v[24:25] op_sel:[0,1] op_sel_hi:[1,0]
	s_nop 0
	v_pk_add_f32 v[20:21], v[20:21], v[26:27] op_sel:[1,0] op_sel_hi:[0,1]
	v_mov_b32_e32 v25, v20
	v_pk_add_f32 v[28:29], v[24:25], v[30:31] neg_lo:[0,1] neg_hi:[0,1]
	v_mov_b32_e32 v23, v26
	v_sub_f32_e32 v5, v24, v28
	v_pk_add_f32 v[22:23], v[22:23], v[28:29] neg_lo:[0,1] neg_hi:[0,1]
	v_sub_f32_e32 v5, v30, v5
	v_add_f32_e32 v5, v22, v5
	v_add_f32_e32 v5, v5, v23
	;; [unrolled: 1-line block ×3, first 2 shown]
	v_cndmask_b32_e64 v5, v18, v5, s[0:1]
	s_mov_b32 s0, 0x33800000
	v_cmp_lt_f32_e64 s[0:1], |v1|, s0
	s_nop 1
	v_cndmask_b32_e64 v1, v5, v1, s[0:1]
	v_add_f32_e32 v1, v17, v1
	v_cvt_f16_f32_e32 v21, v1
	v_cvt_f32_f16_e32 v1, v21
	v_mov_b32_e32 v5, v21
.LBB368_118:
	s_or_b64 exec, exec, s[26:27]
	v_max_f32_e32 v18, v16, v16
	v_max_f32_e32 v20, v1, v1
	v_min_f32_e32 v17, v20, v18
	v_cmp_u_f16_e64 s[0:1], v21, v21
	v_max_f32_e32 v18, v20, v18
	s_movk_i32 s26, 0x1f8
	v_cndmask_b32_e64 v17, v17, v1, s[0:1]
	v_cndmask_b32_e64 v1, v18, v1, s[0:1]
	;; [unrolled: 1-line block ×4, first 2 shown]
	v_cmp_neq_f32_e64 s[0:1], v17, v1
	v_cmp_class_f32_e64 s[26:27], v17, s26
	s_or_b64 s[0:1], s[0:1], s[26:27]
	v_mov_b32_e32 v16, v5
	s_and_saveexec_b64 s[26:27], s[0:1]
	s_cbranch_execz .LBB368_120
; %bb.119:
	v_sub_f32_e32 v16, v17, v1
	s_mov_b32 s0, 0x3fb8aa3b
	v_mul_f32_e32 v17, 0x3fb8aa3b, v16
	v_fma_f32 v18, v16, s0, -v17
	v_rndne_f32_e32 v20, v17
	v_fmamk_f32 v18, v16, 0x32a5705f, v18
	v_sub_f32_e32 v17, v17, v20
	v_add_f32_e32 v17, v17, v18
	v_exp_f32_e32 v17, v17
	v_cvt_i32_f32_e32 v18, v20
	s_mov_b32 s0, 0xc2ce8ed0
	v_cmp_ngt_f32_e64 s[0:1], s0, v16
	s_mov_b32 s28, 0x7f800000
	v_ldexp_f32 v17, v17, v18
	v_cndmask_b32_e64 v17, 0, v17, s[0:1]
	s_mov_b32 s0, 0x42b17218
	v_mov_b32_e32 v18, 0x7f800000
	v_cmp_nlt_f32_e64 s[0:1], s0, v16
	s_nop 1
	v_cndmask_b32_e64 v32, v18, v17, s[0:1]
	v_add_f32_e32 v20, 1.0, v32
	v_add_f32_e32 v16, -1.0, v20
	v_sub_f32_e32 v17, v16, v20
	v_add_f32_e32 v17, 1.0, v17
	v_sub_f32_e32 v16, v32, v16
	v_add_f32_e32 v21, v16, v17
	s_waitcnt lgkmcnt(0)
	v_frexp_mant_f32_e32 v22, v20
	s_mov_b32 s0, 0x3f2aaaab
	v_cvt_f64_f32_e32 v[16:17], v20
	v_frexp_exp_i32_f64_e32 v16, v[16:17]
	v_cmp_gt_f32_e64 s[0:1], s0, v22
	s_nop 1
	v_subbrev_co_u32_e64 v26, s[0:1], 0, v16, s[0:1]
	v_sub_u32_e32 v16, 0, v26
	v_ldexp_f32 v17, v20, v16
	v_add_f32_e32 v20, -1.0, v17
	v_add_f32_e32 v22, 1.0, v17
	v_ldexp_f32 v16, v21, v16
	v_add_f32_e32 v21, 1.0, v20
	v_add_f32_e32 v23, -1.0, v22
	v_sub_f32_e32 v21, v17, v21
	v_sub_f32_e32 v17, v17, v23
	v_add_f32_e32 v21, v16, v21
	v_add_f32_e32 v16, v16, v17
	;; [unrolled: 1-line block ×3, first 2 shown]
	v_rcp_f32_e32 v29, v27
	v_sub_f32_e32 v17, v22, v27
	v_add_f32_e32 v28, v16, v17
	v_add_f32_e32 v17, v20, v21
	v_mul_f32_e32 v31, v17, v29
	v_sub_f32_e32 v16, v20, v17
	v_mul_f32_e32 v20, v27, v31
	v_fma_f32 v22, v31, v27, -v20
	v_fmac_f32_e32 v22, v31, v28
	v_add_f32_e32 v30, v21, v16
	v_add_f32_e32 v16, v20, v22
	v_sub_f32_e32 v21, v17, v16
	v_pk_add_f32 v[24:25], v[16:17], v[20:21] neg_lo:[0,1] neg_hi:[0,1]
	v_mov_b32_e32 v23, v16
	v_pk_add_f32 v[16:17], v[24:25], v[22:23] neg_lo:[0,1] neg_hi:[0,1]
	s_mov_b32 s0, 0x3f317218
	v_add_f32_e32 v17, v30, v17
	v_add_f32_e32 v16, v16, v17
	v_add_f32_e32 v17, v21, v16
	v_mul_f32_e32 v30, v29, v17
	v_mul_f32_e32 v20, v27, v30
	v_fma_f32 v22, v30, v27, -v20
	v_fmac_f32_e32 v22, v30, v28
	v_sub_f32_e32 v21, v21, v17
	v_add_f32_e32 v27, v16, v21
	v_add_f32_e32 v16, v20, v22
	v_sub_f32_e32 v21, v17, v16
	v_pk_add_f32 v[24:25], v[16:17], v[20:21] neg_lo:[0,1] neg_hi:[0,1]
	v_mov_b32_e32 v23, v16
	v_pk_add_f32 v[16:17], v[24:25], v[22:23] neg_lo:[0,1] neg_hi:[0,1]
	v_cvt_f32_i32_e32 v20, v26
	v_add_f32_e32 v17, v27, v17
	v_add_f32_e32 v16, v16, v17
	v_add_f32_e32 v16, v21, v16
	v_add_f32_e32 v21, v31, v30
	v_sub_f32_e32 v17, v21, v31
	v_mul_f32_e32 v16, v29, v16
	v_sub_f32_e32 v17, v30, v17
	v_add_f32_e32 v16, v17, v16
	v_add_f32_e32 v22, v21, v16
	v_mul_f32_e32 v24, v22, v22
	v_mov_b32_e32 v17, 0x3ecc95a3
	v_sub_f32_e32 v21, v22, v21
	v_fmac_f32_e32 v17, 0x3e9b6dac, v24
	v_sub_f32_e32 v16, v16, v21
	v_fmaak_f32 v17, v24, v17, 0x3f2aaada
	v_ldexp_f32 v25, v16, 1
	v_mul_f32_e32 v21, v22, v24
	v_mov_b32_e32 v16, 0x3f317218
	v_pk_mul_f32 v[16:17], v[20:21], v[16:17]
	v_ldexp_f32 v23, v22, 1
	v_fma_f32 v21, v20, s0, -v16
	v_fmamk_f32 v22, v20, 0xb102e308, v21
	v_pk_add_f32 v[20:21], v[16:17], v[22:23]
	v_mov_b32_e32 v24, v16
	v_sub_f32_e32 v23, v21, v23
	v_sub_f32_e32 v23, v17, v23
	v_add_f32_e32 v25, v25, v23
	v_pk_add_f32 v[16:17], v[20:21], v[16:17] neg_lo:[0,1] neg_hi:[0,1]
	v_pk_add_f32 v[26:27], v[20:21], v[24:25]
	v_mov_b32_e32 v23, v20
	v_mov_b32_e32 v17, v27
	v_pk_add_f32 v[28:29], v[22:23], v[16:17] neg_lo:[0,1] neg_hi:[0,1]
	v_pk_add_f32 v[16:17], v[22:23], v[16:17]
	v_mov_b32_e32 v24, v25
	v_pk_add_f32 v[22:23], v[16:17], v[20:21] op_sel:[1,0] op_sel_hi:[0,1] neg_lo:[0,1] neg_hi:[0,1]
	v_pk_add_f32 v[30:31], v[26:27], v[22:23] op_sel_hi:[1,0] neg_lo:[0,1] neg_hi:[0,1]
	v_mov_b32_e32 v26, v27
	v_mov_b32_e32 v27, v17
	v_pk_mov_b32 v[22:23], v[20:21], v[22:23] op_sel:[1,0]
	v_mov_b32_e32 v25, v20
	v_pk_add_f32 v[22:23], v[26:27], v[22:23] neg_lo:[0,1] neg_hi:[0,1]
	v_mov_b32_e32 v30, v28
	v_pk_add_f32 v[20:21], v[24:25], v[22:23] neg_lo:[0,1] neg_hi:[0,1]
	v_mov_b32_e32 v29, v17
	v_pk_add_f32 v[22:23], v[30:31], v[20:21]
	v_cmp_neq_f32_e64 s[0:1], s28, v32
	v_pk_add_f32 v[24:25], v[22:23], v[22:23] op_sel:[0,1] op_sel_hi:[1,0]
	s_nop 0
	v_pk_add_f32 v[16:17], v[16:17], v[24:25] op_sel:[1,0] op_sel_hi:[0,1]
	v_mov_b32_e32 v23, v16
	v_pk_add_f32 v[26:27], v[22:23], v[28:29] neg_lo:[0,1] neg_hi:[0,1]
	v_mov_b32_e32 v21, v24
	v_sub_f32_e32 v17, v22, v26
	v_pk_add_f32 v[20:21], v[20:21], v[26:27] neg_lo:[0,1] neg_hi:[0,1]
	v_sub_f32_e32 v17, v28, v17
	v_add_f32_e32 v17, v20, v17
	v_add_f32_e32 v17, v17, v21
	;; [unrolled: 1-line block ×3, first 2 shown]
	v_cndmask_b32_e64 v16, v18, v16, s[0:1]
	s_mov_b32 s0, 0x33800000
	v_cmp_lt_f32_e64 s[0:1], |v32|, s0
	s_nop 1
	v_cndmask_b32_e64 v16, v16, v32, s[0:1]
	v_add_f32_e32 v1, v1, v16
	v_cvt_f16_f32_e32 v16, v1
.LBB368_120:
	s_or_b64 exec, exec, s[26:27]
	s_mov_b32 s0, 0x5040100
	v_add_u32_e32 v1, v8, v19
	v_perm_b32 v10, v11, v10, s0
	v_perm_b32 v2, v9, v2, s0
	s_waitcnt lgkmcnt(0)
	s_barrier
	ds_write2_b32 v1, v2, v10 offset1:1
	v_perm_b32 v2, v13, v6, s0
	v_perm_b32 v3, v12, v3, s0
	ds_write2_b32 v1, v3, v2 offset0:2 offset1:3
	v_perm_b32 v2, v15, v4, s0
	v_perm_b32 v3, v14, v7, s0
	ds_write2_b32 v1, v3, v2 offset0:4 offset1:5
	v_perm_b32 v2, v16, v5, s0
	ds_write_b32 v1, v2 offset:24
	s_waitcnt lgkmcnt(0)
	s_barrier
	ds_read_u16 v15, v8 offset:256
	ds_read_u16 v14, v8 offset:512
	;; [unrolled: 1-line block ×13, first 2 shown]
	v_lshlrev_b32_e32 v0, 1, v0
	v_mov_b32_e32 v1, 0
	v_lshl_add_u64 v[0:1], s[60:61], 0, v[0:1]
	s_and_saveexec_b64 s[0:1], vcc
	s_cbranch_execnz .LBB368_135
; %bb.121:
	s_or_b64 exec, exec, s[0:1]
	s_and_saveexec_b64 s[0:1], s[56:57]
	s_cbranch_execnz .LBB368_136
.LBB368_122:
	s_or_b64 exec, exec, s[0:1]
	s_and_saveexec_b64 s[0:1], s[2:3]
	s_cbranch_execnz .LBB368_137
.LBB368_123:
	s_or_b64 exec, exec, s[0:1]
	s_and_saveexec_b64 s[0:1], s[4:5]
	s_cbranch_execnz .LBB368_138
.LBB368_124:
	s_or_b64 exec, exec, s[0:1]
	s_and_saveexec_b64 s[0:1], s[6:7]
	s_cbranch_execnz .LBB368_139
.LBB368_125:
	s_or_b64 exec, exec, s[0:1]
	s_and_saveexec_b64 s[0:1], s[8:9]
	s_cbranch_execnz .LBB368_140
.LBB368_126:
	s_or_b64 exec, exec, s[0:1]
	s_and_saveexec_b64 s[0:1], s[10:11]
	s_cbranch_execnz .LBB368_141
.LBB368_127:
	s_or_b64 exec, exec, s[0:1]
	s_and_saveexec_b64 s[0:1], s[12:13]
	s_cbranch_execnz .LBB368_142
.LBB368_128:
	s_or_b64 exec, exec, s[0:1]
	s_and_saveexec_b64 s[0:1], s[14:15]
	s_cbranch_execnz .LBB368_143
.LBB368_129:
	s_or_b64 exec, exec, s[0:1]
	s_and_saveexec_b64 s[0:1], s[16:17]
	s_cbranch_execnz .LBB368_144
.LBB368_130:
	s_or_b64 exec, exec, s[0:1]
	s_and_saveexec_b64 s[0:1], s[18:19]
	s_cbranch_execnz .LBB368_145
.LBB368_131:
	s_or_b64 exec, exec, s[0:1]
	s_and_saveexec_b64 s[0:1], s[20:21]
	s_cbranch_execnz .LBB368_146
.LBB368_132:
	s_or_b64 exec, exec, s[0:1]
	s_and_saveexec_b64 s[0:1], s[22:23]
	s_cbranch_execnz .LBB368_147
.LBB368_133:
	s_or_b64 exec, exec, s[0:1]
	s_and_saveexec_b64 s[0:1], s[24:25]
	s_cbranch_execnz .LBB368_148
.LBB368_134:
	s_endpgm
.LBB368_135:
	ds_read_u16 v8, v8
	s_waitcnt lgkmcnt(0)
	global_store_short v[0:1], v8, off
	s_or_b64 exec, exec, s[0:1]
	s_and_saveexec_b64 s[0:1], s[56:57]
	s_cbranch_execz .LBB368_122
.LBB368_136:
	s_waitcnt lgkmcnt(12)
	global_store_short v[0:1], v15, off offset:256
	s_or_b64 exec, exec, s[0:1]
	s_and_saveexec_b64 s[0:1], s[2:3]
	s_cbranch_execz .LBB368_123
.LBB368_137:
	s_waitcnt lgkmcnt(11)
	global_store_short v[0:1], v14, off offset:512
	s_or_b64 exec, exec, s[0:1]
	s_and_saveexec_b64 s[0:1], s[4:5]
	s_cbranch_execz .LBB368_124
.LBB368_138:
	s_waitcnt lgkmcnt(10)
	global_store_short v[0:1], v13, off offset:768
	s_or_b64 exec, exec, s[0:1]
	s_and_saveexec_b64 s[0:1], s[6:7]
	s_cbranch_execz .LBB368_125
.LBB368_139:
	s_waitcnt lgkmcnt(9)
	global_store_short v[0:1], v12, off offset:1024
	s_or_b64 exec, exec, s[0:1]
	s_and_saveexec_b64 s[0:1], s[8:9]
	s_cbranch_execz .LBB368_126
.LBB368_140:
	s_waitcnt lgkmcnt(8)
	global_store_short v[0:1], v11, off offset:1280
	s_or_b64 exec, exec, s[0:1]
	s_and_saveexec_b64 s[0:1], s[10:11]
	s_cbranch_execz .LBB368_127
.LBB368_141:
	s_waitcnt lgkmcnt(7)
	global_store_short v[0:1], v10, off offset:1536
	s_or_b64 exec, exec, s[0:1]
	s_and_saveexec_b64 s[0:1], s[12:13]
	s_cbranch_execz .LBB368_128
.LBB368_142:
	s_waitcnt lgkmcnt(6)
	global_store_short v[0:1], v9, off offset:1792
	s_or_b64 exec, exec, s[0:1]
	s_and_saveexec_b64 s[0:1], s[14:15]
	s_cbranch_execz .LBB368_129
.LBB368_143:
	s_waitcnt lgkmcnt(5)
	global_store_short v[0:1], v7, off offset:2048
	s_or_b64 exec, exec, s[0:1]
	s_and_saveexec_b64 s[0:1], s[16:17]
	s_cbranch_execz .LBB368_130
.LBB368_144:
	s_waitcnt lgkmcnt(4)
	global_store_short v[0:1], v6, off offset:2304
	s_or_b64 exec, exec, s[0:1]
	s_and_saveexec_b64 s[0:1], s[18:19]
	s_cbranch_execz .LBB368_131
.LBB368_145:
	s_waitcnt lgkmcnt(3)
	global_store_short v[0:1], v5, off offset:2560
	s_or_b64 exec, exec, s[0:1]
	s_and_saveexec_b64 s[0:1], s[20:21]
	s_cbranch_execz .LBB368_132
.LBB368_146:
	s_waitcnt lgkmcnt(2)
	global_store_short v[0:1], v4, off offset:2816
	s_or_b64 exec, exec, s[0:1]
	s_and_saveexec_b64 s[0:1], s[22:23]
	s_cbranch_execz .LBB368_133
.LBB368_147:
	s_waitcnt lgkmcnt(1)
	global_store_short v[0:1], v3, off offset:3072
	s_or_b64 exec, exec, s[0:1]
	s_and_saveexec_b64 s[0:1], s[24:25]
	s_cbranch_execz .LBB368_134
.LBB368_148:
	s_waitcnt lgkmcnt(0)
	global_store_short v[0:1], v2, off offset:3328
	s_endpgm
	.section	.rodata,"a",@progbits
	.p2align	6, 0x0
	.amdhsa_kernel _ZN7rocprim17ROCPRIM_400000_NS6detail17trampoline_kernelINS0_14default_configENS1_20scan_config_selectorIN3c104HalfEEEZZNS1_9scan_implILNS1_25lookback_scan_determinismE0ELb0ELb0ES3_PKS6_PS6_S6_ZZZN2at6native31launch_logcumsumexp_cuda_kernelERKNSD_10TensorBaseESH_lENKUlvE_clEvENKUlvE3_clEvEUlS6_S6_E_S6_EEDaPvRmT3_T4_T5_mT6_P12ihipStream_tbENKUlT_T0_E_clISt17integral_constantIbLb0EESY_EEDaST_SU_EUlST_E0_NS1_11comp_targetILNS1_3genE0ELNS1_11target_archE4294967295ELNS1_3gpuE0ELNS1_3repE0EEENS1_30default_config_static_selectorELNS0_4arch9wavefront6targetE1EEEvT1_
		.amdhsa_group_segment_fixed_size 3584
		.amdhsa_private_segment_fixed_size 0
		.amdhsa_kernarg_size 32
		.amdhsa_user_sgpr_count 2
		.amdhsa_user_sgpr_dispatch_ptr 0
		.amdhsa_user_sgpr_queue_ptr 0
		.amdhsa_user_sgpr_kernarg_segment_ptr 1
		.amdhsa_user_sgpr_dispatch_id 0
		.amdhsa_user_sgpr_kernarg_preload_length 0
		.amdhsa_user_sgpr_kernarg_preload_offset 0
		.amdhsa_user_sgpr_private_segment_size 0
		.amdhsa_uses_dynamic_stack 0
		.amdhsa_enable_private_segment 0
		.amdhsa_system_sgpr_workgroup_id_x 1
		.amdhsa_system_sgpr_workgroup_id_y 0
		.amdhsa_system_sgpr_workgroup_id_z 0
		.amdhsa_system_sgpr_workgroup_info 0
		.amdhsa_system_vgpr_workitem_id 0
		.amdhsa_next_free_vgpr 40
		.amdhsa_next_free_sgpr 66
		.amdhsa_accum_offset 40
		.amdhsa_reserve_vcc 1
		.amdhsa_float_round_mode_32 0
		.amdhsa_float_round_mode_16_64 0
		.amdhsa_float_denorm_mode_32 3
		.amdhsa_float_denorm_mode_16_64 3
		.amdhsa_dx10_clamp 1
		.amdhsa_ieee_mode 1
		.amdhsa_fp16_overflow 0
		.amdhsa_tg_split 0
		.amdhsa_exception_fp_ieee_invalid_op 0
		.amdhsa_exception_fp_denorm_src 0
		.amdhsa_exception_fp_ieee_div_zero 0
		.amdhsa_exception_fp_ieee_overflow 0
		.amdhsa_exception_fp_ieee_underflow 0
		.amdhsa_exception_fp_ieee_inexact 0
		.amdhsa_exception_int_div_zero 0
	.end_amdhsa_kernel
	.section	.text._ZN7rocprim17ROCPRIM_400000_NS6detail17trampoline_kernelINS0_14default_configENS1_20scan_config_selectorIN3c104HalfEEEZZNS1_9scan_implILNS1_25lookback_scan_determinismE0ELb0ELb0ES3_PKS6_PS6_S6_ZZZN2at6native31launch_logcumsumexp_cuda_kernelERKNSD_10TensorBaseESH_lENKUlvE_clEvENKUlvE3_clEvEUlS6_S6_E_S6_EEDaPvRmT3_T4_T5_mT6_P12ihipStream_tbENKUlT_T0_E_clISt17integral_constantIbLb0EESY_EEDaST_SU_EUlST_E0_NS1_11comp_targetILNS1_3genE0ELNS1_11target_archE4294967295ELNS1_3gpuE0ELNS1_3repE0EEENS1_30default_config_static_selectorELNS0_4arch9wavefront6targetE1EEEvT1_,"axG",@progbits,_ZN7rocprim17ROCPRIM_400000_NS6detail17trampoline_kernelINS0_14default_configENS1_20scan_config_selectorIN3c104HalfEEEZZNS1_9scan_implILNS1_25lookback_scan_determinismE0ELb0ELb0ES3_PKS6_PS6_S6_ZZZN2at6native31launch_logcumsumexp_cuda_kernelERKNSD_10TensorBaseESH_lENKUlvE_clEvENKUlvE3_clEvEUlS6_S6_E_S6_EEDaPvRmT3_T4_T5_mT6_P12ihipStream_tbENKUlT_T0_E_clISt17integral_constantIbLb0EESY_EEDaST_SU_EUlST_E0_NS1_11comp_targetILNS1_3genE0ELNS1_11target_archE4294967295ELNS1_3gpuE0ELNS1_3repE0EEENS1_30default_config_static_selectorELNS0_4arch9wavefront6targetE1EEEvT1_,comdat
.Lfunc_end368:
	.size	_ZN7rocprim17ROCPRIM_400000_NS6detail17trampoline_kernelINS0_14default_configENS1_20scan_config_selectorIN3c104HalfEEEZZNS1_9scan_implILNS1_25lookback_scan_determinismE0ELb0ELb0ES3_PKS6_PS6_S6_ZZZN2at6native31launch_logcumsumexp_cuda_kernelERKNSD_10TensorBaseESH_lENKUlvE_clEvENKUlvE3_clEvEUlS6_S6_E_S6_EEDaPvRmT3_T4_T5_mT6_P12ihipStream_tbENKUlT_T0_E_clISt17integral_constantIbLb0EESY_EEDaST_SU_EUlST_E0_NS1_11comp_targetILNS1_3genE0ELNS1_11target_archE4294967295ELNS1_3gpuE0ELNS1_3repE0EEENS1_30default_config_static_selectorELNS0_4arch9wavefront6targetE1EEEvT1_, .Lfunc_end368-_ZN7rocprim17ROCPRIM_400000_NS6detail17trampoline_kernelINS0_14default_configENS1_20scan_config_selectorIN3c104HalfEEEZZNS1_9scan_implILNS1_25lookback_scan_determinismE0ELb0ELb0ES3_PKS6_PS6_S6_ZZZN2at6native31launch_logcumsumexp_cuda_kernelERKNSD_10TensorBaseESH_lENKUlvE_clEvENKUlvE3_clEvEUlS6_S6_E_S6_EEDaPvRmT3_T4_T5_mT6_P12ihipStream_tbENKUlT_T0_E_clISt17integral_constantIbLb0EESY_EEDaST_SU_EUlST_E0_NS1_11comp_targetILNS1_3genE0ELNS1_11target_archE4294967295ELNS1_3gpuE0ELNS1_3repE0EEENS1_30default_config_static_selectorELNS0_4arch9wavefront6targetE1EEEvT1_
                                        ; -- End function
	.set _ZN7rocprim17ROCPRIM_400000_NS6detail17trampoline_kernelINS0_14default_configENS1_20scan_config_selectorIN3c104HalfEEEZZNS1_9scan_implILNS1_25lookback_scan_determinismE0ELb0ELb0ES3_PKS6_PS6_S6_ZZZN2at6native31launch_logcumsumexp_cuda_kernelERKNSD_10TensorBaseESH_lENKUlvE_clEvENKUlvE3_clEvEUlS6_S6_E_S6_EEDaPvRmT3_T4_T5_mT6_P12ihipStream_tbENKUlT_T0_E_clISt17integral_constantIbLb0EESY_EEDaST_SU_EUlST_E0_NS1_11comp_targetILNS1_3genE0ELNS1_11target_archE4294967295ELNS1_3gpuE0ELNS1_3repE0EEENS1_30default_config_static_selectorELNS0_4arch9wavefront6targetE1EEEvT1_.num_vgpr, 40
	.set _ZN7rocprim17ROCPRIM_400000_NS6detail17trampoline_kernelINS0_14default_configENS1_20scan_config_selectorIN3c104HalfEEEZZNS1_9scan_implILNS1_25lookback_scan_determinismE0ELb0ELb0ES3_PKS6_PS6_S6_ZZZN2at6native31launch_logcumsumexp_cuda_kernelERKNSD_10TensorBaseESH_lENKUlvE_clEvENKUlvE3_clEvEUlS6_S6_E_S6_EEDaPvRmT3_T4_T5_mT6_P12ihipStream_tbENKUlT_T0_E_clISt17integral_constantIbLb0EESY_EEDaST_SU_EUlST_E0_NS1_11comp_targetILNS1_3genE0ELNS1_11target_archE4294967295ELNS1_3gpuE0ELNS1_3repE0EEENS1_30default_config_static_selectorELNS0_4arch9wavefront6targetE1EEEvT1_.num_agpr, 0
	.set _ZN7rocprim17ROCPRIM_400000_NS6detail17trampoline_kernelINS0_14default_configENS1_20scan_config_selectorIN3c104HalfEEEZZNS1_9scan_implILNS1_25lookback_scan_determinismE0ELb0ELb0ES3_PKS6_PS6_S6_ZZZN2at6native31launch_logcumsumexp_cuda_kernelERKNSD_10TensorBaseESH_lENKUlvE_clEvENKUlvE3_clEvEUlS6_S6_E_S6_EEDaPvRmT3_T4_T5_mT6_P12ihipStream_tbENKUlT_T0_E_clISt17integral_constantIbLb0EESY_EEDaST_SU_EUlST_E0_NS1_11comp_targetILNS1_3genE0ELNS1_11target_archE4294967295ELNS1_3gpuE0ELNS1_3repE0EEENS1_30default_config_static_selectorELNS0_4arch9wavefront6targetE1EEEvT1_.numbered_sgpr, 66
	.set _ZN7rocprim17ROCPRIM_400000_NS6detail17trampoline_kernelINS0_14default_configENS1_20scan_config_selectorIN3c104HalfEEEZZNS1_9scan_implILNS1_25lookback_scan_determinismE0ELb0ELb0ES3_PKS6_PS6_S6_ZZZN2at6native31launch_logcumsumexp_cuda_kernelERKNSD_10TensorBaseESH_lENKUlvE_clEvENKUlvE3_clEvEUlS6_S6_E_S6_EEDaPvRmT3_T4_T5_mT6_P12ihipStream_tbENKUlT_T0_E_clISt17integral_constantIbLb0EESY_EEDaST_SU_EUlST_E0_NS1_11comp_targetILNS1_3genE0ELNS1_11target_archE4294967295ELNS1_3gpuE0ELNS1_3repE0EEENS1_30default_config_static_selectorELNS0_4arch9wavefront6targetE1EEEvT1_.num_named_barrier, 0
	.set _ZN7rocprim17ROCPRIM_400000_NS6detail17trampoline_kernelINS0_14default_configENS1_20scan_config_selectorIN3c104HalfEEEZZNS1_9scan_implILNS1_25lookback_scan_determinismE0ELb0ELb0ES3_PKS6_PS6_S6_ZZZN2at6native31launch_logcumsumexp_cuda_kernelERKNSD_10TensorBaseESH_lENKUlvE_clEvENKUlvE3_clEvEUlS6_S6_E_S6_EEDaPvRmT3_T4_T5_mT6_P12ihipStream_tbENKUlT_T0_E_clISt17integral_constantIbLb0EESY_EEDaST_SU_EUlST_E0_NS1_11comp_targetILNS1_3genE0ELNS1_11target_archE4294967295ELNS1_3gpuE0ELNS1_3repE0EEENS1_30default_config_static_selectorELNS0_4arch9wavefront6targetE1EEEvT1_.private_seg_size, 0
	.set _ZN7rocprim17ROCPRIM_400000_NS6detail17trampoline_kernelINS0_14default_configENS1_20scan_config_selectorIN3c104HalfEEEZZNS1_9scan_implILNS1_25lookback_scan_determinismE0ELb0ELb0ES3_PKS6_PS6_S6_ZZZN2at6native31launch_logcumsumexp_cuda_kernelERKNSD_10TensorBaseESH_lENKUlvE_clEvENKUlvE3_clEvEUlS6_S6_E_S6_EEDaPvRmT3_T4_T5_mT6_P12ihipStream_tbENKUlT_T0_E_clISt17integral_constantIbLb0EESY_EEDaST_SU_EUlST_E0_NS1_11comp_targetILNS1_3genE0ELNS1_11target_archE4294967295ELNS1_3gpuE0ELNS1_3repE0EEENS1_30default_config_static_selectorELNS0_4arch9wavefront6targetE1EEEvT1_.uses_vcc, 1
	.set _ZN7rocprim17ROCPRIM_400000_NS6detail17trampoline_kernelINS0_14default_configENS1_20scan_config_selectorIN3c104HalfEEEZZNS1_9scan_implILNS1_25lookback_scan_determinismE0ELb0ELb0ES3_PKS6_PS6_S6_ZZZN2at6native31launch_logcumsumexp_cuda_kernelERKNSD_10TensorBaseESH_lENKUlvE_clEvENKUlvE3_clEvEUlS6_S6_E_S6_EEDaPvRmT3_T4_T5_mT6_P12ihipStream_tbENKUlT_T0_E_clISt17integral_constantIbLb0EESY_EEDaST_SU_EUlST_E0_NS1_11comp_targetILNS1_3genE0ELNS1_11target_archE4294967295ELNS1_3gpuE0ELNS1_3repE0EEENS1_30default_config_static_selectorELNS0_4arch9wavefront6targetE1EEEvT1_.uses_flat_scratch, 0
	.set _ZN7rocprim17ROCPRIM_400000_NS6detail17trampoline_kernelINS0_14default_configENS1_20scan_config_selectorIN3c104HalfEEEZZNS1_9scan_implILNS1_25lookback_scan_determinismE0ELb0ELb0ES3_PKS6_PS6_S6_ZZZN2at6native31launch_logcumsumexp_cuda_kernelERKNSD_10TensorBaseESH_lENKUlvE_clEvENKUlvE3_clEvEUlS6_S6_E_S6_EEDaPvRmT3_T4_T5_mT6_P12ihipStream_tbENKUlT_T0_E_clISt17integral_constantIbLb0EESY_EEDaST_SU_EUlST_E0_NS1_11comp_targetILNS1_3genE0ELNS1_11target_archE4294967295ELNS1_3gpuE0ELNS1_3repE0EEENS1_30default_config_static_selectorELNS0_4arch9wavefront6targetE1EEEvT1_.has_dyn_sized_stack, 0
	.set _ZN7rocprim17ROCPRIM_400000_NS6detail17trampoline_kernelINS0_14default_configENS1_20scan_config_selectorIN3c104HalfEEEZZNS1_9scan_implILNS1_25lookback_scan_determinismE0ELb0ELb0ES3_PKS6_PS6_S6_ZZZN2at6native31launch_logcumsumexp_cuda_kernelERKNSD_10TensorBaseESH_lENKUlvE_clEvENKUlvE3_clEvEUlS6_S6_E_S6_EEDaPvRmT3_T4_T5_mT6_P12ihipStream_tbENKUlT_T0_E_clISt17integral_constantIbLb0EESY_EEDaST_SU_EUlST_E0_NS1_11comp_targetILNS1_3genE0ELNS1_11target_archE4294967295ELNS1_3gpuE0ELNS1_3repE0EEENS1_30default_config_static_selectorELNS0_4arch9wavefront6targetE1EEEvT1_.has_recursion, 0
	.set _ZN7rocprim17ROCPRIM_400000_NS6detail17trampoline_kernelINS0_14default_configENS1_20scan_config_selectorIN3c104HalfEEEZZNS1_9scan_implILNS1_25lookback_scan_determinismE0ELb0ELb0ES3_PKS6_PS6_S6_ZZZN2at6native31launch_logcumsumexp_cuda_kernelERKNSD_10TensorBaseESH_lENKUlvE_clEvENKUlvE3_clEvEUlS6_S6_E_S6_EEDaPvRmT3_T4_T5_mT6_P12ihipStream_tbENKUlT_T0_E_clISt17integral_constantIbLb0EESY_EEDaST_SU_EUlST_E0_NS1_11comp_targetILNS1_3genE0ELNS1_11target_archE4294967295ELNS1_3gpuE0ELNS1_3repE0EEENS1_30default_config_static_selectorELNS0_4arch9wavefront6targetE1EEEvT1_.has_indirect_call, 0
	.section	.AMDGPU.csdata,"",@progbits
; Kernel info:
; codeLenInByte = 33060
; TotalNumSgprs: 72
; NumVgprs: 40
; NumAgprs: 0
; TotalNumVgprs: 40
; ScratchSize: 0
; MemoryBound: 0
; FloatMode: 240
; IeeeMode: 1
; LDSByteSize: 3584 bytes/workgroup (compile time only)
; SGPRBlocks: 8
; VGPRBlocks: 4
; NumSGPRsForWavesPerEU: 72
; NumVGPRsForWavesPerEU: 40
; AccumOffset: 40
; Occupancy: 8
; WaveLimiterHint : 0
; COMPUTE_PGM_RSRC2:SCRATCH_EN: 0
; COMPUTE_PGM_RSRC2:USER_SGPR: 2
; COMPUTE_PGM_RSRC2:TRAP_HANDLER: 0
; COMPUTE_PGM_RSRC2:TGID_X_EN: 1
; COMPUTE_PGM_RSRC2:TGID_Y_EN: 0
; COMPUTE_PGM_RSRC2:TGID_Z_EN: 0
; COMPUTE_PGM_RSRC2:TIDIG_COMP_CNT: 0
; COMPUTE_PGM_RSRC3_GFX90A:ACCUM_OFFSET: 9
; COMPUTE_PGM_RSRC3_GFX90A:TG_SPLIT: 0
	.section	.text._ZN7rocprim17ROCPRIM_400000_NS6detail17trampoline_kernelINS0_14default_configENS1_20scan_config_selectorIN3c104HalfEEEZZNS1_9scan_implILNS1_25lookback_scan_determinismE0ELb0ELb0ES3_PKS6_PS6_S6_ZZZN2at6native31launch_logcumsumexp_cuda_kernelERKNSD_10TensorBaseESH_lENKUlvE_clEvENKUlvE3_clEvEUlS6_S6_E_S6_EEDaPvRmT3_T4_T5_mT6_P12ihipStream_tbENKUlT_T0_E_clISt17integral_constantIbLb0EESY_EEDaST_SU_EUlST_E0_NS1_11comp_targetILNS1_3genE5ELNS1_11target_archE942ELNS1_3gpuE9ELNS1_3repE0EEENS1_30default_config_static_selectorELNS0_4arch9wavefront6targetE1EEEvT1_,"axG",@progbits,_ZN7rocprim17ROCPRIM_400000_NS6detail17trampoline_kernelINS0_14default_configENS1_20scan_config_selectorIN3c104HalfEEEZZNS1_9scan_implILNS1_25lookback_scan_determinismE0ELb0ELb0ES3_PKS6_PS6_S6_ZZZN2at6native31launch_logcumsumexp_cuda_kernelERKNSD_10TensorBaseESH_lENKUlvE_clEvENKUlvE3_clEvEUlS6_S6_E_S6_EEDaPvRmT3_T4_T5_mT6_P12ihipStream_tbENKUlT_T0_E_clISt17integral_constantIbLb0EESY_EEDaST_SU_EUlST_E0_NS1_11comp_targetILNS1_3genE5ELNS1_11target_archE942ELNS1_3gpuE9ELNS1_3repE0EEENS1_30default_config_static_selectorELNS0_4arch9wavefront6targetE1EEEvT1_,comdat
	.globl	_ZN7rocprim17ROCPRIM_400000_NS6detail17trampoline_kernelINS0_14default_configENS1_20scan_config_selectorIN3c104HalfEEEZZNS1_9scan_implILNS1_25lookback_scan_determinismE0ELb0ELb0ES3_PKS6_PS6_S6_ZZZN2at6native31launch_logcumsumexp_cuda_kernelERKNSD_10TensorBaseESH_lENKUlvE_clEvENKUlvE3_clEvEUlS6_S6_E_S6_EEDaPvRmT3_T4_T5_mT6_P12ihipStream_tbENKUlT_T0_E_clISt17integral_constantIbLb0EESY_EEDaST_SU_EUlST_E0_NS1_11comp_targetILNS1_3genE5ELNS1_11target_archE942ELNS1_3gpuE9ELNS1_3repE0EEENS1_30default_config_static_selectorELNS0_4arch9wavefront6targetE1EEEvT1_ ; -- Begin function _ZN7rocprim17ROCPRIM_400000_NS6detail17trampoline_kernelINS0_14default_configENS1_20scan_config_selectorIN3c104HalfEEEZZNS1_9scan_implILNS1_25lookback_scan_determinismE0ELb0ELb0ES3_PKS6_PS6_S6_ZZZN2at6native31launch_logcumsumexp_cuda_kernelERKNSD_10TensorBaseESH_lENKUlvE_clEvENKUlvE3_clEvEUlS6_S6_E_S6_EEDaPvRmT3_T4_T5_mT6_P12ihipStream_tbENKUlT_T0_E_clISt17integral_constantIbLb0EESY_EEDaST_SU_EUlST_E0_NS1_11comp_targetILNS1_3genE5ELNS1_11target_archE942ELNS1_3gpuE9ELNS1_3repE0EEENS1_30default_config_static_selectorELNS0_4arch9wavefront6targetE1EEEvT1_
	.p2align	8
	.type	_ZN7rocprim17ROCPRIM_400000_NS6detail17trampoline_kernelINS0_14default_configENS1_20scan_config_selectorIN3c104HalfEEEZZNS1_9scan_implILNS1_25lookback_scan_determinismE0ELb0ELb0ES3_PKS6_PS6_S6_ZZZN2at6native31launch_logcumsumexp_cuda_kernelERKNSD_10TensorBaseESH_lENKUlvE_clEvENKUlvE3_clEvEUlS6_S6_E_S6_EEDaPvRmT3_T4_T5_mT6_P12ihipStream_tbENKUlT_T0_E_clISt17integral_constantIbLb0EESY_EEDaST_SU_EUlST_E0_NS1_11comp_targetILNS1_3genE5ELNS1_11target_archE942ELNS1_3gpuE9ELNS1_3repE0EEENS1_30default_config_static_selectorELNS0_4arch9wavefront6targetE1EEEvT1_,@function
_ZN7rocprim17ROCPRIM_400000_NS6detail17trampoline_kernelINS0_14default_configENS1_20scan_config_selectorIN3c104HalfEEEZZNS1_9scan_implILNS1_25lookback_scan_determinismE0ELb0ELb0ES3_PKS6_PS6_S6_ZZZN2at6native31launch_logcumsumexp_cuda_kernelERKNSD_10TensorBaseESH_lENKUlvE_clEvENKUlvE3_clEvEUlS6_S6_E_S6_EEDaPvRmT3_T4_T5_mT6_P12ihipStream_tbENKUlT_T0_E_clISt17integral_constantIbLb0EESY_EEDaST_SU_EUlST_E0_NS1_11comp_targetILNS1_3genE5ELNS1_11target_archE942ELNS1_3gpuE9ELNS1_3repE0EEENS1_30default_config_static_selectorELNS0_4arch9wavefront6targetE1EEEvT1_: ; @_ZN7rocprim17ROCPRIM_400000_NS6detail17trampoline_kernelINS0_14default_configENS1_20scan_config_selectorIN3c104HalfEEEZZNS1_9scan_implILNS1_25lookback_scan_determinismE0ELb0ELb0ES3_PKS6_PS6_S6_ZZZN2at6native31launch_logcumsumexp_cuda_kernelERKNSD_10TensorBaseESH_lENKUlvE_clEvENKUlvE3_clEvEUlS6_S6_E_S6_EEDaPvRmT3_T4_T5_mT6_P12ihipStream_tbENKUlT_T0_E_clISt17integral_constantIbLb0EESY_EEDaST_SU_EUlST_E0_NS1_11comp_targetILNS1_3genE5ELNS1_11target_archE942ELNS1_3gpuE9ELNS1_3repE0EEENS1_30default_config_static_selectorELNS0_4arch9wavefront6targetE1EEEvT1_
; %bb.0:
	.section	.rodata,"a",@progbits
	.p2align	6, 0x0
	.amdhsa_kernel _ZN7rocprim17ROCPRIM_400000_NS6detail17trampoline_kernelINS0_14default_configENS1_20scan_config_selectorIN3c104HalfEEEZZNS1_9scan_implILNS1_25lookback_scan_determinismE0ELb0ELb0ES3_PKS6_PS6_S6_ZZZN2at6native31launch_logcumsumexp_cuda_kernelERKNSD_10TensorBaseESH_lENKUlvE_clEvENKUlvE3_clEvEUlS6_S6_E_S6_EEDaPvRmT3_T4_T5_mT6_P12ihipStream_tbENKUlT_T0_E_clISt17integral_constantIbLb0EESY_EEDaST_SU_EUlST_E0_NS1_11comp_targetILNS1_3genE5ELNS1_11target_archE942ELNS1_3gpuE9ELNS1_3repE0EEENS1_30default_config_static_selectorELNS0_4arch9wavefront6targetE1EEEvT1_
		.amdhsa_group_segment_fixed_size 0
		.amdhsa_private_segment_fixed_size 0
		.amdhsa_kernarg_size 32
		.amdhsa_user_sgpr_count 2
		.amdhsa_user_sgpr_dispatch_ptr 0
		.amdhsa_user_sgpr_queue_ptr 0
		.amdhsa_user_sgpr_kernarg_segment_ptr 1
		.amdhsa_user_sgpr_dispatch_id 0
		.amdhsa_user_sgpr_kernarg_preload_length 0
		.amdhsa_user_sgpr_kernarg_preload_offset 0
		.amdhsa_user_sgpr_private_segment_size 0
		.amdhsa_uses_dynamic_stack 0
		.amdhsa_enable_private_segment 0
		.amdhsa_system_sgpr_workgroup_id_x 1
		.amdhsa_system_sgpr_workgroup_id_y 0
		.amdhsa_system_sgpr_workgroup_id_z 0
		.amdhsa_system_sgpr_workgroup_info 0
		.amdhsa_system_vgpr_workitem_id 0
		.amdhsa_next_free_vgpr 1
		.amdhsa_next_free_sgpr 0
		.amdhsa_accum_offset 4
		.amdhsa_reserve_vcc 0
		.amdhsa_float_round_mode_32 0
		.amdhsa_float_round_mode_16_64 0
		.amdhsa_float_denorm_mode_32 3
		.amdhsa_float_denorm_mode_16_64 3
		.amdhsa_dx10_clamp 1
		.amdhsa_ieee_mode 1
		.amdhsa_fp16_overflow 0
		.amdhsa_tg_split 0
		.amdhsa_exception_fp_ieee_invalid_op 0
		.amdhsa_exception_fp_denorm_src 0
		.amdhsa_exception_fp_ieee_div_zero 0
		.amdhsa_exception_fp_ieee_overflow 0
		.amdhsa_exception_fp_ieee_underflow 0
		.amdhsa_exception_fp_ieee_inexact 0
		.amdhsa_exception_int_div_zero 0
	.end_amdhsa_kernel
	.section	.text._ZN7rocprim17ROCPRIM_400000_NS6detail17trampoline_kernelINS0_14default_configENS1_20scan_config_selectorIN3c104HalfEEEZZNS1_9scan_implILNS1_25lookback_scan_determinismE0ELb0ELb0ES3_PKS6_PS6_S6_ZZZN2at6native31launch_logcumsumexp_cuda_kernelERKNSD_10TensorBaseESH_lENKUlvE_clEvENKUlvE3_clEvEUlS6_S6_E_S6_EEDaPvRmT3_T4_T5_mT6_P12ihipStream_tbENKUlT_T0_E_clISt17integral_constantIbLb0EESY_EEDaST_SU_EUlST_E0_NS1_11comp_targetILNS1_3genE5ELNS1_11target_archE942ELNS1_3gpuE9ELNS1_3repE0EEENS1_30default_config_static_selectorELNS0_4arch9wavefront6targetE1EEEvT1_,"axG",@progbits,_ZN7rocprim17ROCPRIM_400000_NS6detail17trampoline_kernelINS0_14default_configENS1_20scan_config_selectorIN3c104HalfEEEZZNS1_9scan_implILNS1_25lookback_scan_determinismE0ELb0ELb0ES3_PKS6_PS6_S6_ZZZN2at6native31launch_logcumsumexp_cuda_kernelERKNSD_10TensorBaseESH_lENKUlvE_clEvENKUlvE3_clEvEUlS6_S6_E_S6_EEDaPvRmT3_T4_T5_mT6_P12ihipStream_tbENKUlT_T0_E_clISt17integral_constantIbLb0EESY_EEDaST_SU_EUlST_E0_NS1_11comp_targetILNS1_3genE5ELNS1_11target_archE942ELNS1_3gpuE9ELNS1_3repE0EEENS1_30default_config_static_selectorELNS0_4arch9wavefront6targetE1EEEvT1_,comdat
.Lfunc_end369:
	.size	_ZN7rocprim17ROCPRIM_400000_NS6detail17trampoline_kernelINS0_14default_configENS1_20scan_config_selectorIN3c104HalfEEEZZNS1_9scan_implILNS1_25lookback_scan_determinismE0ELb0ELb0ES3_PKS6_PS6_S6_ZZZN2at6native31launch_logcumsumexp_cuda_kernelERKNSD_10TensorBaseESH_lENKUlvE_clEvENKUlvE3_clEvEUlS6_S6_E_S6_EEDaPvRmT3_T4_T5_mT6_P12ihipStream_tbENKUlT_T0_E_clISt17integral_constantIbLb0EESY_EEDaST_SU_EUlST_E0_NS1_11comp_targetILNS1_3genE5ELNS1_11target_archE942ELNS1_3gpuE9ELNS1_3repE0EEENS1_30default_config_static_selectorELNS0_4arch9wavefront6targetE1EEEvT1_, .Lfunc_end369-_ZN7rocprim17ROCPRIM_400000_NS6detail17trampoline_kernelINS0_14default_configENS1_20scan_config_selectorIN3c104HalfEEEZZNS1_9scan_implILNS1_25lookback_scan_determinismE0ELb0ELb0ES3_PKS6_PS6_S6_ZZZN2at6native31launch_logcumsumexp_cuda_kernelERKNSD_10TensorBaseESH_lENKUlvE_clEvENKUlvE3_clEvEUlS6_S6_E_S6_EEDaPvRmT3_T4_T5_mT6_P12ihipStream_tbENKUlT_T0_E_clISt17integral_constantIbLb0EESY_EEDaST_SU_EUlST_E0_NS1_11comp_targetILNS1_3genE5ELNS1_11target_archE942ELNS1_3gpuE9ELNS1_3repE0EEENS1_30default_config_static_selectorELNS0_4arch9wavefront6targetE1EEEvT1_
                                        ; -- End function
	.set _ZN7rocprim17ROCPRIM_400000_NS6detail17trampoline_kernelINS0_14default_configENS1_20scan_config_selectorIN3c104HalfEEEZZNS1_9scan_implILNS1_25lookback_scan_determinismE0ELb0ELb0ES3_PKS6_PS6_S6_ZZZN2at6native31launch_logcumsumexp_cuda_kernelERKNSD_10TensorBaseESH_lENKUlvE_clEvENKUlvE3_clEvEUlS6_S6_E_S6_EEDaPvRmT3_T4_T5_mT6_P12ihipStream_tbENKUlT_T0_E_clISt17integral_constantIbLb0EESY_EEDaST_SU_EUlST_E0_NS1_11comp_targetILNS1_3genE5ELNS1_11target_archE942ELNS1_3gpuE9ELNS1_3repE0EEENS1_30default_config_static_selectorELNS0_4arch9wavefront6targetE1EEEvT1_.num_vgpr, 0
	.set _ZN7rocprim17ROCPRIM_400000_NS6detail17trampoline_kernelINS0_14default_configENS1_20scan_config_selectorIN3c104HalfEEEZZNS1_9scan_implILNS1_25lookback_scan_determinismE0ELb0ELb0ES3_PKS6_PS6_S6_ZZZN2at6native31launch_logcumsumexp_cuda_kernelERKNSD_10TensorBaseESH_lENKUlvE_clEvENKUlvE3_clEvEUlS6_S6_E_S6_EEDaPvRmT3_T4_T5_mT6_P12ihipStream_tbENKUlT_T0_E_clISt17integral_constantIbLb0EESY_EEDaST_SU_EUlST_E0_NS1_11comp_targetILNS1_3genE5ELNS1_11target_archE942ELNS1_3gpuE9ELNS1_3repE0EEENS1_30default_config_static_selectorELNS0_4arch9wavefront6targetE1EEEvT1_.num_agpr, 0
	.set _ZN7rocprim17ROCPRIM_400000_NS6detail17trampoline_kernelINS0_14default_configENS1_20scan_config_selectorIN3c104HalfEEEZZNS1_9scan_implILNS1_25lookback_scan_determinismE0ELb0ELb0ES3_PKS6_PS6_S6_ZZZN2at6native31launch_logcumsumexp_cuda_kernelERKNSD_10TensorBaseESH_lENKUlvE_clEvENKUlvE3_clEvEUlS6_S6_E_S6_EEDaPvRmT3_T4_T5_mT6_P12ihipStream_tbENKUlT_T0_E_clISt17integral_constantIbLb0EESY_EEDaST_SU_EUlST_E0_NS1_11comp_targetILNS1_3genE5ELNS1_11target_archE942ELNS1_3gpuE9ELNS1_3repE0EEENS1_30default_config_static_selectorELNS0_4arch9wavefront6targetE1EEEvT1_.numbered_sgpr, 0
	.set _ZN7rocprim17ROCPRIM_400000_NS6detail17trampoline_kernelINS0_14default_configENS1_20scan_config_selectorIN3c104HalfEEEZZNS1_9scan_implILNS1_25lookback_scan_determinismE0ELb0ELb0ES3_PKS6_PS6_S6_ZZZN2at6native31launch_logcumsumexp_cuda_kernelERKNSD_10TensorBaseESH_lENKUlvE_clEvENKUlvE3_clEvEUlS6_S6_E_S6_EEDaPvRmT3_T4_T5_mT6_P12ihipStream_tbENKUlT_T0_E_clISt17integral_constantIbLb0EESY_EEDaST_SU_EUlST_E0_NS1_11comp_targetILNS1_3genE5ELNS1_11target_archE942ELNS1_3gpuE9ELNS1_3repE0EEENS1_30default_config_static_selectorELNS0_4arch9wavefront6targetE1EEEvT1_.num_named_barrier, 0
	.set _ZN7rocprim17ROCPRIM_400000_NS6detail17trampoline_kernelINS0_14default_configENS1_20scan_config_selectorIN3c104HalfEEEZZNS1_9scan_implILNS1_25lookback_scan_determinismE0ELb0ELb0ES3_PKS6_PS6_S6_ZZZN2at6native31launch_logcumsumexp_cuda_kernelERKNSD_10TensorBaseESH_lENKUlvE_clEvENKUlvE3_clEvEUlS6_S6_E_S6_EEDaPvRmT3_T4_T5_mT6_P12ihipStream_tbENKUlT_T0_E_clISt17integral_constantIbLb0EESY_EEDaST_SU_EUlST_E0_NS1_11comp_targetILNS1_3genE5ELNS1_11target_archE942ELNS1_3gpuE9ELNS1_3repE0EEENS1_30default_config_static_selectorELNS0_4arch9wavefront6targetE1EEEvT1_.private_seg_size, 0
	.set _ZN7rocprim17ROCPRIM_400000_NS6detail17trampoline_kernelINS0_14default_configENS1_20scan_config_selectorIN3c104HalfEEEZZNS1_9scan_implILNS1_25lookback_scan_determinismE0ELb0ELb0ES3_PKS6_PS6_S6_ZZZN2at6native31launch_logcumsumexp_cuda_kernelERKNSD_10TensorBaseESH_lENKUlvE_clEvENKUlvE3_clEvEUlS6_S6_E_S6_EEDaPvRmT3_T4_T5_mT6_P12ihipStream_tbENKUlT_T0_E_clISt17integral_constantIbLb0EESY_EEDaST_SU_EUlST_E0_NS1_11comp_targetILNS1_3genE5ELNS1_11target_archE942ELNS1_3gpuE9ELNS1_3repE0EEENS1_30default_config_static_selectorELNS0_4arch9wavefront6targetE1EEEvT1_.uses_vcc, 0
	.set _ZN7rocprim17ROCPRIM_400000_NS6detail17trampoline_kernelINS0_14default_configENS1_20scan_config_selectorIN3c104HalfEEEZZNS1_9scan_implILNS1_25lookback_scan_determinismE0ELb0ELb0ES3_PKS6_PS6_S6_ZZZN2at6native31launch_logcumsumexp_cuda_kernelERKNSD_10TensorBaseESH_lENKUlvE_clEvENKUlvE3_clEvEUlS6_S6_E_S6_EEDaPvRmT3_T4_T5_mT6_P12ihipStream_tbENKUlT_T0_E_clISt17integral_constantIbLb0EESY_EEDaST_SU_EUlST_E0_NS1_11comp_targetILNS1_3genE5ELNS1_11target_archE942ELNS1_3gpuE9ELNS1_3repE0EEENS1_30default_config_static_selectorELNS0_4arch9wavefront6targetE1EEEvT1_.uses_flat_scratch, 0
	.set _ZN7rocprim17ROCPRIM_400000_NS6detail17trampoline_kernelINS0_14default_configENS1_20scan_config_selectorIN3c104HalfEEEZZNS1_9scan_implILNS1_25lookback_scan_determinismE0ELb0ELb0ES3_PKS6_PS6_S6_ZZZN2at6native31launch_logcumsumexp_cuda_kernelERKNSD_10TensorBaseESH_lENKUlvE_clEvENKUlvE3_clEvEUlS6_S6_E_S6_EEDaPvRmT3_T4_T5_mT6_P12ihipStream_tbENKUlT_T0_E_clISt17integral_constantIbLb0EESY_EEDaST_SU_EUlST_E0_NS1_11comp_targetILNS1_3genE5ELNS1_11target_archE942ELNS1_3gpuE9ELNS1_3repE0EEENS1_30default_config_static_selectorELNS0_4arch9wavefront6targetE1EEEvT1_.has_dyn_sized_stack, 0
	.set _ZN7rocprim17ROCPRIM_400000_NS6detail17trampoline_kernelINS0_14default_configENS1_20scan_config_selectorIN3c104HalfEEEZZNS1_9scan_implILNS1_25lookback_scan_determinismE0ELb0ELb0ES3_PKS6_PS6_S6_ZZZN2at6native31launch_logcumsumexp_cuda_kernelERKNSD_10TensorBaseESH_lENKUlvE_clEvENKUlvE3_clEvEUlS6_S6_E_S6_EEDaPvRmT3_T4_T5_mT6_P12ihipStream_tbENKUlT_T0_E_clISt17integral_constantIbLb0EESY_EEDaST_SU_EUlST_E0_NS1_11comp_targetILNS1_3genE5ELNS1_11target_archE942ELNS1_3gpuE9ELNS1_3repE0EEENS1_30default_config_static_selectorELNS0_4arch9wavefront6targetE1EEEvT1_.has_recursion, 0
	.set _ZN7rocprim17ROCPRIM_400000_NS6detail17trampoline_kernelINS0_14default_configENS1_20scan_config_selectorIN3c104HalfEEEZZNS1_9scan_implILNS1_25lookback_scan_determinismE0ELb0ELb0ES3_PKS6_PS6_S6_ZZZN2at6native31launch_logcumsumexp_cuda_kernelERKNSD_10TensorBaseESH_lENKUlvE_clEvENKUlvE3_clEvEUlS6_S6_E_S6_EEDaPvRmT3_T4_T5_mT6_P12ihipStream_tbENKUlT_T0_E_clISt17integral_constantIbLb0EESY_EEDaST_SU_EUlST_E0_NS1_11comp_targetILNS1_3genE5ELNS1_11target_archE942ELNS1_3gpuE9ELNS1_3repE0EEENS1_30default_config_static_selectorELNS0_4arch9wavefront6targetE1EEEvT1_.has_indirect_call, 0
	.section	.AMDGPU.csdata,"",@progbits
; Kernel info:
; codeLenInByte = 0
; TotalNumSgprs: 6
; NumVgprs: 0
; NumAgprs: 0
; TotalNumVgprs: 0
; ScratchSize: 0
; MemoryBound: 0
; FloatMode: 240
; IeeeMode: 1
; LDSByteSize: 0 bytes/workgroup (compile time only)
; SGPRBlocks: 0
; VGPRBlocks: 0
; NumSGPRsForWavesPerEU: 6
; NumVGPRsForWavesPerEU: 1
; AccumOffset: 4
; Occupancy: 8
; WaveLimiterHint : 0
; COMPUTE_PGM_RSRC2:SCRATCH_EN: 0
; COMPUTE_PGM_RSRC2:USER_SGPR: 2
; COMPUTE_PGM_RSRC2:TRAP_HANDLER: 0
; COMPUTE_PGM_RSRC2:TGID_X_EN: 1
; COMPUTE_PGM_RSRC2:TGID_Y_EN: 0
; COMPUTE_PGM_RSRC2:TGID_Z_EN: 0
; COMPUTE_PGM_RSRC2:TIDIG_COMP_CNT: 0
; COMPUTE_PGM_RSRC3_GFX90A:ACCUM_OFFSET: 0
; COMPUTE_PGM_RSRC3_GFX90A:TG_SPLIT: 0
	.section	.text._ZN7rocprim17ROCPRIM_400000_NS6detail17trampoline_kernelINS0_14default_configENS1_20scan_config_selectorIN3c104HalfEEEZZNS1_9scan_implILNS1_25lookback_scan_determinismE0ELb0ELb0ES3_PKS6_PS6_S6_ZZZN2at6native31launch_logcumsumexp_cuda_kernelERKNSD_10TensorBaseESH_lENKUlvE_clEvENKUlvE3_clEvEUlS6_S6_E_S6_EEDaPvRmT3_T4_T5_mT6_P12ihipStream_tbENKUlT_T0_E_clISt17integral_constantIbLb0EESY_EEDaST_SU_EUlST_E0_NS1_11comp_targetILNS1_3genE4ELNS1_11target_archE910ELNS1_3gpuE8ELNS1_3repE0EEENS1_30default_config_static_selectorELNS0_4arch9wavefront6targetE1EEEvT1_,"axG",@progbits,_ZN7rocprim17ROCPRIM_400000_NS6detail17trampoline_kernelINS0_14default_configENS1_20scan_config_selectorIN3c104HalfEEEZZNS1_9scan_implILNS1_25lookback_scan_determinismE0ELb0ELb0ES3_PKS6_PS6_S6_ZZZN2at6native31launch_logcumsumexp_cuda_kernelERKNSD_10TensorBaseESH_lENKUlvE_clEvENKUlvE3_clEvEUlS6_S6_E_S6_EEDaPvRmT3_T4_T5_mT6_P12ihipStream_tbENKUlT_T0_E_clISt17integral_constantIbLb0EESY_EEDaST_SU_EUlST_E0_NS1_11comp_targetILNS1_3genE4ELNS1_11target_archE910ELNS1_3gpuE8ELNS1_3repE0EEENS1_30default_config_static_selectorELNS0_4arch9wavefront6targetE1EEEvT1_,comdat
	.globl	_ZN7rocprim17ROCPRIM_400000_NS6detail17trampoline_kernelINS0_14default_configENS1_20scan_config_selectorIN3c104HalfEEEZZNS1_9scan_implILNS1_25lookback_scan_determinismE0ELb0ELb0ES3_PKS6_PS6_S6_ZZZN2at6native31launch_logcumsumexp_cuda_kernelERKNSD_10TensorBaseESH_lENKUlvE_clEvENKUlvE3_clEvEUlS6_S6_E_S6_EEDaPvRmT3_T4_T5_mT6_P12ihipStream_tbENKUlT_T0_E_clISt17integral_constantIbLb0EESY_EEDaST_SU_EUlST_E0_NS1_11comp_targetILNS1_3genE4ELNS1_11target_archE910ELNS1_3gpuE8ELNS1_3repE0EEENS1_30default_config_static_selectorELNS0_4arch9wavefront6targetE1EEEvT1_ ; -- Begin function _ZN7rocprim17ROCPRIM_400000_NS6detail17trampoline_kernelINS0_14default_configENS1_20scan_config_selectorIN3c104HalfEEEZZNS1_9scan_implILNS1_25lookback_scan_determinismE0ELb0ELb0ES3_PKS6_PS6_S6_ZZZN2at6native31launch_logcumsumexp_cuda_kernelERKNSD_10TensorBaseESH_lENKUlvE_clEvENKUlvE3_clEvEUlS6_S6_E_S6_EEDaPvRmT3_T4_T5_mT6_P12ihipStream_tbENKUlT_T0_E_clISt17integral_constantIbLb0EESY_EEDaST_SU_EUlST_E0_NS1_11comp_targetILNS1_3genE4ELNS1_11target_archE910ELNS1_3gpuE8ELNS1_3repE0EEENS1_30default_config_static_selectorELNS0_4arch9wavefront6targetE1EEEvT1_
	.p2align	8
	.type	_ZN7rocprim17ROCPRIM_400000_NS6detail17trampoline_kernelINS0_14default_configENS1_20scan_config_selectorIN3c104HalfEEEZZNS1_9scan_implILNS1_25lookback_scan_determinismE0ELb0ELb0ES3_PKS6_PS6_S6_ZZZN2at6native31launch_logcumsumexp_cuda_kernelERKNSD_10TensorBaseESH_lENKUlvE_clEvENKUlvE3_clEvEUlS6_S6_E_S6_EEDaPvRmT3_T4_T5_mT6_P12ihipStream_tbENKUlT_T0_E_clISt17integral_constantIbLb0EESY_EEDaST_SU_EUlST_E0_NS1_11comp_targetILNS1_3genE4ELNS1_11target_archE910ELNS1_3gpuE8ELNS1_3repE0EEENS1_30default_config_static_selectorELNS0_4arch9wavefront6targetE1EEEvT1_,@function
_ZN7rocprim17ROCPRIM_400000_NS6detail17trampoline_kernelINS0_14default_configENS1_20scan_config_selectorIN3c104HalfEEEZZNS1_9scan_implILNS1_25lookback_scan_determinismE0ELb0ELb0ES3_PKS6_PS6_S6_ZZZN2at6native31launch_logcumsumexp_cuda_kernelERKNSD_10TensorBaseESH_lENKUlvE_clEvENKUlvE3_clEvEUlS6_S6_E_S6_EEDaPvRmT3_T4_T5_mT6_P12ihipStream_tbENKUlT_T0_E_clISt17integral_constantIbLb0EESY_EEDaST_SU_EUlST_E0_NS1_11comp_targetILNS1_3genE4ELNS1_11target_archE910ELNS1_3gpuE8ELNS1_3repE0EEENS1_30default_config_static_selectorELNS0_4arch9wavefront6targetE1EEEvT1_: ; @_ZN7rocprim17ROCPRIM_400000_NS6detail17trampoline_kernelINS0_14default_configENS1_20scan_config_selectorIN3c104HalfEEEZZNS1_9scan_implILNS1_25lookback_scan_determinismE0ELb0ELb0ES3_PKS6_PS6_S6_ZZZN2at6native31launch_logcumsumexp_cuda_kernelERKNSD_10TensorBaseESH_lENKUlvE_clEvENKUlvE3_clEvEUlS6_S6_E_S6_EEDaPvRmT3_T4_T5_mT6_P12ihipStream_tbENKUlT_T0_E_clISt17integral_constantIbLb0EESY_EEDaST_SU_EUlST_E0_NS1_11comp_targetILNS1_3genE4ELNS1_11target_archE910ELNS1_3gpuE8ELNS1_3repE0EEENS1_30default_config_static_selectorELNS0_4arch9wavefront6targetE1EEEvT1_
; %bb.0:
	.section	.rodata,"a",@progbits
	.p2align	6, 0x0
	.amdhsa_kernel _ZN7rocprim17ROCPRIM_400000_NS6detail17trampoline_kernelINS0_14default_configENS1_20scan_config_selectorIN3c104HalfEEEZZNS1_9scan_implILNS1_25lookback_scan_determinismE0ELb0ELb0ES3_PKS6_PS6_S6_ZZZN2at6native31launch_logcumsumexp_cuda_kernelERKNSD_10TensorBaseESH_lENKUlvE_clEvENKUlvE3_clEvEUlS6_S6_E_S6_EEDaPvRmT3_T4_T5_mT6_P12ihipStream_tbENKUlT_T0_E_clISt17integral_constantIbLb0EESY_EEDaST_SU_EUlST_E0_NS1_11comp_targetILNS1_3genE4ELNS1_11target_archE910ELNS1_3gpuE8ELNS1_3repE0EEENS1_30default_config_static_selectorELNS0_4arch9wavefront6targetE1EEEvT1_
		.amdhsa_group_segment_fixed_size 0
		.amdhsa_private_segment_fixed_size 0
		.amdhsa_kernarg_size 32
		.amdhsa_user_sgpr_count 2
		.amdhsa_user_sgpr_dispatch_ptr 0
		.amdhsa_user_sgpr_queue_ptr 0
		.amdhsa_user_sgpr_kernarg_segment_ptr 1
		.amdhsa_user_sgpr_dispatch_id 0
		.amdhsa_user_sgpr_kernarg_preload_length 0
		.amdhsa_user_sgpr_kernarg_preload_offset 0
		.amdhsa_user_sgpr_private_segment_size 0
		.amdhsa_uses_dynamic_stack 0
		.amdhsa_enable_private_segment 0
		.amdhsa_system_sgpr_workgroup_id_x 1
		.amdhsa_system_sgpr_workgroup_id_y 0
		.amdhsa_system_sgpr_workgroup_id_z 0
		.amdhsa_system_sgpr_workgroup_info 0
		.amdhsa_system_vgpr_workitem_id 0
		.amdhsa_next_free_vgpr 1
		.amdhsa_next_free_sgpr 0
		.amdhsa_accum_offset 4
		.amdhsa_reserve_vcc 0
		.amdhsa_float_round_mode_32 0
		.amdhsa_float_round_mode_16_64 0
		.amdhsa_float_denorm_mode_32 3
		.amdhsa_float_denorm_mode_16_64 3
		.amdhsa_dx10_clamp 1
		.amdhsa_ieee_mode 1
		.amdhsa_fp16_overflow 0
		.amdhsa_tg_split 0
		.amdhsa_exception_fp_ieee_invalid_op 0
		.amdhsa_exception_fp_denorm_src 0
		.amdhsa_exception_fp_ieee_div_zero 0
		.amdhsa_exception_fp_ieee_overflow 0
		.amdhsa_exception_fp_ieee_underflow 0
		.amdhsa_exception_fp_ieee_inexact 0
		.amdhsa_exception_int_div_zero 0
	.end_amdhsa_kernel
	.section	.text._ZN7rocprim17ROCPRIM_400000_NS6detail17trampoline_kernelINS0_14default_configENS1_20scan_config_selectorIN3c104HalfEEEZZNS1_9scan_implILNS1_25lookback_scan_determinismE0ELb0ELb0ES3_PKS6_PS6_S6_ZZZN2at6native31launch_logcumsumexp_cuda_kernelERKNSD_10TensorBaseESH_lENKUlvE_clEvENKUlvE3_clEvEUlS6_S6_E_S6_EEDaPvRmT3_T4_T5_mT6_P12ihipStream_tbENKUlT_T0_E_clISt17integral_constantIbLb0EESY_EEDaST_SU_EUlST_E0_NS1_11comp_targetILNS1_3genE4ELNS1_11target_archE910ELNS1_3gpuE8ELNS1_3repE0EEENS1_30default_config_static_selectorELNS0_4arch9wavefront6targetE1EEEvT1_,"axG",@progbits,_ZN7rocprim17ROCPRIM_400000_NS6detail17trampoline_kernelINS0_14default_configENS1_20scan_config_selectorIN3c104HalfEEEZZNS1_9scan_implILNS1_25lookback_scan_determinismE0ELb0ELb0ES3_PKS6_PS6_S6_ZZZN2at6native31launch_logcumsumexp_cuda_kernelERKNSD_10TensorBaseESH_lENKUlvE_clEvENKUlvE3_clEvEUlS6_S6_E_S6_EEDaPvRmT3_T4_T5_mT6_P12ihipStream_tbENKUlT_T0_E_clISt17integral_constantIbLb0EESY_EEDaST_SU_EUlST_E0_NS1_11comp_targetILNS1_3genE4ELNS1_11target_archE910ELNS1_3gpuE8ELNS1_3repE0EEENS1_30default_config_static_selectorELNS0_4arch9wavefront6targetE1EEEvT1_,comdat
.Lfunc_end370:
	.size	_ZN7rocprim17ROCPRIM_400000_NS6detail17trampoline_kernelINS0_14default_configENS1_20scan_config_selectorIN3c104HalfEEEZZNS1_9scan_implILNS1_25lookback_scan_determinismE0ELb0ELb0ES3_PKS6_PS6_S6_ZZZN2at6native31launch_logcumsumexp_cuda_kernelERKNSD_10TensorBaseESH_lENKUlvE_clEvENKUlvE3_clEvEUlS6_S6_E_S6_EEDaPvRmT3_T4_T5_mT6_P12ihipStream_tbENKUlT_T0_E_clISt17integral_constantIbLb0EESY_EEDaST_SU_EUlST_E0_NS1_11comp_targetILNS1_3genE4ELNS1_11target_archE910ELNS1_3gpuE8ELNS1_3repE0EEENS1_30default_config_static_selectorELNS0_4arch9wavefront6targetE1EEEvT1_, .Lfunc_end370-_ZN7rocprim17ROCPRIM_400000_NS6detail17trampoline_kernelINS0_14default_configENS1_20scan_config_selectorIN3c104HalfEEEZZNS1_9scan_implILNS1_25lookback_scan_determinismE0ELb0ELb0ES3_PKS6_PS6_S6_ZZZN2at6native31launch_logcumsumexp_cuda_kernelERKNSD_10TensorBaseESH_lENKUlvE_clEvENKUlvE3_clEvEUlS6_S6_E_S6_EEDaPvRmT3_T4_T5_mT6_P12ihipStream_tbENKUlT_T0_E_clISt17integral_constantIbLb0EESY_EEDaST_SU_EUlST_E0_NS1_11comp_targetILNS1_3genE4ELNS1_11target_archE910ELNS1_3gpuE8ELNS1_3repE0EEENS1_30default_config_static_selectorELNS0_4arch9wavefront6targetE1EEEvT1_
                                        ; -- End function
	.set _ZN7rocprim17ROCPRIM_400000_NS6detail17trampoline_kernelINS0_14default_configENS1_20scan_config_selectorIN3c104HalfEEEZZNS1_9scan_implILNS1_25lookback_scan_determinismE0ELb0ELb0ES3_PKS6_PS6_S6_ZZZN2at6native31launch_logcumsumexp_cuda_kernelERKNSD_10TensorBaseESH_lENKUlvE_clEvENKUlvE3_clEvEUlS6_S6_E_S6_EEDaPvRmT3_T4_T5_mT6_P12ihipStream_tbENKUlT_T0_E_clISt17integral_constantIbLb0EESY_EEDaST_SU_EUlST_E0_NS1_11comp_targetILNS1_3genE4ELNS1_11target_archE910ELNS1_3gpuE8ELNS1_3repE0EEENS1_30default_config_static_selectorELNS0_4arch9wavefront6targetE1EEEvT1_.num_vgpr, 0
	.set _ZN7rocprim17ROCPRIM_400000_NS6detail17trampoline_kernelINS0_14default_configENS1_20scan_config_selectorIN3c104HalfEEEZZNS1_9scan_implILNS1_25lookback_scan_determinismE0ELb0ELb0ES3_PKS6_PS6_S6_ZZZN2at6native31launch_logcumsumexp_cuda_kernelERKNSD_10TensorBaseESH_lENKUlvE_clEvENKUlvE3_clEvEUlS6_S6_E_S6_EEDaPvRmT3_T4_T5_mT6_P12ihipStream_tbENKUlT_T0_E_clISt17integral_constantIbLb0EESY_EEDaST_SU_EUlST_E0_NS1_11comp_targetILNS1_3genE4ELNS1_11target_archE910ELNS1_3gpuE8ELNS1_3repE0EEENS1_30default_config_static_selectorELNS0_4arch9wavefront6targetE1EEEvT1_.num_agpr, 0
	.set _ZN7rocprim17ROCPRIM_400000_NS6detail17trampoline_kernelINS0_14default_configENS1_20scan_config_selectorIN3c104HalfEEEZZNS1_9scan_implILNS1_25lookback_scan_determinismE0ELb0ELb0ES3_PKS6_PS6_S6_ZZZN2at6native31launch_logcumsumexp_cuda_kernelERKNSD_10TensorBaseESH_lENKUlvE_clEvENKUlvE3_clEvEUlS6_S6_E_S6_EEDaPvRmT3_T4_T5_mT6_P12ihipStream_tbENKUlT_T0_E_clISt17integral_constantIbLb0EESY_EEDaST_SU_EUlST_E0_NS1_11comp_targetILNS1_3genE4ELNS1_11target_archE910ELNS1_3gpuE8ELNS1_3repE0EEENS1_30default_config_static_selectorELNS0_4arch9wavefront6targetE1EEEvT1_.numbered_sgpr, 0
	.set _ZN7rocprim17ROCPRIM_400000_NS6detail17trampoline_kernelINS0_14default_configENS1_20scan_config_selectorIN3c104HalfEEEZZNS1_9scan_implILNS1_25lookback_scan_determinismE0ELb0ELb0ES3_PKS6_PS6_S6_ZZZN2at6native31launch_logcumsumexp_cuda_kernelERKNSD_10TensorBaseESH_lENKUlvE_clEvENKUlvE3_clEvEUlS6_S6_E_S6_EEDaPvRmT3_T4_T5_mT6_P12ihipStream_tbENKUlT_T0_E_clISt17integral_constantIbLb0EESY_EEDaST_SU_EUlST_E0_NS1_11comp_targetILNS1_3genE4ELNS1_11target_archE910ELNS1_3gpuE8ELNS1_3repE0EEENS1_30default_config_static_selectorELNS0_4arch9wavefront6targetE1EEEvT1_.num_named_barrier, 0
	.set _ZN7rocprim17ROCPRIM_400000_NS6detail17trampoline_kernelINS0_14default_configENS1_20scan_config_selectorIN3c104HalfEEEZZNS1_9scan_implILNS1_25lookback_scan_determinismE0ELb0ELb0ES3_PKS6_PS6_S6_ZZZN2at6native31launch_logcumsumexp_cuda_kernelERKNSD_10TensorBaseESH_lENKUlvE_clEvENKUlvE3_clEvEUlS6_S6_E_S6_EEDaPvRmT3_T4_T5_mT6_P12ihipStream_tbENKUlT_T0_E_clISt17integral_constantIbLb0EESY_EEDaST_SU_EUlST_E0_NS1_11comp_targetILNS1_3genE4ELNS1_11target_archE910ELNS1_3gpuE8ELNS1_3repE0EEENS1_30default_config_static_selectorELNS0_4arch9wavefront6targetE1EEEvT1_.private_seg_size, 0
	.set _ZN7rocprim17ROCPRIM_400000_NS6detail17trampoline_kernelINS0_14default_configENS1_20scan_config_selectorIN3c104HalfEEEZZNS1_9scan_implILNS1_25lookback_scan_determinismE0ELb0ELb0ES3_PKS6_PS6_S6_ZZZN2at6native31launch_logcumsumexp_cuda_kernelERKNSD_10TensorBaseESH_lENKUlvE_clEvENKUlvE3_clEvEUlS6_S6_E_S6_EEDaPvRmT3_T4_T5_mT6_P12ihipStream_tbENKUlT_T0_E_clISt17integral_constantIbLb0EESY_EEDaST_SU_EUlST_E0_NS1_11comp_targetILNS1_3genE4ELNS1_11target_archE910ELNS1_3gpuE8ELNS1_3repE0EEENS1_30default_config_static_selectorELNS0_4arch9wavefront6targetE1EEEvT1_.uses_vcc, 0
	.set _ZN7rocprim17ROCPRIM_400000_NS6detail17trampoline_kernelINS0_14default_configENS1_20scan_config_selectorIN3c104HalfEEEZZNS1_9scan_implILNS1_25lookback_scan_determinismE0ELb0ELb0ES3_PKS6_PS6_S6_ZZZN2at6native31launch_logcumsumexp_cuda_kernelERKNSD_10TensorBaseESH_lENKUlvE_clEvENKUlvE3_clEvEUlS6_S6_E_S6_EEDaPvRmT3_T4_T5_mT6_P12ihipStream_tbENKUlT_T0_E_clISt17integral_constantIbLb0EESY_EEDaST_SU_EUlST_E0_NS1_11comp_targetILNS1_3genE4ELNS1_11target_archE910ELNS1_3gpuE8ELNS1_3repE0EEENS1_30default_config_static_selectorELNS0_4arch9wavefront6targetE1EEEvT1_.uses_flat_scratch, 0
	.set _ZN7rocprim17ROCPRIM_400000_NS6detail17trampoline_kernelINS0_14default_configENS1_20scan_config_selectorIN3c104HalfEEEZZNS1_9scan_implILNS1_25lookback_scan_determinismE0ELb0ELb0ES3_PKS6_PS6_S6_ZZZN2at6native31launch_logcumsumexp_cuda_kernelERKNSD_10TensorBaseESH_lENKUlvE_clEvENKUlvE3_clEvEUlS6_S6_E_S6_EEDaPvRmT3_T4_T5_mT6_P12ihipStream_tbENKUlT_T0_E_clISt17integral_constantIbLb0EESY_EEDaST_SU_EUlST_E0_NS1_11comp_targetILNS1_3genE4ELNS1_11target_archE910ELNS1_3gpuE8ELNS1_3repE0EEENS1_30default_config_static_selectorELNS0_4arch9wavefront6targetE1EEEvT1_.has_dyn_sized_stack, 0
	.set _ZN7rocprim17ROCPRIM_400000_NS6detail17trampoline_kernelINS0_14default_configENS1_20scan_config_selectorIN3c104HalfEEEZZNS1_9scan_implILNS1_25lookback_scan_determinismE0ELb0ELb0ES3_PKS6_PS6_S6_ZZZN2at6native31launch_logcumsumexp_cuda_kernelERKNSD_10TensorBaseESH_lENKUlvE_clEvENKUlvE3_clEvEUlS6_S6_E_S6_EEDaPvRmT3_T4_T5_mT6_P12ihipStream_tbENKUlT_T0_E_clISt17integral_constantIbLb0EESY_EEDaST_SU_EUlST_E0_NS1_11comp_targetILNS1_3genE4ELNS1_11target_archE910ELNS1_3gpuE8ELNS1_3repE0EEENS1_30default_config_static_selectorELNS0_4arch9wavefront6targetE1EEEvT1_.has_recursion, 0
	.set _ZN7rocprim17ROCPRIM_400000_NS6detail17trampoline_kernelINS0_14default_configENS1_20scan_config_selectorIN3c104HalfEEEZZNS1_9scan_implILNS1_25lookback_scan_determinismE0ELb0ELb0ES3_PKS6_PS6_S6_ZZZN2at6native31launch_logcumsumexp_cuda_kernelERKNSD_10TensorBaseESH_lENKUlvE_clEvENKUlvE3_clEvEUlS6_S6_E_S6_EEDaPvRmT3_T4_T5_mT6_P12ihipStream_tbENKUlT_T0_E_clISt17integral_constantIbLb0EESY_EEDaST_SU_EUlST_E0_NS1_11comp_targetILNS1_3genE4ELNS1_11target_archE910ELNS1_3gpuE8ELNS1_3repE0EEENS1_30default_config_static_selectorELNS0_4arch9wavefront6targetE1EEEvT1_.has_indirect_call, 0
	.section	.AMDGPU.csdata,"",@progbits
; Kernel info:
; codeLenInByte = 0
; TotalNumSgprs: 6
; NumVgprs: 0
; NumAgprs: 0
; TotalNumVgprs: 0
; ScratchSize: 0
; MemoryBound: 0
; FloatMode: 240
; IeeeMode: 1
; LDSByteSize: 0 bytes/workgroup (compile time only)
; SGPRBlocks: 0
; VGPRBlocks: 0
; NumSGPRsForWavesPerEU: 6
; NumVGPRsForWavesPerEU: 1
; AccumOffset: 4
; Occupancy: 8
; WaveLimiterHint : 0
; COMPUTE_PGM_RSRC2:SCRATCH_EN: 0
; COMPUTE_PGM_RSRC2:USER_SGPR: 2
; COMPUTE_PGM_RSRC2:TRAP_HANDLER: 0
; COMPUTE_PGM_RSRC2:TGID_X_EN: 1
; COMPUTE_PGM_RSRC2:TGID_Y_EN: 0
; COMPUTE_PGM_RSRC2:TGID_Z_EN: 0
; COMPUTE_PGM_RSRC2:TIDIG_COMP_CNT: 0
; COMPUTE_PGM_RSRC3_GFX90A:ACCUM_OFFSET: 0
; COMPUTE_PGM_RSRC3_GFX90A:TG_SPLIT: 0
	.section	.text._ZN7rocprim17ROCPRIM_400000_NS6detail17trampoline_kernelINS0_14default_configENS1_20scan_config_selectorIN3c104HalfEEEZZNS1_9scan_implILNS1_25lookback_scan_determinismE0ELb0ELb0ES3_PKS6_PS6_S6_ZZZN2at6native31launch_logcumsumexp_cuda_kernelERKNSD_10TensorBaseESH_lENKUlvE_clEvENKUlvE3_clEvEUlS6_S6_E_S6_EEDaPvRmT3_T4_T5_mT6_P12ihipStream_tbENKUlT_T0_E_clISt17integral_constantIbLb0EESY_EEDaST_SU_EUlST_E0_NS1_11comp_targetILNS1_3genE3ELNS1_11target_archE908ELNS1_3gpuE7ELNS1_3repE0EEENS1_30default_config_static_selectorELNS0_4arch9wavefront6targetE1EEEvT1_,"axG",@progbits,_ZN7rocprim17ROCPRIM_400000_NS6detail17trampoline_kernelINS0_14default_configENS1_20scan_config_selectorIN3c104HalfEEEZZNS1_9scan_implILNS1_25lookback_scan_determinismE0ELb0ELb0ES3_PKS6_PS6_S6_ZZZN2at6native31launch_logcumsumexp_cuda_kernelERKNSD_10TensorBaseESH_lENKUlvE_clEvENKUlvE3_clEvEUlS6_S6_E_S6_EEDaPvRmT3_T4_T5_mT6_P12ihipStream_tbENKUlT_T0_E_clISt17integral_constantIbLb0EESY_EEDaST_SU_EUlST_E0_NS1_11comp_targetILNS1_3genE3ELNS1_11target_archE908ELNS1_3gpuE7ELNS1_3repE0EEENS1_30default_config_static_selectorELNS0_4arch9wavefront6targetE1EEEvT1_,comdat
	.globl	_ZN7rocprim17ROCPRIM_400000_NS6detail17trampoline_kernelINS0_14default_configENS1_20scan_config_selectorIN3c104HalfEEEZZNS1_9scan_implILNS1_25lookback_scan_determinismE0ELb0ELb0ES3_PKS6_PS6_S6_ZZZN2at6native31launch_logcumsumexp_cuda_kernelERKNSD_10TensorBaseESH_lENKUlvE_clEvENKUlvE3_clEvEUlS6_S6_E_S6_EEDaPvRmT3_T4_T5_mT6_P12ihipStream_tbENKUlT_T0_E_clISt17integral_constantIbLb0EESY_EEDaST_SU_EUlST_E0_NS1_11comp_targetILNS1_3genE3ELNS1_11target_archE908ELNS1_3gpuE7ELNS1_3repE0EEENS1_30default_config_static_selectorELNS0_4arch9wavefront6targetE1EEEvT1_ ; -- Begin function _ZN7rocprim17ROCPRIM_400000_NS6detail17trampoline_kernelINS0_14default_configENS1_20scan_config_selectorIN3c104HalfEEEZZNS1_9scan_implILNS1_25lookback_scan_determinismE0ELb0ELb0ES3_PKS6_PS6_S6_ZZZN2at6native31launch_logcumsumexp_cuda_kernelERKNSD_10TensorBaseESH_lENKUlvE_clEvENKUlvE3_clEvEUlS6_S6_E_S6_EEDaPvRmT3_T4_T5_mT6_P12ihipStream_tbENKUlT_T0_E_clISt17integral_constantIbLb0EESY_EEDaST_SU_EUlST_E0_NS1_11comp_targetILNS1_3genE3ELNS1_11target_archE908ELNS1_3gpuE7ELNS1_3repE0EEENS1_30default_config_static_selectorELNS0_4arch9wavefront6targetE1EEEvT1_
	.p2align	8
	.type	_ZN7rocprim17ROCPRIM_400000_NS6detail17trampoline_kernelINS0_14default_configENS1_20scan_config_selectorIN3c104HalfEEEZZNS1_9scan_implILNS1_25lookback_scan_determinismE0ELb0ELb0ES3_PKS6_PS6_S6_ZZZN2at6native31launch_logcumsumexp_cuda_kernelERKNSD_10TensorBaseESH_lENKUlvE_clEvENKUlvE3_clEvEUlS6_S6_E_S6_EEDaPvRmT3_T4_T5_mT6_P12ihipStream_tbENKUlT_T0_E_clISt17integral_constantIbLb0EESY_EEDaST_SU_EUlST_E0_NS1_11comp_targetILNS1_3genE3ELNS1_11target_archE908ELNS1_3gpuE7ELNS1_3repE0EEENS1_30default_config_static_selectorELNS0_4arch9wavefront6targetE1EEEvT1_,@function
_ZN7rocprim17ROCPRIM_400000_NS6detail17trampoline_kernelINS0_14default_configENS1_20scan_config_selectorIN3c104HalfEEEZZNS1_9scan_implILNS1_25lookback_scan_determinismE0ELb0ELb0ES3_PKS6_PS6_S6_ZZZN2at6native31launch_logcumsumexp_cuda_kernelERKNSD_10TensorBaseESH_lENKUlvE_clEvENKUlvE3_clEvEUlS6_S6_E_S6_EEDaPvRmT3_T4_T5_mT6_P12ihipStream_tbENKUlT_T0_E_clISt17integral_constantIbLb0EESY_EEDaST_SU_EUlST_E0_NS1_11comp_targetILNS1_3genE3ELNS1_11target_archE908ELNS1_3gpuE7ELNS1_3repE0EEENS1_30default_config_static_selectorELNS0_4arch9wavefront6targetE1EEEvT1_: ; @_ZN7rocprim17ROCPRIM_400000_NS6detail17trampoline_kernelINS0_14default_configENS1_20scan_config_selectorIN3c104HalfEEEZZNS1_9scan_implILNS1_25lookback_scan_determinismE0ELb0ELb0ES3_PKS6_PS6_S6_ZZZN2at6native31launch_logcumsumexp_cuda_kernelERKNSD_10TensorBaseESH_lENKUlvE_clEvENKUlvE3_clEvEUlS6_S6_E_S6_EEDaPvRmT3_T4_T5_mT6_P12ihipStream_tbENKUlT_T0_E_clISt17integral_constantIbLb0EESY_EEDaST_SU_EUlST_E0_NS1_11comp_targetILNS1_3genE3ELNS1_11target_archE908ELNS1_3gpuE7ELNS1_3repE0EEENS1_30default_config_static_selectorELNS0_4arch9wavefront6targetE1EEEvT1_
; %bb.0:
	.section	.rodata,"a",@progbits
	.p2align	6, 0x0
	.amdhsa_kernel _ZN7rocprim17ROCPRIM_400000_NS6detail17trampoline_kernelINS0_14default_configENS1_20scan_config_selectorIN3c104HalfEEEZZNS1_9scan_implILNS1_25lookback_scan_determinismE0ELb0ELb0ES3_PKS6_PS6_S6_ZZZN2at6native31launch_logcumsumexp_cuda_kernelERKNSD_10TensorBaseESH_lENKUlvE_clEvENKUlvE3_clEvEUlS6_S6_E_S6_EEDaPvRmT3_T4_T5_mT6_P12ihipStream_tbENKUlT_T0_E_clISt17integral_constantIbLb0EESY_EEDaST_SU_EUlST_E0_NS1_11comp_targetILNS1_3genE3ELNS1_11target_archE908ELNS1_3gpuE7ELNS1_3repE0EEENS1_30default_config_static_selectorELNS0_4arch9wavefront6targetE1EEEvT1_
		.amdhsa_group_segment_fixed_size 0
		.amdhsa_private_segment_fixed_size 0
		.amdhsa_kernarg_size 32
		.amdhsa_user_sgpr_count 2
		.amdhsa_user_sgpr_dispatch_ptr 0
		.amdhsa_user_sgpr_queue_ptr 0
		.amdhsa_user_sgpr_kernarg_segment_ptr 1
		.amdhsa_user_sgpr_dispatch_id 0
		.amdhsa_user_sgpr_kernarg_preload_length 0
		.amdhsa_user_sgpr_kernarg_preload_offset 0
		.amdhsa_user_sgpr_private_segment_size 0
		.amdhsa_uses_dynamic_stack 0
		.amdhsa_enable_private_segment 0
		.amdhsa_system_sgpr_workgroup_id_x 1
		.amdhsa_system_sgpr_workgroup_id_y 0
		.amdhsa_system_sgpr_workgroup_id_z 0
		.amdhsa_system_sgpr_workgroup_info 0
		.amdhsa_system_vgpr_workitem_id 0
		.amdhsa_next_free_vgpr 1
		.amdhsa_next_free_sgpr 0
		.amdhsa_accum_offset 4
		.amdhsa_reserve_vcc 0
		.amdhsa_float_round_mode_32 0
		.amdhsa_float_round_mode_16_64 0
		.amdhsa_float_denorm_mode_32 3
		.amdhsa_float_denorm_mode_16_64 3
		.amdhsa_dx10_clamp 1
		.amdhsa_ieee_mode 1
		.amdhsa_fp16_overflow 0
		.amdhsa_tg_split 0
		.amdhsa_exception_fp_ieee_invalid_op 0
		.amdhsa_exception_fp_denorm_src 0
		.amdhsa_exception_fp_ieee_div_zero 0
		.amdhsa_exception_fp_ieee_overflow 0
		.amdhsa_exception_fp_ieee_underflow 0
		.amdhsa_exception_fp_ieee_inexact 0
		.amdhsa_exception_int_div_zero 0
	.end_amdhsa_kernel
	.section	.text._ZN7rocprim17ROCPRIM_400000_NS6detail17trampoline_kernelINS0_14default_configENS1_20scan_config_selectorIN3c104HalfEEEZZNS1_9scan_implILNS1_25lookback_scan_determinismE0ELb0ELb0ES3_PKS6_PS6_S6_ZZZN2at6native31launch_logcumsumexp_cuda_kernelERKNSD_10TensorBaseESH_lENKUlvE_clEvENKUlvE3_clEvEUlS6_S6_E_S6_EEDaPvRmT3_T4_T5_mT6_P12ihipStream_tbENKUlT_T0_E_clISt17integral_constantIbLb0EESY_EEDaST_SU_EUlST_E0_NS1_11comp_targetILNS1_3genE3ELNS1_11target_archE908ELNS1_3gpuE7ELNS1_3repE0EEENS1_30default_config_static_selectorELNS0_4arch9wavefront6targetE1EEEvT1_,"axG",@progbits,_ZN7rocprim17ROCPRIM_400000_NS6detail17trampoline_kernelINS0_14default_configENS1_20scan_config_selectorIN3c104HalfEEEZZNS1_9scan_implILNS1_25lookback_scan_determinismE0ELb0ELb0ES3_PKS6_PS6_S6_ZZZN2at6native31launch_logcumsumexp_cuda_kernelERKNSD_10TensorBaseESH_lENKUlvE_clEvENKUlvE3_clEvEUlS6_S6_E_S6_EEDaPvRmT3_T4_T5_mT6_P12ihipStream_tbENKUlT_T0_E_clISt17integral_constantIbLb0EESY_EEDaST_SU_EUlST_E0_NS1_11comp_targetILNS1_3genE3ELNS1_11target_archE908ELNS1_3gpuE7ELNS1_3repE0EEENS1_30default_config_static_selectorELNS0_4arch9wavefront6targetE1EEEvT1_,comdat
.Lfunc_end371:
	.size	_ZN7rocprim17ROCPRIM_400000_NS6detail17trampoline_kernelINS0_14default_configENS1_20scan_config_selectorIN3c104HalfEEEZZNS1_9scan_implILNS1_25lookback_scan_determinismE0ELb0ELb0ES3_PKS6_PS6_S6_ZZZN2at6native31launch_logcumsumexp_cuda_kernelERKNSD_10TensorBaseESH_lENKUlvE_clEvENKUlvE3_clEvEUlS6_S6_E_S6_EEDaPvRmT3_T4_T5_mT6_P12ihipStream_tbENKUlT_T0_E_clISt17integral_constantIbLb0EESY_EEDaST_SU_EUlST_E0_NS1_11comp_targetILNS1_3genE3ELNS1_11target_archE908ELNS1_3gpuE7ELNS1_3repE0EEENS1_30default_config_static_selectorELNS0_4arch9wavefront6targetE1EEEvT1_, .Lfunc_end371-_ZN7rocprim17ROCPRIM_400000_NS6detail17trampoline_kernelINS0_14default_configENS1_20scan_config_selectorIN3c104HalfEEEZZNS1_9scan_implILNS1_25lookback_scan_determinismE0ELb0ELb0ES3_PKS6_PS6_S6_ZZZN2at6native31launch_logcumsumexp_cuda_kernelERKNSD_10TensorBaseESH_lENKUlvE_clEvENKUlvE3_clEvEUlS6_S6_E_S6_EEDaPvRmT3_T4_T5_mT6_P12ihipStream_tbENKUlT_T0_E_clISt17integral_constantIbLb0EESY_EEDaST_SU_EUlST_E0_NS1_11comp_targetILNS1_3genE3ELNS1_11target_archE908ELNS1_3gpuE7ELNS1_3repE0EEENS1_30default_config_static_selectorELNS0_4arch9wavefront6targetE1EEEvT1_
                                        ; -- End function
	.set _ZN7rocprim17ROCPRIM_400000_NS6detail17trampoline_kernelINS0_14default_configENS1_20scan_config_selectorIN3c104HalfEEEZZNS1_9scan_implILNS1_25lookback_scan_determinismE0ELb0ELb0ES3_PKS6_PS6_S6_ZZZN2at6native31launch_logcumsumexp_cuda_kernelERKNSD_10TensorBaseESH_lENKUlvE_clEvENKUlvE3_clEvEUlS6_S6_E_S6_EEDaPvRmT3_T4_T5_mT6_P12ihipStream_tbENKUlT_T0_E_clISt17integral_constantIbLb0EESY_EEDaST_SU_EUlST_E0_NS1_11comp_targetILNS1_3genE3ELNS1_11target_archE908ELNS1_3gpuE7ELNS1_3repE0EEENS1_30default_config_static_selectorELNS0_4arch9wavefront6targetE1EEEvT1_.num_vgpr, 0
	.set _ZN7rocprim17ROCPRIM_400000_NS6detail17trampoline_kernelINS0_14default_configENS1_20scan_config_selectorIN3c104HalfEEEZZNS1_9scan_implILNS1_25lookback_scan_determinismE0ELb0ELb0ES3_PKS6_PS6_S6_ZZZN2at6native31launch_logcumsumexp_cuda_kernelERKNSD_10TensorBaseESH_lENKUlvE_clEvENKUlvE3_clEvEUlS6_S6_E_S6_EEDaPvRmT3_T4_T5_mT6_P12ihipStream_tbENKUlT_T0_E_clISt17integral_constantIbLb0EESY_EEDaST_SU_EUlST_E0_NS1_11comp_targetILNS1_3genE3ELNS1_11target_archE908ELNS1_3gpuE7ELNS1_3repE0EEENS1_30default_config_static_selectorELNS0_4arch9wavefront6targetE1EEEvT1_.num_agpr, 0
	.set _ZN7rocprim17ROCPRIM_400000_NS6detail17trampoline_kernelINS0_14default_configENS1_20scan_config_selectorIN3c104HalfEEEZZNS1_9scan_implILNS1_25lookback_scan_determinismE0ELb0ELb0ES3_PKS6_PS6_S6_ZZZN2at6native31launch_logcumsumexp_cuda_kernelERKNSD_10TensorBaseESH_lENKUlvE_clEvENKUlvE3_clEvEUlS6_S6_E_S6_EEDaPvRmT3_T4_T5_mT6_P12ihipStream_tbENKUlT_T0_E_clISt17integral_constantIbLb0EESY_EEDaST_SU_EUlST_E0_NS1_11comp_targetILNS1_3genE3ELNS1_11target_archE908ELNS1_3gpuE7ELNS1_3repE0EEENS1_30default_config_static_selectorELNS0_4arch9wavefront6targetE1EEEvT1_.numbered_sgpr, 0
	.set _ZN7rocprim17ROCPRIM_400000_NS6detail17trampoline_kernelINS0_14default_configENS1_20scan_config_selectorIN3c104HalfEEEZZNS1_9scan_implILNS1_25lookback_scan_determinismE0ELb0ELb0ES3_PKS6_PS6_S6_ZZZN2at6native31launch_logcumsumexp_cuda_kernelERKNSD_10TensorBaseESH_lENKUlvE_clEvENKUlvE3_clEvEUlS6_S6_E_S6_EEDaPvRmT3_T4_T5_mT6_P12ihipStream_tbENKUlT_T0_E_clISt17integral_constantIbLb0EESY_EEDaST_SU_EUlST_E0_NS1_11comp_targetILNS1_3genE3ELNS1_11target_archE908ELNS1_3gpuE7ELNS1_3repE0EEENS1_30default_config_static_selectorELNS0_4arch9wavefront6targetE1EEEvT1_.num_named_barrier, 0
	.set _ZN7rocprim17ROCPRIM_400000_NS6detail17trampoline_kernelINS0_14default_configENS1_20scan_config_selectorIN3c104HalfEEEZZNS1_9scan_implILNS1_25lookback_scan_determinismE0ELb0ELb0ES3_PKS6_PS6_S6_ZZZN2at6native31launch_logcumsumexp_cuda_kernelERKNSD_10TensorBaseESH_lENKUlvE_clEvENKUlvE3_clEvEUlS6_S6_E_S6_EEDaPvRmT3_T4_T5_mT6_P12ihipStream_tbENKUlT_T0_E_clISt17integral_constantIbLb0EESY_EEDaST_SU_EUlST_E0_NS1_11comp_targetILNS1_3genE3ELNS1_11target_archE908ELNS1_3gpuE7ELNS1_3repE0EEENS1_30default_config_static_selectorELNS0_4arch9wavefront6targetE1EEEvT1_.private_seg_size, 0
	.set _ZN7rocprim17ROCPRIM_400000_NS6detail17trampoline_kernelINS0_14default_configENS1_20scan_config_selectorIN3c104HalfEEEZZNS1_9scan_implILNS1_25lookback_scan_determinismE0ELb0ELb0ES3_PKS6_PS6_S6_ZZZN2at6native31launch_logcumsumexp_cuda_kernelERKNSD_10TensorBaseESH_lENKUlvE_clEvENKUlvE3_clEvEUlS6_S6_E_S6_EEDaPvRmT3_T4_T5_mT6_P12ihipStream_tbENKUlT_T0_E_clISt17integral_constantIbLb0EESY_EEDaST_SU_EUlST_E0_NS1_11comp_targetILNS1_3genE3ELNS1_11target_archE908ELNS1_3gpuE7ELNS1_3repE0EEENS1_30default_config_static_selectorELNS0_4arch9wavefront6targetE1EEEvT1_.uses_vcc, 0
	.set _ZN7rocprim17ROCPRIM_400000_NS6detail17trampoline_kernelINS0_14default_configENS1_20scan_config_selectorIN3c104HalfEEEZZNS1_9scan_implILNS1_25lookback_scan_determinismE0ELb0ELb0ES3_PKS6_PS6_S6_ZZZN2at6native31launch_logcumsumexp_cuda_kernelERKNSD_10TensorBaseESH_lENKUlvE_clEvENKUlvE3_clEvEUlS6_S6_E_S6_EEDaPvRmT3_T4_T5_mT6_P12ihipStream_tbENKUlT_T0_E_clISt17integral_constantIbLb0EESY_EEDaST_SU_EUlST_E0_NS1_11comp_targetILNS1_3genE3ELNS1_11target_archE908ELNS1_3gpuE7ELNS1_3repE0EEENS1_30default_config_static_selectorELNS0_4arch9wavefront6targetE1EEEvT1_.uses_flat_scratch, 0
	.set _ZN7rocprim17ROCPRIM_400000_NS6detail17trampoline_kernelINS0_14default_configENS1_20scan_config_selectorIN3c104HalfEEEZZNS1_9scan_implILNS1_25lookback_scan_determinismE0ELb0ELb0ES3_PKS6_PS6_S6_ZZZN2at6native31launch_logcumsumexp_cuda_kernelERKNSD_10TensorBaseESH_lENKUlvE_clEvENKUlvE3_clEvEUlS6_S6_E_S6_EEDaPvRmT3_T4_T5_mT6_P12ihipStream_tbENKUlT_T0_E_clISt17integral_constantIbLb0EESY_EEDaST_SU_EUlST_E0_NS1_11comp_targetILNS1_3genE3ELNS1_11target_archE908ELNS1_3gpuE7ELNS1_3repE0EEENS1_30default_config_static_selectorELNS0_4arch9wavefront6targetE1EEEvT1_.has_dyn_sized_stack, 0
	.set _ZN7rocprim17ROCPRIM_400000_NS6detail17trampoline_kernelINS0_14default_configENS1_20scan_config_selectorIN3c104HalfEEEZZNS1_9scan_implILNS1_25lookback_scan_determinismE0ELb0ELb0ES3_PKS6_PS6_S6_ZZZN2at6native31launch_logcumsumexp_cuda_kernelERKNSD_10TensorBaseESH_lENKUlvE_clEvENKUlvE3_clEvEUlS6_S6_E_S6_EEDaPvRmT3_T4_T5_mT6_P12ihipStream_tbENKUlT_T0_E_clISt17integral_constantIbLb0EESY_EEDaST_SU_EUlST_E0_NS1_11comp_targetILNS1_3genE3ELNS1_11target_archE908ELNS1_3gpuE7ELNS1_3repE0EEENS1_30default_config_static_selectorELNS0_4arch9wavefront6targetE1EEEvT1_.has_recursion, 0
	.set _ZN7rocprim17ROCPRIM_400000_NS6detail17trampoline_kernelINS0_14default_configENS1_20scan_config_selectorIN3c104HalfEEEZZNS1_9scan_implILNS1_25lookback_scan_determinismE0ELb0ELb0ES3_PKS6_PS6_S6_ZZZN2at6native31launch_logcumsumexp_cuda_kernelERKNSD_10TensorBaseESH_lENKUlvE_clEvENKUlvE3_clEvEUlS6_S6_E_S6_EEDaPvRmT3_T4_T5_mT6_P12ihipStream_tbENKUlT_T0_E_clISt17integral_constantIbLb0EESY_EEDaST_SU_EUlST_E0_NS1_11comp_targetILNS1_3genE3ELNS1_11target_archE908ELNS1_3gpuE7ELNS1_3repE0EEENS1_30default_config_static_selectorELNS0_4arch9wavefront6targetE1EEEvT1_.has_indirect_call, 0
	.section	.AMDGPU.csdata,"",@progbits
; Kernel info:
; codeLenInByte = 0
; TotalNumSgprs: 6
; NumVgprs: 0
; NumAgprs: 0
; TotalNumVgprs: 0
; ScratchSize: 0
; MemoryBound: 0
; FloatMode: 240
; IeeeMode: 1
; LDSByteSize: 0 bytes/workgroup (compile time only)
; SGPRBlocks: 0
; VGPRBlocks: 0
; NumSGPRsForWavesPerEU: 6
; NumVGPRsForWavesPerEU: 1
; AccumOffset: 4
; Occupancy: 8
; WaveLimiterHint : 0
; COMPUTE_PGM_RSRC2:SCRATCH_EN: 0
; COMPUTE_PGM_RSRC2:USER_SGPR: 2
; COMPUTE_PGM_RSRC2:TRAP_HANDLER: 0
; COMPUTE_PGM_RSRC2:TGID_X_EN: 1
; COMPUTE_PGM_RSRC2:TGID_Y_EN: 0
; COMPUTE_PGM_RSRC2:TGID_Z_EN: 0
; COMPUTE_PGM_RSRC2:TIDIG_COMP_CNT: 0
; COMPUTE_PGM_RSRC3_GFX90A:ACCUM_OFFSET: 0
; COMPUTE_PGM_RSRC3_GFX90A:TG_SPLIT: 0
	.section	.text._ZN7rocprim17ROCPRIM_400000_NS6detail17trampoline_kernelINS0_14default_configENS1_20scan_config_selectorIN3c104HalfEEEZZNS1_9scan_implILNS1_25lookback_scan_determinismE0ELb0ELb0ES3_PKS6_PS6_S6_ZZZN2at6native31launch_logcumsumexp_cuda_kernelERKNSD_10TensorBaseESH_lENKUlvE_clEvENKUlvE3_clEvEUlS6_S6_E_S6_EEDaPvRmT3_T4_T5_mT6_P12ihipStream_tbENKUlT_T0_E_clISt17integral_constantIbLb0EESY_EEDaST_SU_EUlST_E0_NS1_11comp_targetILNS1_3genE2ELNS1_11target_archE906ELNS1_3gpuE6ELNS1_3repE0EEENS1_30default_config_static_selectorELNS0_4arch9wavefront6targetE1EEEvT1_,"axG",@progbits,_ZN7rocprim17ROCPRIM_400000_NS6detail17trampoline_kernelINS0_14default_configENS1_20scan_config_selectorIN3c104HalfEEEZZNS1_9scan_implILNS1_25lookback_scan_determinismE0ELb0ELb0ES3_PKS6_PS6_S6_ZZZN2at6native31launch_logcumsumexp_cuda_kernelERKNSD_10TensorBaseESH_lENKUlvE_clEvENKUlvE3_clEvEUlS6_S6_E_S6_EEDaPvRmT3_T4_T5_mT6_P12ihipStream_tbENKUlT_T0_E_clISt17integral_constantIbLb0EESY_EEDaST_SU_EUlST_E0_NS1_11comp_targetILNS1_3genE2ELNS1_11target_archE906ELNS1_3gpuE6ELNS1_3repE0EEENS1_30default_config_static_selectorELNS0_4arch9wavefront6targetE1EEEvT1_,comdat
	.globl	_ZN7rocprim17ROCPRIM_400000_NS6detail17trampoline_kernelINS0_14default_configENS1_20scan_config_selectorIN3c104HalfEEEZZNS1_9scan_implILNS1_25lookback_scan_determinismE0ELb0ELb0ES3_PKS6_PS6_S6_ZZZN2at6native31launch_logcumsumexp_cuda_kernelERKNSD_10TensorBaseESH_lENKUlvE_clEvENKUlvE3_clEvEUlS6_S6_E_S6_EEDaPvRmT3_T4_T5_mT6_P12ihipStream_tbENKUlT_T0_E_clISt17integral_constantIbLb0EESY_EEDaST_SU_EUlST_E0_NS1_11comp_targetILNS1_3genE2ELNS1_11target_archE906ELNS1_3gpuE6ELNS1_3repE0EEENS1_30default_config_static_selectorELNS0_4arch9wavefront6targetE1EEEvT1_ ; -- Begin function _ZN7rocprim17ROCPRIM_400000_NS6detail17trampoline_kernelINS0_14default_configENS1_20scan_config_selectorIN3c104HalfEEEZZNS1_9scan_implILNS1_25lookback_scan_determinismE0ELb0ELb0ES3_PKS6_PS6_S6_ZZZN2at6native31launch_logcumsumexp_cuda_kernelERKNSD_10TensorBaseESH_lENKUlvE_clEvENKUlvE3_clEvEUlS6_S6_E_S6_EEDaPvRmT3_T4_T5_mT6_P12ihipStream_tbENKUlT_T0_E_clISt17integral_constantIbLb0EESY_EEDaST_SU_EUlST_E0_NS1_11comp_targetILNS1_3genE2ELNS1_11target_archE906ELNS1_3gpuE6ELNS1_3repE0EEENS1_30default_config_static_selectorELNS0_4arch9wavefront6targetE1EEEvT1_
	.p2align	8
	.type	_ZN7rocprim17ROCPRIM_400000_NS6detail17trampoline_kernelINS0_14default_configENS1_20scan_config_selectorIN3c104HalfEEEZZNS1_9scan_implILNS1_25lookback_scan_determinismE0ELb0ELb0ES3_PKS6_PS6_S6_ZZZN2at6native31launch_logcumsumexp_cuda_kernelERKNSD_10TensorBaseESH_lENKUlvE_clEvENKUlvE3_clEvEUlS6_S6_E_S6_EEDaPvRmT3_T4_T5_mT6_P12ihipStream_tbENKUlT_T0_E_clISt17integral_constantIbLb0EESY_EEDaST_SU_EUlST_E0_NS1_11comp_targetILNS1_3genE2ELNS1_11target_archE906ELNS1_3gpuE6ELNS1_3repE0EEENS1_30default_config_static_selectorELNS0_4arch9wavefront6targetE1EEEvT1_,@function
_ZN7rocprim17ROCPRIM_400000_NS6detail17trampoline_kernelINS0_14default_configENS1_20scan_config_selectorIN3c104HalfEEEZZNS1_9scan_implILNS1_25lookback_scan_determinismE0ELb0ELb0ES3_PKS6_PS6_S6_ZZZN2at6native31launch_logcumsumexp_cuda_kernelERKNSD_10TensorBaseESH_lENKUlvE_clEvENKUlvE3_clEvEUlS6_S6_E_S6_EEDaPvRmT3_T4_T5_mT6_P12ihipStream_tbENKUlT_T0_E_clISt17integral_constantIbLb0EESY_EEDaST_SU_EUlST_E0_NS1_11comp_targetILNS1_3genE2ELNS1_11target_archE906ELNS1_3gpuE6ELNS1_3repE0EEENS1_30default_config_static_selectorELNS0_4arch9wavefront6targetE1EEEvT1_: ; @_ZN7rocprim17ROCPRIM_400000_NS6detail17trampoline_kernelINS0_14default_configENS1_20scan_config_selectorIN3c104HalfEEEZZNS1_9scan_implILNS1_25lookback_scan_determinismE0ELb0ELb0ES3_PKS6_PS6_S6_ZZZN2at6native31launch_logcumsumexp_cuda_kernelERKNSD_10TensorBaseESH_lENKUlvE_clEvENKUlvE3_clEvEUlS6_S6_E_S6_EEDaPvRmT3_T4_T5_mT6_P12ihipStream_tbENKUlT_T0_E_clISt17integral_constantIbLb0EESY_EEDaST_SU_EUlST_E0_NS1_11comp_targetILNS1_3genE2ELNS1_11target_archE906ELNS1_3gpuE6ELNS1_3repE0EEENS1_30default_config_static_selectorELNS0_4arch9wavefront6targetE1EEEvT1_
; %bb.0:
	.section	.rodata,"a",@progbits
	.p2align	6, 0x0
	.amdhsa_kernel _ZN7rocprim17ROCPRIM_400000_NS6detail17trampoline_kernelINS0_14default_configENS1_20scan_config_selectorIN3c104HalfEEEZZNS1_9scan_implILNS1_25lookback_scan_determinismE0ELb0ELb0ES3_PKS6_PS6_S6_ZZZN2at6native31launch_logcumsumexp_cuda_kernelERKNSD_10TensorBaseESH_lENKUlvE_clEvENKUlvE3_clEvEUlS6_S6_E_S6_EEDaPvRmT3_T4_T5_mT6_P12ihipStream_tbENKUlT_T0_E_clISt17integral_constantIbLb0EESY_EEDaST_SU_EUlST_E0_NS1_11comp_targetILNS1_3genE2ELNS1_11target_archE906ELNS1_3gpuE6ELNS1_3repE0EEENS1_30default_config_static_selectorELNS0_4arch9wavefront6targetE1EEEvT1_
		.amdhsa_group_segment_fixed_size 0
		.amdhsa_private_segment_fixed_size 0
		.amdhsa_kernarg_size 32
		.amdhsa_user_sgpr_count 2
		.amdhsa_user_sgpr_dispatch_ptr 0
		.amdhsa_user_sgpr_queue_ptr 0
		.amdhsa_user_sgpr_kernarg_segment_ptr 1
		.amdhsa_user_sgpr_dispatch_id 0
		.amdhsa_user_sgpr_kernarg_preload_length 0
		.amdhsa_user_sgpr_kernarg_preload_offset 0
		.amdhsa_user_sgpr_private_segment_size 0
		.amdhsa_uses_dynamic_stack 0
		.amdhsa_enable_private_segment 0
		.amdhsa_system_sgpr_workgroup_id_x 1
		.amdhsa_system_sgpr_workgroup_id_y 0
		.amdhsa_system_sgpr_workgroup_id_z 0
		.amdhsa_system_sgpr_workgroup_info 0
		.amdhsa_system_vgpr_workitem_id 0
		.amdhsa_next_free_vgpr 1
		.amdhsa_next_free_sgpr 0
		.amdhsa_accum_offset 4
		.amdhsa_reserve_vcc 0
		.amdhsa_float_round_mode_32 0
		.amdhsa_float_round_mode_16_64 0
		.amdhsa_float_denorm_mode_32 3
		.amdhsa_float_denorm_mode_16_64 3
		.amdhsa_dx10_clamp 1
		.amdhsa_ieee_mode 1
		.amdhsa_fp16_overflow 0
		.amdhsa_tg_split 0
		.amdhsa_exception_fp_ieee_invalid_op 0
		.amdhsa_exception_fp_denorm_src 0
		.amdhsa_exception_fp_ieee_div_zero 0
		.amdhsa_exception_fp_ieee_overflow 0
		.amdhsa_exception_fp_ieee_underflow 0
		.amdhsa_exception_fp_ieee_inexact 0
		.amdhsa_exception_int_div_zero 0
	.end_amdhsa_kernel
	.section	.text._ZN7rocprim17ROCPRIM_400000_NS6detail17trampoline_kernelINS0_14default_configENS1_20scan_config_selectorIN3c104HalfEEEZZNS1_9scan_implILNS1_25lookback_scan_determinismE0ELb0ELb0ES3_PKS6_PS6_S6_ZZZN2at6native31launch_logcumsumexp_cuda_kernelERKNSD_10TensorBaseESH_lENKUlvE_clEvENKUlvE3_clEvEUlS6_S6_E_S6_EEDaPvRmT3_T4_T5_mT6_P12ihipStream_tbENKUlT_T0_E_clISt17integral_constantIbLb0EESY_EEDaST_SU_EUlST_E0_NS1_11comp_targetILNS1_3genE2ELNS1_11target_archE906ELNS1_3gpuE6ELNS1_3repE0EEENS1_30default_config_static_selectorELNS0_4arch9wavefront6targetE1EEEvT1_,"axG",@progbits,_ZN7rocprim17ROCPRIM_400000_NS6detail17trampoline_kernelINS0_14default_configENS1_20scan_config_selectorIN3c104HalfEEEZZNS1_9scan_implILNS1_25lookback_scan_determinismE0ELb0ELb0ES3_PKS6_PS6_S6_ZZZN2at6native31launch_logcumsumexp_cuda_kernelERKNSD_10TensorBaseESH_lENKUlvE_clEvENKUlvE3_clEvEUlS6_S6_E_S6_EEDaPvRmT3_T4_T5_mT6_P12ihipStream_tbENKUlT_T0_E_clISt17integral_constantIbLb0EESY_EEDaST_SU_EUlST_E0_NS1_11comp_targetILNS1_3genE2ELNS1_11target_archE906ELNS1_3gpuE6ELNS1_3repE0EEENS1_30default_config_static_selectorELNS0_4arch9wavefront6targetE1EEEvT1_,comdat
.Lfunc_end372:
	.size	_ZN7rocprim17ROCPRIM_400000_NS6detail17trampoline_kernelINS0_14default_configENS1_20scan_config_selectorIN3c104HalfEEEZZNS1_9scan_implILNS1_25lookback_scan_determinismE0ELb0ELb0ES3_PKS6_PS6_S6_ZZZN2at6native31launch_logcumsumexp_cuda_kernelERKNSD_10TensorBaseESH_lENKUlvE_clEvENKUlvE3_clEvEUlS6_S6_E_S6_EEDaPvRmT3_T4_T5_mT6_P12ihipStream_tbENKUlT_T0_E_clISt17integral_constantIbLb0EESY_EEDaST_SU_EUlST_E0_NS1_11comp_targetILNS1_3genE2ELNS1_11target_archE906ELNS1_3gpuE6ELNS1_3repE0EEENS1_30default_config_static_selectorELNS0_4arch9wavefront6targetE1EEEvT1_, .Lfunc_end372-_ZN7rocprim17ROCPRIM_400000_NS6detail17trampoline_kernelINS0_14default_configENS1_20scan_config_selectorIN3c104HalfEEEZZNS1_9scan_implILNS1_25lookback_scan_determinismE0ELb0ELb0ES3_PKS6_PS6_S6_ZZZN2at6native31launch_logcumsumexp_cuda_kernelERKNSD_10TensorBaseESH_lENKUlvE_clEvENKUlvE3_clEvEUlS6_S6_E_S6_EEDaPvRmT3_T4_T5_mT6_P12ihipStream_tbENKUlT_T0_E_clISt17integral_constantIbLb0EESY_EEDaST_SU_EUlST_E0_NS1_11comp_targetILNS1_3genE2ELNS1_11target_archE906ELNS1_3gpuE6ELNS1_3repE0EEENS1_30default_config_static_selectorELNS0_4arch9wavefront6targetE1EEEvT1_
                                        ; -- End function
	.set _ZN7rocprim17ROCPRIM_400000_NS6detail17trampoline_kernelINS0_14default_configENS1_20scan_config_selectorIN3c104HalfEEEZZNS1_9scan_implILNS1_25lookback_scan_determinismE0ELb0ELb0ES3_PKS6_PS6_S6_ZZZN2at6native31launch_logcumsumexp_cuda_kernelERKNSD_10TensorBaseESH_lENKUlvE_clEvENKUlvE3_clEvEUlS6_S6_E_S6_EEDaPvRmT3_T4_T5_mT6_P12ihipStream_tbENKUlT_T0_E_clISt17integral_constantIbLb0EESY_EEDaST_SU_EUlST_E0_NS1_11comp_targetILNS1_3genE2ELNS1_11target_archE906ELNS1_3gpuE6ELNS1_3repE0EEENS1_30default_config_static_selectorELNS0_4arch9wavefront6targetE1EEEvT1_.num_vgpr, 0
	.set _ZN7rocprim17ROCPRIM_400000_NS6detail17trampoline_kernelINS0_14default_configENS1_20scan_config_selectorIN3c104HalfEEEZZNS1_9scan_implILNS1_25lookback_scan_determinismE0ELb0ELb0ES3_PKS6_PS6_S6_ZZZN2at6native31launch_logcumsumexp_cuda_kernelERKNSD_10TensorBaseESH_lENKUlvE_clEvENKUlvE3_clEvEUlS6_S6_E_S6_EEDaPvRmT3_T4_T5_mT6_P12ihipStream_tbENKUlT_T0_E_clISt17integral_constantIbLb0EESY_EEDaST_SU_EUlST_E0_NS1_11comp_targetILNS1_3genE2ELNS1_11target_archE906ELNS1_3gpuE6ELNS1_3repE0EEENS1_30default_config_static_selectorELNS0_4arch9wavefront6targetE1EEEvT1_.num_agpr, 0
	.set _ZN7rocprim17ROCPRIM_400000_NS6detail17trampoline_kernelINS0_14default_configENS1_20scan_config_selectorIN3c104HalfEEEZZNS1_9scan_implILNS1_25lookback_scan_determinismE0ELb0ELb0ES3_PKS6_PS6_S6_ZZZN2at6native31launch_logcumsumexp_cuda_kernelERKNSD_10TensorBaseESH_lENKUlvE_clEvENKUlvE3_clEvEUlS6_S6_E_S6_EEDaPvRmT3_T4_T5_mT6_P12ihipStream_tbENKUlT_T0_E_clISt17integral_constantIbLb0EESY_EEDaST_SU_EUlST_E0_NS1_11comp_targetILNS1_3genE2ELNS1_11target_archE906ELNS1_3gpuE6ELNS1_3repE0EEENS1_30default_config_static_selectorELNS0_4arch9wavefront6targetE1EEEvT1_.numbered_sgpr, 0
	.set _ZN7rocprim17ROCPRIM_400000_NS6detail17trampoline_kernelINS0_14default_configENS1_20scan_config_selectorIN3c104HalfEEEZZNS1_9scan_implILNS1_25lookback_scan_determinismE0ELb0ELb0ES3_PKS6_PS6_S6_ZZZN2at6native31launch_logcumsumexp_cuda_kernelERKNSD_10TensorBaseESH_lENKUlvE_clEvENKUlvE3_clEvEUlS6_S6_E_S6_EEDaPvRmT3_T4_T5_mT6_P12ihipStream_tbENKUlT_T0_E_clISt17integral_constantIbLb0EESY_EEDaST_SU_EUlST_E0_NS1_11comp_targetILNS1_3genE2ELNS1_11target_archE906ELNS1_3gpuE6ELNS1_3repE0EEENS1_30default_config_static_selectorELNS0_4arch9wavefront6targetE1EEEvT1_.num_named_barrier, 0
	.set _ZN7rocprim17ROCPRIM_400000_NS6detail17trampoline_kernelINS0_14default_configENS1_20scan_config_selectorIN3c104HalfEEEZZNS1_9scan_implILNS1_25lookback_scan_determinismE0ELb0ELb0ES3_PKS6_PS6_S6_ZZZN2at6native31launch_logcumsumexp_cuda_kernelERKNSD_10TensorBaseESH_lENKUlvE_clEvENKUlvE3_clEvEUlS6_S6_E_S6_EEDaPvRmT3_T4_T5_mT6_P12ihipStream_tbENKUlT_T0_E_clISt17integral_constantIbLb0EESY_EEDaST_SU_EUlST_E0_NS1_11comp_targetILNS1_3genE2ELNS1_11target_archE906ELNS1_3gpuE6ELNS1_3repE0EEENS1_30default_config_static_selectorELNS0_4arch9wavefront6targetE1EEEvT1_.private_seg_size, 0
	.set _ZN7rocprim17ROCPRIM_400000_NS6detail17trampoline_kernelINS0_14default_configENS1_20scan_config_selectorIN3c104HalfEEEZZNS1_9scan_implILNS1_25lookback_scan_determinismE0ELb0ELb0ES3_PKS6_PS6_S6_ZZZN2at6native31launch_logcumsumexp_cuda_kernelERKNSD_10TensorBaseESH_lENKUlvE_clEvENKUlvE3_clEvEUlS6_S6_E_S6_EEDaPvRmT3_T4_T5_mT6_P12ihipStream_tbENKUlT_T0_E_clISt17integral_constantIbLb0EESY_EEDaST_SU_EUlST_E0_NS1_11comp_targetILNS1_3genE2ELNS1_11target_archE906ELNS1_3gpuE6ELNS1_3repE0EEENS1_30default_config_static_selectorELNS0_4arch9wavefront6targetE1EEEvT1_.uses_vcc, 0
	.set _ZN7rocprim17ROCPRIM_400000_NS6detail17trampoline_kernelINS0_14default_configENS1_20scan_config_selectorIN3c104HalfEEEZZNS1_9scan_implILNS1_25lookback_scan_determinismE0ELb0ELb0ES3_PKS6_PS6_S6_ZZZN2at6native31launch_logcumsumexp_cuda_kernelERKNSD_10TensorBaseESH_lENKUlvE_clEvENKUlvE3_clEvEUlS6_S6_E_S6_EEDaPvRmT3_T4_T5_mT6_P12ihipStream_tbENKUlT_T0_E_clISt17integral_constantIbLb0EESY_EEDaST_SU_EUlST_E0_NS1_11comp_targetILNS1_3genE2ELNS1_11target_archE906ELNS1_3gpuE6ELNS1_3repE0EEENS1_30default_config_static_selectorELNS0_4arch9wavefront6targetE1EEEvT1_.uses_flat_scratch, 0
	.set _ZN7rocprim17ROCPRIM_400000_NS6detail17trampoline_kernelINS0_14default_configENS1_20scan_config_selectorIN3c104HalfEEEZZNS1_9scan_implILNS1_25lookback_scan_determinismE0ELb0ELb0ES3_PKS6_PS6_S6_ZZZN2at6native31launch_logcumsumexp_cuda_kernelERKNSD_10TensorBaseESH_lENKUlvE_clEvENKUlvE3_clEvEUlS6_S6_E_S6_EEDaPvRmT3_T4_T5_mT6_P12ihipStream_tbENKUlT_T0_E_clISt17integral_constantIbLb0EESY_EEDaST_SU_EUlST_E0_NS1_11comp_targetILNS1_3genE2ELNS1_11target_archE906ELNS1_3gpuE6ELNS1_3repE0EEENS1_30default_config_static_selectorELNS0_4arch9wavefront6targetE1EEEvT1_.has_dyn_sized_stack, 0
	.set _ZN7rocprim17ROCPRIM_400000_NS6detail17trampoline_kernelINS0_14default_configENS1_20scan_config_selectorIN3c104HalfEEEZZNS1_9scan_implILNS1_25lookback_scan_determinismE0ELb0ELb0ES3_PKS6_PS6_S6_ZZZN2at6native31launch_logcumsumexp_cuda_kernelERKNSD_10TensorBaseESH_lENKUlvE_clEvENKUlvE3_clEvEUlS6_S6_E_S6_EEDaPvRmT3_T4_T5_mT6_P12ihipStream_tbENKUlT_T0_E_clISt17integral_constantIbLb0EESY_EEDaST_SU_EUlST_E0_NS1_11comp_targetILNS1_3genE2ELNS1_11target_archE906ELNS1_3gpuE6ELNS1_3repE0EEENS1_30default_config_static_selectorELNS0_4arch9wavefront6targetE1EEEvT1_.has_recursion, 0
	.set _ZN7rocprim17ROCPRIM_400000_NS6detail17trampoline_kernelINS0_14default_configENS1_20scan_config_selectorIN3c104HalfEEEZZNS1_9scan_implILNS1_25lookback_scan_determinismE0ELb0ELb0ES3_PKS6_PS6_S6_ZZZN2at6native31launch_logcumsumexp_cuda_kernelERKNSD_10TensorBaseESH_lENKUlvE_clEvENKUlvE3_clEvEUlS6_S6_E_S6_EEDaPvRmT3_T4_T5_mT6_P12ihipStream_tbENKUlT_T0_E_clISt17integral_constantIbLb0EESY_EEDaST_SU_EUlST_E0_NS1_11comp_targetILNS1_3genE2ELNS1_11target_archE906ELNS1_3gpuE6ELNS1_3repE0EEENS1_30default_config_static_selectorELNS0_4arch9wavefront6targetE1EEEvT1_.has_indirect_call, 0
	.section	.AMDGPU.csdata,"",@progbits
; Kernel info:
; codeLenInByte = 0
; TotalNumSgprs: 6
; NumVgprs: 0
; NumAgprs: 0
; TotalNumVgprs: 0
; ScratchSize: 0
; MemoryBound: 0
; FloatMode: 240
; IeeeMode: 1
; LDSByteSize: 0 bytes/workgroup (compile time only)
; SGPRBlocks: 0
; VGPRBlocks: 0
; NumSGPRsForWavesPerEU: 6
; NumVGPRsForWavesPerEU: 1
; AccumOffset: 4
; Occupancy: 8
; WaveLimiterHint : 0
; COMPUTE_PGM_RSRC2:SCRATCH_EN: 0
; COMPUTE_PGM_RSRC2:USER_SGPR: 2
; COMPUTE_PGM_RSRC2:TRAP_HANDLER: 0
; COMPUTE_PGM_RSRC2:TGID_X_EN: 1
; COMPUTE_PGM_RSRC2:TGID_Y_EN: 0
; COMPUTE_PGM_RSRC2:TGID_Z_EN: 0
; COMPUTE_PGM_RSRC2:TIDIG_COMP_CNT: 0
; COMPUTE_PGM_RSRC3_GFX90A:ACCUM_OFFSET: 0
; COMPUTE_PGM_RSRC3_GFX90A:TG_SPLIT: 0
	.section	.text._ZN7rocprim17ROCPRIM_400000_NS6detail17trampoline_kernelINS0_14default_configENS1_20scan_config_selectorIN3c104HalfEEEZZNS1_9scan_implILNS1_25lookback_scan_determinismE0ELb0ELb0ES3_PKS6_PS6_S6_ZZZN2at6native31launch_logcumsumexp_cuda_kernelERKNSD_10TensorBaseESH_lENKUlvE_clEvENKUlvE3_clEvEUlS6_S6_E_S6_EEDaPvRmT3_T4_T5_mT6_P12ihipStream_tbENKUlT_T0_E_clISt17integral_constantIbLb0EESY_EEDaST_SU_EUlST_E0_NS1_11comp_targetILNS1_3genE10ELNS1_11target_archE1201ELNS1_3gpuE5ELNS1_3repE0EEENS1_30default_config_static_selectorELNS0_4arch9wavefront6targetE1EEEvT1_,"axG",@progbits,_ZN7rocprim17ROCPRIM_400000_NS6detail17trampoline_kernelINS0_14default_configENS1_20scan_config_selectorIN3c104HalfEEEZZNS1_9scan_implILNS1_25lookback_scan_determinismE0ELb0ELb0ES3_PKS6_PS6_S6_ZZZN2at6native31launch_logcumsumexp_cuda_kernelERKNSD_10TensorBaseESH_lENKUlvE_clEvENKUlvE3_clEvEUlS6_S6_E_S6_EEDaPvRmT3_T4_T5_mT6_P12ihipStream_tbENKUlT_T0_E_clISt17integral_constantIbLb0EESY_EEDaST_SU_EUlST_E0_NS1_11comp_targetILNS1_3genE10ELNS1_11target_archE1201ELNS1_3gpuE5ELNS1_3repE0EEENS1_30default_config_static_selectorELNS0_4arch9wavefront6targetE1EEEvT1_,comdat
	.globl	_ZN7rocprim17ROCPRIM_400000_NS6detail17trampoline_kernelINS0_14default_configENS1_20scan_config_selectorIN3c104HalfEEEZZNS1_9scan_implILNS1_25lookback_scan_determinismE0ELb0ELb0ES3_PKS6_PS6_S6_ZZZN2at6native31launch_logcumsumexp_cuda_kernelERKNSD_10TensorBaseESH_lENKUlvE_clEvENKUlvE3_clEvEUlS6_S6_E_S6_EEDaPvRmT3_T4_T5_mT6_P12ihipStream_tbENKUlT_T0_E_clISt17integral_constantIbLb0EESY_EEDaST_SU_EUlST_E0_NS1_11comp_targetILNS1_3genE10ELNS1_11target_archE1201ELNS1_3gpuE5ELNS1_3repE0EEENS1_30default_config_static_selectorELNS0_4arch9wavefront6targetE1EEEvT1_ ; -- Begin function _ZN7rocprim17ROCPRIM_400000_NS6detail17trampoline_kernelINS0_14default_configENS1_20scan_config_selectorIN3c104HalfEEEZZNS1_9scan_implILNS1_25lookback_scan_determinismE0ELb0ELb0ES3_PKS6_PS6_S6_ZZZN2at6native31launch_logcumsumexp_cuda_kernelERKNSD_10TensorBaseESH_lENKUlvE_clEvENKUlvE3_clEvEUlS6_S6_E_S6_EEDaPvRmT3_T4_T5_mT6_P12ihipStream_tbENKUlT_T0_E_clISt17integral_constantIbLb0EESY_EEDaST_SU_EUlST_E0_NS1_11comp_targetILNS1_3genE10ELNS1_11target_archE1201ELNS1_3gpuE5ELNS1_3repE0EEENS1_30default_config_static_selectorELNS0_4arch9wavefront6targetE1EEEvT1_
	.p2align	8
	.type	_ZN7rocprim17ROCPRIM_400000_NS6detail17trampoline_kernelINS0_14default_configENS1_20scan_config_selectorIN3c104HalfEEEZZNS1_9scan_implILNS1_25lookback_scan_determinismE0ELb0ELb0ES3_PKS6_PS6_S6_ZZZN2at6native31launch_logcumsumexp_cuda_kernelERKNSD_10TensorBaseESH_lENKUlvE_clEvENKUlvE3_clEvEUlS6_S6_E_S6_EEDaPvRmT3_T4_T5_mT6_P12ihipStream_tbENKUlT_T0_E_clISt17integral_constantIbLb0EESY_EEDaST_SU_EUlST_E0_NS1_11comp_targetILNS1_3genE10ELNS1_11target_archE1201ELNS1_3gpuE5ELNS1_3repE0EEENS1_30default_config_static_selectorELNS0_4arch9wavefront6targetE1EEEvT1_,@function
_ZN7rocprim17ROCPRIM_400000_NS6detail17trampoline_kernelINS0_14default_configENS1_20scan_config_selectorIN3c104HalfEEEZZNS1_9scan_implILNS1_25lookback_scan_determinismE0ELb0ELb0ES3_PKS6_PS6_S6_ZZZN2at6native31launch_logcumsumexp_cuda_kernelERKNSD_10TensorBaseESH_lENKUlvE_clEvENKUlvE3_clEvEUlS6_S6_E_S6_EEDaPvRmT3_T4_T5_mT6_P12ihipStream_tbENKUlT_T0_E_clISt17integral_constantIbLb0EESY_EEDaST_SU_EUlST_E0_NS1_11comp_targetILNS1_3genE10ELNS1_11target_archE1201ELNS1_3gpuE5ELNS1_3repE0EEENS1_30default_config_static_selectorELNS0_4arch9wavefront6targetE1EEEvT1_: ; @_ZN7rocprim17ROCPRIM_400000_NS6detail17trampoline_kernelINS0_14default_configENS1_20scan_config_selectorIN3c104HalfEEEZZNS1_9scan_implILNS1_25lookback_scan_determinismE0ELb0ELb0ES3_PKS6_PS6_S6_ZZZN2at6native31launch_logcumsumexp_cuda_kernelERKNSD_10TensorBaseESH_lENKUlvE_clEvENKUlvE3_clEvEUlS6_S6_E_S6_EEDaPvRmT3_T4_T5_mT6_P12ihipStream_tbENKUlT_T0_E_clISt17integral_constantIbLb0EESY_EEDaST_SU_EUlST_E0_NS1_11comp_targetILNS1_3genE10ELNS1_11target_archE1201ELNS1_3gpuE5ELNS1_3repE0EEENS1_30default_config_static_selectorELNS0_4arch9wavefront6targetE1EEEvT1_
; %bb.0:
	.section	.rodata,"a",@progbits
	.p2align	6, 0x0
	.amdhsa_kernel _ZN7rocprim17ROCPRIM_400000_NS6detail17trampoline_kernelINS0_14default_configENS1_20scan_config_selectorIN3c104HalfEEEZZNS1_9scan_implILNS1_25lookback_scan_determinismE0ELb0ELb0ES3_PKS6_PS6_S6_ZZZN2at6native31launch_logcumsumexp_cuda_kernelERKNSD_10TensorBaseESH_lENKUlvE_clEvENKUlvE3_clEvEUlS6_S6_E_S6_EEDaPvRmT3_T4_T5_mT6_P12ihipStream_tbENKUlT_T0_E_clISt17integral_constantIbLb0EESY_EEDaST_SU_EUlST_E0_NS1_11comp_targetILNS1_3genE10ELNS1_11target_archE1201ELNS1_3gpuE5ELNS1_3repE0EEENS1_30default_config_static_selectorELNS0_4arch9wavefront6targetE1EEEvT1_
		.amdhsa_group_segment_fixed_size 0
		.amdhsa_private_segment_fixed_size 0
		.amdhsa_kernarg_size 32
		.amdhsa_user_sgpr_count 2
		.amdhsa_user_sgpr_dispatch_ptr 0
		.amdhsa_user_sgpr_queue_ptr 0
		.amdhsa_user_sgpr_kernarg_segment_ptr 1
		.amdhsa_user_sgpr_dispatch_id 0
		.amdhsa_user_sgpr_kernarg_preload_length 0
		.amdhsa_user_sgpr_kernarg_preload_offset 0
		.amdhsa_user_sgpr_private_segment_size 0
		.amdhsa_uses_dynamic_stack 0
		.amdhsa_enable_private_segment 0
		.amdhsa_system_sgpr_workgroup_id_x 1
		.amdhsa_system_sgpr_workgroup_id_y 0
		.amdhsa_system_sgpr_workgroup_id_z 0
		.amdhsa_system_sgpr_workgroup_info 0
		.amdhsa_system_vgpr_workitem_id 0
		.amdhsa_next_free_vgpr 1
		.amdhsa_next_free_sgpr 0
		.amdhsa_accum_offset 4
		.amdhsa_reserve_vcc 0
		.amdhsa_float_round_mode_32 0
		.amdhsa_float_round_mode_16_64 0
		.amdhsa_float_denorm_mode_32 3
		.amdhsa_float_denorm_mode_16_64 3
		.amdhsa_dx10_clamp 1
		.amdhsa_ieee_mode 1
		.amdhsa_fp16_overflow 0
		.amdhsa_tg_split 0
		.amdhsa_exception_fp_ieee_invalid_op 0
		.amdhsa_exception_fp_denorm_src 0
		.amdhsa_exception_fp_ieee_div_zero 0
		.amdhsa_exception_fp_ieee_overflow 0
		.amdhsa_exception_fp_ieee_underflow 0
		.amdhsa_exception_fp_ieee_inexact 0
		.amdhsa_exception_int_div_zero 0
	.end_amdhsa_kernel
	.section	.text._ZN7rocprim17ROCPRIM_400000_NS6detail17trampoline_kernelINS0_14default_configENS1_20scan_config_selectorIN3c104HalfEEEZZNS1_9scan_implILNS1_25lookback_scan_determinismE0ELb0ELb0ES3_PKS6_PS6_S6_ZZZN2at6native31launch_logcumsumexp_cuda_kernelERKNSD_10TensorBaseESH_lENKUlvE_clEvENKUlvE3_clEvEUlS6_S6_E_S6_EEDaPvRmT3_T4_T5_mT6_P12ihipStream_tbENKUlT_T0_E_clISt17integral_constantIbLb0EESY_EEDaST_SU_EUlST_E0_NS1_11comp_targetILNS1_3genE10ELNS1_11target_archE1201ELNS1_3gpuE5ELNS1_3repE0EEENS1_30default_config_static_selectorELNS0_4arch9wavefront6targetE1EEEvT1_,"axG",@progbits,_ZN7rocprim17ROCPRIM_400000_NS6detail17trampoline_kernelINS0_14default_configENS1_20scan_config_selectorIN3c104HalfEEEZZNS1_9scan_implILNS1_25lookback_scan_determinismE0ELb0ELb0ES3_PKS6_PS6_S6_ZZZN2at6native31launch_logcumsumexp_cuda_kernelERKNSD_10TensorBaseESH_lENKUlvE_clEvENKUlvE3_clEvEUlS6_S6_E_S6_EEDaPvRmT3_T4_T5_mT6_P12ihipStream_tbENKUlT_T0_E_clISt17integral_constantIbLb0EESY_EEDaST_SU_EUlST_E0_NS1_11comp_targetILNS1_3genE10ELNS1_11target_archE1201ELNS1_3gpuE5ELNS1_3repE0EEENS1_30default_config_static_selectorELNS0_4arch9wavefront6targetE1EEEvT1_,comdat
.Lfunc_end373:
	.size	_ZN7rocprim17ROCPRIM_400000_NS6detail17trampoline_kernelINS0_14default_configENS1_20scan_config_selectorIN3c104HalfEEEZZNS1_9scan_implILNS1_25lookback_scan_determinismE0ELb0ELb0ES3_PKS6_PS6_S6_ZZZN2at6native31launch_logcumsumexp_cuda_kernelERKNSD_10TensorBaseESH_lENKUlvE_clEvENKUlvE3_clEvEUlS6_S6_E_S6_EEDaPvRmT3_T4_T5_mT6_P12ihipStream_tbENKUlT_T0_E_clISt17integral_constantIbLb0EESY_EEDaST_SU_EUlST_E0_NS1_11comp_targetILNS1_3genE10ELNS1_11target_archE1201ELNS1_3gpuE5ELNS1_3repE0EEENS1_30default_config_static_selectorELNS0_4arch9wavefront6targetE1EEEvT1_, .Lfunc_end373-_ZN7rocprim17ROCPRIM_400000_NS6detail17trampoline_kernelINS0_14default_configENS1_20scan_config_selectorIN3c104HalfEEEZZNS1_9scan_implILNS1_25lookback_scan_determinismE0ELb0ELb0ES3_PKS6_PS6_S6_ZZZN2at6native31launch_logcumsumexp_cuda_kernelERKNSD_10TensorBaseESH_lENKUlvE_clEvENKUlvE3_clEvEUlS6_S6_E_S6_EEDaPvRmT3_T4_T5_mT6_P12ihipStream_tbENKUlT_T0_E_clISt17integral_constantIbLb0EESY_EEDaST_SU_EUlST_E0_NS1_11comp_targetILNS1_3genE10ELNS1_11target_archE1201ELNS1_3gpuE5ELNS1_3repE0EEENS1_30default_config_static_selectorELNS0_4arch9wavefront6targetE1EEEvT1_
                                        ; -- End function
	.set _ZN7rocprim17ROCPRIM_400000_NS6detail17trampoline_kernelINS0_14default_configENS1_20scan_config_selectorIN3c104HalfEEEZZNS1_9scan_implILNS1_25lookback_scan_determinismE0ELb0ELb0ES3_PKS6_PS6_S6_ZZZN2at6native31launch_logcumsumexp_cuda_kernelERKNSD_10TensorBaseESH_lENKUlvE_clEvENKUlvE3_clEvEUlS6_S6_E_S6_EEDaPvRmT3_T4_T5_mT6_P12ihipStream_tbENKUlT_T0_E_clISt17integral_constantIbLb0EESY_EEDaST_SU_EUlST_E0_NS1_11comp_targetILNS1_3genE10ELNS1_11target_archE1201ELNS1_3gpuE5ELNS1_3repE0EEENS1_30default_config_static_selectorELNS0_4arch9wavefront6targetE1EEEvT1_.num_vgpr, 0
	.set _ZN7rocprim17ROCPRIM_400000_NS6detail17trampoline_kernelINS0_14default_configENS1_20scan_config_selectorIN3c104HalfEEEZZNS1_9scan_implILNS1_25lookback_scan_determinismE0ELb0ELb0ES3_PKS6_PS6_S6_ZZZN2at6native31launch_logcumsumexp_cuda_kernelERKNSD_10TensorBaseESH_lENKUlvE_clEvENKUlvE3_clEvEUlS6_S6_E_S6_EEDaPvRmT3_T4_T5_mT6_P12ihipStream_tbENKUlT_T0_E_clISt17integral_constantIbLb0EESY_EEDaST_SU_EUlST_E0_NS1_11comp_targetILNS1_3genE10ELNS1_11target_archE1201ELNS1_3gpuE5ELNS1_3repE0EEENS1_30default_config_static_selectorELNS0_4arch9wavefront6targetE1EEEvT1_.num_agpr, 0
	.set _ZN7rocprim17ROCPRIM_400000_NS6detail17trampoline_kernelINS0_14default_configENS1_20scan_config_selectorIN3c104HalfEEEZZNS1_9scan_implILNS1_25lookback_scan_determinismE0ELb0ELb0ES3_PKS6_PS6_S6_ZZZN2at6native31launch_logcumsumexp_cuda_kernelERKNSD_10TensorBaseESH_lENKUlvE_clEvENKUlvE3_clEvEUlS6_S6_E_S6_EEDaPvRmT3_T4_T5_mT6_P12ihipStream_tbENKUlT_T0_E_clISt17integral_constantIbLb0EESY_EEDaST_SU_EUlST_E0_NS1_11comp_targetILNS1_3genE10ELNS1_11target_archE1201ELNS1_3gpuE5ELNS1_3repE0EEENS1_30default_config_static_selectorELNS0_4arch9wavefront6targetE1EEEvT1_.numbered_sgpr, 0
	.set _ZN7rocprim17ROCPRIM_400000_NS6detail17trampoline_kernelINS0_14default_configENS1_20scan_config_selectorIN3c104HalfEEEZZNS1_9scan_implILNS1_25lookback_scan_determinismE0ELb0ELb0ES3_PKS6_PS6_S6_ZZZN2at6native31launch_logcumsumexp_cuda_kernelERKNSD_10TensorBaseESH_lENKUlvE_clEvENKUlvE3_clEvEUlS6_S6_E_S6_EEDaPvRmT3_T4_T5_mT6_P12ihipStream_tbENKUlT_T0_E_clISt17integral_constantIbLb0EESY_EEDaST_SU_EUlST_E0_NS1_11comp_targetILNS1_3genE10ELNS1_11target_archE1201ELNS1_3gpuE5ELNS1_3repE0EEENS1_30default_config_static_selectorELNS0_4arch9wavefront6targetE1EEEvT1_.num_named_barrier, 0
	.set _ZN7rocprim17ROCPRIM_400000_NS6detail17trampoline_kernelINS0_14default_configENS1_20scan_config_selectorIN3c104HalfEEEZZNS1_9scan_implILNS1_25lookback_scan_determinismE0ELb0ELb0ES3_PKS6_PS6_S6_ZZZN2at6native31launch_logcumsumexp_cuda_kernelERKNSD_10TensorBaseESH_lENKUlvE_clEvENKUlvE3_clEvEUlS6_S6_E_S6_EEDaPvRmT3_T4_T5_mT6_P12ihipStream_tbENKUlT_T0_E_clISt17integral_constantIbLb0EESY_EEDaST_SU_EUlST_E0_NS1_11comp_targetILNS1_3genE10ELNS1_11target_archE1201ELNS1_3gpuE5ELNS1_3repE0EEENS1_30default_config_static_selectorELNS0_4arch9wavefront6targetE1EEEvT1_.private_seg_size, 0
	.set _ZN7rocprim17ROCPRIM_400000_NS6detail17trampoline_kernelINS0_14default_configENS1_20scan_config_selectorIN3c104HalfEEEZZNS1_9scan_implILNS1_25lookback_scan_determinismE0ELb0ELb0ES3_PKS6_PS6_S6_ZZZN2at6native31launch_logcumsumexp_cuda_kernelERKNSD_10TensorBaseESH_lENKUlvE_clEvENKUlvE3_clEvEUlS6_S6_E_S6_EEDaPvRmT3_T4_T5_mT6_P12ihipStream_tbENKUlT_T0_E_clISt17integral_constantIbLb0EESY_EEDaST_SU_EUlST_E0_NS1_11comp_targetILNS1_3genE10ELNS1_11target_archE1201ELNS1_3gpuE5ELNS1_3repE0EEENS1_30default_config_static_selectorELNS0_4arch9wavefront6targetE1EEEvT1_.uses_vcc, 0
	.set _ZN7rocprim17ROCPRIM_400000_NS6detail17trampoline_kernelINS0_14default_configENS1_20scan_config_selectorIN3c104HalfEEEZZNS1_9scan_implILNS1_25lookback_scan_determinismE0ELb0ELb0ES3_PKS6_PS6_S6_ZZZN2at6native31launch_logcumsumexp_cuda_kernelERKNSD_10TensorBaseESH_lENKUlvE_clEvENKUlvE3_clEvEUlS6_S6_E_S6_EEDaPvRmT3_T4_T5_mT6_P12ihipStream_tbENKUlT_T0_E_clISt17integral_constantIbLb0EESY_EEDaST_SU_EUlST_E0_NS1_11comp_targetILNS1_3genE10ELNS1_11target_archE1201ELNS1_3gpuE5ELNS1_3repE0EEENS1_30default_config_static_selectorELNS0_4arch9wavefront6targetE1EEEvT1_.uses_flat_scratch, 0
	.set _ZN7rocprim17ROCPRIM_400000_NS6detail17trampoline_kernelINS0_14default_configENS1_20scan_config_selectorIN3c104HalfEEEZZNS1_9scan_implILNS1_25lookback_scan_determinismE0ELb0ELb0ES3_PKS6_PS6_S6_ZZZN2at6native31launch_logcumsumexp_cuda_kernelERKNSD_10TensorBaseESH_lENKUlvE_clEvENKUlvE3_clEvEUlS6_S6_E_S6_EEDaPvRmT3_T4_T5_mT6_P12ihipStream_tbENKUlT_T0_E_clISt17integral_constantIbLb0EESY_EEDaST_SU_EUlST_E0_NS1_11comp_targetILNS1_3genE10ELNS1_11target_archE1201ELNS1_3gpuE5ELNS1_3repE0EEENS1_30default_config_static_selectorELNS0_4arch9wavefront6targetE1EEEvT1_.has_dyn_sized_stack, 0
	.set _ZN7rocprim17ROCPRIM_400000_NS6detail17trampoline_kernelINS0_14default_configENS1_20scan_config_selectorIN3c104HalfEEEZZNS1_9scan_implILNS1_25lookback_scan_determinismE0ELb0ELb0ES3_PKS6_PS6_S6_ZZZN2at6native31launch_logcumsumexp_cuda_kernelERKNSD_10TensorBaseESH_lENKUlvE_clEvENKUlvE3_clEvEUlS6_S6_E_S6_EEDaPvRmT3_T4_T5_mT6_P12ihipStream_tbENKUlT_T0_E_clISt17integral_constantIbLb0EESY_EEDaST_SU_EUlST_E0_NS1_11comp_targetILNS1_3genE10ELNS1_11target_archE1201ELNS1_3gpuE5ELNS1_3repE0EEENS1_30default_config_static_selectorELNS0_4arch9wavefront6targetE1EEEvT1_.has_recursion, 0
	.set _ZN7rocprim17ROCPRIM_400000_NS6detail17trampoline_kernelINS0_14default_configENS1_20scan_config_selectorIN3c104HalfEEEZZNS1_9scan_implILNS1_25lookback_scan_determinismE0ELb0ELb0ES3_PKS6_PS6_S6_ZZZN2at6native31launch_logcumsumexp_cuda_kernelERKNSD_10TensorBaseESH_lENKUlvE_clEvENKUlvE3_clEvEUlS6_S6_E_S6_EEDaPvRmT3_T4_T5_mT6_P12ihipStream_tbENKUlT_T0_E_clISt17integral_constantIbLb0EESY_EEDaST_SU_EUlST_E0_NS1_11comp_targetILNS1_3genE10ELNS1_11target_archE1201ELNS1_3gpuE5ELNS1_3repE0EEENS1_30default_config_static_selectorELNS0_4arch9wavefront6targetE1EEEvT1_.has_indirect_call, 0
	.section	.AMDGPU.csdata,"",@progbits
; Kernel info:
; codeLenInByte = 0
; TotalNumSgprs: 6
; NumVgprs: 0
; NumAgprs: 0
; TotalNumVgprs: 0
; ScratchSize: 0
; MemoryBound: 0
; FloatMode: 240
; IeeeMode: 1
; LDSByteSize: 0 bytes/workgroup (compile time only)
; SGPRBlocks: 0
; VGPRBlocks: 0
; NumSGPRsForWavesPerEU: 6
; NumVGPRsForWavesPerEU: 1
; AccumOffset: 4
; Occupancy: 8
; WaveLimiterHint : 0
; COMPUTE_PGM_RSRC2:SCRATCH_EN: 0
; COMPUTE_PGM_RSRC2:USER_SGPR: 2
; COMPUTE_PGM_RSRC2:TRAP_HANDLER: 0
; COMPUTE_PGM_RSRC2:TGID_X_EN: 1
; COMPUTE_PGM_RSRC2:TGID_Y_EN: 0
; COMPUTE_PGM_RSRC2:TGID_Z_EN: 0
; COMPUTE_PGM_RSRC2:TIDIG_COMP_CNT: 0
; COMPUTE_PGM_RSRC3_GFX90A:ACCUM_OFFSET: 0
; COMPUTE_PGM_RSRC3_GFX90A:TG_SPLIT: 0
	.section	.text._ZN7rocprim17ROCPRIM_400000_NS6detail17trampoline_kernelINS0_14default_configENS1_20scan_config_selectorIN3c104HalfEEEZZNS1_9scan_implILNS1_25lookback_scan_determinismE0ELb0ELb0ES3_PKS6_PS6_S6_ZZZN2at6native31launch_logcumsumexp_cuda_kernelERKNSD_10TensorBaseESH_lENKUlvE_clEvENKUlvE3_clEvEUlS6_S6_E_S6_EEDaPvRmT3_T4_T5_mT6_P12ihipStream_tbENKUlT_T0_E_clISt17integral_constantIbLb0EESY_EEDaST_SU_EUlST_E0_NS1_11comp_targetILNS1_3genE10ELNS1_11target_archE1200ELNS1_3gpuE4ELNS1_3repE0EEENS1_30default_config_static_selectorELNS0_4arch9wavefront6targetE1EEEvT1_,"axG",@progbits,_ZN7rocprim17ROCPRIM_400000_NS6detail17trampoline_kernelINS0_14default_configENS1_20scan_config_selectorIN3c104HalfEEEZZNS1_9scan_implILNS1_25lookback_scan_determinismE0ELb0ELb0ES3_PKS6_PS6_S6_ZZZN2at6native31launch_logcumsumexp_cuda_kernelERKNSD_10TensorBaseESH_lENKUlvE_clEvENKUlvE3_clEvEUlS6_S6_E_S6_EEDaPvRmT3_T4_T5_mT6_P12ihipStream_tbENKUlT_T0_E_clISt17integral_constantIbLb0EESY_EEDaST_SU_EUlST_E0_NS1_11comp_targetILNS1_3genE10ELNS1_11target_archE1200ELNS1_3gpuE4ELNS1_3repE0EEENS1_30default_config_static_selectorELNS0_4arch9wavefront6targetE1EEEvT1_,comdat
	.globl	_ZN7rocprim17ROCPRIM_400000_NS6detail17trampoline_kernelINS0_14default_configENS1_20scan_config_selectorIN3c104HalfEEEZZNS1_9scan_implILNS1_25lookback_scan_determinismE0ELb0ELb0ES3_PKS6_PS6_S6_ZZZN2at6native31launch_logcumsumexp_cuda_kernelERKNSD_10TensorBaseESH_lENKUlvE_clEvENKUlvE3_clEvEUlS6_S6_E_S6_EEDaPvRmT3_T4_T5_mT6_P12ihipStream_tbENKUlT_T0_E_clISt17integral_constantIbLb0EESY_EEDaST_SU_EUlST_E0_NS1_11comp_targetILNS1_3genE10ELNS1_11target_archE1200ELNS1_3gpuE4ELNS1_3repE0EEENS1_30default_config_static_selectorELNS0_4arch9wavefront6targetE1EEEvT1_ ; -- Begin function _ZN7rocprim17ROCPRIM_400000_NS6detail17trampoline_kernelINS0_14default_configENS1_20scan_config_selectorIN3c104HalfEEEZZNS1_9scan_implILNS1_25lookback_scan_determinismE0ELb0ELb0ES3_PKS6_PS6_S6_ZZZN2at6native31launch_logcumsumexp_cuda_kernelERKNSD_10TensorBaseESH_lENKUlvE_clEvENKUlvE3_clEvEUlS6_S6_E_S6_EEDaPvRmT3_T4_T5_mT6_P12ihipStream_tbENKUlT_T0_E_clISt17integral_constantIbLb0EESY_EEDaST_SU_EUlST_E0_NS1_11comp_targetILNS1_3genE10ELNS1_11target_archE1200ELNS1_3gpuE4ELNS1_3repE0EEENS1_30default_config_static_selectorELNS0_4arch9wavefront6targetE1EEEvT1_
	.p2align	8
	.type	_ZN7rocprim17ROCPRIM_400000_NS6detail17trampoline_kernelINS0_14default_configENS1_20scan_config_selectorIN3c104HalfEEEZZNS1_9scan_implILNS1_25lookback_scan_determinismE0ELb0ELb0ES3_PKS6_PS6_S6_ZZZN2at6native31launch_logcumsumexp_cuda_kernelERKNSD_10TensorBaseESH_lENKUlvE_clEvENKUlvE3_clEvEUlS6_S6_E_S6_EEDaPvRmT3_T4_T5_mT6_P12ihipStream_tbENKUlT_T0_E_clISt17integral_constantIbLb0EESY_EEDaST_SU_EUlST_E0_NS1_11comp_targetILNS1_3genE10ELNS1_11target_archE1200ELNS1_3gpuE4ELNS1_3repE0EEENS1_30default_config_static_selectorELNS0_4arch9wavefront6targetE1EEEvT1_,@function
_ZN7rocprim17ROCPRIM_400000_NS6detail17trampoline_kernelINS0_14default_configENS1_20scan_config_selectorIN3c104HalfEEEZZNS1_9scan_implILNS1_25lookback_scan_determinismE0ELb0ELb0ES3_PKS6_PS6_S6_ZZZN2at6native31launch_logcumsumexp_cuda_kernelERKNSD_10TensorBaseESH_lENKUlvE_clEvENKUlvE3_clEvEUlS6_S6_E_S6_EEDaPvRmT3_T4_T5_mT6_P12ihipStream_tbENKUlT_T0_E_clISt17integral_constantIbLb0EESY_EEDaST_SU_EUlST_E0_NS1_11comp_targetILNS1_3genE10ELNS1_11target_archE1200ELNS1_3gpuE4ELNS1_3repE0EEENS1_30default_config_static_selectorELNS0_4arch9wavefront6targetE1EEEvT1_: ; @_ZN7rocprim17ROCPRIM_400000_NS6detail17trampoline_kernelINS0_14default_configENS1_20scan_config_selectorIN3c104HalfEEEZZNS1_9scan_implILNS1_25lookback_scan_determinismE0ELb0ELb0ES3_PKS6_PS6_S6_ZZZN2at6native31launch_logcumsumexp_cuda_kernelERKNSD_10TensorBaseESH_lENKUlvE_clEvENKUlvE3_clEvEUlS6_S6_E_S6_EEDaPvRmT3_T4_T5_mT6_P12ihipStream_tbENKUlT_T0_E_clISt17integral_constantIbLb0EESY_EEDaST_SU_EUlST_E0_NS1_11comp_targetILNS1_3genE10ELNS1_11target_archE1200ELNS1_3gpuE4ELNS1_3repE0EEENS1_30default_config_static_selectorELNS0_4arch9wavefront6targetE1EEEvT1_
; %bb.0:
	.section	.rodata,"a",@progbits
	.p2align	6, 0x0
	.amdhsa_kernel _ZN7rocprim17ROCPRIM_400000_NS6detail17trampoline_kernelINS0_14default_configENS1_20scan_config_selectorIN3c104HalfEEEZZNS1_9scan_implILNS1_25lookback_scan_determinismE0ELb0ELb0ES3_PKS6_PS6_S6_ZZZN2at6native31launch_logcumsumexp_cuda_kernelERKNSD_10TensorBaseESH_lENKUlvE_clEvENKUlvE3_clEvEUlS6_S6_E_S6_EEDaPvRmT3_T4_T5_mT6_P12ihipStream_tbENKUlT_T0_E_clISt17integral_constantIbLb0EESY_EEDaST_SU_EUlST_E0_NS1_11comp_targetILNS1_3genE10ELNS1_11target_archE1200ELNS1_3gpuE4ELNS1_3repE0EEENS1_30default_config_static_selectorELNS0_4arch9wavefront6targetE1EEEvT1_
		.amdhsa_group_segment_fixed_size 0
		.amdhsa_private_segment_fixed_size 0
		.amdhsa_kernarg_size 32
		.amdhsa_user_sgpr_count 2
		.amdhsa_user_sgpr_dispatch_ptr 0
		.amdhsa_user_sgpr_queue_ptr 0
		.amdhsa_user_sgpr_kernarg_segment_ptr 1
		.amdhsa_user_sgpr_dispatch_id 0
		.amdhsa_user_sgpr_kernarg_preload_length 0
		.amdhsa_user_sgpr_kernarg_preload_offset 0
		.amdhsa_user_sgpr_private_segment_size 0
		.amdhsa_uses_dynamic_stack 0
		.amdhsa_enable_private_segment 0
		.amdhsa_system_sgpr_workgroup_id_x 1
		.amdhsa_system_sgpr_workgroup_id_y 0
		.amdhsa_system_sgpr_workgroup_id_z 0
		.amdhsa_system_sgpr_workgroup_info 0
		.amdhsa_system_vgpr_workitem_id 0
		.amdhsa_next_free_vgpr 1
		.amdhsa_next_free_sgpr 0
		.amdhsa_accum_offset 4
		.amdhsa_reserve_vcc 0
		.amdhsa_float_round_mode_32 0
		.amdhsa_float_round_mode_16_64 0
		.amdhsa_float_denorm_mode_32 3
		.amdhsa_float_denorm_mode_16_64 3
		.amdhsa_dx10_clamp 1
		.amdhsa_ieee_mode 1
		.amdhsa_fp16_overflow 0
		.amdhsa_tg_split 0
		.amdhsa_exception_fp_ieee_invalid_op 0
		.amdhsa_exception_fp_denorm_src 0
		.amdhsa_exception_fp_ieee_div_zero 0
		.amdhsa_exception_fp_ieee_overflow 0
		.amdhsa_exception_fp_ieee_underflow 0
		.amdhsa_exception_fp_ieee_inexact 0
		.amdhsa_exception_int_div_zero 0
	.end_amdhsa_kernel
	.section	.text._ZN7rocprim17ROCPRIM_400000_NS6detail17trampoline_kernelINS0_14default_configENS1_20scan_config_selectorIN3c104HalfEEEZZNS1_9scan_implILNS1_25lookback_scan_determinismE0ELb0ELb0ES3_PKS6_PS6_S6_ZZZN2at6native31launch_logcumsumexp_cuda_kernelERKNSD_10TensorBaseESH_lENKUlvE_clEvENKUlvE3_clEvEUlS6_S6_E_S6_EEDaPvRmT3_T4_T5_mT6_P12ihipStream_tbENKUlT_T0_E_clISt17integral_constantIbLb0EESY_EEDaST_SU_EUlST_E0_NS1_11comp_targetILNS1_3genE10ELNS1_11target_archE1200ELNS1_3gpuE4ELNS1_3repE0EEENS1_30default_config_static_selectorELNS0_4arch9wavefront6targetE1EEEvT1_,"axG",@progbits,_ZN7rocprim17ROCPRIM_400000_NS6detail17trampoline_kernelINS0_14default_configENS1_20scan_config_selectorIN3c104HalfEEEZZNS1_9scan_implILNS1_25lookback_scan_determinismE0ELb0ELb0ES3_PKS6_PS6_S6_ZZZN2at6native31launch_logcumsumexp_cuda_kernelERKNSD_10TensorBaseESH_lENKUlvE_clEvENKUlvE3_clEvEUlS6_S6_E_S6_EEDaPvRmT3_T4_T5_mT6_P12ihipStream_tbENKUlT_T0_E_clISt17integral_constantIbLb0EESY_EEDaST_SU_EUlST_E0_NS1_11comp_targetILNS1_3genE10ELNS1_11target_archE1200ELNS1_3gpuE4ELNS1_3repE0EEENS1_30default_config_static_selectorELNS0_4arch9wavefront6targetE1EEEvT1_,comdat
.Lfunc_end374:
	.size	_ZN7rocprim17ROCPRIM_400000_NS6detail17trampoline_kernelINS0_14default_configENS1_20scan_config_selectorIN3c104HalfEEEZZNS1_9scan_implILNS1_25lookback_scan_determinismE0ELb0ELb0ES3_PKS6_PS6_S6_ZZZN2at6native31launch_logcumsumexp_cuda_kernelERKNSD_10TensorBaseESH_lENKUlvE_clEvENKUlvE3_clEvEUlS6_S6_E_S6_EEDaPvRmT3_T4_T5_mT6_P12ihipStream_tbENKUlT_T0_E_clISt17integral_constantIbLb0EESY_EEDaST_SU_EUlST_E0_NS1_11comp_targetILNS1_3genE10ELNS1_11target_archE1200ELNS1_3gpuE4ELNS1_3repE0EEENS1_30default_config_static_selectorELNS0_4arch9wavefront6targetE1EEEvT1_, .Lfunc_end374-_ZN7rocprim17ROCPRIM_400000_NS6detail17trampoline_kernelINS0_14default_configENS1_20scan_config_selectorIN3c104HalfEEEZZNS1_9scan_implILNS1_25lookback_scan_determinismE0ELb0ELb0ES3_PKS6_PS6_S6_ZZZN2at6native31launch_logcumsumexp_cuda_kernelERKNSD_10TensorBaseESH_lENKUlvE_clEvENKUlvE3_clEvEUlS6_S6_E_S6_EEDaPvRmT3_T4_T5_mT6_P12ihipStream_tbENKUlT_T0_E_clISt17integral_constantIbLb0EESY_EEDaST_SU_EUlST_E0_NS1_11comp_targetILNS1_3genE10ELNS1_11target_archE1200ELNS1_3gpuE4ELNS1_3repE0EEENS1_30default_config_static_selectorELNS0_4arch9wavefront6targetE1EEEvT1_
                                        ; -- End function
	.set _ZN7rocprim17ROCPRIM_400000_NS6detail17trampoline_kernelINS0_14default_configENS1_20scan_config_selectorIN3c104HalfEEEZZNS1_9scan_implILNS1_25lookback_scan_determinismE0ELb0ELb0ES3_PKS6_PS6_S6_ZZZN2at6native31launch_logcumsumexp_cuda_kernelERKNSD_10TensorBaseESH_lENKUlvE_clEvENKUlvE3_clEvEUlS6_S6_E_S6_EEDaPvRmT3_T4_T5_mT6_P12ihipStream_tbENKUlT_T0_E_clISt17integral_constantIbLb0EESY_EEDaST_SU_EUlST_E0_NS1_11comp_targetILNS1_3genE10ELNS1_11target_archE1200ELNS1_3gpuE4ELNS1_3repE0EEENS1_30default_config_static_selectorELNS0_4arch9wavefront6targetE1EEEvT1_.num_vgpr, 0
	.set _ZN7rocprim17ROCPRIM_400000_NS6detail17trampoline_kernelINS0_14default_configENS1_20scan_config_selectorIN3c104HalfEEEZZNS1_9scan_implILNS1_25lookback_scan_determinismE0ELb0ELb0ES3_PKS6_PS6_S6_ZZZN2at6native31launch_logcumsumexp_cuda_kernelERKNSD_10TensorBaseESH_lENKUlvE_clEvENKUlvE3_clEvEUlS6_S6_E_S6_EEDaPvRmT3_T4_T5_mT6_P12ihipStream_tbENKUlT_T0_E_clISt17integral_constantIbLb0EESY_EEDaST_SU_EUlST_E0_NS1_11comp_targetILNS1_3genE10ELNS1_11target_archE1200ELNS1_3gpuE4ELNS1_3repE0EEENS1_30default_config_static_selectorELNS0_4arch9wavefront6targetE1EEEvT1_.num_agpr, 0
	.set _ZN7rocprim17ROCPRIM_400000_NS6detail17trampoline_kernelINS0_14default_configENS1_20scan_config_selectorIN3c104HalfEEEZZNS1_9scan_implILNS1_25lookback_scan_determinismE0ELb0ELb0ES3_PKS6_PS6_S6_ZZZN2at6native31launch_logcumsumexp_cuda_kernelERKNSD_10TensorBaseESH_lENKUlvE_clEvENKUlvE3_clEvEUlS6_S6_E_S6_EEDaPvRmT3_T4_T5_mT6_P12ihipStream_tbENKUlT_T0_E_clISt17integral_constantIbLb0EESY_EEDaST_SU_EUlST_E0_NS1_11comp_targetILNS1_3genE10ELNS1_11target_archE1200ELNS1_3gpuE4ELNS1_3repE0EEENS1_30default_config_static_selectorELNS0_4arch9wavefront6targetE1EEEvT1_.numbered_sgpr, 0
	.set _ZN7rocprim17ROCPRIM_400000_NS6detail17trampoline_kernelINS0_14default_configENS1_20scan_config_selectorIN3c104HalfEEEZZNS1_9scan_implILNS1_25lookback_scan_determinismE0ELb0ELb0ES3_PKS6_PS6_S6_ZZZN2at6native31launch_logcumsumexp_cuda_kernelERKNSD_10TensorBaseESH_lENKUlvE_clEvENKUlvE3_clEvEUlS6_S6_E_S6_EEDaPvRmT3_T4_T5_mT6_P12ihipStream_tbENKUlT_T0_E_clISt17integral_constantIbLb0EESY_EEDaST_SU_EUlST_E0_NS1_11comp_targetILNS1_3genE10ELNS1_11target_archE1200ELNS1_3gpuE4ELNS1_3repE0EEENS1_30default_config_static_selectorELNS0_4arch9wavefront6targetE1EEEvT1_.num_named_barrier, 0
	.set _ZN7rocprim17ROCPRIM_400000_NS6detail17trampoline_kernelINS0_14default_configENS1_20scan_config_selectorIN3c104HalfEEEZZNS1_9scan_implILNS1_25lookback_scan_determinismE0ELb0ELb0ES3_PKS6_PS6_S6_ZZZN2at6native31launch_logcumsumexp_cuda_kernelERKNSD_10TensorBaseESH_lENKUlvE_clEvENKUlvE3_clEvEUlS6_S6_E_S6_EEDaPvRmT3_T4_T5_mT6_P12ihipStream_tbENKUlT_T0_E_clISt17integral_constantIbLb0EESY_EEDaST_SU_EUlST_E0_NS1_11comp_targetILNS1_3genE10ELNS1_11target_archE1200ELNS1_3gpuE4ELNS1_3repE0EEENS1_30default_config_static_selectorELNS0_4arch9wavefront6targetE1EEEvT1_.private_seg_size, 0
	.set _ZN7rocprim17ROCPRIM_400000_NS6detail17trampoline_kernelINS0_14default_configENS1_20scan_config_selectorIN3c104HalfEEEZZNS1_9scan_implILNS1_25lookback_scan_determinismE0ELb0ELb0ES3_PKS6_PS6_S6_ZZZN2at6native31launch_logcumsumexp_cuda_kernelERKNSD_10TensorBaseESH_lENKUlvE_clEvENKUlvE3_clEvEUlS6_S6_E_S6_EEDaPvRmT3_T4_T5_mT6_P12ihipStream_tbENKUlT_T0_E_clISt17integral_constantIbLb0EESY_EEDaST_SU_EUlST_E0_NS1_11comp_targetILNS1_3genE10ELNS1_11target_archE1200ELNS1_3gpuE4ELNS1_3repE0EEENS1_30default_config_static_selectorELNS0_4arch9wavefront6targetE1EEEvT1_.uses_vcc, 0
	.set _ZN7rocprim17ROCPRIM_400000_NS6detail17trampoline_kernelINS0_14default_configENS1_20scan_config_selectorIN3c104HalfEEEZZNS1_9scan_implILNS1_25lookback_scan_determinismE0ELb0ELb0ES3_PKS6_PS6_S6_ZZZN2at6native31launch_logcumsumexp_cuda_kernelERKNSD_10TensorBaseESH_lENKUlvE_clEvENKUlvE3_clEvEUlS6_S6_E_S6_EEDaPvRmT3_T4_T5_mT6_P12ihipStream_tbENKUlT_T0_E_clISt17integral_constantIbLb0EESY_EEDaST_SU_EUlST_E0_NS1_11comp_targetILNS1_3genE10ELNS1_11target_archE1200ELNS1_3gpuE4ELNS1_3repE0EEENS1_30default_config_static_selectorELNS0_4arch9wavefront6targetE1EEEvT1_.uses_flat_scratch, 0
	.set _ZN7rocprim17ROCPRIM_400000_NS6detail17trampoline_kernelINS0_14default_configENS1_20scan_config_selectorIN3c104HalfEEEZZNS1_9scan_implILNS1_25lookback_scan_determinismE0ELb0ELb0ES3_PKS6_PS6_S6_ZZZN2at6native31launch_logcumsumexp_cuda_kernelERKNSD_10TensorBaseESH_lENKUlvE_clEvENKUlvE3_clEvEUlS6_S6_E_S6_EEDaPvRmT3_T4_T5_mT6_P12ihipStream_tbENKUlT_T0_E_clISt17integral_constantIbLb0EESY_EEDaST_SU_EUlST_E0_NS1_11comp_targetILNS1_3genE10ELNS1_11target_archE1200ELNS1_3gpuE4ELNS1_3repE0EEENS1_30default_config_static_selectorELNS0_4arch9wavefront6targetE1EEEvT1_.has_dyn_sized_stack, 0
	.set _ZN7rocprim17ROCPRIM_400000_NS6detail17trampoline_kernelINS0_14default_configENS1_20scan_config_selectorIN3c104HalfEEEZZNS1_9scan_implILNS1_25lookback_scan_determinismE0ELb0ELb0ES3_PKS6_PS6_S6_ZZZN2at6native31launch_logcumsumexp_cuda_kernelERKNSD_10TensorBaseESH_lENKUlvE_clEvENKUlvE3_clEvEUlS6_S6_E_S6_EEDaPvRmT3_T4_T5_mT6_P12ihipStream_tbENKUlT_T0_E_clISt17integral_constantIbLb0EESY_EEDaST_SU_EUlST_E0_NS1_11comp_targetILNS1_3genE10ELNS1_11target_archE1200ELNS1_3gpuE4ELNS1_3repE0EEENS1_30default_config_static_selectorELNS0_4arch9wavefront6targetE1EEEvT1_.has_recursion, 0
	.set _ZN7rocprim17ROCPRIM_400000_NS6detail17trampoline_kernelINS0_14default_configENS1_20scan_config_selectorIN3c104HalfEEEZZNS1_9scan_implILNS1_25lookback_scan_determinismE0ELb0ELb0ES3_PKS6_PS6_S6_ZZZN2at6native31launch_logcumsumexp_cuda_kernelERKNSD_10TensorBaseESH_lENKUlvE_clEvENKUlvE3_clEvEUlS6_S6_E_S6_EEDaPvRmT3_T4_T5_mT6_P12ihipStream_tbENKUlT_T0_E_clISt17integral_constantIbLb0EESY_EEDaST_SU_EUlST_E0_NS1_11comp_targetILNS1_3genE10ELNS1_11target_archE1200ELNS1_3gpuE4ELNS1_3repE0EEENS1_30default_config_static_selectorELNS0_4arch9wavefront6targetE1EEEvT1_.has_indirect_call, 0
	.section	.AMDGPU.csdata,"",@progbits
; Kernel info:
; codeLenInByte = 0
; TotalNumSgprs: 6
; NumVgprs: 0
; NumAgprs: 0
; TotalNumVgprs: 0
; ScratchSize: 0
; MemoryBound: 0
; FloatMode: 240
; IeeeMode: 1
; LDSByteSize: 0 bytes/workgroup (compile time only)
; SGPRBlocks: 0
; VGPRBlocks: 0
; NumSGPRsForWavesPerEU: 6
; NumVGPRsForWavesPerEU: 1
; AccumOffset: 4
; Occupancy: 8
; WaveLimiterHint : 0
; COMPUTE_PGM_RSRC2:SCRATCH_EN: 0
; COMPUTE_PGM_RSRC2:USER_SGPR: 2
; COMPUTE_PGM_RSRC2:TRAP_HANDLER: 0
; COMPUTE_PGM_RSRC2:TGID_X_EN: 1
; COMPUTE_PGM_RSRC2:TGID_Y_EN: 0
; COMPUTE_PGM_RSRC2:TGID_Z_EN: 0
; COMPUTE_PGM_RSRC2:TIDIG_COMP_CNT: 0
; COMPUTE_PGM_RSRC3_GFX90A:ACCUM_OFFSET: 0
; COMPUTE_PGM_RSRC3_GFX90A:TG_SPLIT: 0
	.section	.text._ZN7rocprim17ROCPRIM_400000_NS6detail17trampoline_kernelINS0_14default_configENS1_20scan_config_selectorIN3c104HalfEEEZZNS1_9scan_implILNS1_25lookback_scan_determinismE0ELb0ELb0ES3_PKS6_PS6_S6_ZZZN2at6native31launch_logcumsumexp_cuda_kernelERKNSD_10TensorBaseESH_lENKUlvE_clEvENKUlvE3_clEvEUlS6_S6_E_S6_EEDaPvRmT3_T4_T5_mT6_P12ihipStream_tbENKUlT_T0_E_clISt17integral_constantIbLb0EESY_EEDaST_SU_EUlST_E0_NS1_11comp_targetILNS1_3genE9ELNS1_11target_archE1100ELNS1_3gpuE3ELNS1_3repE0EEENS1_30default_config_static_selectorELNS0_4arch9wavefront6targetE1EEEvT1_,"axG",@progbits,_ZN7rocprim17ROCPRIM_400000_NS6detail17trampoline_kernelINS0_14default_configENS1_20scan_config_selectorIN3c104HalfEEEZZNS1_9scan_implILNS1_25lookback_scan_determinismE0ELb0ELb0ES3_PKS6_PS6_S6_ZZZN2at6native31launch_logcumsumexp_cuda_kernelERKNSD_10TensorBaseESH_lENKUlvE_clEvENKUlvE3_clEvEUlS6_S6_E_S6_EEDaPvRmT3_T4_T5_mT6_P12ihipStream_tbENKUlT_T0_E_clISt17integral_constantIbLb0EESY_EEDaST_SU_EUlST_E0_NS1_11comp_targetILNS1_3genE9ELNS1_11target_archE1100ELNS1_3gpuE3ELNS1_3repE0EEENS1_30default_config_static_selectorELNS0_4arch9wavefront6targetE1EEEvT1_,comdat
	.globl	_ZN7rocprim17ROCPRIM_400000_NS6detail17trampoline_kernelINS0_14default_configENS1_20scan_config_selectorIN3c104HalfEEEZZNS1_9scan_implILNS1_25lookback_scan_determinismE0ELb0ELb0ES3_PKS6_PS6_S6_ZZZN2at6native31launch_logcumsumexp_cuda_kernelERKNSD_10TensorBaseESH_lENKUlvE_clEvENKUlvE3_clEvEUlS6_S6_E_S6_EEDaPvRmT3_T4_T5_mT6_P12ihipStream_tbENKUlT_T0_E_clISt17integral_constantIbLb0EESY_EEDaST_SU_EUlST_E0_NS1_11comp_targetILNS1_3genE9ELNS1_11target_archE1100ELNS1_3gpuE3ELNS1_3repE0EEENS1_30default_config_static_selectorELNS0_4arch9wavefront6targetE1EEEvT1_ ; -- Begin function _ZN7rocprim17ROCPRIM_400000_NS6detail17trampoline_kernelINS0_14default_configENS1_20scan_config_selectorIN3c104HalfEEEZZNS1_9scan_implILNS1_25lookback_scan_determinismE0ELb0ELb0ES3_PKS6_PS6_S6_ZZZN2at6native31launch_logcumsumexp_cuda_kernelERKNSD_10TensorBaseESH_lENKUlvE_clEvENKUlvE3_clEvEUlS6_S6_E_S6_EEDaPvRmT3_T4_T5_mT6_P12ihipStream_tbENKUlT_T0_E_clISt17integral_constantIbLb0EESY_EEDaST_SU_EUlST_E0_NS1_11comp_targetILNS1_3genE9ELNS1_11target_archE1100ELNS1_3gpuE3ELNS1_3repE0EEENS1_30default_config_static_selectorELNS0_4arch9wavefront6targetE1EEEvT1_
	.p2align	8
	.type	_ZN7rocprim17ROCPRIM_400000_NS6detail17trampoline_kernelINS0_14default_configENS1_20scan_config_selectorIN3c104HalfEEEZZNS1_9scan_implILNS1_25lookback_scan_determinismE0ELb0ELb0ES3_PKS6_PS6_S6_ZZZN2at6native31launch_logcumsumexp_cuda_kernelERKNSD_10TensorBaseESH_lENKUlvE_clEvENKUlvE3_clEvEUlS6_S6_E_S6_EEDaPvRmT3_T4_T5_mT6_P12ihipStream_tbENKUlT_T0_E_clISt17integral_constantIbLb0EESY_EEDaST_SU_EUlST_E0_NS1_11comp_targetILNS1_3genE9ELNS1_11target_archE1100ELNS1_3gpuE3ELNS1_3repE0EEENS1_30default_config_static_selectorELNS0_4arch9wavefront6targetE1EEEvT1_,@function
_ZN7rocprim17ROCPRIM_400000_NS6detail17trampoline_kernelINS0_14default_configENS1_20scan_config_selectorIN3c104HalfEEEZZNS1_9scan_implILNS1_25lookback_scan_determinismE0ELb0ELb0ES3_PKS6_PS6_S6_ZZZN2at6native31launch_logcumsumexp_cuda_kernelERKNSD_10TensorBaseESH_lENKUlvE_clEvENKUlvE3_clEvEUlS6_S6_E_S6_EEDaPvRmT3_T4_T5_mT6_P12ihipStream_tbENKUlT_T0_E_clISt17integral_constantIbLb0EESY_EEDaST_SU_EUlST_E0_NS1_11comp_targetILNS1_3genE9ELNS1_11target_archE1100ELNS1_3gpuE3ELNS1_3repE0EEENS1_30default_config_static_selectorELNS0_4arch9wavefront6targetE1EEEvT1_: ; @_ZN7rocprim17ROCPRIM_400000_NS6detail17trampoline_kernelINS0_14default_configENS1_20scan_config_selectorIN3c104HalfEEEZZNS1_9scan_implILNS1_25lookback_scan_determinismE0ELb0ELb0ES3_PKS6_PS6_S6_ZZZN2at6native31launch_logcumsumexp_cuda_kernelERKNSD_10TensorBaseESH_lENKUlvE_clEvENKUlvE3_clEvEUlS6_S6_E_S6_EEDaPvRmT3_T4_T5_mT6_P12ihipStream_tbENKUlT_T0_E_clISt17integral_constantIbLb0EESY_EEDaST_SU_EUlST_E0_NS1_11comp_targetILNS1_3genE9ELNS1_11target_archE1100ELNS1_3gpuE3ELNS1_3repE0EEENS1_30default_config_static_selectorELNS0_4arch9wavefront6targetE1EEEvT1_
; %bb.0:
	.section	.rodata,"a",@progbits
	.p2align	6, 0x0
	.amdhsa_kernel _ZN7rocprim17ROCPRIM_400000_NS6detail17trampoline_kernelINS0_14default_configENS1_20scan_config_selectorIN3c104HalfEEEZZNS1_9scan_implILNS1_25lookback_scan_determinismE0ELb0ELb0ES3_PKS6_PS6_S6_ZZZN2at6native31launch_logcumsumexp_cuda_kernelERKNSD_10TensorBaseESH_lENKUlvE_clEvENKUlvE3_clEvEUlS6_S6_E_S6_EEDaPvRmT3_T4_T5_mT6_P12ihipStream_tbENKUlT_T0_E_clISt17integral_constantIbLb0EESY_EEDaST_SU_EUlST_E0_NS1_11comp_targetILNS1_3genE9ELNS1_11target_archE1100ELNS1_3gpuE3ELNS1_3repE0EEENS1_30default_config_static_selectorELNS0_4arch9wavefront6targetE1EEEvT1_
		.amdhsa_group_segment_fixed_size 0
		.amdhsa_private_segment_fixed_size 0
		.amdhsa_kernarg_size 32
		.amdhsa_user_sgpr_count 2
		.amdhsa_user_sgpr_dispatch_ptr 0
		.amdhsa_user_sgpr_queue_ptr 0
		.amdhsa_user_sgpr_kernarg_segment_ptr 1
		.amdhsa_user_sgpr_dispatch_id 0
		.amdhsa_user_sgpr_kernarg_preload_length 0
		.amdhsa_user_sgpr_kernarg_preload_offset 0
		.amdhsa_user_sgpr_private_segment_size 0
		.amdhsa_uses_dynamic_stack 0
		.amdhsa_enable_private_segment 0
		.amdhsa_system_sgpr_workgroup_id_x 1
		.amdhsa_system_sgpr_workgroup_id_y 0
		.amdhsa_system_sgpr_workgroup_id_z 0
		.amdhsa_system_sgpr_workgroup_info 0
		.amdhsa_system_vgpr_workitem_id 0
		.amdhsa_next_free_vgpr 1
		.amdhsa_next_free_sgpr 0
		.amdhsa_accum_offset 4
		.amdhsa_reserve_vcc 0
		.amdhsa_float_round_mode_32 0
		.amdhsa_float_round_mode_16_64 0
		.amdhsa_float_denorm_mode_32 3
		.amdhsa_float_denorm_mode_16_64 3
		.amdhsa_dx10_clamp 1
		.amdhsa_ieee_mode 1
		.amdhsa_fp16_overflow 0
		.amdhsa_tg_split 0
		.amdhsa_exception_fp_ieee_invalid_op 0
		.amdhsa_exception_fp_denorm_src 0
		.amdhsa_exception_fp_ieee_div_zero 0
		.amdhsa_exception_fp_ieee_overflow 0
		.amdhsa_exception_fp_ieee_underflow 0
		.amdhsa_exception_fp_ieee_inexact 0
		.amdhsa_exception_int_div_zero 0
	.end_amdhsa_kernel
	.section	.text._ZN7rocprim17ROCPRIM_400000_NS6detail17trampoline_kernelINS0_14default_configENS1_20scan_config_selectorIN3c104HalfEEEZZNS1_9scan_implILNS1_25lookback_scan_determinismE0ELb0ELb0ES3_PKS6_PS6_S6_ZZZN2at6native31launch_logcumsumexp_cuda_kernelERKNSD_10TensorBaseESH_lENKUlvE_clEvENKUlvE3_clEvEUlS6_S6_E_S6_EEDaPvRmT3_T4_T5_mT6_P12ihipStream_tbENKUlT_T0_E_clISt17integral_constantIbLb0EESY_EEDaST_SU_EUlST_E0_NS1_11comp_targetILNS1_3genE9ELNS1_11target_archE1100ELNS1_3gpuE3ELNS1_3repE0EEENS1_30default_config_static_selectorELNS0_4arch9wavefront6targetE1EEEvT1_,"axG",@progbits,_ZN7rocprim17ROCPRIM_400000_NS6detail17trampoline_kernelINS0_14default_configENS1_20scan_config_selectorIN3c104HalfEEEZZNS1_9scan_implILNS1_25lookback_scan_determinismE0ELb0ELb0ES3_PKS6_PS6_S6_ZZZN2at6native31launch_logcumsumexp_cuda_kernelERKNSD_10TensorBaseESH_lENKUlvE_clEvENKUlvE3_clEvEUlS6_S6_E_S6_EEDaPvRmT3_T4_T5_mT6_P12ihipStream_tbENKUlT_T0_E_clISt17integral_constantIbLb0EESY_EEDaST_SU_EUlST_E0_NS1_11comp_targetILNS1_3genE9ELNS1_11target_archE1100ELNS1_3gpuE3ELNS1_3repE0EEENS1_30default_config_static_selectorELNS0_4arch9wavefront6targetE1EEEvT1_,comdat
.Lfunc_end375:
	.size	_ZN7rocprim17ROCPRIM_400000_NS6detail17trampoline_kernelINS0_14default_configENS1_20scan_config_selectorIN3c104HalfEEEZZNS1_9scan_implILNS1_25lookback_scan_determinismE0ELb0ELb0ES3_PKS6_PS6_S6_ZZZN2at6native31launch_logcumsumexp_cuda_kernelERKNSD_10TensorBaseESH_lENKUlvE_clEvENKUlvE3_clEvEUlS6_S6_E_S6_EEDaPvRmT3_T4_T5_mT6_P12ihipStream_tbENKUlT_T0_E_clISt17integral_constantIbLb0EESY_EEDaST_SU_EUlST_E0_NS1_11comp_targetILNS1_3genE9ELNS1_11target_archE1100ELNS1_3gpuE3ELNS1_3repE0EEENS1_30default_config_static_selectorELNS0_4arch9wavefront6targetE1EEEvT1_, .Lfunc_end375-_ZN7rocprim17ROCPRIM_400000_NS6detail17trampoline_kernelINS0_14default_configENS1_20scan_config_selectorIN3c104HalfEEEZZNS1_9scan_implILNS1_25lookback_scan_determinismE0ELb0ELb0ES3_PKS6_PS6_S6_ZZZN2at6native31launch_logcumsumexp_cuda_kernelERKNSD_10TensorBaseESH_lENKUlvE_clEvENKUlvE3_clEvEUlS6_S6_E_S6_EEDaPvRmT3_T4_T5_mT6_P12ihipStream_tbENKUlT_T0_E_clISt17integral_constantIbLb0EESY_EEDaST_SU_EUlST_E0_NS1_11comp_targetILNS1_3genE9ELNS1_11target_archE1100ELNS1_3gpuE3ELNS1_3repE0EEENS1_30default_config_static_selectorELNS0_4arch9wavefront6targetE1EEEvT1_
                                        ; -- End function
	.set _ZN7rocprim17ROCPRIM_400000_NS6detail17trampoline_kernelINS0_14default_configENS1_20scan_config_selectorIN3c104HalfEEEZZNS1_9scan_implILNS1_25lookback_scan_determinismE0ELb0ELb0ES3_PKS6_PS6_S6_ZZZN2at6native31launch_logcumsumexp_cuda_kernelERKNSD_10TensorBaseESH_lENKUlvE_clEvENKUlvE3_clEvEUlS6_S6_E_S6_EEDaPvRmT3_T4_T5_mT6_P12ihipStream_tbENKUlT_T0_E_clISt17integral_constantIbLb0EESY_EEDaST_SU_EUlST_E0_NS1_11comp_targetILNS1_3genE9ELNS1_11target_archE1100ELNS1_3gpuE3ELNS1_3repE0EEENS1_30default_config_static_selectorELNS0_4arch9wavefront6targetE1EEEvT1_.num_vgpr, 0
	.set _ZN7rocprim17ROCPRIM_400000_NS6detail17trampoline_kernelINS0_14default_configENS1_20scan_config_selectorIN3c104HalfEEEZZNS1_9scan_implILNS1_25lookback_scan_determinismE0ELb0ELb0ES3_PKS6_PS6_S6_ZZZN2at6native31launch_logcumsumexp_cuda_kernelERKNSD_10TensorBaseESH_lENKUlvE_clEvENKUlvE3_clEvEUlS6_S6_E_S6_EEDaPvRmT3_T4_T5_mT6_P12ihipStream_tbENKUlT_T0_E_clISt17integral_constantIbLb0EESY_EEDaST_SU_EUlST_E0_NS1_11comp_targetILNS1_3genE9ELNS1_11target_archE1100ELNS1_3gpuE3ELNS1_3repE0EEENS1_30default_config_static_selectorELNS0_4arch9wavefront6targetE1EEEvT1_.num_agpr, 0
	.set _ZN7rocprim17ROCPRIM_400000_NS6detail17trampoline_kernelINS0_14default_configENS1_20scan_config_selectorIN3c104HalfEEEZZNS1_9scan_implILNS1_25lookback_scan_determinismE0ELb0ELb0ES3_PKS6_PS6_S6_ZZZN2at6native31launch_logcumsumexp_cuda_kernelERKNSD_10TensorBaseESH_lENKUlvE_clEvENKUlvE3_clEvEUlS6_S6_E_S6_EEDaPvRmT3_T4_T5_mT6_P12ihipStream_tbENKUlT_T0_E_clISt17integral_constantIbLb0EESY_EEDaST_SU_EUlST_E0_NS1_11comp_targetILNS1_3genE9ELNS1_11target_archE1100ELNS1_3gpuE3ELNS1_3repE0EEENS1_30default_config_static_selectorELNS0_4arch9wavefront6targetE1EEEvT1_.numbered_sgpr, 0
	.set _ZN7rocprim17ROCPRIM_400000_NS6detail17trampoline_kernelINS0_14default_configENS1_20scan_config_selectorIN3c104HalfEEEZZNS1_9scan_implILNS1_25lookback_scan_determinismE0ELb0ELb0ES3_PKS6_PS6_S6_ZZZN2at6native31launch_logcumsumexp_cuda_kernelERKNSD_10TensorBaseESH_lENKUlvE_clEvENKUlvE3_clEvEUlS6_S6_E_S6_EEDaPvRmT3_T4_T5_mT6_P12ihipStream_tbENKUlT_T0_E_clISt17integral_constantIbLb0EESY_EEDaST_SU_EUlST_E0_NS1_11comp_targetILNS1_3genE9ELNS1_11target_archE1100ELNS1_3gpuE3ELNS1_3repE0EEENS1_30default_config_static_selectorELNS0_4arch9wavefront6targetE1EEEvT1_.num_named_barrier, 0
	.set _ZN7rocprim17ROCPRIM_400000_NS6detail17trampoline_kernelINS0_14default_configENS1_20scan_config_selectorIN3c104HalfEEEZZNS1_9scan_implILNS1_25lookback_scan_determinismE0ELb0ELb0ES3_PKS6_PS6_S6_ZZZN2at6native31launch_logcumsumexp_cuda_kernelERKNSD_10TensorBaseESH_lENKUlvE_clEvENKUlvE3_clEvEUlS6_S6_E_S6_EEDaPvRmT3_T4_T5_mT6_P12ihipStream_tbENKUlT_T0_E_clISt17integral_constantIbLb0EESY_EEDaST_SU_EUlST_E0_NS1_11comp_targetILNS1_3genE9ELNS1_11target_archE1100ELNS1_3gpuE3ELNS1_3repE0EEENS1_30default_config_static_selectorELNS0_4arch9wavefront6targetE1EEEvT1_.private_seg_size, 0
	.set _ZN7rocprim17ROCPRIM_400000_NS6detail17trampoline_kernelINS0_14default_configENS1_20scan_config_selectorIN3c104HalfEEEZZNS1_9scan_implILNS1_25lookback_scan_determinismE0ELb0ELb0ES3_PKS6_PS6_S6_ZZZN2at6native31launch_logcumsumexp_cuda_kernelERKNSD_10TensorBaseESH_lENKUlvE_clEvENKUlvE3_clEvEUlS6_S6_E_S6_EEDaPvRmT3_T4_T5_mT6_P12ihipStream_tbENKUlT_T0_E_clISt17integral_constantIbLb0EESY_EEDaST_SU_EUlST_E0_NS1_11comp_targetILNS1_3genE9ELNS1_11target_archE1100ELNS1_3gpuE3ELNS1_3repE0EEENS1_30default_config_static_selectorELNS0_4arch9wavefront6targetE1EEEvT1_.uses_vcc, 0
	.set _ZN7rocprim17ROCPRIM_400000_NS6detail17trampoline_kernelINS0_14default_configENS1_20scan_config_selectorIN3c104HalfEEEZZNS1_9scan_implILNS1_25lookback_scan_determinismE0ELb0ELb0ES3_PKS6_PS6_S6_ZZZN2at6native31launch_logcumsumexp_cuda_kernelERKNSD_10TensorBaseESH_lENKUlvE_clEvENKUlvE3_clEvEUlS6_S6_E_S6_EEDaPvRmT3_T4_T5_mT6_P12ihipStream_tbENKUlT_T0_E_clISt17integral_constantIbLb0EESY_EEDaST_SU_EUlST_E0_NS1_11comp_targetILNS1_3genE9ELNS1_11target_archE1100ELNS1_3gpuE3ELNS1_3repE0EEENS1_30default_config_static_selectorELNS0_4arch9wavefront6targetE1EEEvT1_.uses_flat_scratch, 0
	.set _ZN7rocprim17ROCPRIM_400000_NS6detail17trampoline_kernelINS0_14default_configENS1_20scan_config_selectorIN3c104HalfEEEZZNS1_9scan_implILNS1_25lookback_scan_determinismE0ELb0ELb0ES3_PKS6_PS6_S6_ZZZN2at6native31launch_logcumsumexp_cuda_kernelERKNSD_10TensorBaseESH_lENKUlvE_clEvENKUlvE3_clEvEUlS6_S6_E_S6_EEDaPvRmT3_T4_T5_mT6_P12ihipStream_tbENKUlT_T0_E_clISt17integral_constantIbLb0EESY_EEDaST_SU_EUlST_E0_NS1_11comp_targetILNS1_3genE9ELNS1_11target_archE1100ELNS1_3gpuE3ELNS1_3repE0EEENS1_30default_config_static_selectorELNS0_4arch9wavefront6targetE1EEEvT1_.has_dyn_sized_stack, 0
	.set _ZN7rocprim17ROCPRIM_400000_NS6detail17trampoline_kernelINS0_14default_configENS1_20scan_config_selectorIN3c104HalfEEEZZNS1_9scan_implILNS1_25lookback_scan_determinismE0ELb0ELb0ES3_PKS6_PS6_S6_ZZZN2at6native31launch_logcumsumexp_cuda_kernelERKNSD_10TensorBaseESH_lENKUlvE_clEvENKUlvE3_clEvEUlS6_S6_E_S6_EEDaPvRmT3_T4_T5_mT6_P12ihipStream_tbENKUlT_T0_E_clISt17integral_constantIbLb0EESY_EEDaST_SU_EUlST_E0_NS1_11comp_targetILNS1_3genE9ELNS1_11target_archE1100ELNS1_3gpuE3ELNS1_3repE0EEENS1_30default_config_static_selectorELNS0_4arch9wavefront6targetE1EEEvT1_.has_recursion, 0
	.set _ZN7rocprim17ROCPRIM_400000_NS6detail17trampoline_kernelINS0_14default_configENS1_20scan_config_selectorIN3c104HalfEEEZZNS1_9scan_implILNS1_25lookback_scan_determinismE0ELb0ELb0ES3_PKS6_PS6_S6_ZZZN2at6native31launch_logcumsumexp_cuda_kernelERKNSD_10TensorBaseESH_lENKUlvE_clEvENKUlvE3_clEvEUlS6_S6_E_S6_EEDaPvRmT3_T4_T5_mT6_P12ihipStream_tbENKUlT_T0_E_clISt17integral_constantIbLb0EESY_EEDaST_SU_EUlST_E0_NS1_11comp_targetILNS1_3genE9ELNS1_11target_archE1100ELNS1_3gpuE3ELNS1_3repE0EEENS1_30default_config_static_selectorELNS0_4arch9wavefront6targetE1EEEvT1_.has_indirect_call, 0
	.section	.AMDGPU.csdata,"",@progbits
; Kernel info:
; codeLenInByte = 0
; TotalNumSgprs: 6
; NumVgprs: 0
; NumAgprs: 0
; TotalNumVgprs: 0
; ScratchSize: 0
; MemoryBound: 0
; FloatMode: 240
; IeeeMode: 1
; LDSByteSize: 0 bytes/workgroup (compile time only)
; SGPRBlocks: 0
; VGPRBlocks: 0
; NumSGPRsForWavesPerEU: 6
; NumVGPRsForWavesPerEU: 1
; AccumOffset: 4
; Occupancy: 8
; WaveLimiterHint : 0
; COMPUTE_PGM_RSRC2:SCRATCH_EN: 0
; COMPUTE_PGM_RSRC2:USER_SGPR: 2
; COMPUTE_PGM_RSRC2:TRAP_HANDLER: 0
; COMPUTE_PGM_RSRC2:TGID_X_EN: 1
; COMPUTE_PGM_RSRC2:TGID_Y_EN: 0
; COMPUTE_PGM_RSRC2:TGID_Z_EN: 0
; COMPUTE_PGM_RSRC2:TIDIG_COMP_CNT: 0
; COMPUTE_PGM_RSRC3_GFX90A:ACCUM_OFFSET: 0
; COMPUTE_PGM_RSRC3_GFX90A:TG_SPLIT: 0
	.section	.text._ZN7rocprim17ROCPRIM_400000_NS6detail17trampoline_kernelINS0_14default_configENS1_20scan_config_selectorIN3c104HalfEEEZZNS1_9scan_implILNS1_25lookback_scan_determinismE0ELb0ELb0ES3_PKS6_PS6_S6_ZZZN2at6native31launch_logcumsumexp_cuda_kernelERKNSD_10TensorBaseESH_lENKUlvE_clEvENKUlvE3_clEvEUlS6_S6_E_S6_EEDaPvRmT3_T4_T5_mT6_P12ihipStream_tbENKUlT_T0_E_clISt17integral_constantIbLb0EESY_EEDaST_SU_EUlST_E0_NS1_11comp_targetILNS1_3genE8ELNS1_11target_archE1030ELNS1_3gpuE2ELNS1_3repE0EEENS1_30default_config_static_selectorELNS0_4arch9wavefront6targetE1EEEvT1_,"axG",@progbits,_ZN7rocprim17ROCPRIM_400000_NS6detail17trampoline_kernelINS0_14default_configENS1_20scan_config_selectorIN3c104HalfEEEZZNS1_9scan_implILNS1_25lookback_scan_determinismE0ELb0ELb0ES3_PKS6_PS6_S6_ZZZN2at6native31launch_logcumsumexp_cuda_kernelERKNSD_10TensorBaseESH_lENKUlvE_clEvENKUlvE3_clEvEUlS6_S6_E_S6_EEDaPvRmT3_T4_T5_mT6_P12ihipStream_tbENKUlT_T0_E_clISt17integral_constantIbLb0EESY_EEDaST_SU_EUlST_E0_NS1_11comp_targetILNS1_3genE8ELNS1_11target_archE1030ELNS1_3gpuE2ELNS1_3repE0EEENS1_30default_config_static_selectorELNS0_4arch9wavefront6targetE1EEEvT1_,comdat
	.globl	_ZN7rocprim17ROCPRIM_400000_NS6detail17trampoline_kernelINS0_14default_configENS1_20scan_config_selectorIN3c104HalfEEEZZNS1_9scan_implILNS1_25lookback_scan_determinismE0ELb0ELb0ES3_PKS6_PS6_S6_ZZZN2at6native31launch_logcumsumexp_cuda_kernelERKNSD_10TensorBaseESH_lENKUlvE_clEvENKUlvE3_clEvEUlS6_S6_E_S6_EEDaPvRmT3_T4_T5_mT6_P12ihipStream_tbENKUlT_T0_E_clISt17integral_constantIbLb0EESY_EEDaST_SU_EUlST_E0_NS1_11comp_targetILNS1_3genE8ELNS1_11target_archE1030ELNS1_3gpuE2ELNS1_3repE0EEENS1_30default_config_static_selectorELNS0_4arch9wavefront6targetE1EEEvT1_ ; -- Begin function _ZN7rocprim17ROCPRIM_400000_NS6detail17trampoline_kernelINS0_14default_configENS1_20scan_config_selectorIN3c104HalfEEEZZNS1_9scan_implILNS1_25lookback_scan_determinismE0ELb0ELb0ES3_PKS6_PS6_S6_ZZZN2at6native31launch_logcumsumexp_cuda_kernelERKNSD_10TensorBaseESH_lENKUlvE_clEvENKUlvE3_clEvEUlS6_S6_E_S6_EEDaPvRmT3_T4_T5_mT6_P12ihipStream_tbENKUlT_T0_E_clISt17integral_constantIbLb0EESY_EEDaST_SU_EUlST_E0_NS1_11comp_targetILNS1_3genE8ELNS1_11target_archE1030ELNS1_3gpuE2ELNS1_3repE0EEENS1_30default_config_static_selectorELNS0_4arch9wavefront6targetE1EEEvT1_
	.p2align	8
	.type	_ZN7rocprim17ROCPRIM_400000_NS6detail17trampoline_kernelINS0_14default_configENS1_20scan_config_selectorIN3c104HalfEEEZZNS1_9scan_implILNS1_25lookback_scan_determinismE0ELb0ELb0ES3_PKS6_PS6_S6_ZZZN2at6native31launch_logcumsumexp_cuda_kernelERKNSD_10TensorBaseESH_lENKUlvE_clEvENKUlvE3_clEvEUlS6_S6_E_S6_EEDaPvRmT3_T4_T5_mT6_P12ihipStream_tbENKUlT_T0_E_clISt17integral_constantIbLb0EESY_EEDaST_SU_EUlST_E0_NS1_11comp_targetILNS1_3genE8ELNS1_11target_archE1030ELNS1_3gpuE2ELNS1_3repE0EEENS1_30default_config_static_selectorELNS0_4arch9wavefront6targetE1EEEvT1_,@function
_ZN7rocprim17ROCPRIM_400000_NS6detail17trampoline_kernelINS0_14default_configENS1_20scan_config_selectorIN3c104HalfEEEZZNS1_9scan_implILNS1_25lookback_scan_determinismE0ELb0ELb0ES3_PKS6_PS6_S6_ZZZN2at6native31launch_logcumsumexp_cuda_kernelERKNSD_10TensorBaseESH_lENKUlvE_clEvENKUlvE3_clEvEUlS6_S6_E_S6_EEDaPvRmT3_T4_T5_mT6_P12ihipStream_tbENKUlT_T0_E_clISt17integral_constantIbLb0EESY_EEDaST_SU_EUlST_E0_NS1_11comp_targetILNS1_3genE8ELNS1_11target_archE1030ELNS1_3gpuE2ELNS1_3repE0EEENS1_30default_config_static_selectorELNS0_4arch9wavefront6targetE1EEEvT1_: ; @_ZN7rocprim17ROCPRIM_400000_NS6detail17trampoline_kernelINS0_14default_configENS1_20scan_config_selectorIN3c104HalfEEEZZNS1_9scan_implILNS1_25lookback_scan_determinismE0ELb0ELb0ES3_PKS6_PS6_S6_ZZZN2at6native31launch_logcumsumexp_cuda_kernelERKNSD_10TensorBaseESH_lENKUlvE_clEvENKUlvE3_clEvEUlS6_S6_E_S6_EEDaPvRmT3_T4_T5_mT6_P12ihipStream_tbENKUlT_T0_E_clISt17integral_constantIbLb0EESY_EEDaST_SU_EUlST_E0_NS1_11comp_targetILNS1_3genE8ELNS1_11target_archE1030ELNS1_3gpuE2ELNS1_3repE0EEENS1_30default_config_static_selectorELNS0_4arch9wavefront6targetE1EEEvT1_
; %bb.0:
	.section	.rodata,"a",@progbits
	.p2align	6, 0x0
	.amdhsa_kernel _ZN7rocprim17ROCPRIM_400000_NS6detail17trampoline_kernelINS0_14default_configENS1_20scan_config_selectorIN3c104HalfEEEZZNS1_9scan_implILNS1_25lookback_scan_determinismE0ELb0ELb0ES3_PKS6_PS6_S6_ZZZN2at6native31launch_logcumsumexp_cuda_kernelERKNSD_10TensorBaseESH_lENKUlvE_clEvENKUlvE3_clEvEUlS6_S6_E_S6_EEDaPvRmT3_T4_T5_mT6_P12ihipStream_tbENKUlT_T0_E_clISt17integral_constantIbLb0EESY_EEDaST_SU_EUlST_E0_NS1_11comp_targetILNS1_3genE8ELNS1_11target_archE1030ELNS1_3gpuE2ELNS1_3repE0EEENS1_30default_config_static_selectorELNS0_4arch9wavefront6targetE1EEEvT1_
		.amdhsa_group_segment_fixed_size 0
		.amdhsa_private_segment_fixed_size 0
		.amdhsa_kernarg_size 32
		.amdhsa_user_sgpr_count 2
		.amdhsa_user_sgpr_dispatch_ptr 0
		.amdhsa_user_sgpr_queue_ptr 0
		.amdhsa_user_sgpr_kernarg_segment_ptr 1
		.amdhsa_user_sgpr_dispatch_id 0
		.amdhsa_user_sgpr_kernarg_preload_length 0
		.amdhsa_user_sgpr_kernarg_preload_offset 0
		.amdhsa_user_sgpr_private_segment_size 0
		.amdhsa_uses_dynamic_stack 0
		.amdhsa_enable_private_segment 0
		.amdhsa_system_sgpr_workgroup_id_x 1
		.amdhsa_system_sgpr_workgroup_id_y 0
		.amdhsa_system_sgpr_workgroup_id_z 0
		.amdhsa_system_sgpr_workgroup_info 0
		.amdhsa_system_vgpr_workitem_id 0
		.amdhsa_next_free_vgpr 1
		.amdhsa_next_free_sgpr 0
		.amdhsa_accum_offset 4
		.amdhsa_reserve_vcc 0
		.amdhsa_float_round_mode_32 0
		.amdhsa_float_round_mode_16_64 0
		.amdhsa_float_denorm_mode_32 3
		.amdhsa_float_denorm_mode_16_64 3
		.amdhsa_dx10_clamp 1
		.amdhsa_ieee_mode 1
		.amdhsa_fp16_overflow 0
		.amdhsa_tg_split 0
		.amdhsa_exception_fp_ieee_invalid_op 0
		.amdhsa_exception_fp_denorm_src 0
		.amdhsa_exception_fp_ieee_div_zero 0
		.amdhsa_exception_fp_ieee_overflow 0
		.amdhsa_exception_fp_ieee_underflow 0
		.amdhsa_exception_fp_ieee_inexact 0
		.amdhsa_exception_int_div_zero 0
	.end_amdhsa_kernel
	.section	.text._ZN7rocprim17ROCPRIM_400000_NS6detail17trampoline_kernelINS0_14default_configENS1_20scan_config_selectorIN3c104HalfEEEZZNS1_9scan_implILNS1_25lookback_scan_determinismE0ELb0ELb0ES3_PKS6_PS6_S6_ZZZN2at6native31launch_logcumsumexp_cuda_kernelERKNSD_10TensorBaseESH_lENKUlvE_clEvENKUlvE3_clEvEUlS6_S6_E_S6_EEDaPvRmT3_T4_T5_mT6_P12ihipStream_tbENKUlT_T0_E_clISt17integral_constantIbLb0EESY_EEDaST_SU_EUlST_E0_NS1_11comp_targetILNS1_3genE8ELNS1_11target_archE1030ELNS1_3gpuE2ELNS1_3repE0EEENS1_30default_config_static_selectorELNS0_4arch9wavefront6targetE1EEEvT1_,"axG",@progbits,_ZN7rocprim17ROCPRIM_400000_NS6detail17trampoline_kernelINS0_14default_configENS1_20scan_config_selectorIN3c104HalfEEEZZNS1_9scan_implILNS1_25lookback_scan_determinismE0ELb0ELb0ES3_PKS6_PS6_S6_ZZZN2at6native31launch_logcumsumexp_cuda_kernelERKNSD_10TensorBaseESH_lENKUlvE_clEvENKUlvE3_clEvEUlS6_S6_E_S6_EEDaPvRmT3_T4_T5_mT6_P12ihipStream_tbENKUlT_T0_E_clISt17integral_constantIbLb0EESY_EEDaST_SU_EUlST_E0_NS1_11comp_targetILNS1_3genE8ELNS1_11target_archE1030ELNS1_3gpuE2ELNS1_3repE0EEENS1_30default_config_static_selectorELNS0_4arch9wavefront6targetE1EEEvT1_,comdat
.Lfunc_end376:
	.size	_ZN7rocprim17ROCPRIM_400000_NS6detail17trampoline_kernelINS0_14default_configENS1_20scan_config_selectorIN3c104HalfEEEZZNS1_9scan_implILNS1_25lookback_scan_determinismE0ELb0ELb0ES3_PKS6_PS6_S6_ZZZN2at6native31launch_logcumsumexp_cuda_kernelERKNSD_10TensorBaseESH_lENKUlvE_clEvENKUlvE3_clEvEUlS6_S6_E_S6_EEDaPvRmT3_T4_T5_mT6_P12ihipStream_tbENKUlT_T0_E_clISt17integral_constantIbLb0EESY_EEDaST_SU_EUlST_E0_NS1_11comp_targetILNS1_3genE8ELNS1_11target_archE1030ELNS1_3gpuE2ELNS1_3repE0EEENS1_30default_config_static_selectorELNS0_4arch9wavefront6targetE1EEEvT1_, .Lfunc_end376-_ZN7rocprim17ROCPRIM_400000_NS6detail17trampoline_kernelINS0_14default_configENS1_20scan_config_selectorIN3c104HalfEEEZZNS1_9scan_implILNS1_25lookback_scan_determinismE0ELb0ELb0ES3_PKS6_PS6_S6_ZZZN2at6native31launch_logcumsumexp_cuda_kernelERKNSD_10TensorBaseESH_lENKUlvE_clEvENKUlvE3_clEvEUlS6_S6_E_S6_EEDaPvRmT3_T4_T5_mT6_P12ihipStream_tbENKUlT_T0_E_clISt17integral_constantIbLb0EESY_EEDaST_SU_EUlST_E0_NS1_11comp_targetILNS1_3genE8ELNS1_11target_archE1030ELNS1_3gpuE2ELNS1_3repE0EEENS1_30default_config_static_selectorELNS0_4arch9wavefront6targetE1EEEvT1_
                                        ; -- End function
	.set _ZN7rocprim17ROCPRIM_400000_NS6detail17trampoline_kernelINS0_14default_configENS1_20scan_config_selectorIN3c104HalfEEEZZNS1_9scan_implILNS1_25lookback_scan_determinismE0ELb0ELb0ES3_PKS6_PS6_S6_ZZZN2at6native31launch_logcumsumexp_cuda_kernelERKNSD_10TensorBaseESH_lENKUlvE_clEvENKUlvE3_clEvEUlS6_S6_E_S6_EEDaPvRmT3_T4_T5_mT6_P12ihipStream_tbENKUlT_T0_E_clISt17integral_constantIbLb0EESY_EEDaST_SU_EUlST_E0_NS1_11comp_targetILNS1_3genE8ELNS1_11target_archE1030ELNS1_3gpuE2ELNS1_3repE0EEENS1_30default_config_static_selectorELNS0_4arch9wavefront6targetE1EEEvT1_.num_vgpr, 0
	.set _ZN7rocprim17ROCPRIM_400000_NS6detail17trampoline_kernelINS0_14default_configENS1_20scan_config_selectorIN3c104HalfEEEZZNS1_9scan_implILNS1_25lookback_scan_determinismE0ELb0ELb0ES3_PKS6_PS6_S6_ZZZN2at6native31launch_logcumsumexp_cuda_kernelERKNSD_10TensorBaseESH_lENKUlvE_clEvENKUlvE3_clEvEUlS6_S6_E_S6_EEDaPvRmT3_T4_T5_mT6_P12ihipStream_tbENKUlT_T0_E_clISt17integral_constantIbLb0EESY_EEDaST_SU_EUlST_E0_NS1_11comp_targetILNS1_3genE8ELNS1_11target_archE1030ELNS1_3gpuE2ELNS1_3repE0EEENS1_30default_config_static_selectorELNS0_4arch9wavefront6targetE1EEEvT1_.num_agpr, 0
	.set _ZN7rocprim17ROCPRIM_400000_NS6detail17trampoline_kernelINS0_14default_configENS1_20scan_config_selectorIN3c104HalfEEEZZNS1_9scan_implILNS1_25lookback_scan_determinismE0ELb0ELb0ES3_PKS6_PS6_S6_ZZZN2at6native31launch_logcumsumexp_cuda_kernelERKNSD_10TensorBaseESH_lENKUlvE_clEvENKUlvE3_clEvEUlS6_S6_E_S6_EEDaPvRmT3_T4_T5_mT6_P12ihipStream_tbENKUlT_T0_E_clISt17integral_constantIbLb0EESY_EEDaST_SU_EUlST_E0_NS1_11comp_targetILNS1_3genE8ELNS1_11target_archE1030ELNS1_3gpuE2ELNS1_3repE0EEENS1_30default_config_static_selectorELNS0_4arch9wavefront6targetE1EEEvT1_.numbered_sgpr, 0
	.set _ZN7rocprim17ROCPRIM_400000_NS6detail17trampoline_kernelINS0_14default_configENS1_20scan_config_selectorIN3c104HalfEEEZZNS1_9scan_implILNS1_25lookback_scan_determinismE0ELb0ELb0ES3_PKS6_PS6_S6_ZZZN2at6native31launch_logcumsumexp_cuda_kernelERKNSD_10TensorBaseESH_lENKUlvE_clEvENKUlvE3_clEvEUlS6_S6_E_S6_EEDaPvRmT3_T4_T5_mT6_P12ihipStream_tbENKUlT_T0_E_clISt17integral_constantIbLb0EESY_EEDaST_SU_EUlST_E0_NS1_11comp_targetILNS1_3genE8ELNS1_11target_archE1030ELNS1_3gpuE2ELNS1_3repE0EEENS1_30default_config_static_selectorELNS0_4arch9wavefront6targetE1EEEvT1_.num_named_barrier, 0
	.set _ZN7rocprim17ROCPRIM_400000_NS6detail17trampoline_kernelINS0_14default_configENS1_20scan_config_selectorIN3c104HalfEEEZZNS1_9scan_implILNS1_25lookback_scan_determinismE0ELb0ELb0ES3_PKS6_PS6_S6_ZZZN2at6native31launch_logcumsumexp_cuda_kernelERKNSD_10TensorBaseESH_lENKUlvE_clEvENKUlvE3_clEvEUlS6_S6_E_S6_EEDaPvRmT3_T4_T5_mT6_P12ihipStream_tbENKUlT_T0_E_clISt17integral_constantIbLb0EESY_EEDaST_SU_EUlST_E0_NS1_11comp_targetILNS1_3genE8ELNS1_11target_archE1030ELNS1_3gpuE2ELNS1_3repE0EEENS1_30default_config_static_selectorELNS0_4arch9wavefront6targetE1EEEvT1_.private_seg_size, 0
	.set _ZN7rocprim17ROCPRIM_400000_NS6detail17trampoline_kernelINS0_14default_configENS1_20scan_config_selectorIN3c104HalfEEEZZNS1_9scan_implILNS1_25lookback_scan_determinismE0ELb0ELb0ES3_PKS6_PS6_S6_ZZZN2at6native31launch_logcumsumexp_cuda_kernelERKNSD_10TensorBaseESH_lENKUlvE_clEvENKUlvE3_clEvEUlS6_S6_E_S6_EEDaPvRmT3_T4_T5_mT6_P12ihipStream_tbENKUlT_T0_E_clISt17integral_constantIbLb0EESY_EEDaST_SU_EUlST_E0_NS1_11comp_targetILNS1_3genE8ELNS1_11target_archE1030ELNS1_3gpuE2ELNS1_3repE0EEENS1_30default_config_static_selectorELNS0_4arch9wavefront6targetE1EEEvT1_.uses_vcc, 0
	.set _ZN7rocprim17ROCPRIM_400000_NS6detail17trampoline_kernelINS0_14default_configENS1_20scan_config_selectorIN3c104HalfEEEZZNS1_9scan_implILNS1_25lookback_scan_determinismE0ELb0ELb0ES3_PKS6_PS6_S6_ZZZN2at6native31launch_logcumsumexp_cuda_kernelERKNSD_10TensorBaseESH_lENKUlvE_clEvENKUlvE3_clEvEUlS6_S6_E_S6_EEDaPvRmT3_T4_T5_mT6_P12ihipStream_tbENKUlT_T0_E_clISt17integral_constantIbLb0EESY_EEDaST_SU_EUlST_E0_NS1_11comp_targetILNS1_3genE8ELNS1_11target_archE1030ELNS1_3gpuE2ELNS1_3repE0EEENS1_30default_config_static_selectorELNS0_4arch9wavefront6targetE1EEEvT1_.uses_flat_scratch, 0
	.set _ZN7rocprim17ROCPRIM_400000_NS6detail17trampoline_kernelINS0_14default_configENS1_20scan_config_selectorIN3c104HalfEEEZZNS1_9scan_implILNS1_25lookback_scan_determinismE0ELb0ELb0ES3_PKS6_PS6_S6_ZZZN2at6native31launch_logcumsumexp_cuda_kernelERKNSD_10TensorBaseESH_lENKUlvE_clEvENKUlvE3_clEvEUlS6_S6_E_S6_EEDaPvRmT3_T4_T5_mT6_P12ihipStream_tbENKUlT_T0_E_clISt17integral_constantIbLb0EESY_EEDaST_SU_EUlST_E0_NS1_11comp_targetILNS1_3genE8ELNS1_11target_archE1030ELNS1_3gpuE2ELNS1_3repE0EEENS1_30default_config_static_selectorELNS0_4arch9wavefront6targetE1EEEvT1_.has_dyn_sized_stack, 0
	.set _ZN7rocprim17ROCPRIM_400000_NS6detail17trampoline_kernelINS0_14default_configENS1_20scan_config_selectorIN3c104HalfEEEZZNS1_9scan_implILNS1_25lookback_scan_determinismE0ELb0ELb0ES3_PKS6_PS6_S6_ZZZN2at6native31launch_logcumsumexp_cuda_kernelERKNSD_10TensorBaseESH_lENKUlvE_clEvENKUlvE3_clEvEUlS6_S6_E_S6_EEDaPvRmT3_T4_T5_mT6_P12ihipStream_tbENKUlT_T0_E_clISt17integral_constantIbLb0EESY_EEDaST_SU_EUlST_E0_NS1_11comp_targetILNS1_3genE8ELNS1_11target_archE1030ELNS1_3gpuE2ELNS1_3repE0EEENS1_30default_config_static_selectorELNS0_4arch9wavefront6targetE1EEEvT1_.has_recursion, 0
	.set _ZN7rocprim17ROCPRIM_400000_NS6detail17trampoline_kernelINS0_14default_configENS1_20scan_config_selectorIN3c104HalfEEEZZNS1_9scan_implILNS1_25lookback_scan_determinismE0ELb0ELb0ES3_PKS6_PS6_S6_ZZZN2at6native31launch_logcumsumexp_cuda_kernelERKNSD_10TensorBaseESH_lENKUlvE_clEvENKUlvE3_clEvEUlS6_S6_E_S6_EEDaPvRmT3_T4_T5_mT6_P12ihipStream_tbENKUlT_T0_E_clISt17integral_constantIbLb0EESY_EEDaST_SU_EUlST_E0_NS1_11comp_targetILNS1_3genE8ELNS1_11target_archE1030ELNS1_3gpuE2ELNS1_3repE0EEENS1_30default_config_static_selectorELNS0_4arch9wavefront6targetE1EEEvT1_.has_indirect_call, 0
	.section	.AMDGPU.csdata,"",@progbits
; Kernel info:
; codeLenInByte = 0
; TotalNumSgprs: 6
; NumVgprs: 0
; NumAgprs: 0
; TotalNumVgprs: 0
; ScratchSize: 0
; MemoryBound: 0
; FloatMode: 240
; IeeeMode: 1
; LDSByteSize: 0 bytes/workgroup (compile time only)
; SGPRBlocks: 0
; VGPRBlocks: 0
; NumSGPRsForWavesPerEU: 6
; NumVGPRsForWavesPerEU: 1
; AccumOffset: 4
; Occupancy: 8
; WaveLimiterHint : 0
; COMPUTE_PGM_RSRC2:SCRATCH_EN: 0
; COMPUTE_PGM_RSRC2:USER_SGPR: 2
; COMPUTE_PGM_RSRC2:TRAP_HANDLER: 0
; COMPUTE_PGM_RSRC2:TGID_X_EN: 1
; COMPUTE_PGM_RSRC2:TGID_Y_EN: 0
; COMPUTE_PGM_RSRC2:TGID_Z_EN: 0
; COMPUTE_PGM_RSRC2:TIDIG_COMP_CNT: 0
; COMPUTE_PGM_RSRC3_GFX90A:ACCUM_OFFSET: 0
; COMPUTE_PGM_RSRC3_GFX90A:TG_SPLIT: 0
	.section	.text._ZN7rocprim17ROCPRIM_400000_NS6detail31init_lookback_scan_state_kernelINS1_19lookback_scan_stateIN3c104HalfELb1ELb1EEENS1_16block_id_wrapperIjLb1EEEEEvT_jT0_jPNS9_10value_typeE,"axG",@progbits,_ZN7rocprim17ROCPRIM_400000_NS6detail31init_lookback_scan_state_kernelINS1_19lookback_scan_stateIN3c104HalfELb1ELb1EEENS1_16block_id_wrapperIjLb1EEEEEvT_jT0_jPNS9_10value_typeE,comdat
	.protected	_ZN7rocprim17ROCPRIM_400000_NS6detail31init_lookback_scan_state_kernelINS1_19lookback_scan_stateIN3c104HalfELb1ELb1EEENS1_16block_id_wrapperIjLb1EEEEEvT_jT0_jPNS9_10value_typeE ; -- Begin function _ZN7rocprim17ROCPRIM_400000_NS6detail31init_lookback_scan_state_kernelINS1_19lookback_scan_stateIN3c104HalfELb1ELb1EEENS1_16block_id_wrapperIjLb1EEEEEvT_jT0_jPNS9_10value_typeE
	.globl	_ZN7rocprim17ROCPRIM_400000_NS6detail31init_lookback_scan_state_kernelINS1_19lookback_scan_stateIN3c104HalfELb1ELb1EEENS1_16block_id_wrapperIjLb1EEEEEvT_jT0_jPNS9_10value_typeE
	.p2align	8
	.type	_ZN7rocprim17ROCPRIM_400000_NS6detail31init_lookback_scan_state_kernelINS1_19lookback_scan_stateIN3c104HalfELb1ELb1EEENS1_16block_id_wrapperIjLb1EEEEEvT_jT0_jPNS9_10value_typeE,@function
_ZN7rocprim17ROCPRIM_400000_NS6detail31init_lookback_scan_state_kernelINS1_19lookback_scan_stateIN3c104HalfELb1ELb1EEENS1_16block_id_wrapperIjLb1EEEEEvT_jT0_jPNS9_10value_typeE: ; @_ZN7rocprim17ROCPRIM_400000_NS6detail31init_lookback_scan_state_kernelINS1_19lookback_scan_stateIN3c104HalfELb1ELb1EEENS1_16block_id_wrapperIjLb1EEEEEvT_jT0_jPNS9_10value_typeE
; %bb.0:
	s_load_dword s3, s[0:1], 0x34
	s_load_dwordx2 s[6:7], s[0:1], 0x20
	s_load_dwordx2 s[4:5], s[0:1], 0x0
	s_load_dword s10, s[0:1], 0x8
	s_waitcnt lgkmcnt(0)
	s_and_b32 s3, s3, 0xffff
	s_mul_i32 s2, s2, s3
	s_cmp_eq_u64 s[6:7], 0
	v_add_u32_e32 v0, s2, v0
	s_cbranch_scc1 .LBB377_9
; %bb.1:
	s_load_dword s8, s[0:1], 0x18
	s_mov_b32 s9, 0
	s_waitcnt lgkmcnt(0)
	s_cmp_lt_u32 s8, s10
	s_cselect_b32 s2, s8, 0
	v_cmp_eq_u32_e32 vcc, s2, v0
	s_and_saveexec_b64 s[2:3], vcc
	s_cbranch_execz .LBB377_8
; %bb.2:
	s_add_i32 s8, s8, 64
	s_lshl_b64 s[8:9], s[8:9], 2
	s_add_u32 s8, s4, s8
	s_addc_u32 s9, s5, s9
	v_mov_b32_e32 v1, 0
	global_load_dword v2, v1, s[8:9] sc1
	s_waitcnt vmcnt(0)
	v_and_b32_e32 v3, 0xff0000, v2
	v_cmp_ne_u32_e32 vcc, 0, v3
	s_cbranch_vccnz .LBB377_7
; %bb.3:
	s_mov_b32 s11, 1
.LBB377_4:                              ; =>This Loop Header: Depth=1
                                        ;     Child Loop BB377_5 Depth 2
	s_mov_b32 s12, s11
.LBB377_5:                              ;   Parent Loop BB377_4 Depth=1
                                        ; =>  This Inner Loop Header: Depth=2
	s_add_i32 s12, s12, -1
	s_cmp_eq_u32 s12, 0
	s_sleep 1
	s_cbranch_scc0 .LBB377_5
; %bb.6:                                ;   in Loop: Header=BB377_4 Depth=1
	global_load_dword v2, v1, s[8:9] sc1
	s_cmp_lt_u32 s11, 32
	s_cselect_b64 s[12:13], -1, 0
	s_cmp_lg_u64 s[12:13], 0
	s_addc_u32 s11, s11, 0
	s_waitcnt vmcnt(0)
	v_and_b32_e32 v3, 0xff0000, v2
	v_cmp_ne_u32_e32 vcc, 0, v3
	s_cbranch_vccz .LBB377_4
.LBB377_7:
	v_mov_b32_e32 v1, 0
	global_store_short v1, v2, s[6:7]
.LBB377_8:
	s_or_b64 exec, exec, s[2:3]
.LBB377_9:
	v_cmp_eq_u32_e32 vcc, 0, v0
	s_and_saveexec_b64 s[2:3], vcc
	s_cbranch_execnz .LBB377_13
; %bb.10:
	s_or_b64 exec, exec, s[2:3]
	v_cmp_gt_u32_e32 vcc, s10, v0
	s_and_saveexec_b64 s[0:1], vcc
	s_cbranch_execnz .LBB377_14
.LBB377_11:
	s_or_b64 exec, exec, s[0:1]
	v_cmp_gt_u32_e32 vcc, 64, v0
	s_and_saveexec_b64 s[0:1], vcc
	s_cbranch_execnz .LBB377_15
.LBB377_12:
	s_endpgm
.LBB377_13:
	s_load_dwordx2 s[0:1], s[0:1], 0x10
	v_mov_b32_e32 v1, 0
	s_waitcnt lgkmcnt(0)
	global_store_dword v1, v1, s[0:1]
	s_or_b64 exec, exec, s[2:3]
	v_cmp_gt_u32_e32 vcc, s10, v0
	s_and_saveexec_b64 s[0:1], vcc
	s_cbranch_execz .LBB377_11
.LBB377_14:
	v_add_u32_e32 v2, 64, v0
	v_mov_b32_e32 v3, 0
	v_lshl_add_u64 v[4:5], v[2:3], 2, s[4:5]
	global_store_dword v[4:5], v3, off
	s_or_b64 exec, exec, s[0:1]
	v_cmp_gt_u32_e32 vcc, 64, v0
	s_and_saveexec_b64 s[0:1], vcc
	s_cbranch_execz .LBB377_12
.LBB377_15:
	v_mov_b32_e32 v1, 0
	v_lshl_add_u64 v[0:1], v[0:1], 2, s[4:5]
	v_mov_b32_e32 v2, 0xff0000
	global_store_dword v[0:1], v2, off
	s_endpgm
	.section	.rodata,"a",@progbits
	.p2align	6, 0x0
	.amdhsa_kernel _ZN7rocprim17ROCPRIM_400000_NS6detail31init_lookback_scan_state_kernelINS1_19lookback_scan_stateIN3c104HalfELb1ELb1EEENS1_16block_id_wrapperIjLb1EEEEEvT_jT0_jPNS9_10value_typeE
		.amdhsa_group_segment_fixed_size 0
		.amdhsa_private_segment_fixed_size 0
		.amdhsa_kernarg_size 296
		.amdhsa_user_sgpr_count 2
		.amdhsa_user_sgpr_dispatch_ptr 0
		.amdhsa_user_sgpr_queue_ptr 0
		.amdhsa_user_sgpr_kernarg_segment_ptr 1
		.amdhsa_user_sgpr_dispatch_id 0
		.amdhsa_user_sgpr_kernarg_preload_length 0
		.amdhsa_user_sgpr_kernarg_preload_offset 0
		.amdhsa_user_sgpr_private_segment_size 0
		.amdhsa_uses_dynamic_stack 0
		.amdhsa_enable_private_segment 0
		.amdhsa_system_sgpr_workgroup_id_x 1
		.amdhsa_system_sgpr_workgroup_id_y 0
		.amdhsa_system_sgpr_workgroup_id_z 0
		.amdhsa_system_sgpr_workgroup_info 0
		.amdhsa_system_vgpr_workitem_id 0
		.amdhsa_next_free_vgpr 6
		.amdhsa_next_free_sgpr 14
		.amdhsa_accum_offset 8
		.amdhsa_reserve_vcc 1
		.amdhsa_float_round_mode_32 0
		.amdhsa_float_round_mode_16_64 0
		.amdhsa_float_denorm_mode_32 3
		.amdhsa_float_denorm_mode_16_64 3
		.amdhsa_dx10_clamp 1
		.amdhsa_ieee_mode 1
		.amdhsa_fp16_overflow 0
		.amdhsa_tg_split 0
		.amdhsa_exception_fp_ieee_invalid_op 0
		.amdhsa_exception_fp_denorm_src 0
		.amdhsa_exception_fp_ieee_div_zero 0
		.amdhsa_exception_fp_ieee_overflow 0
		.amdhsa_exception_fp_ieee_underflow 0
		.amdhsa_exception_fp_ieee_inexact 0
		.amdhsa_exception_int_div_zero 0
	.end_amdhsa_kernel
	.section	.text._ZN7rocprim17ROCPRIM_400000_NS6detail31init_lookback_scan_state_kernelINS1_19lookback_scan_stateIN3c104HalfELb1ELb1EEENS1_16block_id_wrapperIjLb1EEEEEvT_jT0_jPNS9_10value_typeE,"axG",@progbits,_ZN7rocprim17ROCPRIM_400000_NS6detail31init_lookback_scan_state_kernelINS1_19lookback_scan_stateIN3c104HalfELb1ELb1EEENS1_16block_id_wrapperIjLb1EEEEEvT_jT0_jPNS9_10value_typeE,comdat
.Lfunc_end377:
	.size	_ZN7rocprim17ROCPRIM_400000_NS6detail31init_lookback_scan_state_kernelINS1_19lookback_scan_stateIN3c104HalfELb1ELb1EEENS1_16block_id_wrapperIjLb1EEEEEvT_jT0_jPNS9_10value_typeE, .Lfunc_end377-_ZN7rocprim17ROCPRIM_400000_NS6detail31init_lookback_scan_state_kernelINS1_19lookback_scan_stateIN3c104HalfELb1ELb1EEENS1_16block_id_wrapperIjLb1EEEEEvT_jT0_jPNS9_10value_typeE
                                        ; -- End function
	.set _ZN7rocprim17ROCPRIM_400000_NS6detail31init_lookback_scan_state_kernelINS1_19lookback_scan_stateIN3c104HalfELb1ELb1EEENS1_16block_id_wrapperIjLb1EEEEEvT_jT0_jPNS9_10value_typeE.num_vgpr, 6
	.set _ZN7rocprim17ROCPRIM_400000_NS6detail31init_lookback_scan_state_kernelINS1_19lookback_scan_stateIN3c104HalfELb1ELb1EEENS1_16block_id_wrapperIjLb1EEEEEvT_jT0_jPNS9_10value_typeE.num_agpr, 0
	.set _ZN7rocprim17ROCPRIM_400000_NS6detail31init_lookback_scan_state_kernelINS1_19lookback_scan_stateIN3c104HalfELb1ELb1EEENS1_16block_id_wrapperIjLb1EEEEEvT_jT0_jPNS9_10value_typeE.numbered_sgpr, 14
	.set _ZN7rocprim17ROCPRIM_400000_NS6detail31init_lookback_scan_state_kernelINS1_19lookback_scan_stateIN3c104HalfELb1ELb1EEENS1_16block_id_wrapperIjLb1EEEEEvT_jT0_jPNS9_10value_typeE.num_named_barrier, 0
	.set _ZN7rocprim17ROCPRIM_400000_NS6detail31init_lookback_scan_state_kernelINS1_19lookback_scan_stateIN3c104HalfELb1ELb1EEENS1_16block_id_wrapperIjLb1EEEEEvT_jT0_jPNS9_10value_typeE.private_seg_size, 0
	.set _ZN7rocprim17ROCPRIM_400000_NS6detail31init_lookback_scan_state_kernelINS1_19lookback_scan_stateIN3c104HalfELb1ELb1EEENS1_16block_id_wrapperIjLb1EEEEEvT_jT0_jPNS9_10value_typeE.uses_vcc, 1
	.set _ZN7rocprim17ROCPRIM_400000_NS6detail31init_lookback_scan_state_kernelINS1_19lookback_scan_stateIN3c104HalfELb1ELb1EEENS1_16block_id_wrapperIjLb1EEEEEvT_jT0_jPNS9_10value_typeE.uses_flat_scratch, 0
	.set _ZN7rocprim17ROCPRIM_400000_NS6detail31init_lookback_scan_state_kernelINS1_19lookback_scan_stateIN3c104HalfELb1ELb1EEENS1_16block_id_wrapperIjLb1EEEEEvT_jT0_jPNS9_10value_typeE.has_dyn_sized_stack, 0
	.set _ZN7rocprim17ROCPRIM_400000_NS6detail31init_lookback_scan_state_kernelINS1_19lookback_scan_stateIN3c104HalfELb1ELb1EEENS1_16block_id_wrapperIjLb1EEEEEvT_jT0_jPNS9_10value_typeE.has_recursion, 0
	.set _ZN7rocprim17ROCPRIM_400000_NS6detail31init_lookback_scan_state_kernelINS1_19lookback_scan_stateIN3c104HalfELb1ELb1EEENS1_16block_id_wrapperIjLb1EEEEEvT_jT0_jPNS9_10value_typeE.has_indirect_call, 0
	.section	.AMDGPU.csdata,"",@progbits
; Kernel info:
; codeLenInByte = 388
; TotalNumSgprs: 20
; NumVgprs: 6
; NumAgprs: 0
; TotalNumVgprs: 6
; ScratchSize: 0
; MemoryBound: 0
; FloatMode: 240
; IeeeMode: 1
; LDSByteSize: 0 bytes/workgroup (compile time only)
; SGPRBlocks: 2
; VGPRBlocks: 0
; NumSGPRsForWavesPerEU: 20
; NumVGPRsForWavesPerEU: 6
; AccumOffset: 8
; Occupancy: 8
; WaveLimiterHint : 0
; COMPUTE_PGM_RSRC2:SCRATCH_EN: 0
; COMPUTE_PGM_RSRC2:USER_SGPR: 2
; COMPUTE_PGM_RSRC2:TRAP_HANDLER: 0
; COMPUTE_PGM_RSRC2:TGID_X_EN: 1
; COMPUTE_PGM_RSRC2:TGID_Y_EN: 0
; COMPUTE_PGM_RSRC2:TGID_Z_EN: 0
; COMPUTE_PGM_RSRC2:TIDIG_COMP_CNT: 0
; COMPUTE_PGM_RSRC3_GFX90A:ACCUM_OFFSET: 1
; COMPUTE_PGM_RSRC3_GFX90A:TG_SPLIT: 0
	.section	.text._ZN7rocprim17ROCPRIM_400000_NS6detail17trampoline_kernelINS0_14default_configENS1_20scan_config_selectorIN3c104HalfEEEZZNS1_9scan_implILNS1_25lookback_scan_determinismE0ELb0ELb0ES3_PKS6_PS6_S6_ZZZN2at6native31launch_logcumsumexp_cuda_kernelERKNSD_10TensorBaseESH_lENKUlvE_clEvENKUlvE3_clEvEUlS6_S6_E_S6_EEDaPvRmT3_T4_T5_mT6_P12ihipStream_tbENKUlT_T0_E_clISt17integral_constantIbLb1EESY_EEDaST_SU_EUlST_E_NS1_11comp_targetILNS1_3genE0ELNS1_11target_archE4294967295ELNS1_3gpuE0ELNS1_3repE0EEENS1_30default_config_static_selectorELNS0_4arch9wavefront6targetE1EEEvT1_,"axG",@progbits,_ZN7rocprim17ROCPRIM_400000_NS6detail17trampoline_kernelINS0_14default_configENS1_20scan_config_selectorIN3c104HalfEEEZZNS1_9scan_implILNS1_25lookback_scan_determinismE0ELb0ELb0ES3_PKS6_PS6_S6_ZZZN2at6native31launch_logcumsumexp_cuda_kernelERKNSD_10TensorBaseESH_lENKUlvE_clEvENKUlvE3_clEvEUlS6_S6_E_S6_EEDaPvRmT3_T4_T5_mT6_P12ihipStream_tbENKUlT_T0_E_clISt17integral_constantIbLb1EESY_EEDaST_SU_EUlST_E_NS1_11comp_targetILNS1_3genE0ELNS1_11target_archE4294967295ELNS1_3gpuE0ELNS1_3repE0EEENS1_30default_config_static_selectorELNS0_4arch9wavefront6targetE1EEEvT1_,comdat
	.globl	_ZN7rocprim17ROCPRIM_400000_NS6detail17trampoline_kernelINS0_14default_configENS1_20scan_config_selectorIN3c104HalfEEEZZNS1_9scan_implILNS1_25lookback_scan_determinismE0ELb0ELb0ES3_PKS6_PS6_S6_ZZZN2at6native31launch_logcumsumexp_cuda_kernelERKNSD_10TensorBaseESH_lENKUlvE_clEvENKUlvE3_clEvEUlS6_S6_E_S6_EEDaPvRmT3_T4_T5_mT6_P12ihipStream_tbENKUlT_T0_E_clISt17integral_constantIbLb1EESY_EEDaST_SU_EUlST_E_NS1_11comp_targetILNS1_3genE0ELNS1_11target_archE4294967295ELNS1_3gpuE0ELNS1_3repE0EEENS1_30default_config_static_selectorELNS0_4arch9wavefront6targetE1EEEvT1_ ; -- Begin function _ZN7rocprim17ROCPRIM_400000_NS6detail17trampoline_kernelINS0_14default_configENS1_20scan_config_selectorIN3c104HalfEEEZZNS1_9scan_implILNS1_25lookback_scan_determinismE0ELb0ELb0ES3_PKS6_PS6_S6_ZZZN2at6native31launch_logcumsumexp_cuda_kernelERKNSD_10TensorBaseESH_lENKUlvE_clEvENKUlvE3_clEvEUlS6_S6_E_S6_EEDaPvRmT3_T4_T5_mT6_P12ihipStream_tbENKUlT_T0_E_clISt17integral_constantIbLb1EESY_EEDaST_SU_EUlST_E_NS1_11comp_targetILNS1_3genE0ELNS1_11target_archE4294967295ELNS1_3gpuE0ELNS1_3repE0EEENS1_30default_config_static_selectorELNS0_4arch9wavefront6targetE1EEEvT1_
	.p2align	8
	.type	_ZN7rocprim17ROCPRIM_400000_NS6detail17trampoline_kernelINS0_14default_configENS1_20scan_config_selectorIN3c104HalfEEEZZNS1_9scan_implILNS1_25lookback_scan_determinismE0ELb0ELb0ES3_PKS6_PS6_S6_ZZZN2at6native31launch_logcumsumexp_cuda_kernelERKNSD_10TensorBaseESH_lENKUlvE_clEvENKUlvE3_clEvEUlS6_S6_E_S6_EEDaPvRmT3_T4_T5_mT6_P12ihipStream_tbENKUlT_T0_E_clISt17integral_constantIbLb1EESY_EEDaST_SU_EUlST_E_NS1_11comp_targetILNS1_3genE0ELNS1_11target_archE4294967295ELNS1_3gpuE0ELNS1_3repE0EEENS1_30default_config_static_selectorELNS0_4arch9wavefront6targetE1EEEvT1_,@function
_ZN7rocprim17ROCPRIM_400000_NS6detail17trampoline_kernelINS0_14default_configENS1_20scan_config_selectorIN3c104HalfEEEZZNS1_9scan_implILNS1_25lookback_scan_determinismE0ELb0ELb0ES3_PKS6_PS6_S6_ZZZN2at6native31launch_logcumsumexp_cuda_kernelERKNSD_10TensorBaseESH_lENKUlvE_clEvENKUlvE3_clEvEUlS6_S6_E_S6_EEDaPvRmT3_T4_T5_mT6_P12ihipStream_tbENKUlT_T0_E_clISt17integral_constantIbLb1EESY_EEDaST_SU_EUlST_E_NS1_11comp_targetILNS1_3genE0ELNS1_11target_archE4294967295ELNS1_3gpuE0ELNS1_3repE0EEENS1_30default_config_static_selectorELNS0_4arch9wavefront6targetE1EEEvT1_: ; @_ZN7rocprim17ROCPRIM_400000_NS6detail17trampoline_kernelINS0_14default_configENS1_20scan_config_selectorIN3c104HalfEEEZZNS1_9scan_implILNS1_25lookback_scan_determinismE0ELb0ELb0ES3_PKS6_PS6_S6_ZZZN2at6native31launch_logcumsumexp_cuda_kernelERKNSD_10TensorBaseESH_lENKUlvE_clEvENKUlvE3_clEvEUlS6_S6_E_S6_EEDaPvRmT3_T4_T5_mT6_P12ihipStream_tbENKUlT_T0_E_clISt17integral_constantIbLb1EESY_EEDaST_SU_EUlST_E_NS1_11comp_targetILNS1_3genE0ELNS1_11target_archE4294967295ELNS1_3gpuE0ELNS1_3repE0EEENS1_30default_config_static_selectorELNS0_4arch9wavefront6targetE1EEEvT1_
; %bb.0:
	s_endpgm
	.section	.rodata,"a",@progbits
	.p2align	6, 0x0
	.amdhsa_kernel _ZN7rocprim17ROCPRIM_400000_NS6detail17trampoline_kernelINS0_14default_configENS1_20scan_config_selectorIN3c104HalfEEEZZNS1_9scan_implILNS1_25lookback_scan_determinismE0ELb0ELb0ES3_PKS6_PS6_S6_ZZZN2at6native31launch_logcumsumexp_cuda_kernelERKNSD_10TensorBaseESH_lENKUlvE_clEvENKUlvE3_clEvEUlS6_S6_E_S6_EEDaPvRmT3_T4_T5_mT6_P12ihipStream_tbENKUlT_T0_E_clISt17integral_constantIbLb1EESY_EEDaST_SU_EUlST_E_NS1_11comp_targetILNS1_3genE0ELNS1_11target_archE4294967295ELNS1_3gpuE0ELNS1_3repE0EEENS1_30default_config_static_selectorELNS0_4arch9wavefront6targetE1EEEvT1_
		.amdhsa_group_segment_fixed_size 0
		.amdhsa_private_segment_fixed_size 0
		.amdhsa_kernarg_size 96
		.amdhsa_user_sgpr_count 2
		.amdhsa_user_sgpr_dispatch_ptr 0
		.amdhsa_user_sgpr_queue_ptr 0
		.amdhsa_user_sgpr_kernarg_segment_ptr 1
		.amdhsa_user_sgpr_dispatch_id 0
		.amdhsa_user_sgpr_kernarg_preload_length 0
		.amdhsa_user_sgpr_kernarg_preload_offset 0
		.amdhsa_user_sgpr_private_segment_size 0
		.amdhsa_uses_dynamic_stack 0
		.amdhsa_enable_private_segment 0
		.amdhsa_system_sgpr_workgroup_id_x 1
		.amdhsa_system_sgpr_workgroup_id_y 0
		.amdhsa_system_sgpr_workgroup_id_z 0
		.amdhsa_system_sgpr_workgroup_info 0
		.amdhsa_system_vgpr_workitem_id 0
		.amdhsa_next_free_vgpr 1
		.amdhsa_next_free_sgpr 0
		.amdhsa_accum_offset 4
		.amdhsa_reserve_vcc 0
		.amdhsa_float_round_mode_32 0
		.amdhsa_float_round_mode_16_64 0
		.amdhsa_float_denorm_mode_32 3
		.amdhsa_float_denorm_mode_16_64 3
		.amdhsa_dx10_clamp 1
		.amdhsa_ieee_mode 1
		.amdhsa_fp16_overflow 0
		.amdhsa_tg_split 0
		.amdhsa_exception_fp_ieee_invalid_op 0
		.amdhsa_exception_fp_denorm_src 0
		.amdhsa_exception_fp_ieee_div_zero 0
		.amdhsa_exception_fp_ieee_overflow 0
		.amdhsa_exception_fp_ieee_underflow 0
		.amdhsa_exception_fp_ieee_inexact 0
		.amdhsa_exception_int_div_zero 0
	.end_amdhsa_kernel
	.section	.text._ZN7rocprim17ROCPRIM_400000_NS6detail17trampoline_kernelINS0_14default_configENS1_20scan_config_selectorIN3c104HalfEEEZZNS1_9scan_implILNS1_25lookback_scan_determinismE0ELb0ELb0ES3_PKS6_PS6_S6_ZZZN2at6native31launch_logcumsumexp_cuda_kernelERKNSD_10TensorBaseESH_lENKUlvE_clEvENKUlvE3_clEvEUlS6_S6_E_S6_EEDaPvRmT3_T4_T5_mT6_P12ihipStream_tbENKUlT_T0_E_clISt17integral_constantIbLb1EESY_EEDaST_SU_EUlST_E_NS1_11comp_targetILNS1_3genE0ELNS1_11target_archE4294967295ELNS1_3gpuE0ELNS1_3repE0EEENS1_30default_config_static_selectorELNS0_4arch9wavefront6targetE1EEEvT1_,"axG",@progbits,_ZN7rocprim17ROCPRIM_400000_NS6detail17trampoline_kernelINS0_14default_configENS1_20scan_config_selectorIN3c104HalfEEEZZNS1_9scan_implILNS1_25lookback_scan_determinismE0ELb0ELb0ES3_PKS6_PS6_S6_ZZZN2at6native31launch_logcumsumexp_cuda_kernelERKNSD_10TensorBaseESH_lENKUlvE_clEvENKUlvE3_clEvEUlS6_S6_E_S6_EEDaPvRmT3_T4_T5_mT6_P12ihipStream_tbENKUlT_T0_E_clISt17integral_constantIbLb1EESY_EEDaST_SU_EUlST_E_NS1_11comp_targetILNS1_3genE0ELNS1_11target_archE4294967295ELNS1_3gpuE0ELNS1_3repE0EEENS1_30default_config_static_selectorELNS0_4arch9wavefront6targetE1EEEvT1_,comdat
.Lfunc_end378:
	.size	_ZN7rocprim17ROCPRIM_400000_NS6detail17trampoline_kernelINS0_14default_configENS1_20scan_config_selectorIN3c104HalfEEEZZNS1_9scan_implILNS1_25lookback_scan_determinismE0ELb0ELb0ES3_PKS6_PS6_S6_ZZZN2at6native31launch_logcumsumexp_cuda_kernelERKNSD_10TensorBaseESH_lENKUlvE_clEvENKUlvE3_clEvEUlS6_S6_E_S6_EEDaPvRmT3_T4_T5_mT6_P12ihipStream_tbENKUlT_T0_E_clISt17integral_constantIbLb1EESY_EEDaST_SU_EUlST_E_NS1_11comp_targetILNS1_3genE0ELNS1_11target_archE4294967295ELNS1_3gpuE0ELNS1_3repE0EEENS1_30default_config_static_selectorELNS0_4arch9wavefront6targetE1EEEvT1_, .Lfunc_end378-_ZN7rocprim17ROCPRIM_400000_NS6detail17trampoline_kernelINS0_14default_configENS1_20scan_config_selectorIN3c104HalfEEEZZNS1_9scan_implILNS1_25lookback_scan_determinismE0ELb0ELb0ES3_PKS6_PS6_S6_ZZZN2at6native31launch_logcumsumexp_cuda_kernelERKNSD_10TensorBaseESH_lENKUlvE_clEvENKUlvE3_clEvEUlS6_S6_E_S6_EEDaPvRmT3_T4_T5_mT6_P12ihipStream_tbENKUlT_T0_E_clISt17integral_constantIbLb1EESY_EEDaST_SU_EUlST_E_NS1_11comp_targetILNS1_3genE0ELNS1_11target_archE4294967295ELNS1_3gpuE0ELNS1_3repE0EEENS1_30default_config_static_selectorELNS0_4arch9wavefront6targetE1EEEvT1_
                                        ; -- End function
	.set _ZN7rocprim17ROCPRIM_400000_NS6detail17trampoline_kernelINS0_14default_configENS1_20scan_config_selectorIN3c104HalfEEEZZNS1_9scan_implILNS1_25lookback_scan_determinismE0ELb0ELb0ES3_PKS6_PS6_S6_ZZZN2at6native31launch_logcumsumexp_cuda_kernelERKNSD_10TensorBaseESH_lENKUlvE_clEvENKUlvE3_clEvEUlS6_S6_E_S6_EEDaPvRmT3_T4_T5_mT6_P12ihipStream_tbENKUlT_T0_E_clISt17integral_constantIbLb1EESY_EEDaST_SU_EUlST_E_NS1_11comp_targetILNS1_3genE0ELNS1_11target_archE4294967295ELNS1_3gpuE0ELNS1_3repE0EEENS1_30default_config_static_selectorELNS0_4arch9wavefront6targetE1EEEvT1_.num_vgpr, 0
	.set _ZN7rocprim17ROCPRIM_400000_NS6detail17trampoline_kernelINS0_14default_configENS1_20scan_config_selectorIN3c104HalfEEEZZNS1_9scan_implILNS1_25lookback_scan_determinismE0ELb0ELb0ES3_PKS6_PS6_S6_ZZZN2at6native31launch_logcumsumexp_cuda_kernelERKNSD_10TensorBaseESH_lENKUlvE_clEvENKUlvE3_clEvEUlS6_S6_E_S6_EEDaPvRmT3_T4_T5_mT6_P12ihipStream_tbENKUlT_T0_E_clISt17integral_constantIbLb1EESY_EEDaST_SU_EUlST_E_NS1_11comp_targetILNS1_3genE0ELNS1_11target_archE4294967295ELNS1_3gpuE0ELNS1_3repE0EEENS1_30default_config_static_selectorELNS0_4arch9wavefront6targetE1EEEvT1_.num_agpr, 0
	.set _ZN7rocprim17ROCPRIM_400000_NS6detail17trampoline_kernelINS0_14default_configENS1_20scan_config_selectorIN3c104HalfEEEZZNS1_9scan_implILNS1_25lookback_scan_determinismE0ELb0ELb0ES3_PKS6_PS6_S6_ZZZN2at6native31launch_logcumsumexp_cuda_kernelERKNSD_10TensorBaseESH_lENKUlvE_clEvENKUlvE3_clEvEUlS6_S6_E_S6_EEDaPvRmT3_T4_T5_mT6_P12ihipStream_tbENKUlT_T0_E_clISt17integral_constantIbLb1EESY_EEDaST_SU_EUlST_E_NS1_11comp_targetILNS1_3genE0ELNS1_11target_archE4294967295ELNS1_3gpuE0ELNS1_3repE0EEENS1_30default_config_static_selectorELNS0_4arch9wavefront6targetE1EEEvT1_.numbered_sgpr, 0
	.set _ZN7rocprim17ROCPRIM_400000_NS6detail17trampoline_kernelINS0_14default_configENS1_20scan_config_selectorIN3c104HalfEEEZZNS1_9scan_implILNS1_25lookback_scan_determinismE0ELb0ELb0ES3_PKS6_PS6_S6_ZZZN2at6native31launch_logcumsumexp_cuda_kernelERKNSD_10TensorBaseESH_lENKUlvE_clEvENKUlvE3_clEvEUlS6_S6_E_S6_EEDaPvRmT3_T4_T5_mT6_P12ihipStream_tbENKUlT_T0_E_clISt17integral_constantIbLb1EESY_EEDaST_SU_EUlST_E_NS1_11comp_targetILNS1_3genE0ELNS1_11target_archE4294967295ELNS1_3gpuE0ELNS1_3repE0EEENS1_30default_config_static_selectorELNS0_4arch9wavefront6targetE1EEEvT1_.num_named_barrier, 0
	.set _ZN7rocprim17ROCPRIM_400000_NS6detail17trampoline_kernelINS0_14default_configENS1_20scan_config_selectorIN3c104HalfEEEZZNS1_9scan_implILNS1_25lookback_scan_determinismE0ELb0ELb0ES3_PKS6_PS6_S6_ZZZN2at6native31launch_logcumsumexp_cuda_kernelERKNSD_10TensorBaseESH_lENKUlvE_clEvENKUlvE3_clEvEUlS6_S6_E_S6_EEDaPvRmT3_T4_T5_mT6_P12ihipStream_tbENKUlT_T0_E_clISt17integral_constantIbLb1EESY_EEDaST_SU_EUlST_E_NS1_11comp_targetILNS1_3genE0ELNS1_11target_archE4294967295ELNS1_3gpuE0ELNS1_3repE0EEENS1_30default_config_static_selectorELNS0_4arch9wavefront6targetE1EEEvT1_.private_seg_size, 0
	.set _ZN7rocprim17ROCPRIM_400000_NS6detail17trampoline_kernelINS0_14default_configENS1_20scan_config_selectorIN3c104HalfEEEZZNS1_9scan_implILNS1_25lookback_scan_determinismE0ELb0ELb0ES3_PKS6_PS6_S6_ZZZN2at6native31launch_logcumsumexp_cuda_kernelERKNSD_10TensorBaseESH_lENKUlvE_clEvENKUlvE3_clEvEUlS6_S6_E_S6_EEDaPvRmT3_T4_T5_mT6_P12ihipStream_tbENKUlT_T0_E_clISt17integral_constantIbLb1EESY_EEDaST_SU_EUlST_E_NS1_11comp_targetILNS1_3genE0ELNS1_11target_archE4294967295ELNS1_3gpuE0ELNS1_3repE0EEENS1_30default_config_static_selectorELNS0_4arch9wavefront6targetE1EEEvT1_.uses_vcc, 0
	.set _ZN7rocprim17ROCPRIM_400000_NS6detail17trampoline_kernelINS0_14default_configENS1_20scan_config_selectorIN3c104HalfEEEZZNS1_9scan_implILNS1_25lookback_scan_determinismE0ELb0ELb0ES3_PKS6_PS6_S6_ZZZN2at6native31launch_logcumsumexp_cuda_kernelERKNSD_10TensorBaseESH_lENKUlvE_clEvENKUlvE3_clEvEUlS6_S6_E_S6_EEDaPvRmT3_T4_T5_mT6_P12ihipStream_tbENKUlT_T0_E_clISt17integral_constantIbLb1EESY_EEDaST_SU_EUlST_E_NS1_11comp_targetILNS1_3genE0ELNS1_11target_archE4294967295ELNS1_3gpuE0ELNS1_3repE0EEENS1_30default_config_static_selectorELNS0_4arch9wavefront6targetE1EEEvT1_.uses_flat_scratch, 0
	.set _ZN7rocprim17ROCPRIM_400000_NS6detail17trampoline_kernelINS0_14default_configENS1_20scan_config_selectorIN3c104HalfEEEZZNS1_9scan_implILNS1_25lookback_scan_determinismE0ELb0ELb0ES3_PKS6_PS6_S6_ZZZN2at6native31launch_logcumsumexp_cuda_kernelERKNSD_10TensorBaseESH_lENKUlvE_clEvENKUlvE3_clEvEUlS6_S6_E_S6_EEDaPvRmT3_T4_T5_mT6_P12ihipStream_tbENKUlT_T0_E_clISt17integral_constantIbLb1EESY_EEDaST_SU_EUlST_E_NS1_11comp_targetILNS1_3genE0ELNS1_11target_archE4294967295ELNS1_3gpuE0ELNS1_3repE0EEENS1_30default_config_static_selectorELNS0_4arch9wavefront6targetE1EEEvT1_.has_dyn_sized_stack, 0
	.set _ZN7rocprim17ROCPRIM_400000_NS6detail17trampoline_kernelINS0_14default_configENS1_20scan_config_selectorIN3c104HalfEEEZZNS1_9scan_implILNS1_25lookback_scan_determinismE0ELb0ELb0ES3_PKS6_PS6_S6_ZZZN2at6native31launch_logcumsumexp_cuda_kernelERKNSD_10TensorBaseESH_lENKUlvE_clEvENKUlvE3_clEvEUlS6_S6_E_S6_EEDaPvRmT3_T4_T5_mT6_P12ihipStream_tbENKUlT_T0_E_clISt17integral_constantIbLb1EESY_EEDaST_SU_EUlST_E_NS1_11comp_targetILNS1_3genE0ELNS1_11target_archE4294967295ELNS1_3gpuE0ELNS1_3repE0EEENS1_30default_config_static_selectorELNS0_4arch9wavefront6targetE1EEEvT1_.has_recursion, 0
	.set _ZN7rocprim17ROCPRIM_400000_NS6detail17trampoline_kernelINS0_14default_configENS1_20scan_config_selectorIN3c104HalfEEEZZNS1_9scan_implILNS1_25lookback_scan_determinismE0ELb0ELb0ES3_PKS6_PS6_S6_ZZZN2at6native31launch_logcumsumexp_cuda_kernelERKNSD_10TensorBaseESH_lENKUlvE_clEvENKUlvE3_clEvEUlS6_S6_E_S6_EEDaPvRmT3_T4_T5_mT6_P12ihipStream_tbENKUlT_T0_E_clISt17integral_constantIbLb1EESY_EEDaST_SU_EUlST_E_NS1_11comp_targetILNS1_3genE0ELNS1_11target_archE4294967295ELNS1_3gpuE0ELNS1_3repE0EEENS1_30default_config_static_selectorELNS0_4arch9wavefront6targetE1EEEvT1_.has_indirect_call, 0
	.section	.AMDGPU.csdata,"",@progbits
; Kernel info:
; codeLenInByte = 4
; TotalNumSgprs: 6
; NumVgprs: 0
; NumAgprs: 0
; TotalNumVgprs: 0
; ScratchSize: 0
; MemoryBound: 0
; FloatMode: 240
; IeeeMode: 1
; LDSByteSize: 0 bytes/workgroup (compile time only)
; SGPRBlocks: 0
; VGPRBlocks: 0
; NumSGPRsForWavesPerEU: 6
; NumVGPRsForWavesPerEU: 1
; AccumOffset: 4
; Occupancy: 8
; WaveLimiterHint : 0
; COMPUTE_PGM_RSRC2:SCRATCH_EN: 0
; COMPUTE_PGM_RSRC2:USER_SGPR: 2
; COMPUTE_PGM_RSRC2:TRAP_HANDLER: 0
; COMPUTE_PGM_RSRC2:TGID_X_EN: 1
; COMPUTE_PGM_RSRC2:TGID_Y_EN: 0
; COMPUTE_PGM_RSRC2:TGID_Z_EN: 0
; COMPUTE_PGM_RSRC2:TIDIG_COMP_CNT: 0
; COMPUTE_PGM_RSRC3_GFX90A:ACCUM_OFFSET: 0
; COMPUTE_PGM_RSRC3_GFX90A:TG_SPLIT: 0
	.section	.text._ZN7rocprim17ROCPRIM_400000_NS6detail17trampoline_kernelINS0_14default_configENS1_20scan_config_selectorIN3c104HalfEEEZZNS1_9scan_implILNS1_25lookback_scan_determinismE0ELb0ELb0ES3_PKS6_PS6_S6_ZZZN2at6native31launch_logcumsumexp_cuda_kernelERKNSD_10TensorBaseESH_lENKUlvE_clEvENKUlvE3_clEvEUlS6_S6_E_S6_EEDaPvRmT3_T4_T5_mT6_P12ihipStream_tbENKUlT_T0_E_clISt17integral_constantIbLb1EESY_EEDaST_SU_EUlST_E_NS1_11comp_targetILNS1_3genE5ELNS1_11target_archE942ELNS1_3gpuE9ELNS1_3repE0EEENS1_30default_config_static_selectorELNS0_4arch9wavefront6targetE1EEEvT1_,"axG",@progbits,_ZN7rocprim17ROCPRIM_400000_NS6detail17trampoline_kernelINS0_14default_configENS1_20scan_config_selectorIN3c104HalfEEEZZNS1_9scan_implILNS1_25lookback_scan_determinismE0ELb0ELb0ES3_PKS6_PS6_S6_ZZZN2at6native31launch_logcumsumexp_cuda_kernelERKNSD_10TensorBaseESH_lENKUlvE_clEvENKUlvE3_clEvEUlS6_S6_E_S6_EEDaPvRmT3_T4_T5_mT6_P12ihipStream_tbENKUlT_T0_E_clISt17integral_constantIbLb1EESY_EEDaST_SU_EUlST_E_NS1_11comp_targetILNS1_3genE5ELNS1_11target_archE942ELNS1_3gpuE9ELNS1_3repE0EEENS1_30default_config_static_selectorELNS0_4arch9wavefront6targetE1EEEvT1_,comdat
	.globl	_ZN7rocprim17ROCPRIM_400000_NS6detail17trampoline_kernelINS0_14default_configENS1_20scan_config_selectorIN3c104HalfEEEZZNS1_9scan_implILNS1_25lookback_scan_determinismE0ELb0ELb0ES3_PKS6_PS6_S6_ZZZN2at6native31launch_logcumsumexp_cuda_kernelERKNSD_10TensorBaseESH_lENKUlvE_clEvENKUlvE3_clEvEUlS6_S6_E_S6_EEDaPvRmT3_T4_T5_mT6_P12ihipStream_tbENKUlT_T0_E_clISt17integral_constantIbLb1EESY_EEDaST_SU_EUlST_E_NS1_11comp_targetILNS1_3genE5ELNS1_11target_archE942ELNS1_3gpuE9ELNS1_3repE0EEENS1_30default_config_static_selectorELNS0_4arch9wavefront6targetE1EEEvT1_ ; -- Begin function _ZN7rocprim17ROCPRIM_400000_NS6detail17trampoline_kernelINS0_14default_configENS1_20scan_config_selectorIN3c104HalfEEEZZNS1_9scan_implILNS1_25lookback_scan_determinismE0ELb0ELb0ES3_PKS6_PS6_S6_ZZZN2at6native31launch_logcumsumexp_cuda_kernelERKNSD_10TensorBaseESH_lENKUlvE_clEvENKUlvE3_clEvEUlS6_S6_E_S6_EEDaPvRmT3_T4_T5_mT6_P12ihipStream_tbENKUlT_T0_E_clISt17integral_constantIbLb1EESY_EEDaST_SU_EUlST_E_NS1_11comp_targetILNS1_3genE5ELNS1_11target_archE942ELNS1_3gpuE9ELNS1_3repE0EEENS1_30default_config_static_selectorELNS0_4arch9wavefront6targetE1EEEvT1_
	.p2align	8
	.type	_ZN7rocprim17ROCPRIM_400000_NS6detail17trampoline_kernelINS0_14default_configENS1_20scan_config_selectorIN3c104HalfEEEZZNS1_9scan_implILNS1_25lookback_scan_determinismE0ELb0ELb0ES3_PKS6_PS6_S6_ZZZN2at6native31launch_logcumsumexp_cuda_kernelERKNSD_10TensorBaseESH_lENKUlvE_clEvENKUlvE3_clEvEUlS6_S6_E_S6_EEDaPvRmT3_T4_T5_mT6_P12ihipStream_tbENKUlT_T0_E_clISt17integral_constantIbLb1EESY_EEDaST_SU_EUlST_E_NS1_11comp_targetILNS1_3genE5ELNS1_11target_archE942ELNS1_3gpuE9ELNS1_3repE0EEENS1_30default_config_static_selectorELNS0_4arch9wavefront6targetE1EEEvT1_,@function
_ZN7rocprim17ROCPRIM_400000_NS6detail17trampoline_kernelINS0_14default_configENS1_20scan_config_selectorIN3c104HalfEEEZZNS1_9scan_implILNS1_25lookback_scan_determinismE0ELb0ELb0ES3_PKS6_PS6_S6_ZZZN2at6native31launch_logcumsumexp_cuda_kernelERKNSD_10TensorBaseESH_lENKUlvE_clEvENKUlvE3_clEvEUlS6_S6_E_S6_EEDaPvRmT3_T4_T5_mT6_P12ihipStream_tbENKUlT_T0_E_clISt17integral_constantIbLb1EESY_EEDaST_SU_EUlST_E_NS1_11comp_targetILNS1_3genE5ELNS1_11target_archE942ELNS1_3gpuE9ELNS1_3repE0EEENS1_30default_config_static_selectorELNS0_4arch9wavefront6targetE1EEEvT1_: ; @_ZN7rocprim17ROCPRIM_400000_NS6detail17trampoline_kernelINS0_14default_configENS1_20scan_config_selectorIN3c104HalfEEEZZNS1_9scan_implILNS1_25lookback_scan_determinismE0ELb0ELb0ES3_PKS6_PS6_S6_ZZZN2at6native31launch_logcumsumexp_cuda_kernelERKNSD_10TensorBaseESH_lENKUlvE_clEvENKUlvE3_clEvEUlS6_S6_E_S6_EEDaPvRmT3_T4_T5_mT6_P12ihipStream_tbENKUlT_T0_E_clISt17integral_constantIbLb1EESY_EEDaST_SU_EUlST_E_NS1_11comp_targetILNS1_3genE5ELNS1_11target_archE942ELNS1_3gpuE9ELNS1_3repE0EEENS1_30default_config_static_selectorELNS0_4arch9wavefront6targetE1EEEvT1_
; %bb.0:
	.section	.rodata,"a",@progbits
	.p2align	6, 0x0
	.amdhsa_kernel _ZN7rocprim17ROCPRIM_400000_NS6detail17trampoline_kernelINS0_14default_configENS1_20scan_config_selectorIN3c104HalfEEEZZNS1_9scan_implILNS1_25lookback_scan_determinismE0ELb0ELb0ES3_PKS6_PS6_S6_ZZZN2at6native31launch_logcumsumexp_cuda_kernelERKNSD_10TensorBaseESH_lENKUlvE_clEvENKUlvE3_clEvEUlS6_S6_E_S6_EEDaPvRmT3_T4_T5_mT6_P12ihipStream_tbENKUlT_T0_E_clISt17integral_constantIbLb1EESY_EEDaST_SU_EUlST_E_NS1_11comp_targetILNS1_3genE5ELNS1_11target_archE942ELNS1_3gpuE9ELNS1_3repE0EEENS1_30default_config_static_selectorELNS0_4arch9wavefront6targetE1EEEvT1_
		.amdhsa_group_segment_fixed_size 0
		.amdhsa_private_segment_fixed_size 0
		.amdhsa_kernarg_size 96
		.amdhsa_user_sgpr_count 2
		.amdhsa_user_sgpr_dispatch_ptr 0
		.amdhsa_user_sgpr_queue_ptr 0
		.amdhsa_user_sgpr_kernarg_segment_ptr 1
		.amdhsa_user_sgpr_dispatch_id 0
		.amdhsa_user_sgpr_kernarg_preload_length 0
		.amdhsa_user_sgpr_kernarg_preload_offset 0
		.amdhsa_user_sgpr_private_segment_size 0
		.amdhsa_uses_dynamic_stack 0
		.amdhsa_enable_private_segment 0
		.amdhsa_system_sgpr_workgroup_id_x 1
		.amdhsa_system_sgpr_workgroup_id_y 0
		.amdhsa_system_sgpr_workgroup_id_z 0
		.amdhsa_system_sgpr_workgroup_info 0
		.amdhsa_system_vgpr_workitem_id 0
		.amdhsa_next_free_vgpr 1
		.amdhsa_next_free_sgpr 0
		.amdhsa_accum_offset 4
		.amdhsa_reserve_vcc 0
		.amdhsa_float_round_mode_32 0
		.amdhsa_float_round_mode_16_64 0
		.amdhsa_float_denorm_mode_32 3
		.amdhsa_float_denorm_mode_16_64 3
		.amdhsa_dx10_clamp 1
		.amdhsa_ieee_mode 1
		.amdhsa_fp16_overflow 0
		.amdhsa_tg_split 0
		.amdhsa_exception_fp_ieee_invalid_op 0
		.amdhsa_exception_fp_denorm_src 0
		.amdhsa_exception_fp_ieee_div_zero 0
		.amdhsa_exception_fp_ieee_overflow 0
		.amdhsa_exception_fp_ieee_underflow 0
		.amdhsa_exception_fp_ieee_inexact 0
		.amdhsa_exception_int_div_zero 0
	.end_amdhsa_kernel
	.section	.text._ZN7rocprim17ROCPRIM_400000_NS6detail17trampoline_kernelINS0_14default_configENS1_20scan_config_selectorIN3c104HalfEEEZZNS1_9scan_implILNS1_25lookback_scan_determinismE0ELb0ELb0ES3_PKS6_PS6_S6_ZZZN2at6native31launch_logcumsumexp_cuda_kernelERKNSD_10TensorBaseESH_lENKUlvE_clEvENKUlvE3_clEvEUlS6_S6_E_S6_EEDaPvRmT3_T4_T5_mT6_P12ihipStream_tbENKUlT_T0_E_clISt17integral_constantIbLb1EESY_EEDaST_SU_EUlST_E_NS1_11comp_targetILNS1_3genE5ELNS1_11target_archE942ELNS1_3gpuE9ELNS1_3repE0EEENS1_30default_config_static_selectorELNS0_4arch9wavefront6targetE1EEEvT1_,"axG",@progbits,_ZN7rocprim17ROCPRIM_400000_NS6detail17trampoline_kernelINS0_14default_configENS1_20scan_config_selectorIN3c104HalfEEEZZNS1_9scan_implILNS1_25lookback_scan_determinismE0ELb0ELb0ES3_PKS6_PS6_S6_ZZZN2at6native31launch_logcumsumexp_cuda_kernelERKNSD_10TensorBaseESH_lENKUlvE_clEvENKUlvE3_clEvEUlS6_S6_E_S6_EEDaPvRmT3_T4_T5_mT6_P12ihipStream_tbENKUlT_T0_E_clISt17integral_constantIbLb1EESY_EEDaST_SU_EUlST_E_NS1_11comp_targetILNS1_3genE5ELNS1_11target_archE942ELNS1_3gpuE9ELNS1_3repE0EEENS1_30default_config_static_selectorELNS0_4arch9wavefront6targetE1EEEvT1_,comdat
.Lfunc_end379:
	.size	_ZN7rocprim17ROCPRIM_400000_NS6detail17trampoline_kernelINS0_14default_configENS1_20scan_config_selectorIN3c104HalfEEEZZNS1_9scan_implILNS1_25lookback_scan_determinismE0ELb0ELb0ES3_PKS6_PS6_S6_ZZZN2at6native31launch_logcumsumexp_cuda_kernelERKNSD_10TensorBaseESH_lENKUlvE_clEvENKUlvE3_clEvEUlS6_S6_E_S6_EEDaPvRmT3_T4_T5_mT6_P12ihipStream_tbENKUlT_T0_E_clISt17integral_constantIbLb1EESY_EEDaST_SU_EUlST_E_NS1_11comp_targetILNS1_3genE5ELNS1_11target_archE942ELNS1_3gpuE9ELNS1_3repE0EEENS1_30default_config_static_selectorELNS0_4arch9wavefront6targetE1EEEvT1_, .Lfunc_end379-_ZN7rocprim17ROCPRIM_400000_NS6detail17trampoline_kernelINS0_14default_configENS1_20scan_config_selectorIN3c104HalfEEEZZNS1_9scan_implILNS1_25lookback_scan_determinismE0ELb0ELb0ES3_PKS6_PS6_S6_ZZZN2at6native31launch_logcumsumexp_cuda_kernelERKNSD_10TensorBaseESH_lENKUlvE_clEvENKUlvE3_clEvEUlS6_S6_E_S6_EEDaPvRmT3_T4_T5_mT6_P12ihipStream_tbENKUlT_T0_E_clISt17integral_constantIbLb1EESY_EEDaST_SU_EUlST_E_NS1_11comp_targetILNS1_3genE5ELNS1_11target_archE942ELNS1_3gpuE9ELNS1_3repE0EEENS1_30default_config_static_selectorELNS0_4arch9wavefront6targetE1EEEvT1_
                                        ; -- End function
	.set _ZN7rocprim17ROCPRIM_400000_NS6detail17trampoline_kernelINS0_14default_configENS1_20scan_config_selectorIN3c104HalfEEEZZNS1_9scan_implILNS1_25lookback_scan_determinismE0ELb0ELb0ES3_PKS6_PS6_S6_ZZZN2at6native31launch_logcumsumexp_cuda_kernelERKNSD_10TensorBaseESH_lENKUlvE_clEvENKUlvE3_clEvEUlS6_S6_E_S6_EEDaPvRmT3_T4_T5_mT6_P12ihipStream_tbENKUlT_T0_E_clISt17integral_constantIbLb1EESY_EEDaST_SU_EUlST_E_NS1_11comp_targetILNS1_3genE5ELNS1_11target_archE942ELNS1_3gpuE9ELNS1_3repE0EEENS1_30default_config_static_selectorELNS0_4arch9wavefront6targetE1EEEvT1_.num_vgpr, 0
	.set _ZN7rocprim17ROCPRIM_400000_NS6detail17trampoline_kernelINS0_14default_configENS1_20scan_config_selectorIN3c104HalfEEEZZNS1_9scan_implILNS1_25lookback_scan_determinismE0ELb0ELb0ES3_PKS6_PS6_S6_ZZZN2at6native31launch_logcumsumexp_cuda_kernelERKNSD_10TensorBaseESH_lENKUlvE_clEvENKUlvE3_clEvEUlS6_S6_E_S6_EEDaPvRmT3_T4_T5_mT6_P12ihipStream_tbENKUlT_T0_E_clISt17integral_constantIbLb1EESY_EEDaST_SU_EUlST_E_NS1_11comp_targetILNS1_3genE5ELNS1_11target_archE942ELNS1_3gpuE9ELNS1_3repE0EEENS1_30default_config_static_selectorELNS0_4arch9wavefront6targetE1EEEvT1_.num_agpr, 0
	.set _ZN7rocprim17ROCPRIM_400000_NS6detail17trampoline_kernelINS0_14default_configENS1_20scan_config_selectorIN3c104HalfEEEZZNS1_9scan_implILNS1_25lookback_scan_determinismE0ELb0ELb0ES3_PKS6_PS6_S6_ZZZN2at6native31launch_logcumsumexp_cuda_kernelERKNSD_10TensorBaseESH_lENKUlvE_clEvENKUlvE3_clEvEUlS6_S6_E_S6_EEDaPvRmT3_T4_T5_mT6_P12ihipStream_tbENKUlT_T0_E_clISt17integral_constantIbLb1EESY_EEDaST_SU_EUlST_E_NS1_11comp_targetILNS1_3genE5ELNS1_11target_archE942ELNS1_3gpuE9ELNS1_3repE0EEENS1_30default_config_static_selectorELNS0_4arch9wavefront6targetE1EEEvT1_.numbered_sgpr, 0
	.set _ZN7rocprim17ROCPRIM_400000_NS6detail17trampoline_kernelINS0_14default_configENS1_20scan_config_selectorIN3c104HalfEEEZZNS1_9scan_implILNS1_25lookback_scan_determinismE0ELb0ELb0ES3_PKS6_PS6_S6_ZZZN2at6native31launch_logcumsumexp_cuda_kernelERKNSD_10TensorBaseESH_lENKUlvE_clEvENKUlvE3_clEvEUlS6_S6_E_S6_EEDaPvRmT3_T4_T5_mT6_P12ihipStream_tbENKUlT_T0_E_clISt17integral_constantIbLb1EESY_EEDaST_SU_EUlST_E_NS1_11comp_targetILNS1_3genE5ELNS1_11target_archE942ELNS1_3gpuE9ELNS1_3repE0EEENS1_30default_config_static_selectorELNS0_4arch9wavefront6targetE1EEEvT1_.num_named_barrier, 0
	.set _ZN7rocprim17ROCPRIM_400000_NS6detail17trampoline_kernelINS0_14default_configENS1_20scan_config_selectorIN3c104HalfEEEZZNS1_9scan_implILNS1_25lookback_scan_determinismE0ELb0ELb0ES3_PKS6_PS6_S6_ZZZN2at6native31launch_logcumsumexp_cuda_kernelERKNSD_10TensorBaseESH_lENKUlvE_clEvENKUlvE3_clEvEUlS6_S6_E_S6_EEDaPvRmT3_T4_T5_mT6_P12ihipStream_tbENKUlT_T0_E_clISt17integral_constantIbLb1EESY_EEDaST_SU_EUlST_E_NS1_11comp_targetILNS1_3genE5ELNS1_11target_archE942ELNS1_3gpuE9ELNS1_3repE0EEENS1_30default_config_static_selectorELNS0_4arch9wavefront6targetE1EEEvT1_.private_seg_size, 0
	.set _ZN7rocprim17ROCPRIM_400000_NS6detail17trampoline_kernelINS0_14default_configENS1_20scan_config_selectorIN3c104HalfEEEZZNS1_9scan_implILNS1_25lookback_scan_determinismE0ELb0ELb0ES3_PKS6_PS6_S6_ZZZN2at6native31launch_logcumsumexp_cuda_kernelERKNSD_10TensorBaseESH_lENKUlvE_clEvENKUlvE3_clEvEUlS6_S6_E_S6_EEDaPvRmT3_T4_T5_mT6_P12ihipStream_tbENKUlT_T0_E_clISt17integral_constantIbLb1EESY_EEDaST_SU_EUlST_E_NS1_11comp_targetILNS1_3genE5ELNS1_11target_archE942ELNS1_3gpuE9ELNS1_3repE0EEENS1_30default_config_static_selectorELNS0_4arch9wavefront6targetE1EEEvT1_.uses_vcc, 0
	.set _ZN7rocprim17ROCPRIM_400000_NS6detail17trampoline_kernelINS0_14default_configENS1_20scan_config_selectorIN3c104HalfEEEZZNS1_9scan_implILNS1_25lookback_scan_determinismE0ELb0ELb0ES3_PKS6_PS6_S6_ZZZN2at6native31launch_logcumsumexp_cuda_kernelERKNSD_10TensorBaseESH_lENKUlvE_clEvENKUlvE3_clEvEUlS6_S6_E_S6_EEDaPvRmT3_T4_T5_mT6_P12ihipStream_tbENKUlT_T0_E_clISt17integral_constantIbLb1EESY_EEDaST_SU_EUlST_E_NS1_11comp_targetILNS1_3genE5ELNS1_11target_archE942ELNS1_3gpuE9ELNS1_3repE0EEENS1_30default_config_static_selectorELNS0_4arch9wavefront6targetE1EEEvT1_.uses_flat_scratch, 0
	.set _ZN7rocprim17ROCPRIM_400000_NS6detail17trampoline_kernelINS0_14default_configENS1_20scan_config_selectorIN3c104HalfEEEZZNS1_9scan_implILNS1_25lookback_scan_determinismE0ELb0ELb0ES3_PKS6_PS6_S6_ZZZN2at6native31launch_logcumsumexp_cuda_kernelERKNSD_10TensorBaseESH_lENKUlvE_clEvENKUlvE3_clEvEUlS6_S6_E_S6_EEDaPvRmT3_T4_T5_mT6_P12ihipStream_tbENKUlT_T0_E_clISt17integral_constantIbLb1EESY_EEDaST_SU_EUlST_E_NS1_11comp_targetILNS1_3genE5ELNS1_11target_archE942ELNS1_3gpuE9ELNS1_3repE0EEENS1_30default_config_static_selectorELNS0_4arch9wavefront6targetE1EEEvT1_.has_dyn_sized_stack, 0
	.set _ZN7rocprim17ROCPRIM_400000_NS6detail17trampoline_kernelINS0_14default_configENS1_20scan_config_selectorIN3c104HalfEEEZZNS1_9scan_implILNS1_25lookback_scan_determinismE0ELb0ELb0ES3_PKS6_PS6_S6_ZZZN2at6native31launch_logcumsumexp_cuda_kernelERKNSD_10TensorBaseESH_lENKUlvE_clEvENKUlvE3_clEvEUlS6_S6_E_S6_EEDaPvRmT3_T4_T5_mT6_P12ihipStream_tbENKUlT_T0_E_clISt17integral_constantIbLb1EESY_EEDaST_SU_EUlST_E_NS1_11comp_targetILNS1_3genE5ELNS1_11target_archE942ELNS1_3gpuE9ELNS1_3repE0EEENS1_30default_config_static_selectorELNS0_4arch9wavefront6targetE1EEEvT1_.has_recursion, 0
	.set _ZN7rocprim17ROCPRIM_400000_NS6detail17trampoline_kernelINS0_14default_configENS1_20scan_config_selectorIN3c104HalfEEEZZNS1_9scan_implILNS1_25lookback_scan_determinismE0ELb0ELb0ES3_PKS6_PS6_S6_ZZZN2at6native31launch_logcumsumexp_cuda_kernelERKNSD_10TensorBaseESH_lENKUlvE_clEvENKUlvE3_clEvEUlS6_S6_E_S6_EEDaPvRmT3_T4_T5_mT6_P12ihipStream_tbENKUlT_T0_E_clISt17integral_constantIbLb1EESY_EEDaST_SU_EUlST_E_NS1_11comp_targetILNS1_3genE5ELNS1_11target_archE942ELNS1_3gpuE9ELNS1_3repE0EEENS1_30default_config_static_selectorELNS0_4arch9wavefront6targetE1EEEvT1_.has_indirect_call, 0
	.section	.AMDGPU.csdata,"",@progbits
; Kernel info:
; codeLenInByte = 0
; TotalNumSgprs: 6
; NumVgprs: 0
; NumAgprs: 0
; TotalNumVgprs: 0
; ScratchSize: 0
; MemoryBound: 0
; FloatMode: 240
; IeeeMode: 1
; LDSByteSize: 0 bytes/workgroup (compile time only)
; SGPRBlocks: 0
; VGPRBlocks: 0
; NumSGPRsForWavesPerEU: 6
; NumVGPRsForWavesPerEU: 1
; AccumOffset: 4
; Occupancy: 8
; WaveLimiterHint : 0
; COMPUTE_PGM_RSRC2:SCRATCH_EN: 0
; COMPUTE_PGM_RSRC2:USER_SGPR: 2
; COMPUTE_PGM_RSRC2:TRAP_HANDLER: 0
; COMPUTE_PGM_RSRC2:TGID_X_EN: 1
; COMPUTE_PGM_RSRC2:TGID_Y_EN: 0
; COMPUTE_PGM_RSRC2:TGID_Z_EN: 0
; COMPUTE_PGM_RSRC2:TIDIG_COMP_CNT: 0
; COMPUTE_PGM_RSRC3_GFX90A:ACCUM_OFFSET: 0
; COMPUTE_PGM_RSRC3_GFX90A:TG_SPLIT: 0
	.section	.text._ZN7rocprim17ROCPRIM_400000_NS6detail17trampoline_kernelINS0_14default_configENS1_20scan_config_selectorIN3c104HalfEEEZZNS1_9scan_implILNS1_25lookback_scan_determinismE0ELb0ELb0ES3_PKS6_PS6_S6_ZZZN2at6native31launch_logcumsumexp_cuda_kernelERKNSD_10TensorBaseESH_lENKUlvE_clEvENKUlvE3_clEvEUlS6_S6_E_S6_EEDaPvRmT3_T4_T5_mT6_P12ihipStream_tbENKUlT_T0_E_clISt17integral_constantIbLb1EESY_EEDaST_SU_EUlST_E_NS1_11comp_targetILNS1_3genE4ELNS1_11target_archE910ELNS1_3gpuE8ELNS1_3repE0EEENS1_30default_config_static_selectorELNS0_4arch9wavefront6targetE1EEEvT1_,"axG",@progbits,_ZN7rocprim17ROCPRIM_400000_NS6detail17trampoline_kernelINS0_14default_configENS1_20scan_config_selectorIN3c104HalfEEEZZNS1_9scan_implILNS1_25lookback_scan_determinismE0ELb0ELb0ES3_PKS6_PS6_S6_ZZZN2at6native31launch_logcumsumexp_cuda_kernelERKNSD_10TensorBaseESH_lENKUlvE_clEvENKUlvE3_clEvEUlS6_S6_E_S6_EEDaPvRmT3_T4_T5_mT6_P12ihipStream_tbENKUlT_T0_E_clISt17integral_constantIbLb1EESY_EEDaST_SU_EUlST_E_NS1_11comp_targetILNS1_3genE4ELNS1_11target_archE910ELNS1_3gpuE8ELNS1_3repE0EEENS1_30default_config_static_selectorELNS0_4arch9wavefront6targetE1EEEvT1_,comdat
	.globl	_ZN7rocprim17ROCPRIM_400000_NS6detail17trampoline_kernelINS0_14default_configENS1_20scan_config_selectorIN3c104HalfEEEZZNS1_9scan_implILNS1_25lookback_scan_determinismE0ELb0ELb0ES3_PKS6_PS6_S6_ZZZN2at6native31launch_logcumsumexp_cuda_kernelERKNSD_10TensorBaseESH_lENKUlvE_clEvENKUlvE3_clEvEUlS6_S6_E_S6_EEDaPvRmT3_T4_T5_mT6_P12ihipStream_tbENKUlT_T0_E_clISt17integral_constantIbLb1EESY_EEDaST_SU_EUlST_E_NS1_11comp_targetILNS1_3genE4ELNS1_11target_archE910ELNS1_3gpuE8ELNS1_3repE0EEENS1_30default_config_static_selectorELNS0_4arch9wavefront6targetE1EEEvT1_ ; -- Begin function _ZN7rocprim17ROCPRIM_400000_NS6detail17trampoline_kernelINS0_14default_configENS1_20scan_config_selectorIN3c104HalfEEEZZNS1_9scan_implILNS1_25lookback_scan_determinismE0ELb0ELb0ES3_PKS6_PS6_S6_ZZZN2at6native31launch_logcumsumexp_cuda_kernelERKNSD_10TensorBaseESH_lENKUlvE_clEvENKUlvE3_clEvEUlS6_S6_E_S6_EEDaPvRmT3_T4_T5_mT6_P12ihipStream_tbENKUlT_T0_E_clISt17integral_constantIbLb1EESY_EEDaST_SU_EUlST_E_NS1_11comp_targetILNS1_3genE4ELNS1_11target_archE910ELNS1_3gpuE8ELNS1_3repE0EEENS1_30default_config_static_selectorELNS0_4arch9wavefront6targetE1EEEvT1_
	.p2align	8
	.type	_ZN7rocprim17ROCPRIM_400000_NS6detail17trampoline_kernelINS0_14default_configENS1_20scan_config_selectorIN3c104HalfEEEZZNS1_9scan_implILNS1_25lookback_scan_determinismE0ELb0ELb0ES3_PKS6_PS6_S6_ZZZN2at6native31launch_logcumsumexp_cuda_kernelERKNSD_10TensorBaseESH_lENKUlvE_clEvENKUlvE3_clEvEUlS6_S6_E_S6_EEDaPvRmT3_T4_T5_mT6_P12ihipStream_tbENKUlT_T0_E_clISt17integral_constantIbLb1EESY_EEDaST_SU_EUlST_E_NS1_11comp_targetILNS1_3genE4ELNS1_11target_archE910ELNS1_3gpuE8ELNS1_3repE0EEENS1_30default_config_static_selectorELNS0_4arch9wavefront6targetE1EEEvT1_,@function
_ZN7rocprim17ROCPRIM_400000_NS6detail17trampoline_kernelINS0_14default_configENS1_20scan_config_selectorIN3c104HalfEEEZZNS1_9scan_implILNS1_25lookback_scan_determinismE0ELb0ELb0ES3_PKS6_PS6_S6_ZZZN2at6native31launch_logcumsumexp_cuda_kernelERKNSD_10TensorBaseESH_lENKUlvE_clEvENKUlvE3_clEvEUlS6_S6_E_S6_EEDaPvRmT3_T4_T5_mT6_P12ihipStream_tbENKUlT_T0_E_clISt17integral_constantIbLb1EESY_EEDaST_SU_EUlST_E_NS1_11comp_targetILNS1_3genE4ELNS1_11target_archE910ELNS1_3gpuE8ELNS1_3repE0EEENS1_30default_config_static_selectorELNS0_4arch9wavefront6targetE1EEEvT1_: ; @_ZN7rocprim17ROCPRIM_400000_NS6detail17trampoline_kernelINS0_14default_configENS1_20scan_config_selectorIN3c104HalfEEEZZNS1_9scan_implILNS1_25lookback_scan_determinismE0ELb0ELb0ES3_PKS6_PS6_S6_ZZZN2at6native31launch_logcumsumexp_cuda_kernelERKNSD_10TensorBaseESH_lENKUlvE_clEvENKUlvE3_clEvEUlS6_S6_E_S6_EEDaPvRmT3_T4_T5_mT6_P12ihipStream_tbENKUlT_T0_E_clISt17integral_constantIbLb1EESY_EEDaST_SU_EUlST_E_NS1_11comp_targetILNS1_3genE4ELNS1_11target_archE910ELNS1_3gpuE8ELNS1_3repE0EEENS1_30default_config_static_selectorELNS0_4arch9wavefront6targetE1EEEvT1_
; %bb.0:
	.section	.rodata,"a",@progbits
	.p2align	6, 0x0
	.amdhsa_kernel _ZN7rocprim17ROCPRIM_400000_NS6detail17trampoline_kernelINS0_14default_configENS1_20scan_config_selectorIN3c104HalfEEEZZNS1_9scan_implILNS1_25lookback_scan_determinismE0ELb0ELb0ES3_PKS6_PS6_S6_ZZZN2at6native31launch_logcumsumexp_cuda_kernelERKNSD_10TensorBaseESH_lENKUlvE_clEvENKUlvE3_clEvEUlS6_S6_E_S6_EEDaPvRmT3_T4_T5_mT6_P12ihipStream_tbENKUlT_T0_E_clISt17integral_constantIbLb1EESY_EEDaST_SU_EUlST_E_NS1_11comp_targetILNS1_3genE4ELNS1_11target_archE910ELNS1_3gpuE8ELNS1_3repE0EEENS1_30default_config_static_selectorELNS0_4arch9wavefront6targetE1EEEvT1_
		.amdhsa_group_segment_fixed_size 0
		.amdhsa_private_segment_fixed_size 0
		.amdhsa_kernarg_size 96
		.amdhsa_user_sgpr_count 2
		.amdhsa_user_sgpr_dispatch_ptr 0
		.amdhsa_user_sgpr_queue_ptr 0
		.amdhsa_user_sgpr_kernarg_segment_ptr 1
		.amdhsa_user_sgpr_dispatch_id 0
		.amdhsa_user_sgpr_kernarg_preload_length 0
		.amdhsa_user_sgpr_kernarg_preload_offset 0
		.amdhsa_user_sgpr_private_segment_size 0
		.amdhsa_uses_dynamic_stack 0
		.amdhsa_enable_private_segment 0
		.amdhsa_system_sgpr_workgroup_id_x 1
		.amdhsa_system_sgpr_workgroup_id_y 0
		.amdhsa_system_sgpr_workgroup_id_z 0
		.amdhsa_system_sgpr_workgroup_info 0
		.amdhsa_system_vgpr_workitem_id 0
		.amdhsa_next_free_vgpr 1
		.amdhsa_next_free_sgpr 0
		.amdhsa_accum_offset 4
		.amdhsa_reserve_vcc 0
		.amdhsa_float_round_mode_32 0
		.amdhsa_float_round_mode_16_64 0
		.amdhsa_float_denorm_mode_32 3
		.amdhsa_float_denorm_mode_16_64 3
		.amdhsa_dx10_clamp 1
		.amdhsa_ieee_mode 1
		.amdhsa_fp16_overflow 0
		.amdhsa_tg_split 0
		.amdhsa_exception_fp_ieee_invalid_op 0
		.amdhsa_exception_fp_denorm_src 0
		.amdhsa_exception_fp_ieee_div_zero 0
		.amdhsa_exception_fp_ieee_overflow 0
		.amdhsa_exception_fp_ieee_underflow 0
		.amdhsa_exception_fp_ieee_inexact 0
		.amdhsa_exception_int_div_zero 0
	.end_amdhsa_kernel
	.section	.text._ZN7rocprim17ROCPRIM_400000_NS6detail17trampoline_kernelINS0_14default_configENS1_20scan_config_selectorIN3c104HalfEEEZZNS1_9scan_implILNS1_25lookback_scan_determinismE0ELb0ELb0ES3_PKS6_PS6_S6_ZZZN2at6native31launch_logcumsumexp_cuda_kernelERKNSD_10TensorBaseESH_lENKUlvE_clEvENKUlvE3_clEvEUlS6_S6_E_S6_EEDaPvRmT3_T4_T5_mT6_P12ihipStream_tbENKUlT_T0_E_clISt17integral_constantIbLb1EESY_EEDaST_SU_EUlST_E_NS1_11comp_targetILNS1_3genE4ELNS1_11target_archE910ELNS1_3gpuE8ELNS1_3repE0EEENS1_30default_config_static_selectorELNS0_4arch9wavefront6targetE1EEEvT1_,"axG",@progbits,_ZN7rocprim17ROCPRIM_400000_NS6detail17trampoline_kernelINS0_14default_configENS1_20scan_config_selectorIN3c104HalfEEEZZNS1_9scan_implILNS1_25lookback_scan_determinismE0ELb0ELb0ES3_PKS6_PS6_S6_ZZZN2at6native31launch_logcumsumexp_cuda_kernelERKNSD_10TensorBaseESH_lENKUlvE_clEvENKUlvE3_clEvEUlS6_S6_E_S6_EEDaPvRmT3_T4_T5_mT6_P12ihipStream_tbENKUlT_T0_E_clISt17integral_constantIbLb1EESY_EEDaST_SU_EUlST_E_NS1_11comp_targetILNS1_3genE4ELNS1_11target_archE910ELNS1_3gpuE8ELNS1_3repE0EEENS1_30default_config_static_selectorELNS0_4arch9wavefront6targetE1EEEvT1_,comdat
.Lfunc_end380:
	.size	_ZN7rocprim17ROCPRIM_400000_NS6detail17trampoline_kernelINS0_14default_configENS1_20scan_config_selectorIN3c104HalfEEEZZNS1_9scan_implILNS1_25lookback_scan_determinismE0ELb0ELb0ES3_PKS6_PS6_S6_ZZZN2at6native31launch_logcumsumexp_cuda_kernelERKNSD_10TensorBaseESH_lENKUlvE_clEvENKUlvE3_clEvEUlS6_S6_E_S6_EEDaPvRmT3_T4_T5_mT6_P12ihipStream_tbENKUlT_T0_E_clISt17integral_constantIbLb1EESY_EEDaST_SU_EUlST_E_NS1_11comp_targetILNS1_3genE4ELNS1_11target_archE910ELNS1_3gpuE8ELNS1_3repE0EEENS1_30default_config_static_selectorELNS0_4arch9wavefront6targetE1EEEvT1_, .Lfunc_end380-_ZN7rocprim17ROCPRIM_400000_NS6detail17trampoline_kernelINS0_14default_configENS1_20scan_config_selectorIN3c104HalfEEEZZNS1_9scan_implILNS1_25lookback_scan_determinismE0ELb0ELb0ES3_PKS6_PS6_S6_ZZZN2at6native31launch_logcumsumexp_cuda_kernelERKNSD_10TensorBaseESH_lENKUlvE_clEvENKUlvE3_clEvEUlS6_S6_E_S6_EEDaPvRmT3_T4_T5_mT6_P12ihipStream_tbENKUlT_T0_E_clISt17integral_constantIbLb1EESY_EEDaST_SU_EUlST_E_NS1_11comp_targetILNS1_3genE4ELNS1_11target_archE910ELNS1_3gpuE8ELNS1_3repE0EEENS1_30default_config_static_selectorELNS0_4arch9wavefront6targetE1EEEvT1_
                                        ; -- End function
	.set _ZN7rocprim17ROCPRIM_400000_NS6detail17trampoline_kernelINS0_14default_configENS1_20scan_config_selectorIN3c104HalfEEEZZNS1_9scan_implILNS1_25lookback_scan_determinismE0ELb0ELb0ES3_PKS6_PS6_S6_ZZZN2at6native31launch_logcumsumexp_cuda_kernelERKNSD_10TensorBaseESH_lENKUlvE_clEvENKUlvE3_clEvEUlS6_S6_E_S6_EEDaPvRmT3_T4_T5_mT6_P12ihipStream_tbENKUlT_T0_E_clISt17integral_constantIbLb1EESY_EEDaST_SU_EUlST_E_NS1_11comp_targetILNS1_3genE4ELNS1_11target_archE910ELNS1_3gpuE8ELNS1_3repE0EEENS1_30default_config_static_selectorELNS0_4arch9wavefront6targetE1EEEvT1_.num_vgpr, 0
	.set _ZN7rocprim17ROCPRIM_400000_NS6detail17trampoline_kernelINS0_14default_configENS1_20scan_config_selectorIN3c104HalfEEEZZNS1_9scan_implILNS1_25lookback_scan_determinismE0ELb0ELb0ES3_PKS6_PS6_S6_ZZZN2at6native31launch_logcumsumexp_cuda_kernelERKNSD_10TensorBaseESH_lENKUlvE_clEvENKUlvE3_clEvEUlS6_S6_E_S6_EEDaPvRmT3_T4_T5_mT6_P12ihipStream_tbENKUlT_T0_E_clISt17integral_constantIbLb1EESY_EEDaST_SU_EUlST_E_NS1_11comp_targetILNS1_3genE4ELNS1_11target_archE910ELNS1_3gpuE8ELNS1_3repE0EEENS1_30default_config_static_selectorELNS0_4arch9wavefront6targetE1EEEvT1_.num_agpr, 0
	.set _ZN7rocprim17ROCPRIM_400000_NS6detail17trampoline_kernelINS0_14default_configENS1_20scan_config_selectorIN3c104HalfEEEZZNS1_9scan_implILNS1_25lookback_scan_determinismE0ELb0ELb0ES3_PKS6_PS6_S6_ZZZN2at6native31launch_logcumsumexp_cuda_kernelERKNSD_10TensorBaseESH_lENKUlvE_clEvENKUlvE3_clEvEUlS6_S6_E_S6_EEDaPvRmT3_T4_T5_mT6_P12ihipStream_tbENKUlT_T0_E_clISt17integral_constantIbLb1EESY_EEDaST_SU_EUlST_E_NS1_11comp_targetILNS1_3genE4ELNS1_11target_archE910ELNS1_3gpuE8ELNS1_3repE0EEENS1_30default_config_static_selectorELNS0_4arch9wavefront6targetE1EEEvT1_.numbered_sgpr, 0
	.set _ZN7rocprim17ROCPRIM_400000_NS6detail17trampoline_kernelINS0_14default_configENS1_20scan_config_selectorIN3c104HalfEEEZZNS1_9scan_implILNS1_25lookback_scan_determinismE0ELb0ELb0ES3_PKS6_PS6_S6_ZZZN2at6native31launch_logcumsumexp_cuda_kernelERKNSD_10TensorBaseESH_lENKUlvE_clEvENKUlvE3_clEvEUlS6_S6_E_S6_EEDaPvRmT3_T4_T5_mT6_P12ihipStream_tbENKUlT_T0_E_clISt17integral_constantIbLb1EESY_EEDaST_SU_EUlST_E_NS1_11comp_targetILNS1_3genE4ELNS1_11target_archE910ELNS1_3gpuE8ELNS1_3repE0EEENS1_30default_config_static_selectorELNS0_4arch9wavefront6targetE1EEEvT1_.num_named_barrier, 0
	.set _ZN7rocprim17ROCPRIM_400000_NS6detail17trampoline_kernelINS0_14default_configENS1_20scan_config_selectorIN3c104HalfEEEZZNS1_9scan_implILNS1_25lookback_scan_determinismE0ELb0ELb0ES3_PKS6_PS6_S6_ZZZN2at6native31launch_logcumsumexp_cuda_kernelERKNSD_10TensorBaseESH_lENKUlvE_clEvENKUlvE3_clEvEUlS6_S6_E_S6_EEDaPvRmT3_T4_T5_mT6_P12ihipStream_tbENKUlT_T0_E_clISt17integral_constantIbLb1EESY_EEDaST_SU_EUlST_E_NS1_11comp_targetILNS1_3genE4ELNS1_11target_archE910ELNS1_3gpuE8ELNS1_3repE0EEENS1_30default_config_static_selectorELNS0_4arch9wavefront6targetE1EEEvT1_.private_seg_size, 0
	.set _ZN7rocprim17ROCPRIM_400000_NS6detail17trampoline_kernelINS0_14default_configENS1_20scan_config_selectorIN3c104HalfEEEZZNS1_9scan_implILNS1_25lookback_scan_determinismE0ELb0ELb0ES3_PKS6_PS6_S6_ZZZN2at6native31launch_logcumsumexp_cuda_kernelERKNSD_10TensorBaseESH_lENKUlvE_clEvENKUlvE3_clEvEUlS6_S6_E_S6_EEDaPvRmT3_T4_T5_mT6_P12ihipStream_tbENKUlT_T0_E_clISt17integral_constantIbLb1EESY_EEDaST_SU_EUlST_E_NS1_11comp_targetILNS1_3genE4ELNS1_11target_archE910ELNS1_3gpuE8ELNS1_3repE0EEENS1_30default_config_static_selectorELNS0_4arch9wavefront6targetE1EEEvT1_.uses_vcc, 0
	.set _ZN7rocprim17ROCPRIM_400000_NS6detail17trampoline_kernelINS0_14default_configENS1_20scan_config_selectorIN3c104HalfEEEZZNS1_9scan_implILNS1_25lookback_scan_determinismE0ELb0ELb0ES3_PKS6_PS6_S6_ZZZN2at6native31launch_logcumsumexp_cuda_kernelERKNSD_10TensorBaseESH_lENKUlvE_clEvENKUlvE3_clEvEUlS6_S6_E_S6_EEDaPvRmT3_T4_T5_mT6_P12ihipStream_tbENKUlT_T0_E_clISt17integral_constantIbLb1EESY_EEDaST_SU_EUlST_E_NS1_11comp_targetILNS1_3genE4ELNS1_11target_archE910ELNS1_3gpuE8ELNS1_3repE0EEENS1_30default_config_static_selectorELNS0_4arch9wavefront6targetE1EEEvT1_.uses_flat_scratch, 0
	.set _ZN7rocprim17ROCPRIM_400000_NS6detail17trampoline_kernelINS0_14default_configENS1_20scan_config_selectorIN3c104HalfEEEZZNS1_9scan_implILNS1_25lookback_scan_determinismE0ELb0ELb0ES3_PKS6_PS6_S6_ZZZN2at6native31launch_logcumsumexp_cuda_kernelERKNSD_10TensorBaseESH_lENKUlvE_clEvENKUlvE3_clEvEUlS6_S6_E_S6_EEDaPvRmT3_T4_T5_mT6_P12ihipStream_tbENKUlT_T0_E_clISt17integral_constantIbLb1EESY_EEDaST_SU_EUlST_E_NS1_11comp_targetILNS1_3genE4ELNS1_11target_archE910ELNS1_3gpuE8ELNS1_3repE0EEENS1_30default_config_static_selectorELNS0_4arch9wavefront6targetE1EEEvT1_.has_dyn_sized_stack, 0
	.set _ZN7rocprim17ROCPRIM_400000_NS6detail17trampoline_kernelINS0_14default_configENS1_20scan_config_selectorIN3c104HalfEEEZZNS1_9scan_implILNS1_25lookback_scan_determinismE0ELb0ELb0ES3_PKS6_PS6_S6_ZZZN2at6native31launch_logcumsumexp_cuda_kernelERKNSD_10TensorBaseESH_lENKUlvE_clEvENKUlvE3_clEvEUlS6_S6_E_S6_EEDaPvRmT3_T4_T5_mT6_P12ihipStream_tbENKUlT_T0_E_clISt17integral_constantIbLb1EESY_EEDaST_SU_EUlST_E_NS1_11comp_targetILNS1_3genE4ELNS1_11target_archE910ELNS1_3gpuE8ELNS1_3repE0EEENS1_30default_config_static_selectorELNS0_4arch9wavefront6targetE1EEEvT1_.has_recursion, 0
	.set _ZN7rocprim17ROCPRIM_400000_NS6detail17trampoline_kernelINS0_14default_configENS1_20scan_config_selectorIN3c104HalfEEEZZNS1_9scan_implILNS1_25lookback_scan_determinismE0ELb0ELb0ES3_PKS6_PS6_S6_ZZZN2at6native31launch_logcumsumexp_cuda_kernelERKNSD_10TensorBaseESH_lENKUlvE_clEvENKUlvE3_clEvEUlS6_S6_E_S6_EEDaPvRmT3_T4_T5_mT6_P12ihipStream_tbENKUlT_T0_E_clISt17integral_constantIbLb1EESY_EEDaST_SU_EUlST_E_NS1_11comp_targetILNS1_3genE4ELNS1_11target_archE910ELNS1_3gpuE8ELNS1_3repE0EEENS1_30default_config_static_selectorELNS0_4arch9wavefront6targetE1EEEvT1_.has_indirect_call, 0
	.section	.AMDGPU.csdata,"",@progbits
; Kernel info:
; codeLenInByte = 0
; TotalNumSgprs: 6
; NumVgprs: 0
; NumAgprs: 0
; TotalNumVgprs: 0
; ScratchSize: 0
; MemoryBound: 0
; FloatMode: 240
; IeeeMode: 1
; LDSByteSize: 0 bytes/workgroup (compile time only)
; SGPRBlocks: 0
; VGPRBlocks: 0
; NumSGPRsForWavesPerEU: 6
; NumVGPRsForWavesPerEU: 1
; AccumOffset: 4
; Occupancy: 8
; WaveLimiterHint : 0
; COMPUTE_PGM_RSRC2:SCRATCH_EN: 0
; COMPUTE_PGM_RSRC2:USER_SGPR: 2
; COMPUTE_PGM_RSRC2:TRAP_HANDLER: 0
; COMPUTE_PGM_RSRC2:TGID_X_EN: 1
; COMPUTE_PGM_RSRC2:TGID_Y_EN: 0
; COMPUTE_PGM_RSRC2:TGID_Z_EN: 0
; COMPUTE_PGM_RSRC2:TIDIG_COMP_CNT: 0
; COMPUTE_PGM_RSRC3_GFX90A:ACCUM_OFFSET: 0
; COMPUTE_PGM_RSRC3_GFX90A:TG_SPLIT: 0
	.section	.text._ZN7rocprim17ROCPRIM_400000_NS6detail17trampoline_kernelINS0_14default_configENS1_20scan_config_selectorIN3c104HalfEEEZZNS1_9scan_implILNS1_25lookback_scan_determinismE0ELb0ELb0ES3_PKS6_PS6_S6_ZZZN2at6native31launch_logcumsumexp_cuda_kernelERKNSD_10TensorBaseESH_lENKUlvE_clEvENKUlvE3_clEvEUlS6_S6_E_S6_EEDaPvRmT3_T4_T5_mT6_P12ihipStream_tbENKUlT_T0_E_clISt17integral_constantIbLb1EESY_EEDaST_SU_EUlST_E_NS1_11comp_targetILNS1_3genE3ELNS1_11target_archE908ELNS1_3gpuE7ELNS1_3repE0EEENS1_30default_config_static_selectorELNS0_4arch9wavefront6targetE1EEEvT1_,"axG",@progbits,_ZN7rocprim17ROCPRIM_400000_NS6detail17trampoline_kernelINS0_14default_configENS1_20scan_config_selectorIN3c104HalfEEEZZNS1_9scan_implILNS1_25lookback_scan_determinismE0ELb0ELb0ES3_PKS6_PS6_S6_ZZZN2at6native31launch_logcumsumexp_cuda_kernelERKNSD_10TensorBaseESH_lENKUlvE_clEvENKUlvE3_clEvEUlS6_S6_E_S6_EEDaPvRmT3_T4_T5_mT6_P12ihipStream_tbENKUlT_T0_E_clISt17integral_constantIbLb1EESY_EEDaST_SU_EUlST_E_NS1_11comp_targetILNS1_3genE3ELNS1_11target_archE908ELNS1_3gpuE7ELNS1_3repE0EEENS1_30default_config_static_selectorELNS0_4arch9wavefront6targetE1EEEvT1_,comdat
	.globl	_ZN7rocprim17ROCPRIM_400000_NS6detail17trampoline_kernelINS0_14default_configENS1_20scan_config_selectorIN3c104HalfEEEZZNS1_9scan_implILNS1_25lookback_scan_determinismE0ELb0ELb0ES3_PKS6_PS6_S6_ZZZN2at6native31launch_logcumsumexp_cuda_kernelERKNSD_10TensorBaseESH_lENKUlvE_clEvENKUlvE3_clEvEUlS6_S6_E_S6_EEDaPvRmT3_T4_T5_mT6_P12ihipStream_tbENKUlT_T0_E_clISt17integral_constantIbLb1EESY_EEDaST_SU_EUlST_E_NS1_11comp_targetILNS1_3genE3ELNS1_11target_archE908ELNS1_3gpuE7ELNS1_3repE0EEENS1_30default_config_static_selectorELNS0_4arch9wavefront6targetE1EEEvT1_ ; -- Begin function _ZN7rocprim17ROCPRIM_400000_NS6detail17trampoline_kernelINS0_14default_configENS1_20scan_config_selectorIN3c104HalfEEEZZNS1_9scan_implILNS1_25lookback_scan_determinismE0ELb0ELb0ES3_PKS6_PS6_S6_ZZZN2at6native31launch_logcumsumexp_cuda_kernelERKNSD_10TensorBaseESH_lENKUlvE_clEvENKUlvE3_clEvEUlS6_S6_E_S6_EEDaPvRmT3_T4_T5_mT6_P12ihipStream_tbENKUlT_T0_E_clISt17integral_constantIbLb1EESY_EEDaST_SU_EUlST_E_NS1_11comp_targetILNS1_3genE3ELNS1_11target_archE908ELNS1_3gpuE7ELNS1_3repE0EEENS1_30default_config_static_selectorELNS0_4arch9wavefront6targetE1EEEvT1_
	.p2align	8
	.type	_ZN7rocprim17ROCPRIM_400000_NS6detail17trampoline_kernelINS0_14default_configENS1_20scan_config_selectorIN3c104HalfEEEZZNS1_9scan_implILNS1_25lookback_scan_determinismE0ELb0ELb0ES3_PKS6_PS6_S6_ZZZN2at6native31launch_logcumsumexp_cuda_kernelERKNSD_10TensorBaseESH_lENKUlvE_clEvENKUlvE3_clEvEUlS6_S6_E_S6_EEDaPvRmT3_T4_T5_mT6_P12ihipStream_tbENKUlT_T0_E_clISt17integral_constantIbLb1EESY_EEDaST_SU_EUlST_E_NS1_11comp_targetILNS1_3genE3ELNS1_11target_archE908ELNS1_3gpuE7ELNS1_3repE0EEENS1_30default_config_static_selectorELNS0_4arch9wavefront6targetE1EEEvT1_,@function
_ZN7rocprim17ROCPRIM_400000_NS6detail17trampoline_kernelINS0_14default_configENS1_20scan_config_selectorIN3c104HalfEEEZZNS1_9scan_implILNS1_25lookback_scan_determinismE0ELb0ELb0ES3_PKS6_PS6_S6_ZZZN2at6native31launch_logcumsumexp_cuda_kernelERKNSD_10TensorBaseESH_lENKUlvE_clEvENKUlvE3_clEvEUlS6_S6_E_S6_EEDaPvRmT3_T4_T5_mT6_P12ihipStream_tbENKUlT_T0_E_clISt17integral_constantIbLb1EESY_EEDaST_SU_EUlST_E_NS1_11comp_targetILNS1_3genE3ELNS1_11target_archE908ELNS1_3gpuE7ELNS1_3repE0EEENS1_30default_config_static_selectorELNS0_4arch9wavefront6targetE1EEEvT1_: ; @_ZN7rocprim17ROCPRIM_400000_NS6detail17trampoline_kernelINS0_14default_configENS1_20scan_config_selectorIN3c104HalfEEEZZNS1_9scan_implILNS1_25lookback_scan_determinismE0ELb0ELb0ES3_PKS6_PS6_S6_ZZZN2at6native31launch_logcumsumexp_cuda_kernelERKNSD_10TensorBaseESH_lENKUlvE_clEvENKUlvE3_clEvEUlS6_S6_E_S6_EEDaPvRmT3_T4_T5_mT6_P12ihipStream_tbENKUlT_T0_E_clISt17integral_constantIbLb1EESY_EEDaST_SU_EUlST_E_NS1_11comp_targetILNS1_3genE3ELNS1_11target_archE908ELNS1_3gpuE7ELNS1_3repE0EEENS1_30default_config_static_selectorELNS0_4arch9wavefront6targetE1EEEvT1_
; %bb.0:
	.section	.rodata,"a",@progbits
	.p2align	6, 0x0
	.amdhsa_kernel _ZN7rocprim17ROCPRIM_400000_NS6detail17trampoline_kernelINS0_14default_configENS1_20scan_config_selectorIN3c104HalfEEEZZNS1_9scan_implILNS1_25lookback_scan_determinismE0ELb0ELb0ES3_PKS6_PS6_S6_ZZZN2at6native31launch_logcumsumexp_cuda_kernelERKNSD_10TensorBaseESH_lENKUlvE_clEvENKUlvE3_clEvEUlS6_S6_E_S6_EEDaPvRmT3_T4_T5_mT6_P12ihipStream_tbENKUlT_T0_E_clISt17integral_constantIbLb1EESY_EEDaST_SU_EUlST_E_NS1_11comp_targetILNS1_3genE3ELNS1_11target_archE908ELNS1_3gpuE7ELNS1_3repE0EEENS1_30default_config_static_selectorELNS0_4arch9wavefront6targetE1EEEvT1_
		.amdhsa_group_segment_fixed_size 0
		.amdhsa_private_segment_fixed_size 0
		.amdhsa_kernarg_size 96
		.amdhsa_user_sgpr_count 2
		.amdhsa_user_sgpr_dispatch_ptr 0
		.amdhsa_user_sgpr_queue_ptr 0
		.amdhsa_user_sgpr_kernarg_segment_ptr 1
		.amdhsa_user_sgpr_dispatch_id 0
		.amdhsa_user_sgpr_kernarg_preload_length 0
		.amdhsa_user_sgpr_kernarg_preload_offset 0
		.amdhsa_user_sgpr_private_segment_size 0
		.amdhsa_uses_dynamic_stack 0
		.amdhsa_enable_private_segment 0
		.amdhsa_system_sgpr_workgroup_id_x 1
		.amdhsa_system_sgpr_workgroup_id_y 0
		.amdhsa_system_sgpr_workgroup_id_z 0
		.amdhsa_system_sgpr_workgroup_info 0
		.amdhsa_system_vgpr_workitem_id 0
		.amdhsa_next_free_vgpr 1
		.amdhsa_next_free_sgpr 0
		.amdhsa_accum_offset 4
		.amdhsa_reserve_vcc 0
		.amdhsa_float_round_mode_32 0
		.amdhsa_float_round_mode_16_64 0
		.amdhsa_float_denorm_mode_32 3
		.amdhsa_float_denorm_mode_16_64 3
		.amdhsa_dx10_clamp 1
		.amdhsa_ieee_mode 1
		.amdhsa_fp16_overflow 0
		.amdhsa_tg_split 0
		.amdhsa_exception_fp_ieee_invalid_op 0
		.amdhsa_exception_fp_denorm_src 0
		.amdhsa_exception_fp_ieee_div_zero 0
		.amdhsa_exception_fp_ieee_overflow 0
		.amdhsa_exception_fp_ieee_underflow 0
		.amdhsa_exception_fp_ieee_inexact 0
		.amdhsa_exception_int_div_zero 0
	.end_amdhsa_kernel
	.section	.text._ZN7rocprim17ROCPRIM_400000_NS6detail17trampoline_kernelINS0_14default_configENS1_20scan_config_selectorIN3c104HalfEEEZZNS1_9scan_implILNS1_25lookback_scan_determinismE0ELb0ELb0ES3_PKS6_PS6_S6_ZZZN2at6native31launch_logcumsumexp_cuda_kernelERKNSD_10TensorBaseESH_lENKUlvE_clEvENKUlvE3_clEvEUlS6_S6_E_S6_EEDaPvRmT3_T4_T5_mT6_P12ihipStream_tbENKUlT_T0_E_clISt17integral_constantIbLb1EESY_EEDaST_SU_EUlST_E_NS1_11comp_targetILNS1_3genE3ELNS1_11target_archE908ELNS1_3gpuE7ELNS1_3repE0EEENS1_30default_config_static_selectorELNS0_4arch9wavefront6targetE1EEEvT1_,"axG",@progbits,_ZN7rocprim17ROCPRIM_400000_NS6detail17trampoline_kernelINS0_14default_configENS1_20scan_config_selectorIN3c104HalfEEEZZNS1_9scan_implILNS1_25lookback_scan_determinismE0ELb0ELb0ES3_PKS6_PS6_S6_ZZZN2at6native31launch_logcumsumexp_cuda_kernelERKNSD_10TensorBaseESH_lENKUlvE_clEvENKUlvE3_clEvEUlS6_S6_E_S6_EEDaPvRmT3_T4_T5_mT6_P12ihipStream_tbENKUlT_T0_E_clISt17integral_constantIbLb1EESY_EEDaST_SU_EUlST_E_NS1_11comp_targetILNS1_3genE3ELNS1_11target_archE908ELNS1_3gpuE7ELNS1_3repE0EEENS1_30default_config_static_selectorELNS0_4arch9wavefront6targetE1EEEvT1_,comdat
.Lfunc_end381:
	.size	_ZN7rocprim17ROCPRIM_400000_NS6detail17trampoline_kernelINS0_14default_configENS1_20scan_config_selectorIN3c104HalfEEEZZNS1_9scan_implILNS1_25lookback_scan_determinismE0ELb0ELb0ES3_PKS6_PS6_S6_ZZZN2at6native31launch_logcumsumexp_cuda_kernelERKNSD_10TensorBaseESH_lENKUlvE_clEvENKUlvE3_clEvEUlS6_S6_E_S6_EEDaPvRmT3_T4_T5_mT6_P12ihipStream_tbENKUlT_T0_E_clISt17integral_constantIbLb1EESY_EEDaST_SU_EUlST_E_NS1_11comp_targetILNS1_3genE3ELNS1_11target_archE908ELNS1_3gpuE7ELNS1_3repE0EEENS1_30default_config_static_selectorELNS0_4arch9wavefront6targetE1EEEvT1_, .Lfunc_end381-_ZN7rocprim17ROCPRIM_400000_NS6detail17trampoline_kernelINS0_14default_configENS1_20scan_config_selectorIN3c104HalfEEEZZNS1_9scan_implILNS1_25lookback_scan_determinismE0ELb0ELb0ES3_PKS6_PS6_S6_ZZZN2at6native31launch_logcumsumexp_cuda_kernelERKNSD_10TensorBaseESH_lENKUlvE_clEvENKUlvE3_clEvEUlS6_S6_E_S6_EEDaPvRmT3_T4_T5_mT6_P12ihipStream_tbENKUlT_T0_E_clISt17integral_constantIbLb1EESY_EEDaST_SU_EUlST_E_NS1_11comp_targetILNS1_3genE3ELNS1_11target_archE908ELNS1_3gpuE7ELNS1_3repE0EEENS1_30default_config_static_selectorELNS0_4arch9wavefront6targetE1EEEvT1_
                                        ; -- End function
	.set _ZN7rocprim17ROCPRIM_400000_NS6detail17trampoline_kernelINS0_14default_configENS1_20scan_config_selectorIN3c104HalfEEEZZNS1_9scan_implILNS1_25lookback_scan_determinismE0ELb0ELb0ES3_PKS6_PS6_S6_ZZZN2at6native31launch_logcumsumexp_cuda_kernelERKNSD_10TensorBaseESH_lENKUlvE_clEvENKUlvE3_clEvEUlS6_S6_E_S6_EEDaPvRmT3_T4_T5_mT6_P12ihipStream_tbENKUlT_T0_E_clISt17integral_constantIbLb1EESY_EEDaST_SU_EUlST_E_NS1_11comp_targetILNS1_3genE3ELNS1_11target_archE908ELNS1_3gpuE7ELNS1_3repE0EEENS1_30default_config_static_selectorELNS0_4arch9wavefront6targetE1EEEvT1_.num_vgpr, 0
	.set _ZN7rocprim17ROCPRIM_400000_NS6detail17trampoline_kernelINS0_14default_configENS1_20scan_config_selectorIN3c104HalfEEEZZNS1_9scan_implILNS1_25lookback_scan_determinismE0ELb0ELb0ES3_PKS6_PS6_S6_ZZZN2at6native31launch_logcumsumexp_cuda_kernelERKNSD_10TensorBaseESH_lENKUlvE_clEvENKUlvE3_clEvEUlS6_S6_E_S6_EEDaPvRmT3_T4_T5_mT6_P12ihipStream_tbENKUlT_T0_E_clISt17integral_constantIbLb1EESY_EEDaST_SU_EUlST_E_NS1_11comp_targetILNS1_3genE3ELNS1_11target_archE908ELNS1_3gpuE7ELNS1_3repE0EEENS1_30default_config_static_selectorELNS0_4arch9wavefront6targetE1EEEvT1_.num_agpr, 0
	.set _ZN7rocprim17ROCPRIM_400000_NS6detail17trampoline_kernelINS0_14default_configENS1_20scan_config_selectorIN3c104HalfEEEZZNS1_9scan_implILNS1_25lookback_scan_determinismE0ELb0ELb0ES3_PKS6_PS6_S6_ZZZN2at6native31launch_logcumsumexp_cuda_kernelERKNSD_10TensorBaseESH_lENKUlvE_clEvENKUlvE3_clEvEUlS6_S6_E_S6_EEDaPvRmT3_T4_T5_mT6_P12ihipStream_tbENKUlT_T0_E_clISt17integral_constantIbLb1EESY_EEDaST_SU_EUlST_E_NS1_11comp_targetILNS1_3genE3ELNS1_11target_archE908ELNS1_3gpuE7ELNS1_3repE0EEENS1_30default_config_static_selectorELNS0_4arch9wavefront6targetE1EEEvT1_.numbered_sgpr, 0
	.set _ZN7rocprim17ROCPRIM_400000_NS6detail17trampoline_kernelINS0_14default_configENS1_20scan_config_selectorIN3c104HalfEEEZZNS1_9scan_implILNS1_25lookback_scan_determinismE0ELb0ELb0ES3_PKS6_PS6_S6_ZZZN2at6native31launch_logcumsumexp_cuda_kernelERKNSD_10TensorBaseESH_lENKUlvE_clEvENKUlvE3_clEvEUlS6_S6_E_S6_EEDaPvRmT3_T4_T5_mT6_P12ihipStream_tbENKUlT_T0_E_clISt17integral_constantIbLb1EESY_EEDaST_SU_EUlST_E_NS1_11comp_targetILNS1_3genE3ELNS1_11target_archE908ELNS1_3gpuE7ELNS1_3repE0EEENS1_30default_config_static_selectorELNS0_4arch9wavefront6targetE1EEEvT1_.num_named_barrier, 0
	.set _ZN7rocprim17ROCPRIM_400000_NS6detail17trampoline_kernelINS0_14default_configENS1_20scan_config_selectorIN3c104HalfEEEZZNS1_9scan_implILNS1_25lookback_scan_determinismE0ELb0ELb0ES3_PKS6_PS6_S6_ZZZN2at6native31launch_logcumsumexp_cuda_kernelERKNSD_10TensorBaseESH_lENKUlvE_clEvENKUlvE3_clEvEUlS6_S6_E_S6_EEDaPvRmT3_T4_T5_mT6_P12ihipStream_tbENKUlT_T0_E_clISt17integral_constantIbLb1EESY_EEDaST_SU_EUlST_E_NS1_11comp_targetILNS1_3genE3ELNS1_11target_archE908ELNS1_3gpuE7ELNS1_3repE0EEENS1_30default_config_static_selectorELNS0_4arch9wavefront6targetE1EEEvT1_.private_seg_size, 0
	.set _ZN7rocprim17ROCPRIM_400000_NS6detail17trampoline_kernelINS0_14default_configENS1_20scan_config_selectorIN3c104HalfEEEZZNS1_9scan_implILNS1_25lookback_scan_determinismE0ELb0ELb0ES3_PKS6_PS6_S6_ZZZN2at6native31launch_logcumsumexp_cuda_kernelERKNSD_10TensorBaseESH_lENKUlvE_clEvENKUlvE3_clEvEUlS6_S6_E_S6_EEDaPvRmT3_T4_T5_mT6_P12ihipStream_tbENKUlT_T0_E_clISt17integral_constantIbLb1EESY_EEDaST_SU_EUlST_E_NS1_11comp_targetILNS1_3genE3ELNS1_11target_archE908ELNS1_3gpuE7ELNS1_3repE0EEENS1_30default_config_static_selectorELNS0_4arch9wavefront6targetE1EEEvT1_.uses_vcc, 0
	.set _ZN7rocprim17ROCPRIM_400000_NS6detail17trampoline_kernelINS0_14default_configENS1_20scan_config_selectorIN3c104HalfEEEZZNS1_9scan_implILNS1_25lookback_scan_determinismE0ELb0ELb0ES3_PKS6_PS6_S6_ZZZN2at6native31launch_logcumsumexp_cuda_kernelERKNSD_10TensorBaseESH_lENKUlvE_clEvENKUlvE3_clEvEUlS6_S6_E_S6_EEDaPvRmT3_T4_T5_mT6_P12ihipStream_tbENKUlT_T0_E_clISt17integral_constantIbLb1EESY_EEDaST_SU_EUlST_E_NS1_11comp_targetILNS1_3genE3ELNS1_11target_archE908ELNS1_3gpuE7ELNS1_3repE0EEENS1_30default_config_static_selectorELNS0_4arch9wavefront6targetE1EEEvT1_.uses_flat_scratch, 0
	.set _ZN7rocprim17ROCPRIM_400000_NS6detail17trampoline_kernelINS0_14default_configENS1_20scan_config_selectorIN3c104HalfEEEZZNS1_9scan_implILNS1_25lookback_scan_determinismE0ELb0ELb0ES3_PKS6_PS6_S6_ZZZN2at6native31launch_logcumsumexp_cuda_kernelERKNSD_10TensorBaseESH_lENKUlvE_clEvENKUlvE3_clEvEUlS6_S6_E_S6_EEDaPvRmT3_T4_T5_mT6_P12ihipStream_tbENKUlT_T0_E_clISt17integral_constantIbLb1EESY_EEDaST_SU_EUlST_E_NS1_11comp_targetILNS1_3genE3ELNS1_11target_archE908ELNS1_3gpuE7ELNS1_3repE0EEENS1_30default_config_static_selectorELNS0_4arch9wavefront6targetE1EEEvT1_.has_dyn_sized_stack, 0
	.set _ZN7rocprim17ROCPRIM_400000_NS6detail17trampoline_kernelINS0_14default_configENS1_20scan_config_selectorIN3c104HalfEEEZZNS1_9scan_implILNS1_25lookback_scan_determinismE0ELb0ELb0ES3_PKS6_PS6_S6_ZZZN2at6native31launch_logcumsumexp_cuda_kernelERKNSD_10TensorBaseESH_lENKUlvE_clEvENKUlvE3_clEvEUlS6_S6_E_S6_EEDaPvRmT3_T4_T5_mT6_P12ihipStream_tbENKUlT_T0_E_clISt17integral_constantIbLb1EESY_EEDaST_SU_EUlST_E_NS1_11comp_targetILNS1_3genE3ELNS1_11target_archE908ELNS1_3gpuE7ELNS1_3repE0EEENS1_30default_config_static_selectorELNS0_4arch9wavefront6targetE1EEEvT1_.has_recursion, 0
	.set _ZN7rocprim17ROCPRIM_400000_NS6detail17trampoline_kernelINS0_14default_configENS1_20scan_config_selectorIN3c104HalfEEEZZNS1_9scan_implILNS1_25lookback_scan_determinismE0ELb0ELb0ES3_PKS6_PS6_S6_ZZZN2at6native31launch_logcumsumexp_cuda_kernelERKNSD_10TensorBaseESH_lENKUlvE_clEvENKUlvE3_clEvEUlS6_S6_E_S6_EEDaPvRmT3_T4_T5_mT6_P12ihipStream_tbENKUlT_T0_E_clISt17integral_constantIbLb1EESY_EEDaST_SU_EUlST_E_NS1_11comp_targetILNS1_3genE3ELNS1_11target_archE908ELNS1_3gpuE7ELNS1_3repE0EEENS1_30default_config_static_selectorELNS0_4arch9wavefront6targetE1EEEvT1_.has_indirect_call, 0
	.section	.AMDGPU.csdata,"",@progbits
; Kernel info:
; codeLenInByte = 0
; TotalNumSgprs: 6
; NumVgprs: 0
; NumAgprs: 0
; TotalNumVgprs: 0
; ScratchSize: 0
; MemoryBound: 0
; FloatMode: 240
; IeeeMode: 1
; LDSByteSize: 0 bytes/workgroup (compile time only)
; SGPRBlocks: 0
; VGPRBlocks: 0
; NumSGPRsForWavesPerEU: 6
; NumVGPRsForWavesPerEU: 1
; AccumOffset: 4
; Occupancy: 8
; WaveLimiterHint : 0
; COMPUTE_PGM_RSRC2:SCRATCH_EN: 0
; COMPUTE_PGM_RSRC2:USER_SGPR: 2
; COMPUTE_PGM_RSRC2:TRAP_HANDLER: 0
; COMPUTE_PGM_RSRC2:TGID_X_EN: 1
; COMPUTE_PGM_RSRC2:TGID_Y_EN: 0
; COMPUTE_PGM_RSRC2:TGID_Z_EN: 0
; COMPUTE_PGM_RSRC2:TIDIG_COMP_CNT: 0
; COMPUTE_PGM_RSRC3_GFX90A:ACCUM_OFFSET: 0
; COMPUTE_PGM_RSRC3_GFX90A:TG_SPLIT: 0
	.section	.text._ZN7rocprim17ROCPRIM_400000_NS6detail17trampoline_kernelINS0_14default_configENS1_20scan_config_selectorIN3c104HalfEEEZZNS1_9scan_implILNS1_25lookback_scan_determinismE0ELb0ELb0ES3_PKS6_PS6_S6_ZZZN2at6native31launch_logcumsumexp_cuda_kernelERKNSD_10TensorBaseESH_lENKUlvE_clEvENKUlvE3_clEvEUlS6_S6_E_S6_EEDaPvRmT3_T4_T5_mT6_P12ihipStream_tbENKUlT_T0_E_clISt17integral_constantIbLb1EESY_EEDaST_SU_EUlST_E_NS1_11comp_targetILNS1_3genE2ELNS1_11target_archE906ELNS1_3gpuE6ELNS1_3repE0EEENS1_30default_config_static_selectorELNS0_4arch9wavefront6targetE1EEEvT1_,"axG",@progbits,_ZN7rocprim17ROCPRIM_400000_NS6detail17trampoline_kernelINS0_14default_configENS1_20scan_config_selectorIN3c104HalfEEEZZNS1_9scan_implILNS1_25lookback_scan_determinismE0ELb0ELb0ES3_PKS6_PS6_S6_ZZZN2at6native31launch_logcumsumexp_cuda_kernelERKNSD_10TensorBaseESH_lENKUlvE_clEvENKUlvE3_clEvEUlS6_S6_E_S6_EEDaPvRmT3_T4_T5_mT6_P12ihipStream_tbENKUlT_T0_E_clISt17integral_constantIbLb1EESY_EEDaST_SU_EUlST_E_NS1_11comp_targetILNS1_3genE2ELNS1_11target_archE906ELNS1_3gpuE6ELNS1_3repE0EEENS1_30default_config_static_selectorELNS0_4arch9wavefront6targetE1EEEvT1_,comdat
	.globl	_ZN7rocprim17ROCPRIM_400000_NS6detail17trampoline_kernelINS0_14default_configENS1_20scan_config_selectorIN3c104HalfEEEZZNS1_9scan_implILNS1_25lookback_scan_determinismE0ELb0ELb0ES3_PKS6_PS6_S6_ZZZN2at6native31launch_logcumsumexp_cuda_kernelERKNSD_10TensorBaseESH_lENKUlvE_clEvENKUlvE3_clEvEUlS6_S6_E_S6_EEDaPvRmT3_T4_T5_mT6_P12ihipStream_tbENKUlT_T0_E_clISt17integral_constantIbLb1EESY_EEDaST_SU_EUlST_E_NS1_11comp_targetILNS1_3genE2ELNS1_11target_archE906ELNS1_3gpuE6ELNS1_3repE0EEENS1_30default_config_static_selectorELNS0_4arch9wavefront6targetE1EEEvT1_ ; -- Begin function _ZN7rocprim17ROCPRIM_400000_NS6detail17trampoline_kernelINS0_14default_configENS1_20scan_config_selectorIN3c104HalfEEEZZNS1_9scan_implILNS1_25lookback_scan_determinismE0ELb0ELb0ES3_PKS6_PS6_S6_ZZZN2at6native31launch_logcumsumexp_cuda_kernelERKNSD_10TensorBaseESH_lENKUlvE_clEvENKUlvE3_clEvEUlS6_S6_E_S6_EEDaPvRmT3_T4_T5_mT6_P12ihipStream_tbENKUlT_T0_E_clISt17integral_constantIbLb1EESY_EEDaST_SU_EUlST_E_NS1_11comp_targetILNS1_3genE2ELNS1_11target_archE906ELNS1_3gpuE6ELNS1_3repE0EEENS1_30default_config_static_selectorELNS0_4arch9wavefront6targetE1EEEvT1_
	.p2align	8
	.type	_ZN7rocprim17ROCPRIM_400000_NS6detail17trampoline_kernelINS0_14default_configENS1_20scan_config_selectorIN3c104HalfEEEZZNS1_9scan_implILNS1_25lookback_scan_determinismE0ELb0ELb0ES3_PKS6_PS6_S6_ZZZN2at6native31launch_logcumsumexp_cuda_kernelERKNSD_10TensorBaseESH_lENKUlvE_clEvENKUlvE3_clEvEUlS6_S6_E_S6_EEDaPvRmT3_T4_T5_mT6_P12ihipStream_tbENKUlT_T0_E_clISt17integral_constantIbLb1EESY_EEDaST_SU_EUlST_E_NS1_11comp_targetILNS1_3genE2ELNS1_11target_archE906ELNS1_3gpuE6ELNS1_3repE0EEENS1_30default_config_static_selectorELNS0_4arch9wavefront6targetE1EEEvT1_,@function
_ZN7rocprim17ROCPRIM_400000_NS6detail17trampoline_kernelINS0_14default_configENS1_20scan_config_selectorIN3c104HalfEEEZZNS1_9scan_implILNS1_25lookback_scan_determinismE0ELb0ELb0ES3_PKS6_PS6_S6_ZZZN2at6native31launch_logcumsumexp_cuda_kernelERKNSD_10TensorBaseESH_lENKUlvE_clEvENKUlvE3_clEvEUlS6_S6_E_S6_EEDaPvRmT3_T4_T5_mT6_P12ihipStream_tbENKUlT_T0_E_clISt17integral_constantIbLb1EESY_EEDaST_SU_EUlST_E_NS1_11comp_targetILNS1_3genE2ELNS1_11target_archE906ELNS1_3gpuE6ELNS1_3repE0EEENS1_30default_config_static_selectorELNS0_4arch9wavefront6targetE1EEEvT1_: ; @_ZN7rocprim17ROCPRIM_400000_NS6detail17trampoline_kernelINS0_14default_configENS1_20scan_config_selectorIN3c104HalfEEEZZNS1_9scan_implILNS1_25lookback_scan_determinismE0ELb0ELb0ES3_PKS6_PS6_S6_ZZZN2at6native31launch_logcumsumexp_cuda_kernelERKNSD_10TensorBaseESH_lENKUlvE_clEvENKUlvE3_clEvEUlS6_S6_E_S6_EEDaPvRmT3_T4_T5_mT6_P12ihipStream_tbENKUlT_T0_E_clISt17integral_constantIbLb1EESY_EEDaST_SU_EUlST_E_NS1_11comp_targetILNS1_3genE2ELNS1_11target_archE906ELNS1_3gpuE6ELNS1_3repE0EEENS1_30default_config_static_selectorELNS0_4arch9wavefront6targetE1EEEvT1_
; %bb.0:
	.section	.rodata,"a",@progbits
	.p2align	6, 0x0
	.amdhsa_kernel _ZN7rocprim17ROCPRIM_400000_NS6detail17trampoline_kernelINS0_14default_configENS1_20scan_config_selectorIN3c104HalfEEEZZNS1_9scan_implILNS1_25lookback_scan_determinismE0ELb0ELb0ES3_PKS6_PS6_S6_ZZZN2at6native31launch_logcumsumexp_cuda_kernelERKNSD_10TensorBaseESH_lENKUlvE_clEvENKUlvE3_clEvEUlS6_S6_E_S6_EEDaPvRmT3_T4_T5_mT6_P12ihipStream_tbENKUlT_T0_E_clISt17integral_constantIbLb1EESY_EEDaST_SU_EUlST_E_NS1_11comp_targetILNS1_3genE2ELNS1_11target_archE906ELNS1_3gpuE6ELNS1_3repE0EEENS1_30default_config_static_selectorELNS0_4arch9wavefront6targetE1EEEvT1_
		.amdhsa_group_segment_fixed_size 0
		.amdhsa_private_segment_fixed_size 0
		.amdhsa_kernarg_size 96
		.amdhsa_user_sgpr_count 2
		.amdhsa_user_sgpr_dispatch_ptr 0
		.amdhsa_user_sgpr_queue_ptr 0
		.amdhsa_user_sgpr_kernarg_segment_ptr 1
		.amdhsa_user_sgpr_dispatch_id 0
		.amdhsa_user_sgpr_kernarg_preload_length 0
		.amdhsa_user_sgpr_kernarg_preload_offset 0
		.amdhsa_user_sgpr_private_segment_size 0
		.amdhsa_uses_dynamic_stack 0
		.amdhsa_enable_private_segment 0
		.amdhsa_system_sgpr_workgroup_id_x 1
		.amdhsa_system_sgpr_workgroup_id_y 0
		.amdhsa_system_sgpr_workgroup_id_z 0
		.amdhsa_system_sgpr_workgroup_info 0
		.amdhsa_system_vgpr_workitem_id 0
		.amdhsa_next_free_vgpr 1
		.amdhsa_next_free_sgpr 0
		.amdhsa_accum_offset 4
		.amdhsa_reserve_vcc 0
		.amdhsa_float_round_mode_32 0
		.amdhsa_float_round_mode_16_64 0
		.amdhsa_float_denorm_mode_32 3
		.amdhsa_float_denorm_mode_16_64 3
		.amdhsa_dx10_clamp 1
		.amdhsa_ieee_mode 1
		.amdhsa_fp16_overflow 0
		.amdhsa_tg_split 0
		.amdhsa_exception_fp_ieee_invalid_op 0
		.amdhsa_exception_fp_denorm_src 0
		.amdhsa_exception_fp_ieee_div_zero 0
		.amdhsa_exception_fp_ieee_overflow 0
		.amdhsa_exception_fp_ieee_underflow 0
		.amdhsa_exception_fp_ieee_inexact 0
		.amdhsa_exception_int_div_zero 0
	.end_amdhsa_kernel
	.section	.text._ZN7rocprim17ROCPRIM_400000_NS6detail17trampoline_kernelINS0_14default_configENS1_20scan_config_selectorIN3c104HalfEEEZZNS1_9scan_implILNS1_25lookback_scan_determinismE0ELb0ELb0ES3_PKS6_PS6_S6_ZZZN2at6native31launch_logcumsumexp_cuda_kernelERKNSD_10TensorBaseESH_lENKUlvE_clEvENKUlvE3_clEvEUlS6_S6_E_S6_EEDaPvRmT3_T4_T5_mT6_P12ihipStream_tbENKUlT_T0_E_clISt17integral_constantIbLb1EESY_EEDaST_SU_EUlST_E_NS1_11comp_targetILNS1_3genE2ELNS1_11target_archE906ELNS1_3gpuE6ELNS1_3repE0EEENS1_30default_config_static_selectorELNS0_4arch9wavefront6targetE1EEEvT1_,"axG",@progbits,_ZN7rocprim17ROCPRIM_400000_NS6detail17trampoline_kernelINS0_14default_configENS1_20scan_config_selectorIN3c104HalfEEEZZNS1_9scan_implILNS1_25lookback_scan_determinismE0ELb0ELb0ES3_PKS6_PS6_S6_ZZZN2at6native31launch_logcumsumexp_cuda_kernelERKNSD_10TensorBaseESH_lENKUlvE_clEvENKUlvE3_clEvEUlS6_S6_E_S6_EEDaPvRmT3_T4_T5_mT6_P12ihipStream_tbENKUlT_T0_E_clISt17integral_constantIbLb1EESY_EEDaST_SU_EUlST_E_NS1_11comp_targetILNS1_3genE2ELNS1_11target_archE906ELNS1_3gpuE6ELNS1_3repE0EEENS1_30default_config_static_selectorELNS0_4arch9wavefront6targetE1EEEvT1_,comdat
.Lfunc_end382:
	.size	_ZN7rocprim17ROCPRIM_400000_NS6detail17trampoline_kernelINS0_14default_configENS1_20scan_config_selectorIN3c104HalfEEEZZNS1_9scan_implILNS1_25lookback_scan_determinismE0ELb0ELb0ES3_PKS6_PS6_S6_ZZZN2at6native31launch_logcumsumexp_cuda_kernelERKNSD_10TensorBaseESH_lENKUlvE_clEvENKUlvE3_clEvEUlS6_S6_E_S6_EEDaPvRmT3_T4_T5_mT6_P12ihipStream_tbENKUlT_T0_E_clISt17integral_constantIbLb1EESY_EEDaST_SU_EUlST_E_NS1_11comp_targetILNS1_3genE2ELNS1_11target_archE906ELNS1_3gpuE6ELNS1_3repE0EEENS1_30default_config_static_selectorELNS0_4arch9wavefront6targetE1EEEvT1_, .Lfunc_end382-_ZN7rocprim17ROCPRIM_400000_NS6detail17trampoline_kernelINS0_14default_configENS1_20scan_config_selectorIN3c104HalfEEEZZNS1_9scan_implILNS1_25lookback_scan_determinismE0ELb0ELb0ES3_PKS6_PS6_S6_ZZZN2at6native31launch_logcumsumexp_cuda_kernelERKNSD_10TensorBaseESH_lENKUlvE_clEvENKUlvE3_clEvEUlS6_S6_E_S6_EEDaPvRmT3_T4_T5_mT6_P12ihipStream_tbENKUlT_T0_E_clISt17integral_constantIbLb1EESY_EEDaST_SU_EUlST_E_NS1_11comp_targetILNS1_3genE2ELNS1_11target_archE906ELNS1_3gpuE6ELNS1_3repE0EEENS1_30default_config_static_selectorELNS0_4arch9wavefront6targetE1EEEvT1_
                                        ; -- End function
	.set _ZN7rocprim17ROCPRIM_400000_NS6detail17trampoline_kernelINS0_14default_configENS1_20scan_config_selectorIN3c104HalfEEEZZNS1_9scan_implILNS1_25lookback_scan_determinismE0ELb0ELb0ES3_PKS6_PS6_S6_ZZZN2at6native31launch_logcumsumexp_cuda_kernelERKNSD_10TensorBaseESH_lENKUlvE_clEvENKUlvE3_clEvEUlS6_S6_E_S6_EEDaPvRmT3_T4_T5_mT6_P12ihipStream_tbENKUlT_T0_E_clISt17integral_constantIbLb1EESY_EEDaST_SU_EUlST_E_NS1_11comp_targetILNS1_3genE2ELNS1_11target_archE906ELNS1_3gpuE6ELNS1_3repE0EEENS1_30default_config_static_selectorELNS0_4arch9wavefront6targetE1EEEvT1_.num_vgpr, 0
	.set _ZN7rocprim17ROCPRIM_400000_NS6detail17trampoline_kernelINS0_14default_configENS1_20scan_config_selectorIN3c104HalfEEEZZNS1_9scan_implILNS1_25lookback_scan_determinismE0ELb0ELb0ES3_PKS6_PS6_S6_ZZZN2at6native31launch_logcumsumexp_cuda_kernelERKNSD_10TensorBaseESH_lENKUlvE_clEvENKUlvE3_clEvEUlS6_S6_E_S6_EEDaPvRmT3_T4_T5_mT6_P12ihipStream_tbENKUlT_T0_E_clISt17integral_constantIbLb1EESY_EEDaST_SU_EUlST_E_NS1_11comp_targetILNS1_3genE2ELNS1_11target_archE906ELNS1_3gpuE6ELNS1_3repE0EEENS1_30default_config_static_selectorELNS0_4arch9wavefront6targetE1EEEvT1_.num_agpr, 0
	.set _ZN7rocprim17ROCPRIM_400000_NS6detail17trampoline_kernelINS0_14default_configENS1_20scan_config_selectorIN3c104HalfEEEZZNS1_9scan_implILNS1_25lookback_scan_determinismE0ELb0ELb0ES3_PKS6_PS6_S6_ZZZN2at6native31launch_logcumsumexp_cuda_kernelERKNSD_10TensorBaseESH_lENKUlvE_clEvENKUlvE3_clEvEUlS6_S6_E_S6_EEDaPvRmT3_T4_T5_mT6_P12ihipStream_tbENKUlT_T0_E_clISt17integral_constantIbLb1EESY_EEDaST_SU_EUlST_E_NS1_11comp_targetILNS1_3genE2ELNS1_11target_archE906ELNS1_3gpuE6ELNS1_3repE0EEENS1_30default_config_static_selectorELNS0_4arch9wavefront6targetE1EEEvT1_.numbered_sgpr, 0
	.set _ZN7rocprim17ROCPRIM_400000_NS6detail17trampoline_kernelINS0_14default_configENS1_20scan_config_selectorIN3c104HalfEEEZZNS1_9scan_implILNS1_25lookback_scan_determinismE0ELb0ELb0ES3_PKS6_PS6_S6_ZZZN2at6native31launch_logcumsumexp_cuda_kernelERKNSD_10TensorBaseESH_lENKUlvE_clEvENKUlvE3_clEvEUlS6_S6_E_S6_EEDaPvRmT3_T4_T5_mT6_P12ihipStream_tbENKUlT_T0_E_clISt17integral_constantIbLb1EESY_EEDaST_SU_EUlST_E_NS1_11comp_targetILNS1_3genE2ELNS1_11target_archE906ELNS1_3gpuE6ELNS1_3repE0EEENS1_30default_config_static_selectorELNS0_4arch9wavefront6targetE1EEEvT1_.num_named_barrier, 0
	.set _ZN7rocprim17ROCPRIM_400000_NS6detail17trampoline_kernelINS0_14default_configENS1_20scan_config_selectorIN3c104HalfEEEZZNS1_9scan_implILNS1_25lookback_scan_determinismE0ELb0ELb0ES3_PKS6_PS6_S6_ZZZN2at6native31launch_logcumsumexp_cuda_kernelERKNSD_10TensorBaseESH_lENKUlvE_clEvENKUlvE3_clEvEUlS6_S6_E_S6_EEDaPvRmT3_T4_T5_mT6_P12ihipStream_tbENKUlT_T0_E_clISt17integral_constantIbLb1EESY_EEDaST_SU_EUlST_E_NS1_11comp_targetILNS1_3genE2ELNS1_11target_archE906ELNS1_3gpuE6ELNS1_3repE0EEENS1_30default_config_static_selectorELNS0_4arch9wavefront6targetE1EEEvT1_.private_seg_size, 0
	.set _ZN7rocprim17ROCPRIM_400000_NS6detail17trampoline_kernelINS0_14default_configENS1_20scan_config_selectorIN3c104HalfEEEZZNS1_9scan_implILNS1_25lookback_scan_determinismE0ELb0ELb0ES3_PKS6_PS6_S6_ZZZN2at6native31launch_logcumsumexp_cuda_kernelERKNSD_10TensorBaseESH_lENKUlvE_clEvENKUlvE3_clEvEUlS6_S6_E_S6_EEDaPvRmT3_T4_T5_mT6_P12ihipStream_tbENKUlT_T0_E_clISt17integral_constantIbLb1EESY_EEDaST_SU_EUlST_E_NS1_11comp_targetILNS1_3genE2ELNS1_11target_archE906ELNS1_3gpuE6ELNS1_3repE0EEENS1_30default_config_static_selectorELNS0_4arch9wavefront6targetE1EEEvT1_.uses_vcc, 0
	.set _ZN7rocprim17ROCPRIM_400000_NS6detail17trampoline_kernelINS0_14default_configENS1_20scan_config_selectorIN3c104HalfEEEZZNS1_9scan_implILNS1_25lookback_scan_determinismE0ELb0ELb0ES3_PKS6_PS6_S6_ZZZN2at6native31launch_logcumsumexp_cuda_kernelERKNSD_10TensorBaseESH_lENKUlvE_clEvENKUlvE3_clEvEUlS6_S6_E_S6_EEDaPvRmT3_T4_T5_mT6_P12ihipStream_tbENKUlT_T0_E_clISt17integral_constantIbLb1EESY_EEDaST_SU_EUlST_E_NS1_11comp_targetILNS1_3genE2ELNS1_11target_archE906ELNS1_3gpuE6ELNS1_3repE0EEENS1_30default_config_static_selectorELNS0_4arch9wavefront6targetE1EEEvT1_.uses_flat_scratch, 0
	.set _ZN7rocprim17ROCPRIM_400000_NS6detail17trampoline_kernelINS0_14default_configENS1_20scan_config_selectorIN3c104HalfEEEZZNS1_9scan_implILNS1_25lookback_scan_determinismE0ELb0ELb0ES3_PKS6_PS6_S6_ZZZN2at6native31launch_logcumsumexp_cuda_kernelERKNSD_10TensorBaseESH_lENKUlvE_clEvENKUlvE3_clEvEUlS6_S6_E_S6_EEDaPvRmT3_T4_T5_mT6_P12ihipStream_tbENKUlT_T0_E_clISt17integral_constantIbLb1EESY_EEDaST_SU_EUlST_E_NS1_11comp_targetILNS1_3genE2ELNS1_11target_archE906ELNS1_3gpuE6ELNS1_3repE0EEENS1_30default_config_static_selectorELNS0_4arch9wavefront6targetE1EEEvT1_.has_dyn_sized_stack, 0
	.set _ZN7rocprim17ROCPRIM_400000_NS6detail17trampoline_kernelINS0_14default_configENS1_20scan_config_selectorIN3c104HalfEEEZZNS1_9scan_implILNS1_25lookback_scan_determinismE0ELb0ELb0ES3_PKS6_PS6_S6_ZZZN2at6native31launch_logcumsumexp_cuda_kernelERKNSD_10TensorBaseESH_lENKUlvE_clEvENKUlvE3_clEvEUlS6_S6_E_S6_EEDaPvRmT3_T4_T5_mT6_P12ihipStream_tbENKUlT_T0_E_clISt17integral_constantIbLb1EESY_EEDaST_SU_EUlST_E_NS1_11comp_targetILNS1_3genE2ELNS1_11target_archE906ELNS1_3gpuE6ELNS1_3repE0EEENS1_30default_config_static_selectorELNS0_4arch9wavefront6targetE1EEEvT1_.has_recursion, 0
	.set _ZN7rocprim17ROCPRIM_400000_NS6detail17trampoline_kernelINS0_14default_configENS1_20scan_config_selectorIN3c104HalfEEEZZNS1_9scan_implILNS1_25lookback_scan_determinismE0ELb0ELb0ES3_PKS6_PS6_S6_ZZZN2at6native31launch_logcumsumexp_cuda_kernelERKNSD_10TensorBaseESH_lENKUlvE_clEvENKUlvE3_clEvEUlS6_S6_E_S6_EEDaPvRmT3_T4_T5_mT6_P12ihipStream_tbENKUlT_T0_E_clISt17integral_constantIbLb1EESY_EEDaST_SU_EUlST_E_NS1_11comp_targetILNS1_3genE2ELNS1_11target_archE906ELNS1_3gpuE6ELNS1_3repE0EEENS1_30default_config_static_selectorELNS0_4arch9wavefront6targetE1EEEvT1_.has_indirect_call, 0
	.section	.AMDGPU.csdata,"",@progbits
; Kernel info:
; codeLenInByte = 0
; TotalNumSgprs: 6
; NumVgprs: 0
; NumAgprs: 0
; TotalNumVgprs: 0
; ScratchSize: 0
; MemoryBound: 0
; FloatMode: 240
; IeeeMode: 1
; LDSByteSize: 0 bytes/workgroup (compile time only)
; SGPRBlocks: 0
; VGPRBlocks: 0
; NumSGPRsForWavesPerEU: 6
; NumVGPRsForWavesPerEU: 1
; AccumOffset: 4
; Occupancy: 8
; WaveLimiterHint : 0
; COMPUTE_PGM_RSRC2:SCRATCH_EN: 0
; COMPUTE_PGM_RSRC2:USER_SGPR: 2
; COMPUTE_PGM_RSRC2:TRAP_HANDLER: 0
; COMPUTE_PGM_RSRC2:TGID_X_EN: 1
; COMPUTE_PGM_RSRC2:TGID_Y_EN: 0
; COMPUTE_PGM_RSRC2:TGID_Z_EN: 0
; COMPUTE_PGM_RSRC2:TIDIG_COMP_CNT: 0
; COMPUTE_PGM_RSRC3_GFX90A:ACCUM_OFFSET: 0
; COMPUTE_PGM_RSRC3_GFX90A:TG_SPLIT: 0
	.section	.text._ZN7rocprim17ROCPRIM_400000_NS6detail17trampoline_kernelINS0_14default_configENS1_20scan_config_selectorIN3c104HalfEEEZZNS1_9scan_implILNS1_25lookback_scan_determinismE0ELb0ELb0ES3_PKS6_PS6_S6_ZZZN2at6native31launch_logcumsumexp_cuda_kernelERKNSD_10TensorBaseESH_lENKUlvE_clEvENKUlvE3_clEvEUlS6_S6_E_S6_EEDaPvRmT3_T4_T5_mT6_P12ihipStream_tbENKUlT_T0_E_clISt17integral_constantIbLb1EESY_EEDaST_SU_EUlST_E_NS1_11comp_targetILNS1_3genE10ELNS1_11target_archE1201ELNS1_3gpuE5ELNS1_3repE0EEENS1_30default_config_static_selectorELNS0_4arch9wavefront6targetE1EEEvT1_,"axG",@progbits,_ZN7rocprim17ROCPRIM_400000_NS6detail17trampoline_kernelINS0_14default_configENS1_20scan_config_selectorIN3c104HalfEEEZZNS1_9scan_implILNS1_25lookback_scan_determinismE0ELb0ELb0ES3_PKS6_PS6_S6_ZZZN2at6native31launch_logcumsumexp_cuda_kernelERKNSD_10TensorBaseESH_lENKUlvE_clEvENKUlvE3_clEvEUlS6_S6_E_S6_EEDaPvRmT3_T4_T5_mT6_P12ihipStream_tbENKUlT_T0_E_clISt17integral_constantIbLb1EESY_EEDaST_SU_EUlST_E_NS1_11comp_targetILNS1_3genE10ELNS1_11target_archE1201ELNS1_3gpuE5ELNS1_3repE0EEENS1_30default_config_static_selectorELNS0_4arch9wavefront6targetE1EEEvT1_,comdat
	.globl	_ZN7rocprim17ROCPRIM_400000_NS6detail17trampoline_kernelINS0_14default_configENS1_20scan_config_selectorIN3c104HalfEEEZZNS1_9scan_implILNS1_25lookback_scan_determinismE0ELb0ELb0ES3_PKS6_PS6_S6_ZZZN2at6native31launch_logcumsumexp_cuda_kernelERKNSD_10TensorBaseESH_lENKUlvE_clEvENKUlvE3_clEvEUlS6_S6_E_S6_EEDaPvRmT3_T4_T5_mT6_P12ihipStream_tbENKUlT_T0_E_clISt17integral_constantIbLb1EESY_EEDaST_SU_EUlST_E_NS1_11comp_targetILNS1_3genE10ELNS1_11target_archE1201ELNS1_3gpuE5ELNS1_3repE0EEENS1_30default_config_static_selectorELNS0_4arch9wavefront6targetE1EEEvT1_ ; -- Begin function _ZN7rocprim17ROCPRIM_400000_NS6detail17trampoline_kernelINS0_14default_configENS1_20scan_config_selectorIN3c104HalfEEEZZNS1_9scan_implILNS1_25lookback_scan_determinismE0ELb0ELb0ES3_PKS6_PS6_S6_ZZZN2at6native31launch_logcumsumexp_cuda_kernelERKNSD_10TensorBaseESH_lENKUlvE_clEvENKUlvE3_clEvEUlS6_S6_E_S6_EEDaPvRmT3_T4_T5_mT6_P12ihipStream_tbENKUlT_T0_E_clISt17integral_constantIbLb1EESY_EEDaST_SU_EUlST_E_NS1_11comp_targetILNS1_3genE10ELNS1_11target_archE1201ELNS1_3gpuE5ELNS1_3repE0EEENS1_30default_config_static_selectorELNS0_4arch9wavefront6targetE1EEEvT1_
	.p2align	8
	.type	_ZN7rocprim17ROCPRIM_400000_NS6detail17trampoline_kernelINS0_14default_configENS1_20scan_config_selectorIN3c104HalfEEEZZNS1_9scan_implILNS1_25lookback_scan_determinismE0ELb0ELb0ES3_PKS6_PS6_S6_ZZZN2at6native31launch_logcumsumexp_cuda_kernelERKNSD_10TensorBaseESH_lENKUlvE_clEvENKUlvE3_clEvEUlS6_S6_E_S6_EEDaPvRmT3_T4_T5_mT6_P12ihipStream_tbENKUlT_T0_E_clISt17integral_constantIbLb1EESY_EEDaST_SU_EUlST_E_NS1_11comp_targetILNS1_3genE10ELNS1_11target_archE1201ELNS1_3gpuE5ELNS1_3repE0EEENS1_30default_config_static_selectorELNS0_4arch9wavefront6targetE1EEEvT1_,@function
_ZN7rocprim17ROCPRIM_400000_NS6detail17trampoline_kernelINS0_14default_configENS1_20scan_config_selectorIN3c104HalfEEEZZNS1_9scan_implILNS1_25lookback_scan_determinismE0ELb0ELb0ES3_PKS6_PS6_S6_ZZZN2at6native31launch_logcumsumexp_cuda_kernelERKNSD_10TensorBaseESH_lENKUlvE_clEvENKUlvE3_clEvEUlS6_S6_E_S6_EEDaPvRmT3_T4_T5_mT6_P12ihipStream_tbENKUlT_T0_E_clISt17integral_constantIbLb1EESY_EEDaST_SU_EUlST_E_NS1_11comp_targetILNS1_3genE10ELNS1_11target_archE1201ELNS1_3gpuE5ELNS1_3repE0EEENS1_30default_config_static_selectorELNS0_4arch9wavefront6targetE1EEEvT1_: ; @_ZN7rocprim17ROCPRIM_400000_NS6detail17trampoline_kernelINS0_14default_configENS1_20scan_config_selectorIN3c104HalfEEEZZNS1_9scan_implILNS1_25lookback_scan_determinismE0ELb0ELb0ES3_PKS6_PS6_S6_ZZZN2at6native31launch_logcumsumexp_cuda_kernelERKNSD_10TensorBaseESH_lENKUlvE_clEvENKUlvE3_clEvEUlS6_S6_E_S6_EEDaPvRmT3_T4_T5_mT6_P12ihipStream_tbENKUlT_T0_E_clISt17integral_constantIbLb1EESY_EEDaST_SU_EUlST_E_NS1_11comp_targetILNS1_3genE10ELNS1_11target_archE1201ELNS1_3gpuE5ELNS1_3repE0EEENS1_30default_config_static_selectorELNS0_4arch9wavefront6targetE1EEEvT1_
; %bb.0:
	.section	.rodata,"a",@progbits
	.p2align	6, 0x0
	.amdhsa_kernel _ZN7rocprim17ROCPRIM_400000_NS6detail17trampoline_kernelINS0_14default_configENS1_20scan_config_selectorIN3c104HalfEEEZZNS1_9scan_implILNS1_25lookback_scan_determinismE0ELb0ELb0ES3_PKS6_PS6_S6_ZZZN2at6native31launch_logcumsumexp_cuda_kernelERKNSD_10TensorBaseESH_lENKUlvE_clEvENKUlvE3_clEvEUlS6_S6_E_S6_EEDaPvRmT3_T4_T5_mT6_P12ihipStream_tbENKUlT_T0_E_clISt17integral_constantIbLb1EESY_EEDaST_SU_EUlST_E_NS1_11comp_targetILNS1_3genE10ELNS1_11target_archE1201ELNS1_3gpuE5ELNS1_3repE0EEENS1_30default_config_static_selectorELNS0_4arch9wavefront6targetE1EEEvT1_
		.amdhsa_group_segment_fixed_size 0
		.amdhsa_private_segment_fixed_size 0
		.amdhsa_kernarg_size 96
		.amdhsa_user_sgpr_count 2
		.amdhsa_user_sgpr_dispatch_ptr 0
		.amdhsa_user_sgpr_queue_ptr 0
		.amdhsa_user_sgpr_kernarg_segment_ptr 1
		.amdhsa_user_sgpr_dispatch_id 0
		.amdhsa_user_sgpr_kernarg_preload_length 0
		.amdhsa_user_sgpr_kernarg_preload_offset 0
		.amdhsa_user_sgpr_private_segment_size 0
		.amdhsa_uses_dynamic_stack 0
		.amdhsa_enable_private_segment 0
		.amdhsa_system_sgpr_workgroup_id_x 1
		.amdhsa_system_sgpr_workgroup_id_y 0
		.amdhsa_system_sgpr_workgroup_id_z 0
		.amdhsa_system_sgpr_workgroup_info 0
		.amdhsa_system_vgpr_workitem_id 0
		.amdhsa_next_free_vgpr 1
		.amdhsa_next_free_sgpr 0
		.amdhsa_accum_offset 4
		.amdhsa_reserve_vcc 0
		.amdhsa_float_round_mode_32 0
		.amdhsa_float_round_mode_16_64 0
		.amdhsa_float_denorm_mode_32 3
		.amdhsa_float_denorm_mode_16_64 3
		.amdhsa_dx10_clamp 1
		.amdhsa_ieee_mode 1
		.amdhsa_fp16_overflow 0
		.amdhsa_tg_split 0
		.amdhsa_exception_fp_ieee_invalid_op 0
		.amdhsa_exception_fp_denorm_src 0
		.amdhsa_exception_fp_ieee_div_zero 0
		.amdhsa_exception_fp_ieee_overflow 0
		.amdhsa_exception_fp_ieee_underflow 0
		.amdhsa_exception_fp_ieee_inexact 0
		.amdhsa_exception_int_div_zero 0
	.end_amdhsa_kernel
	.section	.text._ZN7rocprim17ROCPRIM_400000_NS6detail17trampoline_kernelINS0_14default_configENS1_20scan_config_selectorIN3c104HalfEEEZZNS1_9scan_implILNS1_25lookback_scan_determinismE0ELb0ELb0ES3_PKS6_PS6_S6_ZZZN2at6native31launch_logcumsumexp_cuda_kernelERKNSD_10TensorBaseESH_lENKUlvE_clEvENKUlvE3_clEvEUlS6_S6_E_S6_EEDaPvRmT3_T4_T5_mT6_P12ihipStream_tbENKUlT_T0_E_clISt17integral_constantIbLb1EESY_EEDaST_SU_EUlST_E_NS1_11comp_targetILNS1_3genE10ELNS1_11target_archE1201ELNS1_3gpuE5ELNS1_3repE0EEENS1_30default_config_static_selectorELNS0_4arch9wavefront6targetE1EEEvT1_,"axG",@progbits,_ZN7rocprim17ROCPRIM_400000_NS6detail17trampoline_kernelINS0_14default_configENS1_20scan_config_selectorIN3c104HalfEEEZZNS1_9scan_implILNS1_25lookback_scan_determinismE0ELb0ELb0ES3_PKS6_PS6_S6_ZZZN2at6native31launch_logcumsumexp_cuda_kernelERKNSD_10TensorBaseESH_lENKUlvE_clEvENKUlvE3_clEvEUlS6_S6_E_S6_EEDaPvRmT3_T4_T5_mT6_P12ihipStream_tbENKUlT_T0_E_clISt17integral_constantIbLb1EESY_EEDaST_SU_EUlST_E_NS1_11comp_targetILNS1_3genE10ELNS1_11target_archE1201ELNS1_3gpuE5ELNS1_3repE0EEENS1_30default_config_static_selectorELNS0_4arch9wavefront6targetE1EEEvT1_,comdat
.Lfunc_end383:
	.size	_ZN7rocprim17ROCPRIM_400000_NS6detail17trampoline_kernelINS0_14default_configENS1_20scan_config_selectorIN3c104HalfEEEZZNS1_9scan_implILNS1_25lookback_scan_determinismE0ELb0ELb0ES3_PKS6_PS6_S6_ZZZN2at6native31launch_logcumsumexp_cuda_kernelERKNSD_10TensorBaseESH_lENKUlvE_clEvENKUlvE3_clEvEUlS6_S6_E_S6_EEDaPvRmT3_T4_T5_mT6_P12ihipStream_tbENKUlT_T0_E_clISt17integral_constantIbLb1EESY_EEDaST_SU_EUlST_E_NS1_11comp_targetILNS1_3genE10ELNS1_11target_archE1201ELNS1_3gpuE5ELNS1_3repE0EEENS1_30default_config_static_selectorELNS0_4arch9wavefront6targetE1EEEvT1_, .Lfunc_end383-_ZN7rocprim17ROCPRIM_400000_NS6detail17trampoline_kernelINS0_14default_configENS1_20scan_config_selectorIN3c104HalfEEEZZNS1_9scan_implILNS1_25lookback_scan_determinismE0ELb0ELb0ES3_PKS6_PS6_S6_ZZZN2at6native31launch_logcumsumexp_cuda_kernelERKNSD_10TensorBaseESH_lENKUlvE_clEvENKUlvE3_clEvEUlS6_S6_E_S6_EEDaPvRmT3_T4_T5_mT6_P12ihipStream_tbENKUlT_T0_E_clISt17integral_constantIbLb1EESY_EEDaST_SU_EUlST_E_NS1_11comp_targetILNS1_3genE10ELNS1_11target_archE1201ELNS1_3gpuE5ELNS1_3repE0EEENS1_30default_config_static_selectorELNS0_4arch9wavefront6targetE1EEEvT1_
                                        ; -- End function
	.set _ZN7rocprim17ROCPRIM_400000_NS6detail17trampoline_kernelINS0_14default_configENS1_20scan_config_selectorIN3c104HalfEEEZZNS1_9scan_implILNS1_25lookback_scan_determinismE0ELb0ELb0ES3_PKS6_PS6_S6_ZZZN2at6native31launch_logcumsumexp_cuda_kernelERKNSD_10TensorBaseESH_lENKUlvE_clEvENKUlvE3_clEvEUlS6_S6_E_S6_EEDaPvRmT3_T4_T5_mT6_P12ihipStream_tbENKUlT_T0_E_clISt17integral_constantIbLb1EESY_EEDaST_SU_EUlST_E_NS1_11comp_targetILNS1_3genE10ELNS1_11target_archE1201ELNS1_3gpuE5ELNS1_3repE0EEENS1_30default_config_static_selectorELNS0_4arch9wavefront6targetE1EEEvT1_.num_vgpr, 0
	.set _ZN7rocprim17ROCPRIM_400000_NS6detail17trampoline_kernelINS0_14default_configENS1_20scan_config_selectorIN3c104HalfEEEZZNS1_9scan_implILNS1_25lookback_scan_determinismE0ELb0ELb0ES3_PKS6_PS6_S6_ZZZN2at6native31launch_logcumsumexp_cuda_kernelERKNSD_10TensorBaseESH_lENKUlvE_clEvENKUlvE3_clEvEUlS6_S6_E_S6_EEDaPvRmT3_T4_T5_mT6_P12ihipStream_tbENKUlT_T0_E_clISt17integral_constantIbLb1EESY_EEDaST_SU_EUlST_E_NS1_11comp_targetILNS1_3genE10ELNS1_11target_archE1201ELNS1_3gpuE5ELNS1_3repE0EEENS1_30default_config_static_selectorELNS0_4arch9wavefront6targetE1EEEvT1_.num_agpr, 0
	.set _ZN7rocprim17ROCPRIM_400000_NS6detail17trampoline_kernelINS0_14default_configENS1_20scan_config_selectorIN3c104HalfEEEZZNS1_9scan_implILNS1_25lookback_scan_determinismE0ELb0ELb0ES3_PKS6_PS6_S6_ZZZN2at6native31launch_logcumsumexp_cuda_kernelERKNSD_10TensorBaseESH_lENKUlvE_clEvENKUlvE3_clEvEUlS6_S6_E_S6_EEDaPvRmT3_T4_T5_mT6_P12ihipStream_tbENKUlT_T0_E_clISt17integral_constantIbLb1EESY_EEDaST_SU_EUlST_E_NS1_11comp_targetILNS1_3genE10ELNS1_11target_archE1201ELNS1_3gpuE5ELNS1_3repE0EEENS1_30default_config_static_selectorELNS0_4arch9wavefront6targetE1EEEvT1_.numbered_sgpr, 0
	.set _ZN7rocprim17ROCPRIM_400000_NS6detail17trampoline_kernelINS0_14default_configENS1_20scan_config_selectorIN3c104HalfEEEZZNS1_9scan_implILNS1_25lookback_scan_determinismE0ELb0ELb0ES3_PKS6_PS6_S6_ZZZN2at6native31launch_logcumsumexp_cuda_kernelERKNSD_10TensorBaseESH_lENKUlvE_clEvENKUlvE3_clEvEUlS6_S6_E_S6_EEDaPvRmT3_T4_T5_mT6_P12ihipStream_tbENKUlT_T0_E_clISt17integral_constantIbLb1EESY_EEDaST_SU_EUlST_E_NS1_11comp_targetILNS1_3genE10ELNS1_11target_archE1201ELNS1_3gpuE5ELNS1_3repE0EEENS1_30default_config_static_selectorELNS0_4arch9wavefront6targetE1EEEvT1_.num_named_barrier, 0
	.set _ZN7rocprim17ROCPRIM_400000_NS6detail17trampoline_kernelINS0_14default_configENS1_20scan_config_selectorIN3c104HalfEEEZZNS1_9scan_implILNS1_25lookback_scan_determinismE0ELb0ELb0ES3_PKS6_PS6_S6_ZZZN2at6native31launch_logcumsumexp_cuda_kernelERKNSD_10TensorBaseESH_lENKUlvE_clEvENKUlvE3_clEvEUlS6_S6_E_S6_EEDaPvRmT3_T4_T5_mT6_P12ihipStream_tbENKUlT_T0_E_clISt17integral_constantIbLb1EESY_EEDaST_SU_EUlST_E_NS1_11comp_targetILNS1_3genE10ELNS1_11target_archE1201ELNS1_3gpuE5ELNS1_3repE0EEENS1_30default_config_static_selectorELNS0_4arch9wavefront6targetE1EEEvT1_.private_seg_size, 0
	.set _ZN7rocprim17ROCPRIM_400000_NS6detail17trampoline_kernelINS0_14default_configENS1_20scan_config_selectorIN3c104HalfEEEZZNS1_9scan_implILNS1_25lookback_scan_determinismE0ELb0ELb0ES3_PKS6_PS6_S6_ZZZN2at6native31launch_logcumsumexp_cuda_kernelERKNSD_10TensorBaseESH_lENKUlvE_clEvENKUlvE3_clEvEUlS6_S6_E_S6_EEDaPvRmT3_T4_T5_mT6_P12ihipStream_tbENKUlT_T0_E_clISt17integral_constantIbLb1EESY_EEDaST_SU_EUlST_E_NS1_11comp_targetILNS1_3genE10ELNS1_11target_archE1201ELNS1_3gpuE5ELNS1_3repE0EEENS1_30default_config_static_selectorELNS0_4arch9wavefront6targetE1EEEvT1_.uses_vcc, 0
	.set _ZN7rocprim17ROCPRIM_400000_NS6detail17trampoline_kernelINS0_14default_configENS1_20scan_config_selectorIN3c104HalfEEEZZNS1_9scan_implILNS1_25lookback_scan_determinismE0ELb0ELb0ES3_PKS6_PS6_S6_ZZZN2at6native31launch_logcumsumexp_cuda_kernelERKNSD_10TensorBaseESH_lENKUlvE_clEvENKUlvE3_clEvEUlS6_S6_E_S6_EEDaPvRmT3_T4_T5_mT6_P12ihipStream_tbENKUlT_T0_E_clISt17integral_constantIbLb1EESY_EEDaST_SU_EUlST_E_NS1_11comp_targetILNS1_3genE10ELNS1_11target_archE1201ELNS1_3gpuE5ELNS1_3repE0EEENS1_30default_config_static_selectorELNS0_4arch9wavefront6targetE1EEEvT1_.uses_flat_scratch, 0
	.set _ZN7rocprim17ROCPRIM_400000_NS6detail17trampoline_kernelINS0_14default_configENS1_20scan_config_selectorIN3c104HalfEEEZZNS1_9scan_implILNS1_25lookback_scan_determinismE0ELb0ELb0ES3_PKS6_PS6_S6_ZZZN2at6native31launch_logcumsumexp_cuda_kernelERKNSD_10TensorBaseESH_lENKUlvE_clEvENKUlvE3_clEvEUlS6_S6_E_S6_EEDaPvRmT3_T4_T5_mT6_P12ihipStream_tbENKUlT_T0_E_clISt17integral_constantIbLb1EESY_EEDaST_SU_EUlST_E_NS1_11comp_targetILNS1_3genE10ELNS1_11target_archE1201ELNS1_3gpuE5ELNS1_3repE0EEENS1_30default_config_static_selectorELNS0_4arch9wavefront6targetE1EEEvT1_.has_dyn_sized_stack, 0
	.set _ZN7rocprim17ROCPRIM_400000_NS6detail17trampoline_kernelINS0_14default_configENS1_20scan_config_selectorIN3c104HalfEEEZZNS1_9scan_implILNS1_25lookback_scan_determinismE0ELb0ELb0ES3_PKS6_PS6_S6_ZZZN2at6native31launch_logcumsumexp_cuda_kernelERKNSD_10TensorBaseESH_lENKUlvE_clEvENKUlvE3_clEvEUlS6_S6_E_S6_EEDaPvRmT3_T4_T5_mT6_P12ihipStream_tbENKUlT_T0_E_clISt17integral_constantIbLb1EESY_EEDaST_SU_EUlST_E_NS1_11comp_targetILNS1_3genE10ELNS1_11target_archE1201ELNS1_3gpuE5ELNS1_3repE0EEENS1_30default_config_static_selectorELNS0_4arch9wavefront6targetE1EEEvT1_.has_recursion, 0
	.set _ZN7rocprim17ROCPRIM_400000_NS6detail17trampoline_kernelINS0_14default_configENS1_20scan_config_selectorIN3c104HalfEEEZZNS1_9scan_implILNS1_25lookback_scan_determinismE0ELb0ELb0ES3_PKS6_PS6_S6_ZZZN2at6native31launch_logcumsumexp_cuda_kernelERKNSD_10TensorBaseESH_lENKUlvE_clEvENKUlvE3_clEvEUlS6_S6_E_S6_EEDaPvRmT3_T4_T5_mT6_P12ihipStream_tbENKUlT_T0_E_clISt17integral_constantIbLb1EESY_EEDaST_SU_EUlST_E_NS1_11comp_targetILNS1_3genE10ELNS1_11target_archE1201ELNS1_3gpuE5ELNS1_3repE0EEENS1_30default_config_static_selectorELNS0_4arch9wavefront6targetE1EEEvT1_.has_indirect_call, 0
	.section	.AMDGPU.csdata,"",@progbits
; Kernel info:
; codeLenInByte = 0
; TotalNumSgprs: 6
; NumVgprs: 0
; NumAgprs: 0
; TotalNumVgprs: 0
; ScratchSize: 0
; MemoryBound: 0
; FloatMode: 240
; IeeeMode: 1
; LDSByteSize: 0 bytes/workgroup (compile time only)
; SGPRBlocks: 0
; VGPRBlocks: 0
; NumSGPRsForWavesPerEU: 6
; NumVGPRsForWavesPerEU: 1
; AccumOffset: 4
; Occupancy: 8
; WaveLimiterHint : 0
; COMPUTE_PGM_RSRC2:SCRATCH_EN: 0
; COMPUTE_PGM_RSRC2:USER_SGPR: 2
; COMPUTE_PGM_RSRC2:TRAP_HANDLER: 0
; COMPUTE_PGM_RSRC2:TGID_X_EN: 1
; COMPUTE_PGM_RSRC2:TGID_Y_EN: 0
; COMPUTE_PGM_RSRC2:TGID_Z_EN: 0
; COMPUTE_PGM_RSRC2:TIDIG_COMP_CNT: 0
; COMPUTE_PGM_RSRC3_GFX90A:ACCUM_OFFSET: 0
; COMPUTE_PGM_RSRC3_GFX90A:TG_SPLIT: 0
	.section	.text._ZN7rocprim17ROCPRIM_400000_NS6detail17trampoline_kernelINS0_14default_configENS1_20scan_config_selectorIN3c104HalfEEEZZNS1_9scan_implILNS1_25lookback_scan_determinismE0ELb0ELb0ES3_PKS6_PS6_S6_ZZZN2at6native31launch_logcumsumexp_cuda_kernelERKNSD_10TensorBaseESH_lENKUlvE_clEvENKUlvE3_clEvEUlS6_S6_E_S6_EEDaPvRmT3_T4_T5_mT6_P12ihipStream_tbENKUlT_T0_E_clISt17integral_constantIbLb1EESY_EEDaST_SU_EUlST_E_NS1_11comp_targetILNS1_3genE10ELNS1_11target_archE1200ELNS1_3gpuE4ELNS1_3repE0EEENS1_30default_config_static_selectorELNS0_4arch9wavefront6targetE1EEEvT1_,"axG",@progbits,_ZN7rocprim17ROCPRIM_400000_NS6detail17trampoline_kernelINS0_14default_configENS1_20scan_config_selectorIN3c104HalfEEEZZNS1_9scan_implILNS1_25lookback_scan_determinismE0ELb0ELb0ES3_PKS6_PS6_S6_ZZZN2at6native31launch_logcumsumexp_cuda_kernelERKNSD_10TensorBaseESH_lENKUlvE_clEvENKUlvE3_clEvEUlS6_S6_E_S6_EEDaPvRmT3_T4_T5_mT6_P12ihipStream_tbENKUlT_T0_E_clISt17integral_constantIbLb1EESY_EEDaST_SU_EUlST_E_NS1_11comp_targetILNS1_3genE10ELNS1_11target_archE1200ELNS1_3gpuE4ELNS1_3repE0EEENS1_30default_config_static_selectorELNS0_4arch9wavefront6targetE1EEEvT1_,comdat
	.globl	_ZN7rocprim17ROCPRIM_400000_NS6detail17trampoline_kernelINS0_14default_configENS1_20scan_config_selectorIN3c104HalfEEEZZNS1_9scan_implILNS1_25lookback_scan_determinismE0ELb0ELb0ES3_PKS6_PS6_S6_ZZZN2at6native31launch_logcumsumexp_cuda_kernelERKNSD_10TensorBaseESH_lENKUlvE_clEvENKUlvE3_clEvEUlS6_S6_E_S6_EEDaPvRmT3_T4_T5_mT6_P12ihipStream_tbENKUlT_T0_E_clISt17integral_constantIbLb1EESY_EEDaST_SU_EUlST_E_NS1_11comp_targetILNS1_3genE10ELNS1_11target_archE1200ELNS1_3gpuE4ELNS1_3repE0EEENS1_30default_config_static_selectorELNS0_4arch9wavefront6targetE1EEEvT1_ ; -- Begin function _ZN7rocprim17ROCPRIM_400000_NS6detail17trampoline_kernelINS0_14default_configENS1_20scan_config_selectorIN3c104HalfEEEZZNS1_9scan_implILNS1_25lookback_scan_determinismE0ELb0ELb0ES3_PKS6_PS6_S6_ZZZN2at6native31launch_logcumsumexp_cuda_kernelERKNSD_10TensorBaseESH_lENKUlvE_clEvENKUlvE3_clEvEUlS6_S6_E_S6_EEDaPvRmT3_T4_T5_mT6_P12ihipStream_tbENKUlT_T0_E_clISt17integral_constantIbLb1EESY_EEDaST_SU_EUlST_E_NS1_11comp_targetILNS1_3genE10ELNS1_11target_archE1200ELNS1_3gpuE4ELNS1_3repE0EEENS1_30default_config_static_selectorELNS0_4arch9wavefront6targetE1EEEvT1_
	.p2align	8
	.type	_ZN7rocprim17ROCPRIM_400000_NS6detail17trampoline_kernelINS0_14default_configENS1_20scan_config_selectorIN3c104HalfEEEZZNS1_9scan_implILNS1_25lookback_scan_determinismE0ELb0ELb0ES3_PKS6_PS6_S6_ZZZN2at6native31launch_logcumsumexp_cuda_kernelERKNSD_10TensorBaseESH_lENKUlvE_clEvENKUlvE3_clEvEUlS6_S6_E_S6_EEDaPvRmT3_T4_T5_mT6_P12ihipStream_tbENKUlT_T0_E_clISt17integral_constantIbLb1EESY_EEDaST_SU_EUlST_E_NS1_11comp_targetILNS1_3genE10ELNS1_11target_archE1200ELNS1_3gpuE4ELNS1_3repE0EEENS1_30default_config_static_selectorELNS0_4arch9wavefront6targetE1EEEvT1_,@function
_ZN7rocprim17ROCPRIM_400000_NS6detail17trampoline_kernelINS0_14default_configENS1_20scan_config_selectorIN3c104HalfEEEZZNS1_9scan_implILNS1_25lookback_scan_determinismE0ELb0ELb0ES3_PKS6_PS6_S6_ZZZN2at6native31launch_logcumsumexp_cuda_kernelERKNSD_10TensorBaseESH_lENKUlvE_clEvENKUlvE3_clEvEUlS6_S6_E_S6_EEDaPvRmT3_T4_T5_mT6_P12ihipStream_tbENKUlT_T0_E_clISt17integral_constantIbLb1EESY_EEDaST_SU_EUlST_E_NS1_11comp_targetILNS1_3genE10ELNS1_11target_archE1200ELNS1_3gpuE4ELNS1_3repE0EEENS1_30default_config_static_selectorELNS0_4arch9wavefront6targetE1EEEvT1_: ; @_ZN7rocprim17ROCPRIM_400000_NS6detail17trampoline_kernelINS0_14default_configENS1_20scan_config_selectorIN3c104HalfEEEZZNS1_9scan_implILNS1_25lookback_scan_determinismE0ELb0ELb0ES3_PKS6_PS6_S6_ZZZN2at6native31launch_logcumsumexp_cuda_kernelERKNSD_10TensorBaseESH_lENKUlvE_clEvENKUlvE3_clEvEUlS6_S6_E_S6_EEDaPvRmT3_T4_T5_mT6_P12ihipStream_tbENKUlT_T0_E_clISt17integral_constantIbLb1EESY_EEDaST_SU_EUlST_E_NS1_11comp_targetILNS1_3genE10ELNS1_11target_archE1200ELNS1_3gpuE4ELNS1_3repE0EEENS1_30default_config_static_selectorELNS0_4arch9wavefront6targetE1EEEvT1_
; %bb.0:
	.section	.rodata,"a",@progbits
	.p2align	6, 0x0
	.amdhsa_kernel _ZN7rocprim17ROCPRIM_400000_NS6detail17trampoline_kernelINS0_14default_configENS1_20scan_config_selectorIN3c104HalfEEEZZNS1_9scan_implILNS1_25lookback_scan_determinismE0ELb0ELb0ES3_PKS6_PS6_S6_ZZZN2at6native31launch_logcumsumexp_cuda_kernelERKNSD_10TensorBaseESH_lENKUlvE_clEvENKUlvE3_clEvEUlS6_S6_E_S6_EEDaPvRmT3_T4_T5_mT6_P12ihipStream_tbENKUlT_T0_E_clISt17integral_constantIbLb1EESY_EEDaST_SU_EUlST_E_NS1_11comp_targetILNS1_3genE10ELNS1_11target_archE1200ELNS1_3gpuE4ELNS1_3repE0EEENS1_30default_config_static_selectorELNS0_4arch9wavefront6targetE1EEEvT1_
		.amdhsa_group_segment_fixed_size 0
		.amdhsa_private_segment_fixed_size 0
		.amdhsa_kernarg_size 96
		.amdhsa_user_sgpr_count 2
		.amdhsa_user_sgpr_dispatch_ptr 0
		.amdhsa_user_sgpr_queue_ptr 0
		.amdhsa_user_sgpr_kernarg_segment_ptr 1
		.amdhsa_user_sgpr_dispatch_id 0
		.amdhsa_user_sgpr_kernarg_preload_length 0
		.amdhsa_user_sgpr_kernarg_preload_offset 0
		.amdhsa_user_sgpr_private_segment_size 0
		.amdhsa_uses_dynamic_stack 0
		.amdhsa_enable_private_segment 0
		.amdhsa_system_sgpr_workgroup_id_x 1
		.amdhsa_system_sgpr_workgroup_id_y 0
		.amdhsa_system_sgpr_workgroup_id_z 0
		.amdhsa_system_sgpr_workgroup_info 0
		.amdhsa_system_vgpr_workitem_id 0
		.amdhsa_next_free_vgpr 1
		.amdhsa_next_free_sgpr 0
		.amdhsa_accum_offset 4
		.amdhsa_reserve_vcc 0
		.amdhsa_float_round_mode_32 0
		.amdhsa_float_round_mode_16_64 0
		.amdhsa_float_denorm_mode_32 3
		.amdhsa_float_denorm_mode_16_64 3
		.amdhsa_dx10_clamp 1
		.amdhsa_ieee_mode 1
		.amdhsa_fp16_overflow 0
		.amdhsa_tg_split 0
		.amdhsa_exception_fp_ieee_invalid_op 0
		.amdhsa_exception_fp_denorm_src 0
		.amdhsa_exception_fp_ieee_div_zero 0
		.amdhsa_exception_fp_ieee_overflow 0
		.amdhsa_exception_fp_ieee_underflow 0
		.amdhsa_exception_fp_ieee_inexact 0
		.amdhsa_exception_int_div_zero 0
	.end_amdhsa_kernel
	.section	.text._ZN7rocprim17ROCPRIM_400000_NS6detail17trampoline_kernelINS0_14default_configENS1_20scan_config_selectorIN3c104HalfEEEZZNS1_9scan_implILNS1_25lookback_scan_determinismE0ELb0ELb0ES3_PKS6_PS6_S6_ZZZN2at6native31launch_logcumsumexp_cuda_kernelERKNSD_10TensorBaseESH_lENKUlvE_clEvENKUlvE3_clEvEUlS6_S6_E_S6_EEDaPvRmT3_T4_T5_mT6_P12ihipStream_tbENKUlT_T0_E_clISt17integral_constantIbLb1EESY_EEDaST_SU_EUlST_E_NS1_11comp_targetILNS1_3genE10ELNS1_11target_archE1200ELNS1_3gpuE4ELNS1_3repE0EEENS1_30default_config_static_selectorELNS0_4arch9wavefront6targetE1EEEvT1_,"axG",@progbits,_ZN7rocprim17ROCPRIM_400000_NS6detail17trampoline_kernelINS0_14default_configENS1_20scan_config_selectorIN3c104HalfEEEZZNS1_9scan_implILNS1_25lookback_scan_determinismE0ELb0ELb0ES3_PKS6_PS6_S6_ZZZN2at6native31launch_logcumsumexp_cuda_kernelERKNSD_10TensorBaseESH_lENKUlvE_clEvENKUlvE3_clEvEUlS6_S6_E_S6_EEDaPvRmT3_T4_T5_mT6_P12ihipStream_tbENKUlT_T0_E_clISt17integral_constantIbLb1EESY_EEDaST_SU_EUlST_E_NS1_11comp_targetILNS1_3genE10ELNS1_11target_archE1200ELNS1_3gpuE4ELNS1_3repE0EEENS1_30default_config_static_selectorELNS0_4arch9wavefront6targetE1EEEvT1_,comdat
.Lfunc_end384:
	.size	_ZN7rocprim17ROCPRIM_400000_NS6detail17trampoline_kernelINS0_14default_configENS1_20scan_config_selectorIN3c104HalfEEEZZNS1_9scan_implILNS1_25lookback_scan_determinismE0ELb0ELb0ES3_PKS6_PS6_S6_ZZZN2at6native31launch_logcumsumexp_cuda_kernelERKNSD_10TensorBaseESH_lENKUlvE_clEvENKUlvE3_clEvEUlS6_S6_E_S6_EEDaPvRmT3_T4_T5_mT6_P12ihipStream_tbENKUlT_T0_E_clISt17integral_constantIbLb1EESY_EEDaST_SU_EUlST_E_NS1_11comp_targetILNS1_3genE10ELNS1_11target_archE1200ELNS1_3gpuE4ELNS1_3repE0EEENS1_30default_config_static_selectorELNS0_4arch9wavefront6targetE1EEEvT1_, .Lfunc_end384-_ZN7rocprim17ROCPRIM_400000_NS6detail17trampoline_kernelINS0_14default_configENS1_20scan_config_selectorIN3c104HalfEEEZZNS1_9scan_implILNS1_25lookback_scan_determinismE0ELb0ELb0ES3_PKS6_PS6_S6_ZZZN2at6native31launch_logcumsumexp_cuda_kernelERKNSD_10TensorBaseESH_lENKUlvE_clEvENKUlvE3_clEvEUlS6_S6_E_S6_EEDaPvRmT3_T4_T5_mT6_P12ihipStream_tbENKUlT_T0_E_clISt17integral_constantIbLb1EESY_EEDaST_SU_EUlST_E_NS1_11comp_targetILNS1_3genE10ELNS1_11target_archE1200ELNS1_3gpuE4ELNS1_3repE0EEENS1_30default_config_static_selectorELNS0_4arch9wavefront6targetE1EEEvT1_
                                        ; -- End function
	.set _ZN7rocprim17ROCPRIM_400000_NS6detail17trampoline_kernelINS0_14default_configENS1_20scan_config_selectorIN3c104HalfEEEZZNS1_9scan_implILNS1_25lookback_scan_determinismE0ELb0ELb0ES3_PKS6_PS6_S6_ZZZN2at6native31launch_logcumsumexp_cuda_kernelERKNSD_10TensorBaseESH_lENKUlvE_clEvENKUlvE3_clEvEUlS6_S6_E_S6_EEDaPvRmT3_T4_T5_mT6_P12ihipStream_tbENKUlT_T0_E_clISt17integral_constantIbLb1EESY_EEDaST_SU_EUlST_E_NS1_11comp_targetILNS1_3genE10ELNS1_11target_archE1200ELNS1_3gpuE4ELNS1_3repE0EEENS1_30default_config_static_selectorELNS0_4arch9wavefront6targetE1EEEvT1_.num_vgpr, 0
	.set _ZN7rocprim17ROCPRIM_400000_NS6detail17trampoline_kernelINS0_14default_configENS1_20scan_config_selectorIN3c104HalfEEEZZNS1_9scan_implILNS1_25lookback_scan_determinismE0ELb0ELb0ES3_PKS6_PS6_S6_ZZZN2at6native31launch_logcumsumexp_cuda_kernelERKNSD_10TensorBaseESH_lENKUlvE_clEvENKUlvE3_clEvEUlS6_S6_E_S6_EEDaPvRmT3_T4_T5_mT6_P12ihipStream_tbENKUlT_T0_E_clISt17integral_constantIbLb1EESY_EEDaST_SU_EUlST_E_NS1_11comp_targetILNS1_3genE10ELNS1_11target_archE1200ELNS1_3gpuE4ELNS1_3repE0EEENS1_30default_config_static_selectorELNS0_4arch9wavefront6targetE1EEEvT1_.num_agpr, 0
	.set _ZN7rocprim17ROCPRIM_400000_NS6detail17trampoline_kernelINS0_14default_configENS1_20scan_config_selectorIN3c104HalfEEEZZNS1_9scan_implILNS1_25lookback_scan_determinismE0ELb0ELb0ES3_PKS6_PS6_S6_ZZZN2at6native31launch_logcumsumexp_cuda_kernelERKNSD_10TensorBaseESH_lENKUlvE_clEvENKUlvE3_clEvEUlS6_S6_E_S6_EEDaPvRmT3_T4_T5_mT6_P12ihipStream_tbENKUlT_T0_E_clISt17integral_constantIbLb1EESY_EEDaST_SU_EUlST_E_NS1_11comp_targetILNS1_3genE10ELNS1_11target_archE1200ELNS1_3gpuE4ELNS1_3repE0EEENS1_30default_config_static_selectorELNS0_4arch9wavefront6targetE1EEEvT1_.numbered_sgpr, 0
	.set _ZN7rocprim17ROCPRIM_400000_NS6detail17trampoline_kernelINS0_14default_configENS1_20scan_config_selectorIN3c104HalfEEEZZNS1_9scan_implILNS1_25lookback_scan_determinismE0ELb0ELb0ES3_PKS6_PS6_S6_ZZZN2at6native31launch_logcumsumexp_cuda_kernelERKNSD_10TensorBaseESH_lENKUlvE_clEvENKUlvE3_clEvEUlS6_S6_E_S6_EEDaPvRmT3_T4_T5_mT6_P12ihipStream_tbENKUlT_T0_E_clISt17integral_constantIbLb1EESY_EEDaST_SU_EUlST_E_NS1_11comp_targetILNS1_3genE10ELNS1_11target_archE1200ELNS1_3gpuE4ELNS1_3repE0EEENS1_30default_config_static_selectorELNS0_4arch9wavefront6targetE1EEEvT1_.num_named_barrier, 0
	.set _ZN7rocprim17ROCPRIM_400000_NS6detail17trampoline_kernelINS0_14default_configENS1_20scan_config_selectorIN3c104HalfEEEZZNS1_9scan_implILNS1_25lookback_scan_determinismE0ELb0ELb0ES3_PKS6_PS6_S6_ZZZN2at6native31launch_logcumsumexp_cuda_kernelERKNSD_10TensorBaseESH_lENKUlvE_clEvENKUlvE3_clEvEUlS6_S6_E_S6_EEDaPvRmT3_T4_T5_mT6_P12ihipStream_tbENKUlT_T0_E_clISt17integral_constantIbLb1EESY_EEDaST_SU_EUlST_E_NS1_11comp_targetILNS1_3genE10ELNS1_11target_archE1200ELNS1_3gpuE4ELNS1_3repE0EEENS1_30default_config_static_selectorELNS0_4arch9wavefront6targetE1EEEvT1_.private_seg_size, 0
	.set _ZN7rocprim17ROCPRIM_400000_NS6detail17trampoline_kernelINS0_14default_configENS1_20scan_config_selectorIN3c104HalfEEEZZNS1_9scan_implILNS1_25lookback_scan_determinismE0ELb0ELb0ES3_PKS6_PS6_S6_ZZZN2at6native31launch_logcumsumexp_cuda_kernelERKNSD_10TensorBaseESH_lENKUlvE_clEvENKUlvE3_clEvEUlS6_S6_E_S6_EEDaPvRmT3_T4_T5_mT6_P12ihipStream_tbENKUlT_T0_E_clISt17integral_constantIbLb1EESY_EEDaST_SU_EUlST_E_NS1_11comp_targetILNS1_3genE10ELNS1_11target_archE1200ELNS1_3gpuE4ELNS1_3repE0EEENS1_30default_config_static_selectorELNS0_4arch9wavefront6targetE1EEEvT1_.uses_vcc, 0
	.set _ZN7rocprim17ROCPRIM_400000_NS6detail17trampoline_kernelINS0_14default_configENS1_20scan_config_selectorIN3c104HalfEEEZZNS1_9scan_implILNS1_25lookback_scan_determinismE0ELb0ELb0ES3_PKS6_PS6_S6_ZZZN2at6native31launch_logcumsumexp_cuda_kernelERKNSD_10TensorBaseESH_lENKUlvE_clEvENKUlvE3_clEvEUlS6_S6_E_S6_EEDaPvRmT3_T4_T5_mT6_P12ihipStream_tbENKUlT_T0_E_clISt17integral_constantIbLb1EESY_EEDaST_SU_EUlST_E_NS1_11comp_targetILNS1_3genE10ELNS1_11target_archE1200ELNS1_3gpuE4ELNS1_3repE0EEENS1_30default_config_static_selectorELNS0_4arch9wavefront6targetE1EEEvT1_.uses_flat_scratch, 0
	.set _ZN7rocprim17ROCPRIM_400000_NS6detail17trampoline_kernelINS0_14default_configENS1_20scan_config_selectorIN3c104HalfEEEZZNS1_9scan_implILNS1_25lookback_scan_determinismE0ELb0ELb0ES3_PKS6_PS6_S6_ZZZN2at6native31launch_logcumsumexp_cuda_kernelERKNSD_10TensorBaseESH_lENKUlvE_clEvENKUlvE3_clEvEUlS6_S6_E_S6_EEDaPvRmT3_T4_T5_mT6_P12ihipStream_tbENKUlT_T0_E_clISt17integral_constantIbLb1EESY_EEDaST_SU_EUlST_E_NS1_11comp_targetILNS1_3genE10ELNS1_11target_archE1200ELNS1_3gpuE4ELNS1_3repE0EEENS1_30default_config_static_selectorELNS0_4arch9wavefront6targetE1EEEvT1_.has_dyn_sized_stack, 0
	.set _ZN7rocprim17ROCPRIM_400000_NS6detail17trampoline_kernelINS0_14default_configENS1_20scan_config_selectorIN3c104HalfEEEZZNS1_9scan_implILNS1_25lookback_scan_determinismE0ELb0ELb0ES3_PKS6_PS6_S6_ZZZN2at6native31launch_logcumsumexp_cuda_kernelERKNSD_10TensorBaseESH_lENKUlvE_clEvENKUlvE3_clEvEUlS6_S6_E_S6_EEDaPvRmT3_T4_T5_mT6_P12ihipStream_tbENKUlT_T0_E_clISt17integral_constantIbLb1EESY_EEDaST_SU_EUlST_E_NS1_11comp_targetILNS1_3genE10ELNS1_11target_archE1200ELNS1_3gpuE4ELNS1_3repE0EEENS1_30default_config_static_selectorELNS0_4arch9wavefront6targetE1EEEvT1_.has_recursion, 0
	.set _ZN7rocprim17ROCPRIM_400000_NS6detail17trampoline_kernelINS0_14default_configENS1_20scan_config_selectorIN3c104HalfEEEZZNS1_9scan_implILNS1_25lookback_scan_determinismE0ELb0ELb0ES3_PKS6_PS6_S6_ZZZN2at6native31launch_logcumsumexp_cuda_kernelERKNSD_10TensorBaseESH_lENKUlvE_clEvENKUlvE3_clEvEUlS6_S6_E_S6_EEDaPvRmT3_T4_T5_mT6_P12ihipStream_tbENKUlT_T0_E_clISt17integral_constantIbLb1EESY_EEDaST_SU_EUlST_E_NS1_11comp_targetILNS1_3genE10ELNS1_11target_archE1200ELNS1_3gpuE4ELNS1_3repE0EEENS1_30default_config_static_selectorELNS0_4arch9wavefront6targetE1EEEvT1_.has_indirect_call, 0
	.section	.AMDGPU.csdata,"",@progbits
; Kernel info:
; codeLenInByte = 0
; TotalNumSgprs: 6
; NumVgprs: 0
; NumAgprs: 0
; TotalNumVgprs: 0
; ScratchSize: 0
; MemoryBound: 0
; FloatMode: 240
; IeeeMode: 1
; LDSByteSize: 0 bytes/workgroup (compile time only)
; SGPRBlocks: 0
; VGPRBlocks: 0
; NumSGPRsForWavesPerEU: 6
; NumVGPRsForWavesPerEU: 1
; AccumOffset: 4
; Occupancy: 8
; WaveLimiterHint : 0
; COMPUTE_PGM_RSRC2:SCRATCH_EN: 0
; COMPUTE_PGM_RSRC2:USER_SGPR: 2
; COMPUTE_PGM_RSRC2:TRAP_HANDLER: 0
; COMPUTE_PGM_RSRC2:TGID_X_EN: 1
; COMPUTE_PGM_RSRC2:TGID_Y_EN: 0
; COMPUTE_PGM_RSRC2:TGID_Z_EN: 0
; COMPUTE_PGM_RSRC2:TIDIG_COMP_CNT: 0
; COMPUTE_PGM_RSRC3_GFX90A:ACCUM_OFFSET: 0
; COMPUTE_PGM_RSRC3_GFX90A:TG_SPLIT: 0
	.section	.text._ZN7rocprim17ROCPRIM_400000_NS6detail17trampoline_kernelINS0_14default_configENS1_20scan_config_selectorIN3c104HalfEEEZZNS1_9scan_implILNS1_25lookback_scan_determinismE0ELb0ELb0ES3_PKS6_PS6_S6_ZZZN2at6native31launch_logcumsumexp_cuda_kernelERKNSD_10TensorBaseESH_lENKUlvE_clEvENKUlvE3_clEvEUlS6_S6_E_S6_EEDaPvRmT3_T4_T5_mT6_P12ihipStream_tbENKUlT_T0_E_clISt17integral_constantIbLb1EESY_EEDaST_SU_EUlST_E_NS1_11comp_targetILNS1_3genE9ELNS1_11target_archE1100ELNS1_3gpuE3ELNS1_3repE0EEENS1_30default_config_static_selectorELNS0_4arch9wavefront6targetE1EEEvT1_,"axG",@progbits,_ZN7rocprim17ROCPRIM_400000_NS6detail17trampoline_kernelINS0_14default_configENS1_20scan_config_selectorIN3c104HalfEEEZZNS1_9scan_implILNS1_25lookback_scan_determinismE0ELb0ELb0ES3_PKS6_PS6_S6_ZZZN2at6native31launch_logcumsumexp_cuda_kernelERKNSD_10TensorBaseESH_lENKUlvE_clEvENKUlvE3_clEvEUlS6_S6_E_S6_EEDaPvRmT3_T4_T5_mT6_P12ihipStream_tbENKUlT_T0_E_clISt17integral_constantIbLb1EESY_EEDaST_SU_EUlST_E_NS1_11comp_targetILNS1_3genE9ELNS1_11target_archE1100ELNS1_3gpuE3ELNS1_3repE0EEENS1_30default_config_static_selectorELNS0_4arch9wavefront6targetE1EEEvT1_,comdat
	.globl	_ZN7rocprim17ROCPRIM_400000_NS6detail17trampoline_kernelINS0_14default_configENS1_20scan_config_selectorIN3c104HalfEEEZZNS1_9scan_implILNS1_25lookback_scan_determinismE0ELb0ELb0ES3_PKS6_PS6_S6_ZZZN2at6native31launch_logcumsumexp_cuda_kernelERKNSD_10TensorBaseESH_lENKUlvE_clEvENKUlvE3_clEvEUlS6_S6_E_S6_EEDaPvRmT3_T4_T5_mT6_P12ihipStream_tbENKUlT_T0_E_clISt17integral_constantIbLb1EESY_EEDaST_SU_EUlST_E_NS1_11comp_targetILNS1_3genE9ELNS1_11target_archE1100ELNS1_3gpuE3ELNS1_3repE0EEENS1_30default_config_static_selectorELNS0_4arch9wavefront6targetE1EEEvT1_ ; -- Begin function _ZN7rocprim17ROCPRIM_400000_NS6detail17trampoline_kernelINS0_14default_configENS1_20scan_config_selectorIN3c104HalfEEEZZNS1_9scan_implILNS1_25lookback_scan_determinismE0ELb0ELb0ES3_PKS6_PS6_S6_ZZZN2at6native31launch_logcumsumexp_cuda_kernelERKNSD_10TensorBaseESH_lENKUlvE_clEvENKUlvE3_clEvEUlS6_S6_E_S6_EEDaPvRmT3_T4_T5_mT6_P12ihipStream_tbENKUlT_T0_E_clISt17integral_constantIbLb1EESY_EEDaST_SU_EUlST_E_NS1_11comp_targetILNS1_3genE9ELNS1_11target_archE1100ELNS1_3gpuE3ELNS1_3repE0EEENS1_30default_config_static_selectorELNS0_4arch9wavefront6targetE1EEEvT1_
	.p2align	8
	.type	_ZN7rocprim17ROCPRIM_400000_NS6detail17trampoline_kernelINS0_14default_configENS1_20scan_config_selectorIN3c104HalfEEEZZNS1_9scan_implILNS1_25lookback_scan_determinismE0ELb0ELb0ES3_PKS6_PS6_S6_ZZZN2at6native31launch_logcumsumexp_cuda_kernelERKNSD_10TensorBaseESH_lENKUlvE_clEvENKUlvE3_clEvEUlS6_S6_E_S6_EEDaPvRmT3_T4_T5_mT6_P12ihipStream_tbENKUlT_T0_E_clISt17integral_constantIbLb1EESY_EEDaST_SU_EUlST_E_NS1_11comp_targetILNS1_3genE9ELNS1_11target_archE1100ELNS1_3gpuE3ELNS1_3repE0EEENS1_30default_config_static_selectorELNS0_4arch9wavefront6targetE1EEEvT1_,@function
_ZN7rocprim17ROCPRIM_400000_NS6detail17trampoline_kernelINS0_14default_configENS1_20scan_config_selectorIN3c104HalfEEEZZNS1_9scan_implILNS1_25lookback_scan_determinismE0ELb0ELb0ES3_PKS6_PS6_S6_ZZZN2at6native31launch_logcumsumexp_cuda_kernelERKNSD_10TensorBaseESH_lENKUlvE_clEvENKUlvE3_clEvEUlS6_S6_E_S6_EEDaPvRmT3_T4_T5_mT6_P12ihipStream_tbENKUlT_T0_E_clISt17integral_constantIbLb1EESY_EEDaST_SU_EUlST_E_NS1_11comp_targetILNS1_3genE9ELNS1_11target_archE1100ELNS1_3gpuE3ELNS1_3repE0EEENS1_30default_config_static_selectorELNS0_4arch9wavefront6targetE1EEEvT1_: ; @_ZN7rocprim17ROCPRIM_400000_NS6detail17trampoline_kernelINS0_14default_configENS1_20scan_config_selectorIN3c104HalfEEEZZNS1_9scan_implILNS1_25lookback_scan_determinismE0ELb0ELb0ES3_PKS6_PS6_S6_ZZZN2at6native31launch_logcumsumexp_cuda_kernelERKNSD_10TensorBaseESH_lENKUlvE_clEvENKUlvE3_clEvEUlS6_S6_E_S6_EEDaPvRmT3_T4_T5_mT6_P12ihipStream_tbENKUlT_T0_E_clISt17integral_constantIbLb1EESY_EEDaST_SU_EUlST_E_NS1_11comp_targetILNS1_3genE9ELNS1_11target_archE1100ELNS1_3gpuE3ELNS1_3repE0EEENS1_30default_config_static_selectorELNS0_4arch9wavefront6targetE1EEEvT1_
; %bb.0:
	.section	.rodata,"a",@progbits
	.p2align	6, 0x0
	.amdhsa_kernel _ZN7rocprim17ROCPRIM_400000_NS6detail17trampoline_kernelINS0_14default_configENS1_20scan_config_selectorIN3c104HalfEEEZZNS1_9scan_implILNS1_25lookback_scan_determinismE0ELb0ELb0ES3_PKS6_PS6_S6_ZZZN2at6native31launch_logcumsumexp_cuda_kernelERKNSD_10TensorBaseESH_lENKUlvE_clEvENKUlvE3_clEvEUlS6_S6_E_S6_EEDaPvRmT3_T4_T5_mT6_P12ihipStream_tbENKUlT_T0_E_clISt17integral_constantIbLb1EESY_EEDaST_SU_EUlST_E_NS1_11comp_targetILNS1_3genE9ELNS1_11target_archE1100ELNS1_3gpuE3ELNS1_3repE0EEENS1_30default_config_static_selectorELNS0_4arch9wavefront6targetE1EEEvT1_
		.amdhsa_group_segment_fixed_size 0
		.amdhsa_private_segment_fixed_size 0
		.amdhsa_kernarg_size 96
		.amdhsa_user_sgpr_count 2
		.amdhsa_user_sgpr_dispatch_ptr 0
		.amdhsa_user_sgpr_queue_ptr 0
		.amdhsa_user_sgpr_kernarg_segment_ptr 1
		.amdhsa_user_sgpr_dispatch_id 0
		.amdhsa_user_sgpr_kernarg_preload_length 0
		.amdhsa_user_sgpr_kernarg_preload_offset 0
		.amdhsa_user_sgpr_private_segment_size 0
		.amdhsa_uses_dynamic_stack 0
		.amdhsa_enable_private_segment 0
		.amdhsa_system_sgpr_workgroup_id_x 1
		.amdhsa_system_sgpr_workgroup_id_y 0
		.amdhsa_system_sgpr_workgroup_id_z 0
		.amdhsa_system_sgpr_workgroup_info 0
		.amdhsa_system_vgpr_workitem_id 0
		.amdhsa_next_free_vgpr 1
		.amdhsa_next_free_sgpr 0
		.amdhsa_accum_offset 4
		.amdhsa_reserve_vcc 0
		.amdhsa_float_round_mode_32 0
		.amdhsa_float_round_mode_16_64 0
		.amdhsa_float_denorm_mode_32 3
		.amdhsa_float_denorm_mode_16_64 3
		.amdhsa_dx10_clamp 1
		.amdhsa_ieee_mode 1
		.amdhsa_fp16_overflow 0
		.amdhsa_tg_split 0
		.amdhsa_exception_fp_ieee_invalid_op 0
		.amdhsa_exception_fp_denorm_src 0
		.amdhsa_exception_fp_ieee_div_zero 0
		.amdhsa_exception_fp_ieee_overflow 0
		.amdhsa_exception_fp_ieee_underflow 0
		.amdhsa_exception_fp_ieee_inexact 0
		.amdhsa_exception_int_div_zero 0
	.end_amdhsa_kernel
	.section	.text._ZN7rocprim17ROCPRIM_400000_NS6detail17trampoline_kernelINS0_14default_configENS1_20scan_config_selectorIN3c104HalfEEEZZNS1_9scan_implILNS1_25lookback_scan_determinismE0ELb0ELb0ES3_PKS6_PS6_S6_ZZZN2at6native31launch_logcumsumexp_cuda_kernelERKNSD_10TensorBaseESH_lENKUlvE_clEvENKUlvE3_clEvEUlS6_S6_E_S6_EEDaPvRmT3_T4_T5_mT6_P12ihipStream_tbENKUlT_T0_E_clISt17integral_constantIbLb1EESY_EEDaST_SU_EUlST_E_NS1_11comp_targetILNS1_3genE9ELNS1_11target_archE1100ELNS1_3gpuE3ELNS1_3repE0EEENS1_30default_config_static_selectorELNS0_4arch9wavefront6targetE1EEEvT1_,"axG",@progbits,_ZN7rocprim17ROCPRIM_400000_NS6detail17trampoline_kernelINS0_14default_configENS1_20scan_config_selectorIN3c104HalfEEEZZNS1_9scan_implILNS1_25lookback_scan_determinismE0ELb0ELb0ES3_PKS6_PS6_S6_ZZZN2at6native31launch_logcumsumexp_cuda_kernelERKNSD_10TensorBaseESH_lENKUlvE_clEvENKUlvE3_clEvEUlS6_S6_E_S6_EEDaPvRmT3_T4_T5_mT6_P12ihipStream_tbENKUlT_T0_E_clISt17integral_constantIbLb1EESY_EEDaST_SU_EUlST_E_NS1_11comp_targetILNS1_3genE9ELNS1_11target_archE1100ELNS1_3gpuE3ELNS1_3repE0EEENS1_30default_config_static_selectorELNS0_4arch9wavefront6targetE1EEEvT1_,comdat
.Lfunc_end385:
	.size	_ZN7rocprim17ROCPRIM_400000_NS6detail17trampoline_kernelINS0_14default_configENS1_20scan_config_selectorIN3c104HalfEEEZZNS1_9scan_implILNS1_25lookback_scan_determinismE0ELb0ELb0ES3_PKS6_PS6_S6_ZZZN2at6native31launch_logcumsumexp_cuda_kernelERKNSD_10TensorBaseESH_lENKUlvE_clEvENKUlvE3_clEvEUlS6_S6_E_S6_EEDaPvRmT3_T4_T5_mT6_P12ihipStream_tbENKUlT_T0_E_clISt17integral_constantIbLb1EESY_EEDaST_SU_EUlST_E_NS1_11comp_targetILNS1_3genE9ELNS1_11target_archE1100ELNS1_3gpuE3ELNS1_3repE0EEENS1_30default_config_static_selectorELNS0_4arch9wavefront6targetE1EEEvT1_, .Lfunc_end385-_ZN7rocprim17ROCPRIM_400000_NS6detail17trampoline_kernelINS0_14default_configENS1_20scan_config_selectorIN3c104HalfEEEZZNS1_9scan_implILNS1_25lookback_scan_determinismE0ELb0ELb0ES3_PKS6_PS6_S6_ZZZN2at6native31launch_logcumsumexp_cuda_kernelERKNSD_10TensorBaseESH_lENKUlvE_clEvENKUlvE3_clEvEUlS6_S6_E_S6_EEDaPvRmT3_T4_T5_mT6_P12ihipStream_tbENKUlT_T0_E_clISt17integral_constantIbLb1EESY_EEDaST_SU_EUlST_E_NS1_11comp_targetILNS1_3genE9ELNS1_11target_archE1100ELNS1_3gpuE3ELNS1_3repE0EEENS1_30default_config_static_selectorELNS0_4arch9wavefront6targetE1EEEvT1_
                                        ; -- End function
	.set _ZN7rocprim17ROCPRIM_400000_NS6detail17trampoline_kernelINS0_14default_configENS1_20scan_config_selectorIN3c104HalfEEEZZNS1_9scan_implILNS1_25lookback_scan_determinismE0ELb0ELb0ES3_PKS6_PS6_S6_ZZZN2at6native31launch_logcumsumexp_cuda_kernelERKNSD_10TensorBaseESH_lENKUlvE_clEvENKUlvE3_clEvEUlS6_S6_E_S6_EEDaPvRmT3_T4_T5_mT6_P12ihipStream_tbENKUlT_T0_E_clISt17integral_constantIbLb1EESY_EEDaST_SU_EUlST_E_NS1_11comp_targetILNS1_3genE9ELNS1_11target_archE1100ELNS1_3gpuE3ELNS1_3repE0EEENS1_30default_config_static_selectorELNS0_4arch9wavefront6targetE1EEEvT1_.num_vgpr, 0
	.set _ZN7rocprim17ROCPRIM_400000_NS6detail17trampoline_kernelINS0_14default_configENS1_20scan_config_selectorIN3c104HalfEEEZZNS1_9scan_implILNS1_25lookback_scan_determinismE0ELb0ELb0ES3_PKS6_PS6_S6_ZZZN2at6native31launch_logcumsumexp_cuda_kernelERKNSD_10TensorBaseESH_lENKUlvE_clEvENKUlvE3_clEvEUlS6_S6_E_S6_EEDaPvRmT3_T4_T5_mT6_P12ihipStream_tbENKUlT_T0_E_clISt17integral_constantIbLb1EESY_EEDaST_SU_EUlST_E_NS1_11comp_targetILNS1_3genE9ELNS1_11target_archE1100ELNS1_3gpuE3ELNS1_3repE0EEENS1_30default_config_static_selectorELNS0_4arch9wavefront6targetE1EEEvT1_.num_agpr, 0
	.set _ZN7rocprim17ROCPRIM_400000_NS6detail17trampoline_kernelINS0_14default_configENS1_20scan_config_selectorIN3c104HalfEEEZZNS1_9scan_implILNS1_25lookback_scan_determinismE0ELb0ELb0ES3_PKS6_PS6_S6_ZZZN2at6native31launch_logcumsumexp_cuda_kernelERKNSD_10TensorBaseESH_lENKUlvE_clEvENKUlvE3_clEvEUlS6_S6_E_S6_EEDaPvRmT3_T4_T5_mT6_P12ihipStream_tbENKUlT_T0_E_clISt17integral_constantIbLb1EESY_EEDaST_SU_EUlST_E_NS1_11comp_targetILNS1_3genE9ELNS1_11target_archE1100ELNS1_3gpuE3ELNS1_3repE0EEENS1_30default_config_static_selectorELNS0_4arch9wavefront6targetE1EEEvT1_.numbered_sgpr, 0
	.set _ZN7rocprim17ROCPRIM_400000_NS6detail17trampoline_kernelINS0_14default_configENS1_20scan_config_selectorIN3c104HalfEEEZZNS1_9scan_implILNS1_25lookback_scan_determinismE0ELb0ELb0ES3_PKS6_PS6_S6_ZZZN2at6native31launch_logcumsumexp_cuda_kernelERKNSD_10TensorBaseESH_lENKUlvE_clEvENKUlvE3_clEvEUlS6_S6_E_S6_EEDaPvRmT3_T4_T5_mT6_P12ihipStream_tbENKUlT_T0_E_clISt17integral_constantIbLb1EESY_EEDaST_SU_EUlST_E_NS1_11comp_targetILNS1_3genE9ELNS1_11target_archE1100ELNS1_3gpuE3ELNS1_3repE0EEENS1_30default_config_static_selectorELNS0_4arch9wavefront6targetE1EEEvT1_.num_named_barrier, 0
	.set _ZN7rocprim17ROCPRIM_400000_NS6detail17trampoline_kernelINS0_14default_configENS1_20scan_config_selectorIN3c104HalfEEEZZNS1_9scan_implILNS1_25lookback_scan_determinismE0ELb0ELb0ES3_PKS6_PS6_S6_ZZZN2at6native31launch_logcumsumexp_cuda_kernelERKNSD_10TensorBaseESH_lENKUlvE_clEvENKUlvE3_clEvEUlS6_S6_E_S6_EEDaPvRmT3_T4_T5_mT6_P12ihipStream_tbENKUlT_T0_E_clISt17integral_constantIbLb1EESY_EEDaST_SU_EUlST_E_NS1_11comp_targetILNS1_3genE9ELNS1_11target_archE1100ELNS1_3gpuE3ELNS1_3repE0EEENS1_30default_config_static_selectorELNS0_4arch9wavefront6targetE1EEEvT1_.private_seg_size, 0
	.set _ZN7rocprim17ROCPRIM_400000_NS6detail17trampoline_kernelINS0_14default_configENS1_20scan_config_selectorIN3c104HalfEEEZZNS1_9scan_implILNS1_25lookback_scan_determinismE0ELb0ELb0ES3_PKS6_PS6_S6_ZZZN2at6native31launch_logcumsumexp_cuda_kernelERKNSD_10TensorBaseESH_lENKUlvE_clEvENKUlvE3_clEvEUlS6_S6_E_S6_EEDaPvRmT3_T4_T5_mT6_P12ihipStream_tbENKUlT_T0_E_clISt17integral_constantIbLb1EESY_EEDaST_SU_EUlST_E_NS1_11comp_targetILNS1_3genE9ELNS1_11target_archE1100ELNS1_3gpuE3ELNS1_3repE0EEENS1_30default_config_static_selectorELNS0_4arch9wavefront6targetE1EEEvT1_.uses_vcc, 0
	.set _ZN7rocprim17ROCPRIM_400000_NS6detail17trampoline_kernelINS0_14default_configENS1_20scan_config_selectorIN3c104HalfEEEZZNS1_9scan_implILNS1_25lookback_scan_determinismE0ELb0ELb0ES3_PKS6_PS6_S6_ZZZN2at6native31launch_logcumsumexp_cuda_kernelERKNSD_10TensorBaseESH_lENKUlvE_clEvENKUlvE3_clEvEUlS6_S6_E_S6_EEDaPvRmT3_T4_T5_mT6_P12ihipStream_tbENKUlT_T0_E_clISt17integral_constantIbLb1EESY_EEDaST_SU_EUlST_E_NS1_11comp_targetILNS1_3genE9ELNS1_11target_archE1100ELNS1_3gpuE3ELNS1_3repE0EEENS1_30default_config_static_selectorELNS0_4arch9wavefront6targetE1EEEvT1_.uses_flat_scratch, 0
	.set _ZN7rocprim17ROCPRIM_400000_NS6detail17trampoline_kernelINS0_14default_configENS1_20scan_config_selectorIN3c104HalfEEEZZNS1_9scan_implILNS1_25lookback_scan_determinismE0ELb0ELb0ES3_PKS6_PS6_S6_ZZZN2at6native31launch_logcumsumexp_cuda_kernelERKNSD_10TensorBaseESH_lENKUlvE_clEvENKUlvE3_clEvEUlS6_S6_E_S6_EEDaPvRmT3_T4_T5_mT6_P12ihipStream_tbENKUlT_T0_E_clISt17integral_constantIbLb1EESY_EEDaST_SU_EUlST_E_NS1_11comp_targetILNS1_3genE9ELNS1_11target_archE1100ELNS1_3gpuE3ELNS1_3repE0EEENS1_30default_config_static_selectorELNS0_4arch9wavefront6targetE1EEEvT1_.has_dyn_sized_stack, 0
	.set _ZN7rocprim17ROCPRIM_400000_NS6detail17trampoline_kernelINS0_14default_configENS1_20scan_config_selectorIN3c104HalfEEEZZNS1_9scan_implILNS1_25lookback_scan_determinismE0ELb0ELb0ES3_PKS6_PS6_S6_ZZZN2at6native31launch_logcumsumexp_cuda_kernelERKNSD_10TensorBaseESH_lENKUlvE_clEvENKUlvE3_clEvEUlS6_S6_E_S6_EEDaPvRmT3_T4_T5_mT6_P12ihipStream_tbENKUlT_T0_E_clISt17integral_constantIbLb1EESY_EEDaST_SU_EUlST_E_NS1_11comp_targetILNS1_3genE9ELNS1_11target_archE1100ELNS1_3gpuE3ELNS1_3repE0EEENS1_30default_config_static_selectorELNS0_4arch9wavefront6targetE1EEEvT1_.has_recursion, 0
	.set _ZN7rocprim17ROCPRIM_400000_NS6detail17trampoline_kernelINS0_14default_configENS1_20scan_config_selectorIN3c104HalfEEEZZNS1_9scan_implILNS1_25lookback_scan_determinismE0ELb0ELb0ES3_PKS6_PS6_S6_ZZZN2at6native31launch_logcumsumexp_cuda_kernelERKNSD_10TensorBaseESH_lENKUlvE_clEvENKUlvE3_clEvEUlS6_S6_E_S6_EEDaPvRmT3_T4_T5_mT6_P12ihipStream_tbENKUlT_T0_E_clISt17integral_constantIbLb1EESY_EEDaST_SU_EUlST_E_NS1_11comp_targetILNS1_3genE9ELNS1_11target_archE1100ELNS1_3gpuE3ELNS1_3repE0EEENS1_30default_config_static_selectorELNS0_4arch9wavefront6targetE1EEEvT1_.has_indirect_call, 0
	.section	.AMDGPU.csdata,"",@progbits
; Kernel info:
; codeLenInByte = 0
; TotalNumSgprs: 6
; NumVgprs: 0
; NumAgprs: 0
; TotalNumVgprs: 0
; ScratchSize: 0
; MemoryBound: 0
; FloatMode: 240
; IeeeMode: 1
; LDSByteSize: 0 bytes/workgroup (compile time only)
; SGPRBlocks: 0
; VGPRBlocks: 0
; NumSGPRsForWavesPerEU: 6
; NumVGPRsForWavesPerEU: 1
; AccumOffset: 4
; Occupancy: 8
; WaveLimiterHint : 0
; COMPUTE_PGM_RSRC2:SCRATCH_EN: 0
; COMPUTE_PGM_RSRC2:USER_SGPR: 2
; COMPUTE_PGM_RSRC2:TRAP_HANDLER: 0
; COMPUTE_PGM_RSRC2:TGID_X_EN: 1
; COMPUTE_PGM_RSRC2:TGID_Y_EN: 0
; COMPUTE_PGM_RSRC2:TGID_Z_EN: 0
; COMPUTE_PGM_RSRC2:TIDIG_COMP_CNT: 0
; COMPUTE_PGM_RSRC3_GFX90A:ACCUM_OFFSET: 0
; COMPUTE_PGM_RSRC3_GFX90A:TG_SPLIT: 0
	.section	.text._ZN7rocprim17ROCPRIM_400000_NS6detail17trampoline_kernelINS0_14default_configENS1_20scan_config_selectorIN3c104HalfEEEZZNS1_9scan_implILNS1_25lookback_scan_determinismE0ELb0ELb0ES3_PKS6_PS6_S6_ZZZN2at6native31launch_logcumsumexp_cuda_kernelERKNSD_10TensorBaseESH_lENKUlvE_clEvENKUlvE3_clEvEUlS6_S6_E_S6_EEDaPvRmT3_T4_T5_mT6_P12ihipStream_tbENKUlT_T0_E_clISt17integral_constantIbLb1EESY_EEDaST_SU_EUlST_E_NS1_11comp_targetILNS1_3genE8ELNS1_11target_archE1030ELNS1_3gpuE2ELNS1_3repE0EEENS1_30default_config_static_selectorELNS0_4arch9wavefront6targetE1EEEvT1_,"axG",@progbits,_ZN7rocprim17ROCPRIM_400000_NS6detail17trampoline_kernelINS0_14default_configENS1_20scan_config_selectorIN3c104HalfEEEZZNS1_9scan_implILNS1_25lookback_scan_determinismE0ELb0ELb0ES3_PKS6_PS6_S6_ZZZN2at6native31launch_logcumsumexp_cuda_kernelERKNSD_10TensorBaseESH_lENKUlvE_clEvENKUlvE3_clEvEUlS6_S6_E_S6_EEDaPvRmT3_T4_T5_mT6_P12ihipStream_tbENKUlT_T0_E_clISt17integral_constantIbLb1EESY_EEDaST_SU_EUlST_E_NS1_11comp_targetILNS1_3genE8ELNS1_11target_archE1030ELNS1_3gpuE2ELNS1_3repE0EEENS1_30default_config_static_selectorELNS0_4arch9wavefront6targetE1EEEvT1_,comdat
	.globl	_ZN7rocprim17ROCPRIM_400000_NS6detail17trampoline_kernelINS0_14default_configENS1_20scan_config_selectorIN3c104HalfEEEZZNS1_9scan_implILNS1_25lookback_scan_determinismE0ELb0ELb0ES3_PKS6_PS6_S6_ZZZN2at6native31launch_logcumsumexp_cuda_kernelERKNSD_10TensorBaseESH_lENKUlvE_clEvENKUlvE3_clEvEUlS6_S6_E_S6_EEDaPvRmT3_T4_T5_mT6_P12ihipStream_tbENKUlT_T0_E_clISt17integral_constantIbLb1EESY_EEDaST_SU_EUlST_E_NS1_11comp_targetILNS1_3genE8ELNS1_11target_archE1030ELNS1_3gpuE2ELNS1_3repE0EEENS1_30default_config_static_selectorELNS0_4arch9wavefront6targetE1EEEvT1_ ; -- Begin function _ZN7rocprim17ROCPRIM_400000_NS6detail17trampoline_kernelINS0_14default_configENS1_20scan_config_selectorIN3c104HalfEEEZZNS1_9scan_implILNS1_25lookback_scan_determinismE0ELb0ELb0ES3_PKS6_PS6_S6_ZZZN2at6native31launch_logcumsumexp_cuda_kernelERKNSD_10TensorBaseESH_lENKUlvE_clEvENKUlvE3_clEvEUlS6_S6_E_S6_EEDaPvRmT3_T4_T5_mT6_P12ihipStream_tbENKUlT_T0_E_clISt17integral_constantIbLb1EESY_EEDaST_SU_EUlST_E_NS1_11comp_targetILNS1_3genE8ELNS1_11target_archE1030ELNS1_3gpuE2ELNS1_3repE0EEENS1_30default_config_static_selectorELNS0_4arch9wavefront6targetE1EEEvT1_
	.p2align	8
	.type	_ZN7rocprim17ROCPRIM_400000_NS6detail17trampoline_kernelINS0_14default_configENS1_20scan_config_selectorIN3c104HalfEEEZZNS1_9scan_implILNS1_25lookback_scan_determinismE0ELb0ELb0ES3_PKS6_PS6_S6_ZZZN2at6native31launch_logcumsumexp_cuda_kernelERKNSD_10TensorBaseESH_lENKUlvE_clEvENKUlvE3_clEvEUlS6_S6_E_S6_EEDaPvRmT3_T4_T5_mT6_P12ihipStream_tbENKUlT_T0_E_clISt17integral_constantIbLb1EESY_EEDaST_SU_EUlST_E_NS1_11comp_targetILNS1_3genE8ELNS1_11target_archE1030ELNS1_3gpuE2ELNS1_3repE0EEENS1_30default_config_static_selectorELNS0_4arch9wavefront6targetE1EEEvT1_,@function
_ZN7rocprim17ROCPRIM_400000_NS6detail17trampoline_kernelINS0_14default_configENS1_20scan_config_selectorIN3c104HalfEEEZZNS1_9scan_implILNS1_25lookback_scan_determinismE0ELb0ELb0ES3_PKS6_PS6_S6_ZZZN2at6native31launch_logcumsumexp_cuda_kernelERKNSD_10TensorBaseESH_lENKUlvE_clEvENKUlvE3_clEvEUlS6_S6_E_S6_EEDaPvRmT3_T4_T5_mT6_P12ihipStream_tbENKUlT_T0_E_clISt17integral_constantIbLb1EESY_EEDaST_SU_EUlST_E_NS1_11comp_targetILNS1_3genE8ELNS1_11target_archE1030ELNS1_3gpuE2ELNS1_3repE0EEENS1_30default_config_static_selectorELNS0_4arch9wavefront6targetE1EEEvT1_: ; @_ZN7rocprim17ROCPRIM_400000_NS6detail17trampoline_kernelINS0_14default_configENS1_20scan_config_selectorIN3c104HalfEEEZZNS1_9scan_implILNS1_25lookback_scan_determinismE0ELb0ELb0ES3_PKS6_PS6_S6_ZZZN2at6native31launch_logcumsumexp_cuda_kernelERKNSD_10TensorBaseESH_lENKUlvE_clEvENKUlvE3_clEvEUlS6_S6_E_S6_EEDaPvRmT3_T4_T5_mT6_P12ihipStream_tbENKUlT_T0_E_clISt17integral_constantIbLb1EESY_EEDaST_SU_EUlST_E_NS1_11comp_targetILNS1_3genE8ELNS1_11target_archE1030ELNS1_3gpuE2ELNS1_3repE0EEENS1_30default_config_static_selectorELNS0_4arch9wavefront6targetE1EEEvT1_
; %bb.0:
	.section	.rodata,"a",@progbits
	.p2align	6, 0x0
	.amdhsa_kernel _ZN7rocprim17ROCPRIM_400000_NS6detail17trampoline_kernelINS0_14default_configENS1_20scan_config_selectorIN3c104HalfEEEZZNS1_9scan_implILNS1_25lookback_scan_determinismE0ELb0ELb0ES3_PKS6_PS6_S6_ZZZN2at6native31launch_logcumsumexp_cuda_kernelERKNSD_10TensorBaseESH_lENKUlvE_clEvENKUlvE3_clEvEUlS6_S6_E_S6_EEDaPvRmT3_T4_T5_mT6_P12ihipStream_tbENKUlT_T0_E_clISt17integral_constantIbLb1EESY_EEDaST_SU_EUlST_E_NS1_11comp_targetILNS1_3genE8ELNS1_11target_archE1030ELNS1_3gpuE2ELNS1_3repE0EEENS1_30default_config_static_selectorELNS0_4arch9wavefront6targetE1EEEvT1_
		.amdhsa_group_segment_fixed_size 0
		.amdhsa_private_segment_fixed_size 0
		.amdhsa_kernarg_size 96
		.amdhsa_user_sgpr_count 2
		.amdhsa_user_sgpr_dispatch_ptr 0
		.amdhsa_user_sgpr_queue_ptr 0
		.amdhsa_user_sgpr_kernarg_segment_ptr 1
		.amdhsa_user_sgpr_dispatch_id 0
		.amdhsa_user_sgpr_kernarg_preload_length 0
		.amdhsa_user_sgpr_kernarg_preload_offset 0
		.amdhsa_user_sgpr_private_segment_size 0
		.amdhsa_uses_dynamic_stack 0
		.amdhsa_enable_private_segment 0
		.amdhsa_system_sgpr_workgroup_id_x 1
		.amdhsa_system_sgpr_workgroup_id_y 0
		.amdhsa_system_sgpr_workgroup_id_z 0
		.amdhsa_system_sgpr_workgroup_info 0
		.amdhsa_system_vgpr_workitem_id 0
		.amdhsa_next_free_vgpr 1
		.amdhsa_next_free_sgpr 0
		.amdhsa_accum_offset 4
		.amdhsa_reserve_vcc 0
		.amdhsa_float_round_mode_32 0
		.amdhsa_float_round_mode_16_64 0
		.amdhsa_float_denorm_mode_32 3
		.amdhsa_float_denorm_mode_16_64 3
		.amdhsa_dx10_clamp 1
		.amdhsa_ieee_mode 1
		.amdhsa_fp16_overflow 0
		.amdhsa_tg_split 0
		.amdhsa_exception_fp_ieee_invalid_op 0
		.amdhsa_exception_fp_denorm_src 0
		.amdhsa_exception_fp_ieee_div_zero 0
		.amdhsa_exception_fp_ieee_overflow 0
		.amdhsa_exception_fp_ieee_underflow 0
		.amdhsa_exception_fp_ieee_inexact 0
		.amdhsa_exception_int_div_zero 0
	.end_amdhsa_kernel
	.section	.text._ZN7rocprim17ROCPRIM_400000_NS6detail17trampoline_kernelINS0_14default_configENS1_20scan_config_selectorIN3c104HalfEEEZZNS1_9scan_implILNS1_25lookback_scan_determinismE0ELb0ELb0ES3_PKS6_PS6_S6_ZZZN2at6native31launch_logcumsumexp_cuda_kernelERKNSD_10TensorBaseESH_lENKUlvE_clEvENKUlvE3_clEvEUlS6_S6_E_S6_EEDaPvRmT3_T4_T5_mT6_P12ihipStream_tbENKUlT_T0_E_clISt17integral_constantIbLb1EESY_EEDaST_SU_EUlST_E_NS1_11comp_targetILNS1_3genE8ELNS1_11target_archE1030ELNS1_3gpuE2ELNS1_3repE0EEENS1_30default_config_static_selectorELNS0_4arch9wavefront6targetE1EEEvT1_,"axG",@progbits,_ZN7rocprim17ROCPRIM_400000_NS6detail17trampoline_kernelINS0_14default_configENS1_20scan_config_selectorIN3c104HalfEEEZZNS1_9scan_implILNS1_25lookback_scan_determinismE0ELb0ELb0ES3_PKS6_PS6_S6_ZZZN2at6native31launch_logcumsumexp_cuda_kernelERKNSD_10TensorBaseESH_lENKUlvE_clEvENKUlvE3_clEvEUlS6_S6_E_S6_EEDaPvRmT3_T4_T5_mT6_P12ihipStream_tbENKUlT_T0_E_clISt17integral_constantIbLb1EESY_EEDaST_SU_EUlST_E_NS1_11comp_targetILNS1_3genE8ELNS1_11target_archE1030ELNS1_3gpuE2ELNS1_3repE0EEENS1_30default_config_static_selectorELNS0_4arch9wavefront6targetE1EEEvT1_,comdat
.Lfunc_end386:
	.size	_ZN7rocprim17ROCPRIM_400000_NS6detail17trampoline_kernelINS0_14default_configENS1_20scan_config_selectorIN3c104HalfEEEZZNS1_9scan_implILNS1_25lookback_scan_determinismE0ELb0ELb0ES3_PKS6_PS6_S6_ZZZN2at6native31launch_logcumsumexp_cuda_kernelERKNSD_10TensorBaseESH_lENKUlvE_clEvENKUlvE3_clEvEUlS6_S6_E_S6_EEDaPvRmT3_T4_T5_mT6_P12ihipStream_tbENKUlT_T0_E_clISt17integral_constantIbLb1EESY_EEDaST_SU_EUlST_E_NS1_11comp_targetILNS1_3genE8ELNS1_11target_archE1030ELNS1_3gpuE2ELNS1_3repE0EEENS1_30default_config_static_selectorELNS0_4arch9wavefront6targetE1EEEvT1_, .Lfunc_end386-_ZN7rocprim17ROCPRIM_400000_NS6detail17trampoline_kernelINS0_14default_configENS1_20scan_config_selectorIN3c104HalfEEEZZNS1_9scan_implILNS1_25lookback_scan_determinismE0ELb0ELb0ES3_PKS6_PS6_S6_ZZZN2at6native31launch_logcumsumexp_cuda_kernelERKNSD_10TensorBaseESH_lENKUlvE_clEvENKUlvE3_clEvEUlS6_S6_E_S6_EEDaPvRmT3_T4_T5_mT6_P12ihipStream_tbENKUlT_T0_E_clISt17integral_constantIbLb1EESY_EEDaST_SU_EUlST_E_NS1_11comp_targetILNS1_3genE8ELNS1_11target_archE1030ELNS1_3gpuE2ELNS1_3repE0EEENS1_30default_config_static_selectorELNS0_4arch9wavefront6targetE1EEEvT1_
                                        ; -- End function
	.set _ZN7rocprim17ROCPRIM_400000_NS6detail17trampoline_kernelINS0_14default_configENS1_20scan_config_selectorIN3c104HalfEEEZZNS1_9scan_implILNS1_25lookback_scan_determinismE0ELb0ELb0ES3_PKS6_PS6_S6_ZZZN2at6native31launch_logcumsumexp_cuda_kernelERKNSD_10TensorBaseESH_lENKUlvE_clEvENKUlvE3_clEvEUlS6_S6_E_S6_EEDaPvRmT3_T4_T5_mT6_P12ihipStream_tbENKUlT_T0_E_clISt17integral_constantIbLb1EESY_EEDaST_SU_EUlST_E_NS1_11comp_targetILNS1_3genE8ELNS1_11target_archE1030ELNS1_3gpuE2ELNS1_3repE0EEENS1_30default_config_static_selectorELNS0_4arch9wavefront6targetE1EEEvT1_.num_vgpr, 0
	.set _ZN7rocprim17ROCPRIM_400000_NS6detail17trampoline_kernelINS0_14default_configENS1_20scan_config_selectorIN3c104HalfEEEZZNS1_9scan_implILNS1_25lookback_scan_determinismE0ELb0ELb0ES3_PKS6_PS6_S6_ZZZN2at6native31launch_logcumsumexp_cuda_kernelERKNSD_10TensorBaseESH_lENKUlvE_clEvENKUlvE3_clEvEUlS6_S6_E_S6_EEDaPvRmT3_T4_T5_mT6_P12ihipStream_tbENKUlT_T0_E_clISt17integral_constantIbLb1EESY_EEDaST_SU_EUlST_E_NS1_11comp_targetILNS1_3genE8ELNS1_11target_archE1030ELNS1_3gpuE2ELNS1_3repE0EEENS1_30default_config_static_selectorELNS0_4arch9wavefront6targetE1EEEvT1_.num_agpr, 0
	.set _ZN7rocprim17ROCPRIM_400000_NS6detail17trampoline_kernelINS0_14default_configENS1_20scan_config_selectorIN3c104HalfEEEZZNS1_9scan_implILNS1_25lookback_scan_determinismE0ELb0ELb0ES3_PKS6_PS6_S6_ZZZN2at6native31launch_logcumsumexp_cuda_kernelERKNSD_10TensorBaseESH_lENKUlvE_clEvENKUlvE3_clEvEUlS6_S6_E_S6_EEDaPvRmT3_T4_T5_mT6_P12ihipStream_tbENKUlT_T0_E_clISt17integral_constantIbLb1EESY_EEDaST_SU_EUlST_E_NS1_11comp_targetILNS1_3genE8ELNS1_11target_archE1030ELNS1_3gpuE2ELNS1_3repE0EEENS1_30default_config_static_selectorELNS0_4arch9wavefront6targetE1EEEvT1_.numbered_sgpr, 0
	.set _ZN7rocprim17ROCPRIM_400000_NS6detail17trampoline_kernelINS0_14default_configENS1_20scan_config_selectorIN3c104HalfEEEZZNS1_9scan_implILNS1_25lookback_scan_determinismE0ELb0ELb0ES3_PKS6_PS6_S6_ZZZN2at6native31launch_logcumsumexp_cuda_kernelERKNSD_10TensorBaseESH_lENKUlvE_clEvENKUlvE3_clEvEUlS6_S6_E_S6_EEDaPvRmT3_T4_T5_mT6_P12ihipStream_tbENKUlT_T0_E_clISt17integral_constantIbLb1EESY_EEDaST_SU_EUlST_E_NS1_11comp_targetILNS1_3genE8ELNS1_11target_archE1030ELNS1_3gpuE2ELNS1_3repE0EEENS1_30default_config_static_selectorELNS0_4arch9wavefront6targetE1EEEvT1_.num_named_barrier, 0
	.set _ZN7rocprim17ROCPRIM_400000_NS6detail17trampoline_kernelINS0_14default_configENS1_20scan_config_selectorIN3c104HalfEEEZZNS1_9scan_implILNS1_25lookback_scan_determinismE0ELb0ELb0ES3_PKS6_PS6_S6_ZZZN2at6native31launch_logcumsumexp_cuda_kernelERKNSD_10TensorBaseESH_lENKUlvE_clEvENKUlvE3_clEvEUlS6_S6_E_S6_EEDaPvRmT3_T4_T5_mT6_P12ihipStream_tbENKUlT_T0_E_clISt17integral_constantIbLb1EESY_EEDaST_SU_EUlST_E_NS1_11comp_targetILNS1_3genE8ELNS1_11target_archE1030ELNS1_3gpuE2ELNS1_3repE0EEENS1_30default_config_static_selectorELNS0_4arch9wavefront6targetE1EEEvT1_.private_seg_size, 0
	.set _ZN7rocprim17ROCPRIM_400000_NS6detail17trampoline_kernelINS0_14default_configENS1_20scan_config_selectorIN3c104HalfEEEZZNS1_9scan_implILNS1_25lookback_scan_determinismE0ELb0ELb0ES3_PKS6_PS6_S6_ZZZN2at6native31launch_logcumsumexp_cuda_kernelERKNSD_10TensorBaseESH_lENKUlvE_clEvENKUlvE3_clEvEUlS6_S6_E_S6_EEDaPvRmT3_T4_T5_mT6_P12ihipStream_tbENKUlT_T0_E_clISt17integral_constantIbLb1EESY_EEDaST_SU_EUlST_E_NS1_11comp_targetILNS1_3genE8ELNS1_11target_archE1030ELNS1_3gpuE2ELNS1_3repE0EEENS1_30default_config_static_selectorELNS0_4arch9wavefront6targetE1EEEvT1_.uses_vcc, 0
	.set _ZN7rocprim17ROCPRIM_400000_NS6detail17trampoline_kernelINS0_14default_configENS1_20scan_config_selectorIN3c104HalfEEEZZNS1_9scan_implILNS1_25lookback_scan_determinismE0ELb0ELb0ES3_PKS6_PS6_S6_ZZZN2at6native31launch_logcumsumexp_cuda_kernelERKNSD_10TensorBaseESH_lENKUlvE_clEvENKUlvE3_clEvEUlS6_S6_E_S6_EEDaPvRmT3_T4_T5_mT6_P12ihipStream_tbENKUlT_T0_E_clISt17integral_constantIbLb1EESY_EEDaST_SU_EUlST_E_NS1_11comp_targetILNS1_3genE8ELNS1_11target_archE1030ELNS1_3gpuE2ELNS1_3repE0EEENS1_30default_config_static_selectorELNS0_4arch9wavefront6targetE1EEEvT1_.uses_flat_scratch, 0
	.set _ZN7rocprim17ROCPRIM_400000_NS6detail17trampoline_kernelINS0_14default_configENS1_20scan_config_selectorIN3c104HalfEEEZZNS1_9scan_implILNS1_25lookback_scan_determinismE0ELb0ELb0ES3_PKS6_PS6_S6_ZZZN2at6native31launch_logcumsumexp_cuda_kernelERKNSD_10TensorBaseESH_lENKUlvE_clEvENKUlvE3_clEvEUlS6_S6_E_S6_EEDaPvRmT3_T4_T5_mT6_P12ihipStream_tbENKUlT_T0_E_clISt17integral_constantIbLb1EESY_EEDaST_SU_EUlST_E_NS1_11comp_targetILNS1_3genE8ELNS1_11target_archE1030ELNS1_3gpuE2ELNS1_3repE0EEENS1_30default_config_static_selectorELNS0_4arch9wavefront6targetE1EEEvT1_.has_dyn_sized_stack, 0
	.set _ZN7rocprim17ROCPRIM_400000_NS6detail17trampoline_kernelINS0_14default_configENS1_20scan_config_selectorIN3c104HalfEEEZZNS1_9scan_implILNS1_25lookback_scan_determinismE0ELb0ELb0ES3_PKS6_PS6_S6_ZZZN2at6native31launch_logcumsumexp_cuda_kernelERKNSD_10TensorBaseESH_lENKUlvE_clEvENKUlvE3_clEvEUlS6_S6_E_S6_EEDaPvRmT3_T4_T5_mT6_P12ihipStream_tbENKUlT_T0_E_clISt17integral_constantIbLb1EESY_EEDaST_SU_EUlST_E_NS1_11comp_targetILNS1_3genE8ELNS1_11target_archE1030ELNS1_3gpuE2ELNS1_3repE0EEENS1_30default_config_static_selectorELNS0_4arch9wavefront6targetE1EEEvT1_.has_recursion, 0
	.set _ZN7rocprim17ROCPRIM_400000_NS6detail17trampoline_kernelINS0_14default_configENS1_20scan_config_selectorIN3c104HalfEEEZZNS1_9scan_implILNS1_25lookback_scan_determinismE0ELb0ELb0ES3_PKS6_PS6_S6_ZZZN2at6native31launch_logcumsumexp_cuda_kernelERKNSD_10TensorBaseESH_lENKUlvE_clEvENKUlvE3_clEvEUlS6_S6_E_S6_EEDaPvRmT3_T4_T5_mT6_P12ihipStream_tbENKUlT_T0_E_clISt17integral_constantIbLb1EESY_EEDaST_SU_EUlST_E_NS1_11comp_targetILNS1_3genE8ELNS1_11target_archE1030ELNS1_3gpuE2ELNS1_3repE0EEENS1_30default_config_static_selectorELNS0_4arch9wavefront6targetE1EEEvT1_.has_indirect_call, 0
	.section	.AMDGPU.csdata,"",@progbits
; Kernel info:
; codeLenInByte = 0
; TotalNumSgprs: 6
; NumVgprs: 0
; NumAgprs: 0
; TotalNumVgprs: 0
; ScratchSize: 0
; MemoryBound: 0
; FloatMode: 240
; IeeeMode: 1
; LDSByteSize: 0 bytes/workgroup (compile time only)
; SGPRBlocks: 0
; VGPRBlocks: 0
; NumSGPRsForWavesPerEU: 6
; NumVGPRsForWavesPerEU: 1
; AccumOffset: 4
; Occupancy: 8
; WaveLimiterHint : 0
; COMPUTE_PGM_RSRC2:SCRATCH_EN: 0
; COMPUTE_PGM_RSRC2:USER_SGPR: 2
; COMPUTE_PGM_RSRC2:TRAP_HANDLER: 0
; COMPUTE_PGM_RSRC2:TGID_X_EN: 1
; COMPUTE_PGM_RSRC2:TGID_Y_EN: 0
; COMPUTE_PGM_RSRC2:TGID_Z_EN: 0
; COMPUTE_PGM_RSRC2:TIDIG_COMP_CNT: 0
; COMPUTE_PGM_RSRC3_GFX90A:ACCUM_OFFSET: 0
; COMPUTE_PGM_RSRC3_GFX90A:TG_SPLIT: 0
	.section	.text._ZN7rocprim17ROCPRIM_400000_NS6detail17trampoline_kernelINS0_14default_configENS1_20scan_config_selectorIN3c104HalfEEEZZNS1_9scan_implILNS1_25lookback_scan_determinismE0ELb0ELb0ES3_PKS6_PS6_S6_ZZZN2at6native31launch_logcumsumexp_cuda_kernelERKNSD_10TensorBaseESH_lENKUlvE_clEvENKUlvE3_clEvEUlS6_S6_E_S6_EEDaPvRmT3_T4_T5_mT6_P12ihipStream_tbENKUlT_T0_E_clISt17integral_constantIbLb1EESY_EEDaST_SU_EUlST_E0_NS1_11comp_targetILNS1_3genE0ELNS1_11target_archE4294967295ELNS1_3gpuE0ELNS1_3repE0EEENS1_30default_config_static_selectorELNS0_4arch9wavefront6targetE1EEEvT1_,"axG",@progbits,_ZN7rocprim17ROCPRIM_400000_NS6detail17trampoline_kernelINS0_14default_configENS1_20scan_config_selectorIN3c104HalfEEEZZNS1_9scan_implILNS1_25lookback_scan_determinismE0ELb0ELb0ES3_PKS6_PS6_S6_ZZZN2at6native31launch_logcumsumexp_cuda_kernelERKNSD_10TensorBaseESH_lENKUlvE_clEvENKUlvE3_clEvEUlS6_S6_E_S6_EEDaPvRmT3_T4_T5_mT6_P12ihipStream_tbENKUlT_T0_E_clISt17integral_constantIbLb1EESY_EEDaST_SU_EUlST_E0_NS1_11comp_targetILNS1_3genE0ELNS1_11target_archE4294967295ELNS1_3gpuE0ELNS1_3repE0EEENS1_30default_config_static_selectorELNS0_4arch9wavefront6targetE1EEEvT1_,comdat
	.globl	_ZN7rocprim17ROCPRIM_400000_NS6detail17trampoline_kernelINS0_14default_configENS1_20scan_config_selectorIN3c104HalfEEEZZNS1_9scan_implILNS1_25lookback_scan_determinismE0ELb0ELb0ES3_PKS6_PS6_S6_ZZZN2at6native31launch_logcumsumexp_cuda_kernelERKNSD_10TensorBaseESH_lENKUlvE_clEvENKUlvE3_clEvEUlS6_S6_E_S6_EEDaPvRmT3_T4_T5_mT6_P12ihipStream_tbENKUlT_T0_E_clISt17integral_constantIbLb1EESY_EEDaST_SU_EUlST_E0_NS1_11comp_targetILNS1_3genE0ELNS1_11target_archE4294967295ELNS1_3gpuE0ELNS1_3repE0EEENS1_30default_config_static_selectorELNS0_4arch9wavefront6targetE1EEEvT1_ ; -- Begin function _ZN7rocprim17ROCPRIM_400000_NS6detail17trampoline_kernelINS0_14default_configENS1_20scan_config_selectorIN3c104HalfEEEZZNS1_9scan_implILNS1_25lookback_scan_determinismE0ELb0ELb0ES3_PKS6_PS6_S6_ZZZN2at6native31launch_logcumsumexp_cuda_kernelERKNSD_10TensorBaseESH_lENKUlvE_clEvENKUlvE3_clEvEUlS6_S6_E_S6_EEDaPvRmT3_T4_T5_mT6_P12ihipStream_tbENKUlT_T0_E_clISt17integral_constantIbLb1EESY_EEDaST_SU_EUlST_E0_NS1_11comp_targetILNS1_3genE0ELNS1_11target_archE4294967295ELNS1_3gpuE0ELNS1_3repE0EEENS1_30default_config_static_selectorELNS0_4arch9wavefront6targetE1EEEvT1_
	.p2align	8
	.type	_ZN7rocprim17ROCPRIM_400000_NS6detail17trampoline_kernelINS0_14default_configENS1_20scan_config_selectorIN3c104HalfEEEZZNS1_9scan_implILNS1_25lookback_scan_determinismE0ELb0ELb0ES3_PKS6_PS6_S6_ZZZN2at6native31launch_logcumsumexp_cuda_kernelERKNSD_10TensorBaseESH_lENKUlvE_clEvENKUlvE3_clEvEUlS6_S6_E_S6_EEDaPvRmT3_T4_T5_mT6_P12ihipStream_tbENKUlT_T0_E_clISt17integral_constantIbLb1EESY_EEDaST_SU_EUlST_E0_NS1_11comp_targetILNS1_3genE0ELNS1_11target_archE4294967295ELNS1_3gpuE0ELNS1_3repE0EEENS1_30default_config_static_selectorELNS0_4arch9wavefront6targetE1EEEvT1_,@function
_ZN7rocprim17ROCPRIM_400000_NS6detail17trampoline_kernelINS0_14default_configENS1_20scan_config_selectorIN3c104HalfEEEZZNS1_9scan_implILNS1_25lookback_scan_determinismE0ELb0ELb0ES3_PKS6_PS6_S6_ZZZN2at6native31launch_logcumsumexp_cuda_kernelERKNSD_10TensorBaseESH_lENKUlvE_clEvENKUlvE3_clEvEUlS6_S6_E_S6_EEDaPvRmT3_T4_T5_mT6_P12ihipStream_tbENKUlT_T0_E_clISt17integral_constantIbLb1EESY_EEDaST_SU_EUlST_E0_NS1_11comp_targetILNS1_3genE0ELNS1_11target_archE4294967295ELNS1_3gpuE0ELNS1_3repE0EEENS1_30default_config_static_selectorELNS0_4arch9wavefront6targetE1EEEvT1_: ; @_ZN7rocprim17ROCPRIM_400000_NS6detail17trampoline_kernelINS0_14default_configENS1_20scan_config_selectorIN3c104HalfEEEZZNS1_9scan_implILNS1_25lookback_scan_determinismE0ELb0ELb0ES3_PKS6_PS6_S6_ZZZN2at6native31launch_logcumsumexp_cuda_kernelERKNSD_10TensorBaseESH_lENKUlvE_clEvENKUlvE3_clEvEUlS6_S6_E_S6_EEDaPvRmT3_T4_T5_mT6_P12ihipStream_tbENKUlT_T0_E_clISt17integral_constantIbLb1EESY_EEDaST_SU_EUlST_E0_NS1_11comp_targetILNS1_3genE0ELNS1_11target_archE4294967295ELNS1_3gpuE0ELNS1_3repE0EEENS1_30default_config_static_selectorELNS0_4arch9wavefront6targetE1EEEvT1_
; %bb.0:
	s_load_dwordx4 s[28:31], s[0:1], 0x0
	v_mov_b32_e32 v1, 0
	v_lshlrev_b32_e32 v8, 1, v0
	s_waitcnt lgkmcnt(0)
	global_load_ushort v1, v1, s[28:29]
	v_cmp_gt_u32_e32 vcc, s30, v0
	s_waitcnt vmcnt(0)
	v_mov_b32_e32 v2, v1
	s_and_saveexec_b64 s[2:3], vcc
	s_cbranch_execz .LBB387_2
; %bb.1:
	global_load_ushort v2, v8, s[28:29]
.LBB387_2:
	s_or_b64 exec, exec, s[2:3]
	v_or_b32_e32 v3, 0x80, v0
	v_cmp_gt_u32_e64 s[56:57], s30, v3
	v_mov_b32_e32 v3, v1
	s_and_saveexec_b64 s[2:3], s[56:57]
	s_cbranch_execz .LBB387_4
; %bb.3:
	global_load_ushort v3, v8, s[28:29] offset:256
.LBB387_4:
	s_or_b64 exec, exec, s[2:3]
	v_or_b32_e32 v4, 0x100, v0
	v_cmp_gt_u32_e64 s[2:3], s30, v4
	v_mov_b32_e32 v4, v1
	s_and_saveexec_b64 s[4:5], s[2:3]
	s_cbranch_execz .LBB387_6
; %bb.5:
	global_load_ushort v4, v8, s[28:29] offset:512
.LBB387_6:
	;; [unrolled: 9-line block ×12, first 2 shown]
	s_or_b64 exec, exec, s[24:25]
	v_or_b32_e32 v16, 0x680, v0
	v_cmp_gt_u32_e64 s[24:25], s30, v16
	v_cmp_le_u32_e64 s[26:27], s30, v16
	s_and_saveexec_b64 s[30:31], s[26:27]
	s_xor_b64 s[26:27], exec, s[30:31]
	s_andn2_saveexec_b64 s[26:27], s[26:27]
	s_cbranch_execz .LBB387_28
; %bb.27:
	v_lshlrev_b32_e32 v1, 1, v0
	global_load_ushort v1, v1, s[28:29] offset:3328
.LBB387_28:
	s_or_b64 exec, exec, s[26:27]
	s_waitcnt vmcnt(0)
	ds_write_b16 v8, v2
	ds_write_b16 v8, v3 offset:256
	ds_write_b16 v8, v4 offset:512
	;; [unrolled: 1-line block ×13, first 2 shown]
	v_mad_u32_u24 v1, v0, 26, v8
	s_waitcnt lgkmcnt(0)
	s_barrier
	ds_read2_b32 v[2:3], v1 offset1:1
	ds_read2_b32 v[6:7], v1 offset0:2 offset1:3
	ds_read2_b32 v[4:5], v1 offset0:4 offset1:5
	ds_read_b32 v19, v1 offset:24
	s_movk_i32 s33, 0x1f8
	s_waitcnt lgkmcnt(3)
	v_cvt_f32_f16_e32 v1, v2
	v_cvt_f32_f16_sdwa v9, v2 dst_sel:DWORD dst_unused:UNUSED_PAD src0_sel:WORD_1
	v_cmp_u_f16_e64 s[54:55], v2, v2
	v_cmp_u_f16_sdwa s[26:27], v2, v2 src0_sel:WORD_1 src1_sel:WORD_1
	v_mov_b32_e32 v22, v1
	v_min_f32_e32 v17, v1, v9
	v_cndmask_b32_e64 v10, v17, v1, s[54:55]
	v_max_f32_e32 v18, v1, v9
	v_cndmask_b32_e64 v11, v10, v9, s[26:27]
	v_cndmask_b32_e64 v10, v18, v1, s[54:55]
	;; [unrolled: 1-line block ×3, first 2 shown]
	v_cmp_neq_f32_e64 s[28:29], v11, v10
	v_cmp_class_f32_e64 s[30:31], v11, s33
	s_or_b64 s[28:29], s[28:29], s[30:31]
	v_mov_b32_e32 v20, v2
	v_mov_b32_e32 v21, v2
	s_waitcnt lgkmcnt(0)
	s_barrier
	s_and_saveexec_b64 s[30:31], s[28:29]
	s_cbranch_execz .LBB387_30
; %bb.29:
	v_sub_f32_e32 v11, v11, v10
	s_mov_b32 s28, 0x3fb8aa3b
	v_mul_f32_e32 v12, 0x3fb8aa3b, v11
	v_fma_f32 v13, v11, s28, -v12
	v_rndne_f32_e32 v14, v12
	v_fmamk_f32 v13, v11, 0x32a5705f, v13
	v_sub_f32_e32 v12, v12, v14
	v_add_f32_e32 v12, v12, v13
	v_exp_f32_e32 v12, v12
	v_cvt_i32_f32_e32 v13, v14
	s_mov_b32 s28, 0xc2ce8ed0
	v_cmp_ngt_f32_e64 s[28:29], s28, v11
	v_mov_b32_e32 v16, 0x7f800000
	v_ldexp_f32 v12, v12, v13
	v_cndmask_b32_e64 v12, 0, v12, s[28:29]
	s_mov_b32 s28, 0x42b17218
	v_cmp_nlt_f32_e64 s[28:29], s28, v11
	s_mov_b32 s34, 0x7f800000
	s_nop 0
	v_cndmask_b32_e64 v11, v16, v12, s[28:29]
	v_add_f32_e32 v14, 1.0, v11
	v_add_f32_e32 v12, -1.0, v14
	v_sub_f32_e32 v13, v12, v14
	v_add_f32_e32 v13, 1.0, v13
	v_sub_f32_e32 v12, v11, v12
	v_add_f32_e32 v15, v12, v13
	v_frexp_mant_f32_e32 v20, v14
	s_mov_b32 s28, 0x3f2aaaab
	v_cvt_f64_f32_e32 v[12:13], v14
	v_frexp_exp_i32_f64_e32 v12, v[12:13]
	v_cmp_gt_f32_e64 s[28:29], s28, v20
	s_nop 1
	v_subbrev_co_u32_e64 v24, s[28:29], 0, v12, s[28:29]
	v_sub_u32_e32 v12, 0, v24
	v_ldexp_f32 v13, v14, v12
	v_add_f32_e32 v14, -1.0, v13
	v_add_f32_e32 v20, 1.0, v13
	v_ldexp_f32 v12, v15, v12
	v_add_f32_e32 v15, 1.0, v14
	v_add_f32_e32 v21, -1.0, v20
	v_sub_f32_e32 v15, v13, v15
	v_sub_f32_e32 v13, v13, v21
	v_add_f32_e32 v15, v12, v15
	v_add_f32_e32 v12, v12, v13
	;; [unrolled: 1-line block ×3, first 2 shown]
	v_rcp_f32_e32 v27, v25
	v_sub_f32_e32 v13, v20, v25
	v_add_f32_e32 v26, v12, v13
	v_add_f32_e32 v13, v14, v15
	v_mul_f32_e32 v29, v13, v27
	v_sub_f32_e32 v12, v14, v13
	v_mul_f32_e32 v14, v25, v29
	v_fma_f32 v20, v29, v25, -v14
	v_fmac_f32_e32 v20, v29, v26
	v_add_f32_e32 v28, v15, v12
	v_add_f32_e32 v12, v14, v20
	v_sub_f32_e32 v15, v13, v12
	v_pk_add_f32 v[22:23], v[12:13], v[14:15] neg_lo:[0,1] neg_hi:[0,1]
	v_mov_b32_e32 v21, v12
	v_pk_add_f32 v[12:13], v[22:23], v[20:21] neg_lo:[0,1] neg_hi:[0,1]
	s_mov_b32 s28, 0x3f317218
	v_add_f32_e32 v13, v28, v13
	v_add_f32_e32 v12, v12, v13
	;; [unrolled: 1-line block ×3, first 2 shown]
	v_mul_f32_e32 v28, v27, v13
	v_mul_f32_e32 v14, v25, v28
	v_fma_f32 v20, v28, v25, -v14
	v_fmac_f32_e32 v20, v28, v26
	v_sub_f32_e32 v15, v15, v13
	v_add_f32_e32 v25, v12, v15
	v_add_f32_e32 v12, v14, v20
	v_sub_f32_e32 v15, v13, v12
	v_pk_add_f32 v[22:23], v[12:13], v[14:15] neg_lo:[0,1] neg_hi:[0,1]
	v_mov_b32_e32 v21, v12
	v_pk_add_f32 v[12:13], v[22:23], v[20:21] neg_lo:[0,1] neg_hi:[0,1]
	v_cvt_f32_i32_e32 v14, v24
	v_add_f32_e32 v13, v25, v13
	v_add_f32_e32 v12, v12, v13
	;; [unrolled: 1-line block ×4, first 2 shown]
	v_sub_f32_e32 v13, v15, v29
	v_mul_f32_e32 v12, v27, v12
	v_sub_f32_e32 v13, v28, v13
	v_add_f32_e32 v12, v13, v12
	v_add_f32_e32 v20, v15, v12
	v_mul_f32_e32 v22, v20, v20
	v_mov_b32_e32 v13, 0x3ecc95a3
	v_sub_f32_e32 v15, v20, v15
	v_fmac_f32_e32 v13, 0x3e9b6dac, v22
	v_sub_f32_e32 v12, v12, v15
	v_fmaak_f32 v13, v22, v13, 0x3f2aaada
	v_ldexp_f32 v23, v12, 1
	v_mul_f32_e32 v15, v20, v22
	v_mov_b32_e32 v12, 0x3f317218
	v_pk_mul_f32 v[12:13], v[14:15], v[12:13]
	v_ldexp_f32 v21, v20, 1
	v_fma_f32 v15, v14, s28, -v12
	v_fmamk_f32 v20, v14, 0xb102e308, v15
	v_pk_add_f32 v[14:15], v[12:13], v[20:21]
	v_mov_b32_e32 v22, v12
	v_sub_f32_e32 v21, v15, v21
	v_sub_f32_e32 v21, v13, v21
	v_add_f32_e32 v23, v23, v21
	v_pk_add_f32 v[12:13], v[14:15], v[12:13] neg_lo:[0,1] neg_hi:[0,1]
	v_pk_add_f32 v[24:25], v[14:15], v[22:23]
	v_mov_b32_e32 v21, v14
	v_mov_b32_e32 v13, v25
	v_pk_add_f32 v[26:27], v[20:21], v[12:13] neg_lo:[0,1] neg_hi:[0,1]
	v_pk_add_f32 v[12:13], v[20:21], v[12:13]
	v_mov_b32_e32 v22, v23
	v_pk_add_f32 v[20:21], v[12:13], v[14:15] op_sel:[1,0] op_sel_hi:[0,1] neg_lo:[0,1] neg_hi:[0,1]
	v_pk_add_f32 v[28:29], v[24:25], v[20:21] op_sel_hi:[1,0] neg_lo:[0,1] neg_hi:[0,1]
	v_mov_b32_e32 v24, v25
	v_mov_b32_e32 v25, v13
	v_pk_mov_b32 v[20:21], v[14:15], v[20:21] op_sel:[1,0]
	v_mov_b32_e32 v23, v14
	v_pk_add_f32 v[20:21], v[24:25], v[20:21] neg_lo:[0,1] neg_hi:[0,1]
	v_mov_b32_e32 v28, v26
	v_pk_add_f32 v[14:15], v[22:23], v[20:21] neg_lo:[0,1] neg_hi:[0,1]
	v_mov_b32_e32 v27, v13
	v_pk_add_f32 v[20:21], v[28:29], v[14:15]
	v_cmp_neq_f32_e64 s[28:29], s34, v11
	v_pk_add_f32 v[22:23], v[20:21], v[20:21] op_sel:[0,1] op_sel_hi:[1,0]
	s_nop 0
	v_pk_add_f32 v[12:13], v[12:13], v[22:23] op_sel:[1,0] op_sel_hi:[0,1]
	v_mov_b32_e32 v21, v12
	v_pk_add_f32 v[24:25], v[20:21], v[26:27] neg_lo:[0,1] neg_hi:[0,1]
	v_mov_b32_e32 v15, v22
	v_sub_f32_e32 v13, v20, v24
	v_pk_add_f32 v[14:15], v[14:15], v[24:25] neg_lo:[0,1] neg_hi:[0,1]
	v_sub_f32_e32 v13, v26, v13
	v_add_f32_e32 v13, v14, v13
	v_add_f32_e32 v13, v13, v15
	;; [unrolled: 1-line block ×3, first 2 shown]
	v_cndmask_b32_e64 v12, v16, v12, s[28:29]
	s_mov_b32 s28, 0x33800000
	v_cmp_lt_f32_e64 s[28:29], |v11|, s28
	s_nop 1
	v_cndmask_b32_e64 v11, v12, v11, s[28:29]
	v_add_f32_e32 v10, v10, v11
	v_cvt_f16_f32_e32 v20, v10
	v_cvt_f32_f16_e32 v22, v20
	v_mov_b32_e32 v21, v20
.LBB387_30:
	s_or_b64 exec, exec, s[30:31]
	v_cvt_f32_f16_e32 v10, v3
	v_max_f32_e32 v11, v22, v22
	v_cmp_u_f16_e64 s[30:31], v20, v20
	v_cmp_u_f16_e64 s[28:29], v3, v3
	v_min_f32_e32 v12, v11, v10
	v_max_f32_e32 v11, v11, v10
	v_cndmask_b32_e64 v12, v12, v22, s[30:31]
	v_cndmask_b32_e64 v11, v11, v22, s[30:31]
	;; [unrolled: 1-line block ×4, first 2 shown]
	v_cmp_neq_f32_e64 s[30:31], v12, v11
	v_cmp_class_f32_e64 s[34:35], v12, s33
	s_or_b64 s[30:31], s[30:31], s[34:35]
	s_and_saveexec_b64 s[34:35], s[30:31]
	s_cbranch_execz .LBB387_32
; %bb.31:
	v_sub_f32_e32 v12, v12, v11
	s_mov_b32 s30, 0x3fb8aa3b
	v_mul_f32_e32 v13, 0x3fb8aa3b, v12
	v_fma_f32 v14, v12, s30, -v13
	v_rndne_f32_e32 v15, v13
	v_fmamk_f32 v14, v12, 0x32a5705f, v14
	v_sub_f32_e32 v13, v13, v15
	v_add_f32_e32 v13, v13, v14
	v_exp_f32_e32 v13, v13
	v_cvt_i32_f32_e32 v14, v15
	s_mov_b32 s30, 0xc2ce8ed0
	v_cmp_ngt_f32_e64 s[30:31], s30, v12
	v_mov_b32_e32 v16, 0x7f800000
	v_ldexp_f32 v13, v13, v14
	v_cndmask_b32_e64 v13, 0, v13, s[30:31]
	s_mov_b32 s30, 0x42b17218
	v_cmp_nlt_f32_e64 s[30:31], s30, v12
	s_mov_b32 s33, 0x7f800000
	s_nop 0
	v_cndmask_b32_e64 v30, v16, v13, s[30:31]
	v_add_f32_e32 v14, 1.0, v30
	v_add_f32_e32 v12, -1.0, v14
	v_sub_f32_e32 v13, v12, v14
	v_add_f32_e32 v13, 1.0, v13
	v_sub_f32_e32 v12, v30, v12
	v_add_f32_e32 v15, v12, v13
	v_frexp_mant_f32_e32 v20, v14
	s_mov_b32 s30, 0x3f2aaaab
	v_cvt_f64_f32_e32 v[12:13], v14
	v_frexp_exp_i32_f64_e32 v12, v[12:13]
	v_cmp_gt_f32_e64 s[30:31], s30, v20
	s_nop 1
	v_subbrev_co_u32_e64 v24, s[30:31], 0, v12, s[30:31]
	v_sub_u32_e32 v12, 0, v24
	v_ldexp_f32 v13, v14, v12
	v_add_f32_e32 v14, -1.0, v13
	v_add_f32_e32 v20, 1.0, v13
	v_ldexp_f32 v12, v15, v12
	v_add_f32_e32 v15, 1.0, v14
	v_add_f32_e32 v21, -1.0, v20
	v_sub_f32_e32 v15, v13, v15
	v_sub_f32_e32 v13, v13, v21
	v_add_f32_e32 v15, v12, v15
	v_add_f32_e32 v12, v12, v13
	;; [unrolled: 1-line block ×3, first 2 shown]
	v_rcp_f32_e32 v27, v25
	v_sub_f32_e32 v13, v20, v25
	v_add_f32_e32 v26, v12, v13
	v_add_f32_e32 v13, v14, v15
	v_mul_f32_e32 v29, v13, v27
	v_sub_f32_e32 v12, v14, v13
	v_mul_f32_e32 v14, v25, v29
	v_fma_f32 v20, v29, v25, -v14
	v_fmac_f32_e32 v20, v29, v26
	v_add_f32_e32 v28, v15, v12
	v_add_f32_e32 v12, v14, v20
	v_sub_f32_e32 v15, v13, v12
	v_pk_add_f32 v[22:23], v[12:13], v[14:15] neg_lo:[0,1] neg_hi:[0,1]
	v_mov_b32_e32 v21, v12
	v_pk_add_f32 v[12:13], v[22:23], v[20:21] neg_lo:[0,1] neg_hi:[0,1]
	s_mov_b32 s30, 0x3f317218
	v_add_f32_e32 v13, v28, v13
	v_add_f32_e32 v12, v12, v13
	;; [unrolled: 1-line block ×3, first 2 shown]
	v_mul_f32_e32 v28, v27, v13
	v_mul_f32_e32 v14, v25, v28
	v_fma_f32 v20, v28, v25, -v14
	v_fmac_f32_e32 v20, v28, v26
	v_sub_f32_e32 v15, v15, v13
	v_add_f32_e32 v25, v12, v15
	v_add_f32_e32 v12, v14, v20
	v_sub_f32_e32 v15, v13, v12
	v_pk_add_f32 v[22:23], v[12:13], v[14:15] neg_lo:[0,1] neg_hi:[0,1]
	v_mov_b32_e32 v21, v12
	v_pk_add_f32 v[12:13], v[22:23], v[20:21] neg_lo:[0,1] neg_hi:[0,1]
	v_cvt_f32_i32_e32 v14, v24
	v_add_f32_e32 v13, v25, v13
	v_add_f32_e32 v12, v12, v13
	;; [unrolled: 1-line block ×4, first 2 shown]
	v_sub_f32_e32 v13, v15, v29
	v_mul_f32_e32 v12, v27, v12
	v_sub_f32_e32 v13, v28, v13
	v_add_f32_e32 v12, v13, v12
	v_add_f32_e32 v20, v15, v12
	v_mul_f32_e32 v22, v20, v20
	v_mov_b32_e32 v13, 0x3ecc95a3
	v_sub_f32_e32 v15, v20, v15
	v_fmac_f32_e32 v13, 0x3e9b6dac, v22
	v_sub_f32_e32 v12, v12, v15
	v_fmaak_f32 v13, v22, v13, 0x3f2aaada
	v_ldexp_f32 v23, v12, 1
	v_mul_f32_e32 v15, v20, v22
	v_mov_b32_e32 v12, 0x3f317218
	v_pk_mul_f32 v[12:13], v[14:15], v[12:13]
	v_ldexp_f32 v21, v20, 1
	v_fma_f32 v15, v14, s30, -v12
	v_fmamk_f32 v20, v14, 0xb102e308, v15
	v_pk_add_f32 v[14:15], v[12:13], v[20:21]
	v_mov_b32_e32 v22, v12
	v_sub_f32_e32 v21, v15, v21
	v_sub_f32_e32 v21, v13, v21
	v_add_f32_e32 v23, v23, v21
	v_pk_add_f32 v[12:13], v[14:15], v[12:13] neg_lo:[0,1] neg_hi:[0,1]
	v_pk_add_f32 v[24:25], v[14:15], v[22:23]
	v_mov_b32_e32 v21, v14
	v_mov_b32_e32 v13, v25
	v_pk_add_f32 v[26:27], v[20:21], v[12:13] neg_lo:[0,1] neg_hi:[0,1]
	v_pk_add_f32 v[12:13], v[20:21], v[12:13]
	v_mov_b32_e32 v22, v23
	v_pk_add_f32 v[20:21], v[12:13], v[14:15] op_sel:[1,0] op_sel_hi:[0,1] neg_lo:[0,1] neg_hi:[0,1]
	v_pk_add_f32 v[28:29], v[24:25], v[20:21] op_sel_hi:[1,0] neg_lo:[0,1] neg_hi:[0,1]
	v_mov_b32_e32 v24, v25
	v_mov_b32_e32 v25, v13
	v_pk_mov_b32 v[20:21], v[14:15], v[20:21] op_sel:[1,0]
	v_mov_b32_e32 v23, v14
	v_pk_add_f32 v[20:21], v[24:25], v[20:21] neg_lo:[0,1] neg_hi:[0,1]
	v_mov_b32_e32 v28, v26
	v_pk_add_f32 v[14:15], v[22:23], v[20:21] neg_lo:[0,1] neg_hi:[0,1]
	v_mov_b32_e32 v27, v13
	v_pk_add_f32 v[20:21], v[28:29], v[14:15]
	v_cmp_neq_f32_e64 s[30:31], s33, v30
	v_pk_add_f32 v[22:23], v[20:21], v[20:21] op_sel:[0,1] op_sel_hi:[1,0]
	s_nop 0
	v_pk_add_f32 v[12:13], v[12:13], v[22:23] op_sel:[1,0] op_sel_hi:[0,1]
	v_mov_b32_e32 v21, v12
	v_pk_add_f32 v[24:25], v[20:21], v[26:27] neg_lo:[0,1] neg_hi:[0,1]
	v_mov_b32_e32 v15, v22
	v_sub_f32_e32 v13, v20, v24
	v_pk_add_f32 v[14:15], v[14:15], v[24:25] neg_lo:[0,1] neg_hi:[0,1]
	v_sub_f32_e32 v13, v26, v13
	v_add_f32_e32 v13, v14, v13
	v_add_f32_e32 v13, v13, v15
	;; [unrolled: 1-line block ×3, first 2 shown]
	v_cndmask_b32_e64 v12, v16, v12, s[30:31]
	s_mov_b32 s30, 0x33800000
	v_cmp_lt_f32_e64 s[30:31], |v30|, s30
	s_nop 1
	v_cndmask_b32_e64 v12, v12, v30, s[30:31]
	v_add_f32_e32 v11, v11, v12
	v_cvt_f16_f32_e32 v20, v11
	v_cvt_f32_f16_e32 v22, v20
	v_mov_b32_e32 v21, v20
.LBB387_32:
	s_or_b64 exec, exec, s[34:35]
	v_cvt_f32_f16_sdwa v11, v3 dst_sel:DWORD dst_unused:UNUSED_PAD src0_sel:WORD_1
	v_max_f32_e32 v13, v22, v22
	v_cmp_u_f16_e64 s[34:35], v20, v20
	v_cmp_u_f16_sdwa s[30:31], v3, v3 src0_sel:WORD_1 src1_sel:WORD_1
	v_min_f32_e32 v12, v13, v11
	v_max_f32_e32 v3, v13, v11
	v_cndmask_b32_e64 v12, v12, v22, s[34:35]
	v_cndmask_b32_e64 v3, v3, v22, s[34:35]
	;; [unrolled: 1-line block ×4, first 2 shown]
	s_movk_i32 s33, 0x1f8
	v_cmp_neq_f32_e64 s[34:35], v12, v3
	v_cmp_class_f32_e64 s[36:37], v12, s33
	s_or_b64 s[34:35], s[34:35], s[36:37]
	s_and_saveexec_b64 s[36:37], s[34:35]
	s_cbranch_execz .LBB387_34
; %bb.33:
	v_sub_f32_e32 v12, v12, v3
	s_mov_b32 s34, 0x3fb8aa3b
	v_mul_f32_e32 v13, 0x3fb8aa3b, v12
	v_fma_f32 v14, v12, s34, -v13
	v_rndne_f32_e32 v15, v13
	v_fmamk_f32 v14, v12, 0x32a5705f, v14
	v_sub_f32_e32 v13, v13, v15
	v_add_f32_e32 v13, v13, v14
	v_exp_f32_e32 v13, v13
	v_cvt_i32_f32_e32 v14, v15
	s_mov_b32 s34, 0xc2ce8ed0
	v_cmp_ngt_f32_e64 s[34:35], s34, v12
	v_mov_b32_e32 v16, 0x7f800000
	v_ldexp_f32 v13, v13, v14
	v_cndmask_b32_e64 v13, 0, v13, s[34:35]
	s_mov_b32 s34, 0x42b17218
	v_cmp_nlt_f32_e64 s[34:35], s34, v12
	s_mov_b32 s38, 0x7f800000
	s_nop 0
	v_cndmask_b32_e64 v30, v16, v13, s[34:35]
	v_add_f32_e32 v14, 1.0, v30
	v_add_f32_e32 v12, -1.0, v14
	v_sub_f32_e32 v13, v12, v14
	v_add_f32_e32 v13, 1.0, v13
	v_sub_f32_e32 v12, v30, v12
	v_add_f32_e32 v15, v12, v13
	v_frexp_mant_f32_e32 v20, v14
	s_mov_b32 s34, 0x3f2aaaab
	v_cvt_f64_f32_e32 v[12:13], v14
	v_frexp_exp_i32_f64_e32 v12, v[12:13]
	v_cmp_gt_f32_e64 s[34:35], s34, v20
	s_nop 1
	v_subbrev_co_u32_e64 v24, s[34:35], 0, v12, s[34:35]
	v_sub_u32_e32 v12, 0, v24
	v_ldexp_f32 v13, v14, v12
	v_add_f32_e32 v14, -1.0, v13
	v_add_f32_e32 v20, 1.0, v13
	v_ldexp_f32 v12, v15, v12
	v_add_f32_e32 v15, 1.0, v14
	v_add_f32_e32 v21, -1.0, v20
	v_sub_f32_e32 v15, v13, v15
	v_sub_f32_e32 v13, v13, v21
	v_add_f32_e32 v15, v12, v15
	v_add_f32_e32 v12, v12, v13
	;; [unrolled: 1-line block ×3, first 2 shown]
	v_rcp_f32_e32 v27, v25
	v_sub_f32_e32 v13, v20, v25
	v_add_f32_e32 v26, v12, v13
	v_add_f32_e32 v13, v14, v15
	v_mul_f32_e32 v29, v13, v27
	v_sub_f32_e32 v12, v14, v13
	v_mul_f32_e32 v14, v25, v29
	v_fma_f32 v20, v29, v25, -v14
	v_fmac_f32_e32 v20, v29, v26
	v_add_f32_e32 v28, v15, v12
	v_add_f32_e32 v12, v14, v20
	v_sub_f32_e32 v15, v13, v12
	v_pk_add_f32 v[22:23], v[12:13], v[14:15] neg_lo:[0,1] neg_hi:[0,1]
	v_mov_b32_e32 v21, v12
	v_pk_add_f32 v[12:13], v[22:23], v[20:21] neg_lo:[0,1] neg_hi:[0,1]
	s_mov_b32 s34, 0x3f317218
	v_add_f32_e32 v13, v28, v13
	v_add_f32_e32 v12, v12, v13
	;; [unrolled: 1-line block ×3, first 2 shown]
	v_mul_f32_e32 v28, v27, v13
	v_mul_f32_e32 v14, v25, v28
	v_fma_f32 v20, v28, v25, -v14
	v_fmac_f32_e32 v20, v28, v26
	v_sub_f32_e32 v15, v15, v13
	v_add_f32_e32 v25, v12, v15
	v_add_f32_e32 v12, v14, v20
	v_sub_f32_e32 v15, v13, v12
	v_pk_add_f32 v[22:23], v[12:13], v[14:15] neg_lo:[0,1] neg_hi:[0,1]
	v_mov_b32_e32 v21, v12
	v_pk_add_f32 v[12:13], v[22:23], v[20:21] neg_lo:[0,1] neg_hi:[0,1]
	v_cvt_f32_i32_e32 v14, v24
	v_add_f32_e32 v13, v25, v13
	v_add_f32_e32 v12, v12, v13
	;; [unrolled: 1-line block ×4, first 2 shown]
	v_sub_f32_e32 v13, v15, v29
	v_mul_f32_e32 v12, v27, v12
	v_sub_f32_e32 v13, v28, v13
	v_add_f32_e32 v12, v13, v12
	v_add_f32_e32 v20, v15, v12
	v_mul_f32_e32 v22, v20, v20
	v_mov_b32_e32 v13, 0x3ecc95a3
	v_sub_f32_e32 v15, v20, v15
	v_fmac_f32_e32 v13, 0x3e9b6dac, v22
	v_sub_f32_e32 v12, v12, v15
	v_fmaak_f32 v13, v22, v13, 0x3f2aaada
	v_ldexp_f32 v23, v12, 1
	v_mul_f32_e32 v15, v20, v22
	v_mov_b32_e32 v12, 0x3f317218
	v_pk_mul_f32 v[12:13], v[14:15], v[12:13]
	v_ldexp_f32 v21, v20, 1
	v_fma_f32 v15, v14, s34, -v12
	v_fmamk_f32 v20, v14, 0xb102e308, v15
	v_pk_add_f32 v[14:15], v[12:13], v[20:21]
	v_mov_b32_e32 v22, v12
	v_sub_f32_e32 v21, v15, v21
	v_sub_f32_e32 v21, v13, v21
	v_add_f32_e32 v23, v23, v21
	v_pk_add_f32 v[12:13], v[14:15], v[12:13] neg_lo:[0,1] neg_hi:[0,1]
	v_pk_add_f32 v[24:25], v[14:15], v[22:23]
	v_mov_b32_e32 v21, v14
	v_mov_b32_e32 v13, v25
	v_pk_add_f32 v[26:27], v[20:21], v[12:13] neg_lo:[0,1] neg_hi:[0,1]
	v_pk_add_f32 v[12:13], v[20:21], v[12:13]
	v_mov_b32_e32 v22, v23
	v_pk_add_f32 v[20:21], v[12:13], v[14:15] op_sel:[1,0] op_sel_hi:[0,1] neg_lo:[0,1] neg_hi:[0,1]
	v_pk_add_f32 v[28:29], v[24:25], v[20:21] op_sel_hi:[1,0] neg_lo:[0,1] neg_hi:[0,1]
	v_mov_b32_e32 v24, v25
	v_mov_b32_e32 v25, v13
	v_pk_mov_b32 v[20:21], v[14:15], v[20:21] op_sel:[1,0]
	v_mov_b32_e32 v23, v14
	v_pk_add_f32 v[20:21], v[24:25], v[20:21] neg_lo:[0,1] neg_hi:[0,1]
	v_mov_b32_e32 v28, v26
	v_pk_add_f32 v[14:15], v[22:23], v[20:21] neg_lo:[0,1] neg_hi:[0,1]
	v_mov_b32_e32 v27, v13
	v_pk_add_f32 v[20:21], v[28:29], v[14:15]
	v_cmp_neq_f32_e64 s[34:35], s38, v30
	v_pk_add_f32 v[22:23], v[20:21], v[20:21] op_sel:[0,1] op_sel_hi:[1,0]
	s_nop 0
	v_pk_add_f32 v[12:13], v[12:13], v[22:23] op_sel:[1,0] op_sel_hi:[0,1]
	v_mov_b32_e32 v21, v12
	v_pk_add_f32 v[24:25], v[20:21], v[26:27] neg_lo:[0,1] neg_hi:[0,1]
	v_mov_b32_e32 v15, v22
	v_sub_f32_e32 v13, v20, v24
	v_pk_add_f32 v[14:15], v[14:15], v[24:25] neg_lo:[0,1] neg_hi:[0,1]
	v_sub_f32_e32 v13, v26, v13
	v_add_f32_e32 v13, v14, v13
	v_add_f32_e32 v13, v13, v15
	;; [unrolled: 1-line block ×3, first 2 shown]
	v_cndmask_b32_e64 v12, v16, v12, s[34:35]
	s_mov_b32 s34, 0x33800000
	v_cmp_lt_f32_e64 s[34:35], |v30|, s34
	s_nop 1
	v_cndmask_b32_e64 v12, v12, v30, s[34:35]
	v_add_f32_e32 v3, v3, v12
	v_cvt_f16_f32_e32 v20, v3
	v_cvt_f32_f16_e32 v22, v20
	v_mov_b32_e32 v21, v20
.LBB387_34:
	s_or_b64 exec, exec, s[36:37]
	v_cvt_f32_f16_e32 v3, v6
	v_max_f32_e32 v12, v22, v22
	v_cmp_u_f16_e64 s[36:37], v20, v20
	v_cmp_u_f16_e64 s[34:35], v6, v6
	v_min_f32_e32 v13, v12, v3
	v_max_f32_e32 v12, v12, v3
	v_cndmask_b32_e64 v13, v13, v22, s[36:37]
	v_cndmask_b32_e64 v12, v12, v22, s[36:37]
	;; [unrolled: 1-line block ×4, first 2 shown]
	v_cmp_neq_f32_e64 s[36:37], v13, v12
	v_cmp_class_f32_e64 s[38:39], v13, s33
	s_or_b64 s[36:37], s[36:37], s[38:39]
	s_and_saveexec_b64 s[38:39], s[36:37]
	s_cbranch_execz .LBB387_36
; %bb.35:
	v_sub_f32_e32 v13, v13, v12
	s_mov_b32 s33, 0x3fb8aa3b
	v_mul_f32_e32 v14, 0x3fb8aa3b, v13
	v_fma_f32 v15, v13, s33, -v14
	v_rndne_f32_e32 v16, v14
	v_fmamk_f32 v15, v13, 0x32a5705f, v15
	v_sub_f32_e32 v14, v14, v16
	v_add_f32_e32 v14, v14, v15
	v_exp_f32_e32 v14, v14
	v_cvt_i32_f32_e32 v15, v16
	s_mov_b32 s33, 0xc2ce8ed0
	v_cmp_ngt_f32_e64 s[36:37], s33, v13
	s_mov_b32 s33, 0x42b17218
	v_ldexp_f32 v14, v14, v15
	v_cndmask_b32_e64 v14, 0, v14, s[36:37]
	v_mov_b32_e32 v16, 0x7f800000
	v_cmp_nlt_f32_e64 s[36:37], s33, v13
	s_mov_b32 s33, 0x3f2aaaab
	s_mov_b32 s40, 0x7f800000
	v_cndmask_b32_e64 v13, v16, v14, s[36:37]
	v_add_f32_e32 v20, 1.0, v13
	v_add_f32_e32 v14, -1.0, v20
	v_sub_f32_e32 v15, v14, v20
	v_add_f32_e32 v15, 1.0, v15
	v_sub_f32_e32 v14, v13, v14
	v_add_f32_e32 v21, v14, v15
	v_frexp_mant_f32_e32 v22, v20
	v_cvt_f64_f32_e32 v[14:15], v20
	v_frexp_exp_i32_f64_e32 v14, v[14:15]
	v_cmp_gt_f32_e64 s[36:37], s33, v22
	s_mov_b32 s33, 0x3f317218
	s_nop 0
	v_subbrev_co_u32_e64 v26, s[36:37], 0, v14, s[36:37]
	v_sub_u32_e32 v14, 0, v26
	v_ldexp_f32 v15, v20, v14
	v_add_f32_e32 v20, -1.0, v15
	v_add_f32_e32 v22, 1.0, v15
	v_ldexp_f32 v14, v21, v14
	v_add_f32_e32 v21, 1.0, v20
	v_add_f32_e32 v23, -1.0, v22
	v_sub_f32_e32 v21, v15, v21
	v_sub_f32_e32 v15, v15, v23
	v_add_f32_e32 v21, v14, v21
	v_add_f32_e32 v14, v14, v15
	;; [unrolled: 1-line block ×3, first 2 shown]
	v_rcp_f32_e32 v29, v27
	v_sub_f32_e32 v15, v22, v27
	v_add_f32_e32 v28, v14, v15
	v_add_f32_e32 v15, v20, v21
	v_mul_f32_e32 v31, v15, v29
	v_sub_f32_e32 v14, v20, v15
	v_mul_f32_e32 v20, v27, v31
	v_fma_f32 v22, v31, v27, -v20
	v_fmac_f32_e32 v22, v31, v28
	v_add_f32_e32 v30, v21, v14
	v_add_f32_e32 v14, v20, v22
	v_sub_f32_e32 v21, v15, v14
	v_pk_add_f32 v[24:25], v[14:15], v[20:21] neg_lo:[0,1] neg_hi:[0,1]
	v_mov_b32_e32 v23, v14
	v_pk_add_f32 v[14:15], v[24:25], v[22:23] neg_lo:[0,1] neg_hi:[0,1]
	v_cmp_neq_f32_e64 s[36:37], s40, v13
	v_add_f32_e32 v15, v30, v15
	v_add_f32_e32 v14, v14, v15
	;; [unrolled: 1-line block ×3, first 2 shown]
	v_mul_f32_e32 v30, v29, v15
	v_mul_f32_e32 v20, v27, v30
	v_fma_f32 v22, v30, v27, -v20
	v_fmac_f32_e32 v22, v30, v28
	v_sub_f32_e32 v21, v21, v15
	v_add_f32_e32 v27, v14, v21
	v_add_f32_e32 v14, v20, v22
	v_sub_f32_e32 v21, v15, v14
	v_pk_add_f32 v[24:25], v[14:15], v[20:21] neg_lo:[0,1] neg_hi:[0,1]
	v_mov_b32_e32 v23, v14
	v_pk_add_f32 v[14:15], v[24:25], v[22:23] neg_lo:[0,1] neg_hi:[0,1]
	v_cvt_f32_i32_e32 v20, v26
	v_add_f32_e32 v15, v27, v15
	v_add_f32_e32 v14, v14, v15
	;; [unrolled: 1-line block ×4, first 2 shown]
	v_sub_f32_e32 v15, v21, v31
	v_mul_f32_e32 v14, v29, v14
	v_sub_f32_e32 v15, v30, v15
	v_add_f32_e32 v14, v15, v14
	v_add_f32_e32 v22, v21, v14
	v_mul_f32_e32 v24, v22, v22
	v_mov_b32_e32 v15, 0x3ecc95a3
	v_sub_f32_e32 v21, v22, v21
	v_fmac_f32_e32 v15, 0x3e9b6dac, v24
	v_sub_f32_e32 v14, v14, v21
	v_fmaak_f32 v15, v24, v15, 0x3f2aaada
	v_ldexp_f32 v25, v14, 1
	v_mul_f32_e32 v21, v22, v24
	v_mov_b32_e32 v14, 0x3f317218
	v_pk_mul_f32 v[14:15], v[20:21], v[14:15]
	v_ldexp_f32 v23, v22, 1
	v_fma_f32 v21, v20, s33, -v14
	v_fmamk_f32 v22, v20, 0xb102e308, v21
	v_pk_add_f32 v[20:21], v[14:15], v[22:23]
	v_mov_b32_e32 v24, v14
	v_sub_f32_e32 v23, v21, v23
	v_sub_f32_e32 v23, v15, v23
	v_add_f32_e32 v25, v25, v23
	v_pk_add_f32 v[14:15], v[20:21], v[14:15] neg_lo:[0,1] neg_hi:[0,1]
	v_pk_add_f32 v[26:27], v[20:21], v[24:25]
	v_mov_b32_e32 v23, v20
	v_mov_b32_e32 v15, v27
	v_pk_add_f32 v[28:29], v[22:23], v[14:15] neg_lo:[0,1] neg_hi:[0,1]
	v_pk_add_f32 v[14:15], v[22:23], v[14:15]
	v_mov_b32_e32 v24, v25
	v_pk_add_f32 v[22:23], v[14:15], v[20:21] op_sel:[1,0] op_sel_hi:[0,1] neg_lo:[0,1] neg_hi:[0,1]
	v_pk_add_f32 v[30:31], v[26:27], v[22:23] op_sel_hi:[1,0] neg_lo:[0,1] neg_hi:[0,1]
	v_mov_b32_e32 v26, v27
	v_mov_b32_e32 v27, v15
	v_pk_mov_b32 v[22:23], v[20:21], v[22:23] op_sel:[1,0]
	v_mov_b32_e32 v25, v20
	v_pk_add_f32 v[22:23], v[26:27], v[22:23] neg_lo:[0,1] neg_hi:[0,1]
	v_mov_b32_e32 v30, v28
	v_pk_add_f32 v[20:21], v[24:25], v[22:23] neg_lo:[0,1] neg_hi:[0,1]
	v_mov_b32_e32 v29, v15
	v_pk_add_f32 v[22:23], v[30:31], v[20:21]
	s_mov_b32 s33, 0x33800000
	v_pk_add_f32 v[24:25], v[22:23], v[22:23] op_sel:[0,1] op_sel_hi:[1,0]
	s_nop 0
	v_pk_add_f32 v[14:15], v[14:15], v[24:25] op_sel:[1,0] op_sel_hi:[0,1]
	v_mov_b32_e32 v23, v14
	v_pk_add_f32 v[26:27], v[22:23], v[28:29] neg_lo:[0,1] neg_hi:[0,1]
	v_mov_b32_e32 v21, v24
	v_sub_f32_e32 v15, v22, v26
	v_pk_add_f32 v[20:21], v[20:21], v[26:27] neg_lo:[0,1] neg_hi:[0,1]
	v_sub_f32_e32 v15, v28, v15
	v_add_f32_e32 v15, v20, v15
	v_add_f32_e32 v15, v15, v21
	;; [unrolled: 1-line block ×3, first 2 shown]
	v_cndmask_b32_e64 v14, v16, v14, s[36:37]
	v_cmp_lt_f32_e64 s[36:37], |v13|, s33
	s_nop 1
	v_cndmask_b32_e64 v13, v14, v13, s[36:37]
	v_add_f32_e32 v12, v12, v13
	v_cvt_f16_f32_e32 v20, v12
	v_cvt_f32_f16_e32 v22, v20
	v_mov_b32_e32 v21, v20
.LBB387_36:
	s_or_b64 exec, exec, s[38:39]
	v_cvt_f32_f16_sdwa v12, v6 dst_sel:DWORD dst_unused:UNUSED_PAD src0_sel:WORD_1
	v_max_f32_e32 v14, v22, v22
	v_cmp_u_f16_e64 s[38:39], v20, v20
	v_cmp_u_f16_sdwa s[36:37], v6, v6 src0_sel:WORD_1 src1_sel:WORD_1
	v_min_f32_e32 v13, v14, v12
	v_max_f32_e32 v6, v14, v12
	v_cndmask_b32_e64 v13, v13, v22, s[38:39]
	v_cndmask_b32_e64 v6, v6, v22, s[38:39]
	;; [unrolled: 1-line block ×4, first 2 shown]
	s_movk_i32 s33, 0x1f8
	v_cmp_neq_f32_e64 s[38:39], v13, v6
	v_cmp_class_f32_e64 s[40:41], v13, s33
	s_or_b64 s[38:39], s[38:39], s[40:41]
	s_and_saveexec_b64 s[40:41], s[38:39]
	s_cbranch_execz .LBB387_38
; %bb.37:
	v_sub_f32_e32 v13, v13, v6
	s_mov_b32 s38, 0x3fb8aa3b
	v_mul_f32_e32 v14, 0x3fb8aa3b, v13
	v_fma_f32 v15, v13, s38, -v14
	v_rndne_f32_e32 v16, v14
	v_fmamk_f32 v15, v13, 0x32a5705f, v15
	v_sub_f32_e32 v14, v14, v16
	v_add_f32_e32 v14, v14, v15
	v_exp_f32_e32 v14, v14
	v_cvt_i32_f32_e32 v15, v16
	s_mov_b32 s38, 0xc2ce8ed0
	v_cmp_ngt_f32_e64 s[38:39], s38, v13
	v_mov_b32_e32 v16, 0x7f800000
	v_ldexp_f32 v14, v14, v15
	v_cndmask_b32_e64 v14, 0, v14, s[38:39]
	s_mov_b32 s38, 0x42b17218
	v_cmp_nlt_f32_e64 s[38:39], s38, v13
	s_mov_b32 s42, 0x7f800000
	s_nop 0
	v_cndmask_b32_e64 v13, v16, v14, s[38:39]
	v_add_f32_e32 v20, 1.0, v13
	v_add_f32_e32 v14, -1.0, v20
	v_sub_f32_e32 v15, v14, v20
	v_add_f32_e32 v15, 1.0, v15
	v_sub_f32_e32 v14, v13, v14
	v_add_f32_e32 v21, v14, v15
	v_frexp_mant_f32_e32 v22, v20
	s_mov_b32 s38, 0x3f2aaaab
	v_cvt_f64_f32_e32 v[14:15], v20
	v_frexp_exp_i32_f64_e32 v14, v[14:15]
	v_cmp_gt_f32_e64 s[38:39], s38, v22
	s_nop 1
	v_subbrev_co_u32_e64 v26, s[38:39], 0, v14, s[38:39]
	v_sub_u32_e32 v14, 0, v26
	v_ldexp_f32 v15, v20, v14
	v_add_f32_e32 v20, -1.0, v15
	v_add_f32_e32 v22, 1.0, v15
	v_ldexp_f32 v14, v21, v14
	v_add_f32_e32 v21, 1.0, v20
	v_add_f32_e32 v23, -1.0, v22
	v_sub_f32_e32 v21, v15, v21
	v_sub_f32_e32 v15, v15, v23
	v_add_f32_e32 v21, v14, v21
	v_add_f32_e32 v14, v14, v15
	;; [unrolled: 1-line block ×3, first 2 shown]
	v_rcp_f32_e32 v29, v27
	v_sub_f32_e32 v15, v22, v27
	v_add_f32_e32 v28, v14, v15
	v_add_f32_e32 v15, v20, v21
	v_mul_f32_e32 v31, v15, v29
	v_sub_f32_e32 v14, v20, v15
	v_mul_f32_e32 v20, v27, v31
	v_fma_f32 v22, v31, v27, -v20
	v_fmac_f32_e32 v22, v31, v28
	v_add_f32_e32 v30, v21, v14
	v_add_f32_e32 v14, v20, v22
	v_sub_f32_e32 v21, v15, v14
	v_pk_add_f32 v[24:25], v[14:15], v[20:21] neg_lo:[0,1] neg_hi:[0,1]
	v_mov_b32_e32 v23, v14
	v_pk_add_f32 v[14:15], v[24:25], v[22:23] neg_lo:[0,1] neg_hi:[0,1]
	s_mov_b32 s38, 0x3f317218
	v_add_f32_e32 v15, v30, v15
	v_add_f32_e32 v14, v14, v15
	;; [unrolled: 1-line block ×3, first 2 shown]
	v_mul_f32_e32 v30, v29, v15
	v_mul_f32_e32 v20, v27, v30
	v_fma_f32 v22, v30, v27, -v20
	v_fmac_f32_e32 v22, v30, v28
	v_sub_f32_e32 v21, v21, v15
	v_add_f32_e32 v27, v14, v21
	v_add_f32_e32 v14, v20, v22
	v_sub_f32_e32 v21, v15, v14
	v_pk_add_f32 v[24:25], v[14:15], v[20:21] neg_lo:[0,1] neg_hi:[0,1]
	v_mov_b32_e32 v23, v14
	v_pk_add_f32 v[14:15], v[24:25], v[22:23] neg_lo:[0,1] neg_hi:[0,1]
	v_cvt_f32_i32_e32 v20, v26
	v_add_f32_e32 v15, v27, v15
	v_add_f32_e32 v14, v14, v15
	;; [unrolled: 1-line block ×4, first 2 shown]
	v_sub_f32_e32 v15, v21, v31
	v_mul_f32_e32 v14, v29, v14
	v_sub_f32_e32 v15, v30, v15
	v_add_f32_e32 v14, v15, v14
	v_add_f32_e32 v22, v21, v14
	v_mul_f32_e32 v24, v22, v22
	v_mov_b32_e32 v15, 0x3ecc95a3
	v_sub_f32_e32 v21, v22, v21
	v_fmac_f32_e32 v15, 0x3e9b6dac, v24
	v_sub_f32_e32 v14, v14, v21
	v_fmaak_f32 v15, v24, v15, 0x3f2aaada
	v_ldexp_f32 v25, v14, 1
	v_mul_f32_e32 v21, v22, v24
	v_mov_b32_e32 v14, 0x3f317218
	v_pk_mul_f32 v[14:15], v[20:21], v[14:15]
	v_ldexp_f32 v23, v22, 1
	v_fma_f32 v21, v20, s38, -v14
	v_fmamk_f32 v22, v20, 0xb102e308, v21
	v_pk_add_f32 v[20:21], v[14:15], v[22:23]
	v_mov_b32_e32 v24, v14
	v_sub_f32_e32 v23, v21, v23
	v_sub_f32_e32 v23, v15, v23
	v_add_f32_e32 v25, v25, v23
	v_pk_add_f32 v[14:15], v[20:21], v[14:15] neg_lo:[0,1] neg_hi:[0,1]
	v_pk_add_f32 v[26:27], v[20:21], v[24:25]
	v_mov_b32_e32 v23, v20
	v_mov_b32_e32 v15, v27
	v_pk_add_f32 v[28:29], v[22:23], v[14:15] neg_lo:[0,1] neg_hi:[0,1]
	v_pk_add_f32 v[14:15], v[22:23], v[14:15]
	v_mov_b32_e32 v24, v25
	v_pk_add_f32 v[22:23], v[14:15], v[20:21] op_sel:[1,0] op_sel_hi:[0,1] neg_lo:[0,1] neg_hi:[0,1]
	v_pk_add_f32 v[30:31], v[26:27], v[22:23] op_sel_hi:[1,0] neg_lo:[0,1] neg_hi:[0,1]
	v_mov_b32_e32 v26, v27
	v_mov_b32_e32 v27, v15
	v_pk_mov_b32 v[22:23], v[20:21], v[22:23] op_sel:[1,0]
	v_mov_b32_e32 v25, v20
	v_pk_add_f32 v[22:23], v[26:27], v[22:23] neg_lo:[0,1] neg_hi:[0,1]
	v_mov_b32_e32 v30, v28
	v_pk_add_f32 v[20:21], v[24:25], v[22:23] neg_lo:[0,1] neg_hi:[0,1]
	v_mov_b32_e32 v29, v15
	v_pk_add_f32 v[22:23], v[30:31], v[20:21]
	v_cmp_neq_f32_e64 s[38:39], s42, v13
	v_pk_add_f32 v[24:25], v[22:23], v[22:23] op_sel:[0,1] op_sel_hi:[1,0]
	s_nop 0
	v_pk_add_f32 v[14:15], v[14:15], v[24:25] op_sel:[1,0] op_sel_hi:[0,1]
	v_mov_b32_e32 v23, v14
	v_pk_add_f32 v[26:27], v[22:23], v[28:29] neg_lo:[0,1] neg_hi:[0,1]
	v_mov_b32_e32 v21, v24
	v_sub_f32_e32 v15, v22, v26
	v_pk_add_f32 v[20:21], v[20:21], v[26:27] neg_lo:[0,1] neg_hi:[0,1]
	v_sub_f32_e32 v15, v28, v15
	v_add_f32_e32 v15, v20, v15
	v_add_f32_e32 v15, v15, v21
	;; [unrolled: 1-line block ×3, first 2 shown]
	v_cndmask_b32_e64 v14, v16, v14, s[38:39]
	s_mov_b32 s38, 0x33800000
	v_cmp_lt_f32_e64 s[38:39], |v13|, s38
	s_nop 1
	v_cndmask_b32_e64 v13, v14, v13, s[38:39]
	v_add_f32_e32 v6, v6, v13
	v_cvt_f16_f32_e32 v20, v6
	v_cvt_f32_f16_e32 v22, v20
	v_mov_b32_e32 v21, v20
.LBB387_38:
	s_or_b64 exec, exec, s[40:41]
	v_cvt_f32_f16_e32 v6, v7
	v_max_f32_e32 v13, v22, v22
	v_cmp_u_f16_e64 s[40:41], v20, v20
	v_cmp_u_f16_e64 s[38:39], v7, v7
	v_min_f32_e32 v14, v13, v6
	v_max_f32_e32 v13, v13, v6
	v_cndmask_b32_e64 v14, v14, v22, s[40:41]
	v_cndmask_b32_e64 v13, v13, v22, s[40:41]
	;; [unrolled: 1-line block ×4, first 2 shown]
	v_cmp_neq_f32_e64 s[40:41], v14, v13
	v_cmp_class_f32_e64 s[42:43], v14, s33
	s_or_b64 s[40:41], s[40:41], s[42:43]
	s_and_saveexec_b64 s[42:43], s[40:41]
	s_cbranch_execz .LBB387_40
; %bb.39:
	v_sub_f32_e32 v14, v14, v13
	s_mov_b32 s33, 0x3fb8aa3b
	v_mul_f32_e32 v15, 0x3fb8aa3b, v14
	v_fma_f32 v16, v14, s33, -v15
	v_rndne_f32_e32 v20, v15
	v_fmamk_f32 v16, v14, 0x32a5705f, v16
	v_sub_f32_e32 v15, v15, v20
	v_add_f32_e32 v15, v15, v16
	v_exp_f32_e32 v15, v15
	v_cvt_i32_f32_e32 v16, v20
	s_mov_b32 s33, 0xc2ce8ed0
	v_cmp_ngt_f32_e64 s[40:41], s33, v14
	s_mov_b32 s33, 0x42b17218
	v_ldexp_f32 v15, v15, v16
	v_cndmask_b32_e64 v15, 0, v15, s[40:41]
	v_mov_b32_e32 v16, 0x7f800000
	v_cmp_nlt_f32_e64 s[40:41], s33, v14
	s_mov_b32 s33, 0x3f2aaaab
	s_mov_b32 s44, 0x7f800000
	v_cndmask_b32_e64 v32, v16, v15, s[40:41]
	v_add_f32_e32 v20, 1.0, v32
	v_add_f32_e32 v14, -1.0, v20
	v_sub_f32_e32 v15, v14, v20
	v_add_f32_e32 v15, 1.0, v15
	v_sub_f32_e32 v14, v32, v14
	v_add_f32_e32 v21, v14, v15
	v_frexp_mant_f32_e32 v22, v20
	v_cvt_f64_f32_e32 v[14:15], v20
	v_frexp_exp_i32_f64_e32 v14, v[14:15]
	v_cmp_gt_f32_e64 s[40:41], s33, v22
	s_mov_b32 s33, 0x3f317218
	s_nop 0
	v_subbrev_co_u32_e64 v26, s[40:41], 0, v14, s[40:41]
	v_sub_u32_e32 v14, 0, v26
	v_ldexp_f32 v15, v20, v14
	v_add_f32_e32 v20, -1.0, v15
	v_add_f32_e32 v22, 1.0, v15
	v_ldexp_f32 v14, v21, v14
	v_add_f32_e32 v21, 1.0, v20
	v_add_f32_e32 v23, -1.0, v22
	v_sub_f32_e32 v21, v15, v21
	v_sub_f32_e32 v15, v15, v23
	v_add_f32_e32 v21, v14, v21
	v_add_f32_e32 v14, v14, v15
	;; [unrolled: 1-line block ×3, first 2 shown]
	v_rcp_f32_e32 v29, v27
	v_sub_f32_e32 v15, v22, v27
	v_add_f32_e32 v28, v14, v15
	v_add_f32_e32 v15, v20, v21
	v_mul_f32_e32 v31, v15, v29
	v_sub_f32_e32 v14, v20, v15
	v_mul_f32_e32 v20, v27, v31
	v_fma_f32 v22, v31, v27, -v20
	v_fmac_f32_e32 v22, v31, v28
	v_add_f32_e32 v30, v21, v14
	v_add_f32_e32 v14, v20, v22
	v_sub_f32_e32 v21, v15, v14
	v_pk_add_f32 v[24:25], v[14:15], v[20:21] neg_lo:[0,1] neg_hi:[0,1]
	v_mov_b32_e32 v23, v14
	v_pk_add_f32 v[14:15], v[24:25], v[22:23] neg_lo:[0,1] neg_hi:[0,1]
	v_cmp_neq_f32_e64 s[40:41], s44, v32
	v_add_f32_e32 v15, v30, v15
	v_add_f32_e32 v14, v14, v15
	;; [unrolled: 1-line block ×3, first 2 shown]
	v_mul_f32_e32 v30, v29, v15
	v_mul_f32_e32 v20, v27, v30
	v_fma_f32 v22, v30, v27, -v20
	v_fmac_f32_e32 v22, v30, v28
	v_sub_f32_e32 v21, v21, v15
	v_add_f32_e32 v27, v14, v21
	v_add_f32_e32 v14, v20, v22
	v_sub_f32_e32 v21, v15, v14
	v_pk_add_f32 v[24:25], v[14:15], v[20:21] neg_lo:[0,1] neg_hi:[0,1]
	v_mov_b32_e32 v23, v14
	v_pk_add_f32 v[14:15], v[24:25], v[22:23] neg_lo:[0,1] neg_hi:[0,1]
	v_cvt_f32_i32_e32 v20, v26
	v_add_f32_e32 v15, v27, v15
	v_add_f32_e32 v14, v14, v15
	;; [unrolled: 1-line block ×4, first 2 shown]
	v_sub_f32_e32 v15, v21, v31
	v_mul_f32_e32 v14, v29, v14
	v_sub_f32_e32 v15, v30, v15
	v_add_f32_e32 v14, v15, v14
	v_add_f32_e32 v22, v21, v14
	v_mul_f32_e32 v24, v22, v22
	v_mov_b32_e32 v15, 0x3ecc95a3
	v_sub_f32_e32 v21, v22, v21
	v_fmac_f32_e32 v15, 0x3e9b6dac, v24
	v_sub_f32_e32 v14, v14, v21
	v_fmaak_f32 v15, v24, v15, 0x3f2aaada
	v_ldexp_f32 v25, v14, 1
	v_mul_f32_e32 v21, v22, v24
	v_mov_b32_e32 v14, 0x3f317218
	v_pk_mul_f32 v[14:15], v[20:21], v[14:15]
	v_ldexp_f32 v23, v22, 1
	v_fma_f32 v21, v20, s33, -v14
	v_fmamk_f32 v22, v20, 0xb102e308, v21
	v_pk_add_f32 v[20:21], v[14:15], v[22:23]
	v_mov_b32_e32 v24, v14
	v_sub_f32_e32 v23, v21, v23
	v_sub_f32_e32 v23, v15, v23
	v_add_f32_e32 v25, v25, v23
	v_pk_add_f32 v[14:15], v[20:21], v[14:15] neg_lo:[0,1] neg_hi:[0,1]
	v_pk_add_f32 v[26:27], v[20:21], v[24:25]
	v_mov_b32_e32 v23, v20
	v_mov_b32_e32 v15, v27
	v_pk_add_f32 v[28:29], v[22:23], v[14:15] neg_lo:[0,1] neg_hi:[0,1]
	v_pk_add_f32 v[14:15], v[22:23], v[14:15]
	v_mov_b32_e32 v24, v25
	v_pk_add_f32 v[22:23], v[14:15], v[20:21] op_sel:[1,0] op_sel_hi:[0,1] neg_lo:[0,1] neg_hi:[0,1]
	v_pk_add_f32 v[30:31], v[26:27], v[22:23] op_sel_hi:[1,0] neg_lo:[0,1] neg_hi:[0,1]
	v_mov_b32_e32 v26, v27
	v_mov_b32_e32 v27, v15
	v_pk_mov_b32 v[22:23], v[20:21], v[22:23] op_sel:[1,0]
	v_mov_b32_e32 v25, v20
	v_pk_add_f32 v[22:23], v[26:27], v[22:23] neg_lo:[0,1] neg_hi:[0,1]
	v_mov_b32_e32 v30, v28
	v_pk_add_f32 v[20:21], v[24:25], v[22:23] neg_lo:[0,1] neg_hi:[0,1]
	v_mov_b32_e32 v29, v15
	v_pk_add_f32 v[22:23], v[30:31], v[20:21]
	s_mov_b32 s33, 0x33800000
	v_pk_add_f32 v[24:25], v[22:23], v[22:23] op_sel:[0,1] op_sel_hi:[1,0]
	s_nop 0
	v_pk_add_f32 v[14:15], v[14:15], v[24:25] op_sel:[1,0] op_sel_hi:[0,1]
	v_mov_b32_e32 v23, v14
	v_pk_add_f32 v[26:27], v[22:23], v[28:29] neg_lo:[0,1] neg_hi:[0,1]
	v_mov_b32_e32 v21, v24
	v_sub_f32_e32 v15, v22, v26
	v_pk_add_f32 v[20:21], v[20:21], v[26:27] neg_lo:[0,1] neg_hi:[0,1]
	v_sub_f32_e32 v15, v28, v15
	v_add_f32_e32 v15, v20, v15
	v_add_f32_e32 v15, v15, v21
	;; [unrolled: 1-line block ×3, first 2 shown]
	v_cndmask_b32_e64 v14, v16, v14, s[40:41]
	v_cmp_lt_f32_e64 s[40:41], |v32|, s33
	s_nop 1
	v_cndmask_b32_e64 v14, v14, v32, s[40:41]
	v_add_f32_e32 v13, v13, v14
	v_cvt_f16_f32_e32 v20, v13
	v_cvt_f32_f16_e32 v22, v20
	v_mov_b32_e32 v21, v20
.LBB387_40:
	s_or_b64 exec, exec, s[42:43]
	v_cvt_f32_f16_sdwa v13, v7 dst_sel:DWORD dst_unused:UNUSED_PAD src0_sel:WORD_1
	v_max_f32_e32 v15, v22, v22
	v_cmp_u_f16_e64 s[42:43], v20, v20
	v_cmp_u_f16_sdwa s[40:41], v7, v7 src0_sel:WORD_1 src1_sel:WORD_1
	v_min_f32_e32 v14, v15, v13
	v_max_f32_e32 v7, v15, v13
	v_cndmask_b32_e64 v14, v14, v22, s[42:43]
	v_cndmask_b32_e64 v7, v7, v22, s[42:43]
	;; [unrolled: 1-line block ×4, first 2 shown]
	s_movk_i32 s33, 0x1f8
	v_cmp_neq_f32_e64 s[42:43], v14, v7
	v_cmp_class_f32_e64 s[44:45], v14, s33
	s_or_b64 s[42:43], s[42:43], s[44:45]
	s_and_saveexec_b64 s[44:45], s[42:43]
	s_cbranch_execz .LBB387_42
; %bb.41:
	v_sub_f32_e32 v14, v14, v7
	s_mov_b32 s42, 0x3fb8aa3b
	v_mul_f32_e32 v15, 0x3fb8aa3b, v14
	v_fma_f32 v16, v14, s42, -v15
	v_rndne_f32_e32 v20, v15
	v_fmamk_f32 v16, v14, 0x32a5705f, v16
	v_sub_f32_e32 v15, v15, v20
	v_add_f32_e32 v15, v15, v16
	v_exp_f32_e32 v15, v15
	v_cvt_i32_f32_e32 v16, v20
	s_mov_b32 s42, 0xc2ce8ed0
	v_cmp_ngt_f32_e64 s[42:43], s42, v14
	s_mov_b32 s46, 0x7f800000
	v_ldexp_f32 v15, v15, v16
	v_cndmask_b32_e64 v15, 0, v15, s[42:43]
	s_mov_b32 s42, 0x42b17218
	v_mov_b32_e32 v16, 0x7f800000
	v_cmp_nlt_f32_e64 s[42:43], s42, v14
	s_nop 1
	v_cndmask_b32_e64 v32, v16, v15, s[42:43]
	v_add_f32_e32 v20, 1.0, v32
	v_add_f32_e32 v14, -1.0, v20
	v_sub_f32_e32 v15, v14, v20
	v_add_f32_e32 v15, 1.0, v15
	v_sub_f32_e32 v14, v32, v14
	v_add_f32_e32 v21, v14, v15
	v_frexp_mant_f32_e32 v22, v20
	s_mov_b32 s42, 0x3f2aaaab
	v_cvt_f64_f32_e32 v[14:15], v20
	v_frexp_exp_i32_f64_e32 v14, v[14:15]
	v_cmp_gt_f32_e64 s[42:43], s42, v22
	s_nop 1
	v_subbrev_co_u32_e64 v26, s[42:43], 0, v14, s[42:43]
	v_sub_u32_e32 v14, 0, v26
	v_ldexp_f32 v15, v20, v14
	v_add_f32_e32 v20, -1.0, v15
	v_add_f32_e32 v22, 1.0, v15
	v_ldexp_f32 v14, v21, v14
	v_add_f32_e32 v21, 1.0, v20
	v_add_f32_e32 v23, -1.0, v22
	v_sub_f32_e32 v21, v15, v21
	v_sub_f32_e32 v15, v15, v23
	v_add_f32_e32 v21, v14, v21
	v_add_f32_e32 v14, v14, v15
	;; [unrolled: 1-line block ×3, first 2 shown]
	v_rcp_f32_e32 v29, v27
	v_sub_f32_e32 v15, v22, v27
	v_add_f32_e32 v28, v14, v15
	v_add_f32_e32 v15, v20, v21
	v_mul_f32_e32 v31, v15, v29
	v_sub_f32_e32 v14, v20, v15
	v_mul_f32_e32 v20, v27, v31
	v_fma_f32 v22, v31, v27, -v20
	v_fmac_f32_e32 v22, v31, v28
	v_add_f32_e32 v30, v21, v14
	v_add_f32_e32 v14, v20, v22
	v_sub_f32_e32 v21, v15, v14
	v_pk_add_f32 v[24:25], v[14:15], v[20:21] neg_lo:[0,1] neg_hi:[0,1]
	v_mov_b32_e32 v23, v14
	v_pk_add_f32 v[14:15], v[24:25], v[22:23] neg_lo:[0,1] neg_hi:[0,1]
	s_mov_b32 s42, 0x3f317218
	v_add_f32_e32 v15, v30, v15
	v_add_f32_e32 v14, v14, v15
	;; [unrolled: 1-line block ×3, first 2 shown]
	v_mul_f32_e32 v30, v29, v15
	v_mul_f32_e32 v20, v27, v30
	v_fma_f32 v22, v30, v27, -v20
	v_fmac_f32_e32 v22, v30, v28
	v_sub_f32_e32 v21, v21, v15
	v_add_f32_e32 v27, v14, v21
	v_add_f32_e32 v14, v20, v22
	v_sub_f32_e32 v21, v15, v14
	v_pk_add_f32 v[24:25], v[14:15], v[20:21] neg_lo:[0,1] neg_hi:[0,1]
	v_mov_b32_e32 v23, v14
	v_pk_add_f32 v[14:15], v[24:25], v[22:23] neg_lo:[0,1] neg_hi:[0,1]
	v_cvt_f32_i32_e32 v20, v26
	v_add_f32_e32 v15, v27, v15
	v_add_f32_e32 v14, v14, v15
	;; [unrolled: 1-line block ×4, first 2 shown]
	v_sub_f32_e32 v15, v21, v31
	v_mul_f32_e32 v14, v29, v14
	v_sub_f32_e32 v15, v30, v15
	v_add_f32_e32 v14, v15, v14
	v_add_f32_e32 v22, v21, v14
	v_mul_f32_e32 v24, v22, v22
	v_mov_b32_e32 v15, 0x3ecc95a3
	v_sub_f32_e32 v21, v22, v21
	v_fmac_f32_e32 v15, 0x3e9b6dac, v24
	v_sub_f32_e32 v14, v14, v21
	v_fmaak_f32 v15, v24, v15, 0x3f2aaada
	v_ldexp_f32 v25, v14, 1
	v_mul_f32_e32 v21, v22, v24
	v_mov_b32_e32 v14, 0x3f317218
	v_pk_mul_f32 v[14:15], v[20:21], v[14:15]
	v_ldexp_f32 v23, v22, 1
	v_fma_f32 v21, v20, s42, -v14
	v_fmamk_f32 v22, v20, 0xb102e308, v21
	v_pk_add_f32 v[20:21], v[14:15], v[22:23]
	v_mov_b32_e32 v24, v14
	v_sub_f32_e32 v23, v21, v23
	v_sub_f32_e32 v23, v15, v23
	v_add_f32_e32 v25, v25, v23
	v_pk_add_f32 v[14:15], v[20:21], v[14:15] neg_lo:[0,1] neg_hi:[0,1]
	v_pk_add_f32 v[26:27], v[20:21], v[24:25]
	v_mov_b32_e32 v23, v20
	v_mov_b32_e32 v15, v27
	v_pk_add_f32 v[28:29], v[22:23], v[14:15] neg_lo:[0,1] neg_hi:[0,1]
	v_pk_add_f32 v[14:15], v[22:23], v[14:15]
	v_mov_b32_e32 v24, v25
	v_pk_add_f32 v[22:23], v[14:15], v[20:21] op_sel:[1,0] op_sel_hi:[0,1] neg_lo:[0,1] neg_hi:[0,1]
	v_pk_add_f32 v[30:31], v[26:27], v[22:23] op_sel_hi:[1,0] neg_lo:[0,1] neg_hi:[0,1]
	v_mov_b32_e32 v26, v27
	v_mov_b32_e32 v27, v15
	v_pk_mov_b32 v[22:23], v[20:21], v[22:23] op_sel:[1,0]
	v_mov_b32_e32 v25, v20
	v_pk_add_f32 v[22:23], v[26:27], v[22:23] neg_lo:[0,1] neg_hi:[0,1]
	v_mov_b32_e32 v30, v28
	v_pk_add_f32 v[20:21], v[24:25], v[22:23] neg_lo:[0,1] neg_hi:[0,1]
	v_mov_b32_e32 v29, v15
	v_pk_add_f32 v[22:23], v[30:31], v[20:21]
	v_cmp_neq_f32_e64 s[42:43], s46, v32
	v_pk_add_f32 v[24:25], v[22:23], v[22:23] op_sel:[0,1] op_sel_hi:[1,0]
	s_nop 0
	v_pk_add_f32 v[14:15], v[14:15], v[24:25] op_sel:[1,0] op_sel_hi:[0,1]
	v_mov_b32_e32 v23, v14
	v_pk_add_f32 v[26:27], v[22:23], v[28:29] neg_lo:[0,1] neg_hi:[0,1]
	v_mov_b32_e32 v21, v24
	v_sub_f32_e32 v15, v22, v26
	v_pk_add_f32 v[20:21], v[20:21], v[26:27] neg_lo:[0,1] neg_hi:[0,1]
	v_sub_f32_e32 v15, v28, v15
	v_add_f32_e32 v15, v20, v15
	v_add_f32_e32 v15, v15, v21
	;; [unrolled: 1-line block ×3, first 2 shown]
	v_cndmask_b32_e64 v14, v16, v14, s[42:43]
	s_mov_b32 s42, 0x33800000
	v_cmp_lt_f32_e64 s[42:43], |v32|, s42
	s_nop 1
	v_cndmask_b32_e64 v14, v14, v32, s[42:43]
	v_add_f32_e32 v7, v7, v14
	v_cvt_f16_f32_e32 v20, v7
	v_cvt_f32_f16_e32 v22, v20
	v_mov_b32_e32 v21, v20
.LBB387_42:
	s_or_b64 exec, exec, s[44:45]
	v_cvt_f32_f16_e32 v7, v4
	v_max_f32_e32 v14, v22, v22
	v_cmp_u_f16_e64 s[44:45], v20, v20
	v_cmp_u_f16_e64 s[42:43], v4, v4
	v_min_f32_e32 v15, v14, v7
	v_max_f32_e32 v14, v14, v7
	v_cndmask_b32_e64 v15, v15, v22, s[44:45]
	v_cndmask_b32_e64 v14, v14, v22, s[44:45]
	;; [unrolled: 1-line block ×4, first 2 shown]
	v_cmp_neq_f32_e64 s[44:45], v15, v14
	v_cmp_class_f32_e64 s[46:47], v15, s33
	s_or_b64 s[44:45], s[44:45], s[46:47]
	s_and_saveexec_b64 s[46:47], s[44:45]
	s_cbranch_execz .LBB387_44
; %bb.43:
	v_sub_f32_e32 v15, v15, v14
	s_mov_b32 s33, 0x3fb8aa3b
	v_mul_f32_e32 v16, 0x3fb8aa3b, v15
	v_fma_f32 v20, v15, s33, -v16
	v_rndne_f32_e32 v21, v16
	v_fmamk_f32 v20, v15, 0x32a5705f, v20
	v_sub_f32_e32 v16, v16, v21
	v_add_f32_e32 v16, v16, v20
	v_exp_f32_e32 v16, v16
	v_cvt_i32_f32_e32 v20, v21
	s_mov_b32 s33, 0xc2ce8ed0
	v_cmp_ngt_f32_e64 s[44:45], s33, v15
	s_mov_b32 s33, 0x42b17218
	v_ldexp_f32 v16, v16, v20
	v_cndmask_b32_e64 v16, 0, v16, s[44:45]
	v_mov_b32_e32 v34, 0x7f800000
	v_cmp_nlt_f32_e64 s[44:45], s33, v15
	s_mov_b32 s33, 0x3f2aaaab
	s_mov_b32 s48, 0x7f800000
	v_cndmask_b32_e64 v15, v34, v16, s[44:45]
	v_add_f32_e32 v16, 1.0, v15
	v_add_f32_e32 v20, -1.0, v16
	v_sub_f32_e32 v21, v20, v16
	v_add_f32_e32 v21, 1.0, v21
	v_sub_f32_e32 v20, v15, v20
	v_add_f32_e32 v22, v20, v21
	v_frexp_mant_f32_e32 v23, v16
	v_cvt_f64_f32_e32 v[20:21], v16
	v_frexp_exp_i32_f64_e32 v20, v[20:21]
	v_cmp_gt_f32_e64 s[44:45], s33, v23
	s_mov_b32 s33, 0x3f317218
	s_nop 0
	v_subbrev_co_u32_e64 v28, s[44:45], 0, v20, s[44:45]
	v_sub_u32_e32 v20, 0, v28
	v_ldexp_f32 v16, v16, v20
	v_ldexp_f32 v20, v22, v20
	v_add_f32_e32 v22, -1.0, v16
	v_add_f32_e32 v21, 1.0, v22
	v_sub_f32_e32 v21, v16, v21
	v_add_f32_e32 v23, v20, v21
	v_add_f32_e32 v21, 1.0, v16
	v_add_f32_e32 v24, -1.0, v21
	v_sub_f32_e32 v16, v16, v24
	v_add_f32_e32 v16, v20, v16
	v_add_f32_e32 v29, v21, v16
	v_rcp_f32_e32 v30, v29
	v_sub_f32_e32 v20, v21, v29
	v_add_f32_e32 v21, v22, v23
	v_add_f32_e32 v16, v16, v20
	v_mul_f32_e32 v32, v21, v30
	v_sub_f32_e32 v20, v22, v21
	v_mul_f32_e32 v22, v29, v32
	v_fma_f32 v24, v32, v29, -v22
	v_fmac_f32_e32 v24, v32, v16
	v_add_f32_e32 v31, v23, v20
	v_add_f32_e32 v20, v22, v24
	v_sub_f32_e32 v23, v21, v20
	v_pk_add_f32 v[26:27], v[20:21], v[22:23] neg_lo:[0,1] neg_hi:[0,1]
	v_mov_b32_e32 v25, v20
	v_pk_add_f32 v[20:21], v[26:27], v[24:25] neg_lo:[0,1] neg_hi:[0,1]
	v_cmp_neq_f32_e64 s[44:45], s48, v15
	v_add_f32_e32 v21, v31, v21
	v_add_f32_e32 v20, v20, v21
	;; [unrolled: 1-line block ×3, first 2 shown]
	v_mul_f32_e32 v31, v30, v21
	v_mul_f32_e32 v22, v29, v31
	v_fma_f32 v24, v31, v29, -v22
	v_fmac_f32_e32 v24, v31, v16
	v_sub_f32_e32 v16, v23, v21
	v_add_f32_e32 v16, v20, v16
	v_add_f32_e32 v20, v22, v24
	v_sub_f32_e32 v23, v21, v20
	v_pk_add_f32 v[26:27], v[20:21], v[22:23] neg_lo:[0,1] neg_hi:[0,1]
	v_mov_b32_e32 v25, v20
	v_pk_add_f32 v[20:21], v[26:27], v[24:25] neg_lo:[0,1] neg_hi:[0,1]
	v_cvt_f32_i32_e32 v22, v28
	v_add_f32_e32 v16, v16, v21
	v_add_f32_e32 v16, v20, v16
	;; [unrolled: 1-line block ×4, first 2 shown]
	v_sub_f32_e32 v21, v20, v32
	v_mul_f32_e32 v16, v30, v16
	v_sub_f32_e32 v21, v31, v21
	v_add_f32_e32 v16, v21, v16
	v_add_f32_e32 v23, v20, v16
	v_mul_f32_e32 v24, v23, v23
	v_mov_b32_e32 v21, 0x3ecc95a3
	v_fmac_f32_e32 v21, 0x3e9b6dac, v24
	v_sub_f32_e32 v20, v23, v20
	v_fmaak_f32 v21, v24, v21, 0x3f2aaada
	v_sub_f32_e32 v16, v16, v20
	v_ldexp_f32 v25, v23, 1
	v_mul_f32_e32 v23, v23, v24
	v_mov_b32_e32 v20, 0x3f317218
	v_pk_mul_f32 v[20:21], v[22:23], v[20:21]
	v_ldexp_f32 v16, v16, 1
	v_fma_f32 v23, v22, s33, -v20
	v_fmamk_f32 v24, v22, 0xb102e308, v23
	v_pk_add_f32 v[22:23], v[20:21], v[24:25]
	v_mov_b32_e32 v26, v20
	v_sub_f32_e32 v25, v23, v25
	v_sub_f32_e32 v25, v21, v25
	v_add_f32_e32 v27, v16, v25
	v_pk_add_f32 v[20:21], v[22:23], v[20:21] neg_lo:[0,1] neg_hi:[0,1]
	v_pk_add_f32 v[28:29], v[22:23], v[26:27]
	v_mov_b32_e32 v25, v22
	v_mov_b32_e32 v21, v29
	v_pk_add_f32 v[30:31], v[24:25], v[20:21] neg_lo:[0,1] neg_hi:[0,1]
	v_pk_add_f32 v[20:21], v[24:25], v[20:21]
	v_mov_b32_e32 v26, v27
	v_pk_add_f32 v[24:25], v[20:21], v[22:23] op_sel:[1,0] op_sel_hi:[0,1] neg_lo:[0,1] neg_hi:[0,1]
	v_pk_add_f32 v[32:33], v[28:29], v[24:25] op_sel_hi:[1,0] neg_lo:[0,1] neg_hi:[0,1]
	v_mov_b32_e32 v28, v29
	v_mov_b32_e32 v29, v21
	v_pk_mov_b32 v[24:25], v[22:23], v[24:25] op_sel:[1,0]
	v_mov_b32_e32 v27, v22
	v_pk_add_f32 v[24:25], v[28:29], v[24:25] neg_lo:[0,1] neg_hi:[0,1]
	v_mov_b32_e32 v32, v30
	v_pk_add_f32 v[22:23], v[26:27], v[24:25] neg_lo:[0,1] neg_hi:[0,1]
	v_mov_b32_e32 v31, v21
	v_pk_add_f32 v[24:25], v[32:33], v[22:23]
	s_mov_b32 s33, 0x33800000
	v_pk_add_f32 v[26:27], v[24:25], v[24:25] op_sel:[0,1] op_sel_hi:[1,0]
	s_nop 0
	v_pk_add_f32 v[20:21], v[20:21], v[26:27] op_sel:[1,0] op_sel_hi:[0,1]
	v_mov_b32_e32 v25, v20
	v_pk_add_f32 v[28:29], v[24:25], v[30:31] neg_lo:[0,1] neg_hi:[0,1]
	v_mov_b32_e32 v23, v26
	v_sub_f32_e32 v16, v24, v28
	v_pk_add_f32 v[22:23], v[22:23], v[28:29] neg_lo:[0,1] neg_hi:[0,1]
	v_sub_f32_e32 v16, v30, v16
	v_add_f32_e32 v16, v22, v16
	v_add_f32_e32 v16, v16, v23
	;; [unrolled: 1-line block ×3, first 2 shown]
	v_cndmask_b32_e64 v16, v34, v16, s[44:45]
	v_cmp_lt_f32_e64 s[44:45], |v15|, s33
	s_nop 1
	v_cndmask_b32_e64 v15, v16, v15, s[44:45]
	v_add_f32_e32 v14, v14, v15
	v_cvt_f16_f32_e32 v20, v14
	v_cvt_f32_f16_e32 v22, v20
	v_mov_b32_e32 v21, v20
.LBB387_44:
	s_or_b64 exec, exec, s[46:47]
	v_cvt_f32_f16_sdwa v14, v4 dst_sel:DWORD dst_unused:UNUSED_PAD src0_sel:WORD_1
	v_max_f32_e32 v16, v22, v22
	v_cmp_u_f16_e64 s[46:47], v20, v20
	v_cmp_u_f16_sdwa s[44:45], v4, v4 src0_sel:WORD_1 src1_sel:WORD_1
	v_min_f32_e32 v15, v16, v14
	v_max_f32_e32 v4, v16, v14
	v_cndmask_b32_e64 v15, v15, v22, s[46:47]
	v_cndmask_b32_e64 v4, v4, v22, s[46:47]
	;; [unrolled: 1-line block ×4, first 2 shown]
	s_movk_i32 s33, 0x1f8
	v_cmp_neq_f32_e64 s[46:47], v15, v4
	v_cmp_class_f32_e64 s[48:49], v15, s33
	s_or_b64 s[46:47], s[46:47], s[48:49]
	s_and_saveexec_b64 s[48:49], s[46:47]
	s_cbranch_execz .LBB387_46
; %bb.45:
	v_sub_f32_e32 v15, v15, v4
	s_mov_b32 s46, 0x3fb8aa3b
	v_mul_f32_e32 v16, 0x3fb8aa3b, v15
	v_fma_f32 v20, v15, s46, -v16
	v_rndne_f32_e32 v21, v16
	v_fmamk_f32 v20, v15, 0x32a5705f, v20
	v_sub_f32_e32 v16, v16, v21
	v_add_f32_e32 v16, v16, v20
	v_exp_f32_e32 v16, v16
	v_cvt_i32_f32_e32 v20, v21
	s_mov_b32 s46, 0xc2ce8ed0
	v_cmp_ngt_f32_e64 s[46:47], s46, v15
	v_mov_b32_e32 v34, 0x7f800000
	v_ldexp_f32 v16, v16, v20
	v_cndmask_b32_e64 v16, 0, v16, s[46:47]
	s_mov_b32 s46, 0x42b17218
	v_cmp_nlt_f32_e64 s[46:47], s46, v15
	s_mov_b32 s50, 0x7f800000
	s_nop 0
	v_cndmask_b32_e64 v15, v34, v16, s[46:47]
	v_add_f32_e32 v16, 1.0, v15
	v_add_f32_e32 v20, -1.0, v16
	v_sub_f32_e32 v21, v20, v16
	v_add_f32_e32 v21, 1.0, v21
	v_sub_f32_e32 v20, v15, v20
	v_add_f32_e32 v22, v20, v21
	v_frexp_mant_f32_e32 v23, v16
	s_mov_b32 s46, 0x3f2aaaab
	v_cvt_f64_f32_e32 v[20:21], v16
	v_frexp_exp_i32_f64_e32 v20, v[20:21]
	v_cmp_gt_f32_e64 s[46:47], s46, v23
	s_nop 1
	v_subbrev_co_u32_e64 v28, s[46:47], 0, v20, s[46:47]
	v_sub_u32_e32 v20, 0, v28
	v_ldexp_f32 v16, v16, v20
	v_ldexp_f32 v20, v22, v20
	v_add_f32_e32 v22, -1.0, v16
	v_add_f32_e32 v21, 1.0, v22
	v_sub_f32_e32 v21, v16, v21
	v_add_f32_e32 v23, v20, v21
	v_add_f32_e32 v21, 1.0, v16
	v_add_f32_e32 v24, -1.0, v21
	v_sub_f32_e32 v16, v16, v24
	v_add_f32_e32 v16, v20, v16
	v_add_f32_e32 v29, v21, v16
	v_rcp_f32_e32 v30, v29
	v_sub_f32_e32 v20, v21, v29
	v_add_f32_e32 v21, v22, v23
	v_add_f32_e32 v16, v16, v20
	v_mul_f32_e32 v32, v21, v30
	v_sub_f32_e32 v20, v22, v21
	v_mul_f32_e32 v22, v29, v32
	v_fma_f32 v24, v32, v29, -v22
	v_fmac_f32_e32 v24, v32, v16
	v_add_f32_e32 v31, v23, v20
	v_add_f32_e32 v20, v22, v24
	v_sub_f32_e32 v23, v21, v20
	v_pk_add_f32 v[26:27], v[20:21], v[22:23] neg_lo:[0,1] neg_hi:[0,1]
	v_mov_b32_e32 v25, v20
	v_pk_add_f32 v[20:21], v[26:27], v[24:25] neg_lo:[0,1] neg_hi:[0,1]
	s_mov_b32 s46, 0x3f317218
	v_add_f32_e32 v21, v31, v21
	v_add_f32_e32 v20, v20, v21
	;; [unrolled: 1-line block ×3, first 2 shown]
	v_mul_f32_e32 v31, v30, v21
	v_mul_f32_e32 v22, v29, v31
	v_fma_f32 v24, v31, v29, -v22
	v_fmac_f32_e32 v24, v31, v16
	v_sub_f32_e32 v16, v23, v21
	v_add_f32_e32 v16, v20, v16
	v_add_f32_e32 v20, v22, v24
	v_sub_f32_e32 v23, v21, v20
	v_pk_add_f32 v[26:27], v[20:21], v[22:23] neg_lo:[0,1] neg_hi:[0,1]
	v_mov_b32_e32 v25, v20
	v_pk_add_f32 v[20:21], v[26:27], v[24:25] neg_lo:[0,1] neg_hi:[0,1]
	v_cvt_f32_i32_e32 v22, v28
	v_add_f32_e32 v16, v16, v21
	v_add_f32_e32 v16, v20, v16
	v_add_f32_e32 v20, v32, v31
	v_add_f32_e32 v16, v23, v16
	v_sub_f32_e32 v21, v20, v32
	v_mul_f32_e32 v16, v30, v16
	v_sub_f32_e32 v21, v31, v21
	v_add_f32_e32 v16, v21, v16
	v_add_f32_e32 v23, v20, v16
	v_mul_f32_e32 v24, v23, v23
	v_mov_b32_e32 v21, 0x3ecc95a3
	v_fmac_f32_e32 v21, 0x3e9b6dac, v24
	v_sub_f32_e32 v20, v23, v20
	v_fmaak_f32 v21, v24, v21, 0x3f2aaada
	v_sub_f32_e32 v16, v16, v20
	v_ldexp_f32 v25, v23, 1
	v_mul_f32_e32 v23, v23, v24
	v_mov_b32_e32 v20, 0x3f317218
	v_pk_mul_f32 v[20:21], v[22:23], v[20:21]
	v_ldexp_f32 v16, v16, 1
	v_fma_f32 v23, v22, s46, -v20
	v_fmamk_f32 v24, v22, 0xb102e308, v23
	v_pk_add_f32 v[22:23], v[20:21], v[24:25]
	v_mov_b32_e32 v26, v20
	v_sub_f32_e32 v25, v23, v25
	v_sub_f32_e32 v25, v21, v25
	v_add_f32_e32 v27, v16, v25
	v_pk_add_f32 v[20:21], v[22:23], v[20:21] neg_lo:[0,1] neg_hi:[0,1]
	v_pk_add_f32 v[28:29], v[22:23], v[26:27]
	v_mov_b32_e32 v25, v22
	v_mov_b32_e32 v21, v29
	v_pk_add_f32 v[30:31], v[24:25], v[20:21] neg_lo:[0,1] neg_hi:[0,1]
	v_pk_add_f32 v[20:21], v[24:25], v[20:21]
	v_mov_b32_e32 v26, v27
	v_pk_add_f32 v[24:25], v[20:21], v[22:23] op_sel:[1,0] op_sel_hi:[0,1] neg_lo:[0,1] neg_hi:[0,1]
	v_pk_add_f32 v[32:33], v[28:29], v[24:25] op_sel_hi:[1,0] neg_lo:[0,1] neg_hi:[0,1]
	v_mov_b32_e32 v28, v29
	v_mov_b32_e32 v29, v21
	v_pk_mov_b32 v[24:25], v[22:23], v[24:25] op_sel:[1,0]
	v_mov_b32_e32 v27, v22
	v_pk_add_f32 v[24:25], v[28:29], v[24:25] neg_lo:[0,1] neg_hi:[0,1]
	v_mov_b32_e32 v32, v30
	v_pk_add_f32 v[22:23], v[26:27], v[24:25] neg_lo:[0,1] neg_hi:[0,1]
	v_mov_b32_e32 v31, v21
	v_pk_add_f32 v[24:25], v[32:33], v[22:23]
	v_cmp_neq_f32_e64 s[46:47], s50, v15
	v_pk_add_f32 v[26:27], v[24:25], v[24:25] op_sel:[0,1] op_sel_hi:[1,0]
	s_nop 0
	v_pk_add_f32 v[20:21], v[20:21], v[26:27] op_sel:[1,0] op_sel_hi:[0,1]
	v_mov_b32_e32 v25, v20
	v_pk_add_f32 v[28:29], v[24:25], v[30:31] neg_lo:[0,1] neg_hi:[0,1]
	v_mov_b32_e32 v23, v26
	v_sub_f32_e32 v16, v24, v28
	v_pk_add_f32 v[22:23], v[22:23], v[28:29] neg_lo:[0,1] neg_hi:[0,1]
	v_sub_f32_e32 v16, v30, v16
	v_add_f32_e32 v16, v22, v16
	v_add_f32_e32 v16, v16, v23
	v_add_f32_e32 v16, v20, v16
	v_cndmask_b32_e64 v16, v34, v16, s[46:47]
	s_mov_b32 s46, 0x33800000
	v_cmp_lt_f32_e64 s[46:47], |v15|, s46
	s_nop 1
	v_cndmask_b32_e64 v15, v16, v15, s[46:47]
	v_add_f32_e32 v4, v4, v15
	v_cvt_f16_f32_e32 v20, v4
	v_cvt_f32_f16_e32 v22, v20
	v_mov_b32_e32 v21, v20
.LBB387_46:
	s_or_b64 exec, exec, s[48:49]
	v_cvt_f32_f16_e32 v4, v5
	v_max_f32_e32 v15, v22, v22
	v_cmp_u_f16_e64 s[48:49], v20, v20
	v_cmp_u_f16_e64 s[46:47], v5, v5
	v_min_f32_e32 v16, v15, v4
	v_max_f32_e32 v15, v15, v4
	v_cndmask_b32_e64 v16, v16, v22, s[48:49]
	v_cndmask_b32_e64 v15, v15, v22, s[48:49]
	;; [unrolled: 1-line block ×4, first 2 shown]
	v_cmp_neq_f32_e64 s[48:49], v16, v15
	v_cmp_class_f32_e64 s[50:51], v16, s33
	s_or_b64 s[48:49], s[48:49], s[50:51]
	s_and_saveexec_b64 s[50:51], s[48:49]
	s_cbranch_execz .LBB387_48
; %bb.47:
	v_sub_f32_e32 v16, v16, v15
	s_mov_b32 s33, 0x3fb8aa3b
	v_mul_f32_e32 v20, 0x3fb8aa3b, v16
	v_fma_f32 v21, v16, s33, -v20
	v_rndne_f32_e32 v22, v20
	v_fmamk_f32 v21, v16, 0x32a5705f, v21
	v_sub_f32_e32 v20, v20, v22
	v_add_f32_e32 v20, v20, v21
	v_exp_f32_e32 v20, v20
	v_cvt_i32_f32_e32 v21, v22
	s_mov_b32 s33, 0xc2ce8ed0
	v_cmp_ngt_f32_e64 s[48:49], s33, v16
	s_mov_b32 s33, 0x42b17218
	v_ldexp_f32 v20, v20, v21
	v_cndmask_b32_e64 v20, 0, v20, s[48:49]
	v_mov_b32_e32 v34, 0x7f800000
	v_cmp_nlt_f32_e64 s[48:49], s33, v16
	s_mov_b32 s33, 0x3f2aaaab
	s_mov_b32 s52, 0x7f800000
	v_cndmask_b32_e64 v16, v34, v20, s[48:49]
	v_add_f32_e32 v22, 1.0, v16
	v_add_f32_e32 v20, -1.0, v22
	v_sub_f32_e32 v21, v20, v22
	v_add_f32_e32 v21, 1.0, v21
	v_sub_f32_e32 v20, v16, v20
	v_add_f32_e32 v23, v20, v21
	v_frexp_mant_f32_e32 v24, v22
	v_cvt_f64_f32_e32 v[20:21], v22
	v_frexp_exp_i32_f64_e32 v20, v[20:21]
	v_cmp_gt_f32_e64 s[48:49], s33, v24
	s_mov_b32 s33, 0x3f317218
	s_nop 0
	v_subbrev_co_u32_e64 v28, s[48:49], 0, v20, s[48:49]
	v_sub_u32_e32 v20, 0, v28
	v_ldexp_f32 v21, v22, v20
	v_add_f32_e32 v22, -1.0, v21
	v_add_f32_e32 v24, 1.0, v21
	v_ldexp_f32 v20, v23, v20
	v_add_f32_e32 v23, 1.0, v22
	v_add_f32_e32 v25, -1.0, v24
	v_sub_f32_e32 v23, v21, v23
	v_sub_f32_e32 v21, v21, v25
	v_add_f32_e32 v23, v20, v23
	v_add_f32_e32 v20, v20, v21
	;; [unrolled: 1-line block ×3, first 2 shown]
	v_rcp_f32_e32 v31, v29
	v_sub_f32_e32 v21, v24, v29
	v_add_f32_e32 v30, v20, v21
	v_add_f32_e32 v21, v22, v23
	v_mul_f32_e32 v33, v21, v31
	v_sub_f32_e32 v20, v22, v21
	v_mul_f32_e32 v22, v29, v33
	v_fma_f32 v24, v33, v29, -v22
	v_fmac_f32_e32 v24, v33, v30
	v_add_f32_e32 v32, v23, v20
	v_add_f32_e32 v20, v22, v24
	v_sub_f32_e32 v23, v21, v20
	v_pk_add_f32 v[26:27], v[20:21], v[22:23] neg_lo:[0,1] neg_hi:[0,1]
	v_mov_b32_e32 v25, v20
	v_pk_add_f32 v[20:21], v[26:27], v[24:25] neg_lo:[0,1] neg_hi:[0,1]
	v_cmp_neq_f32_e64 s[48:49], s52, v16
	v_add_f32_e32 v21, v32, v21
	v_add_f32_e32 v20, v20, v21
	v_add_f32_e32 v21, v23, v20
	v_mul_f32_e32 v32, v31, v21
	v_mul_f32_e32 v22, v29, v32
	v_fma_f32 v24, v32, v29, -v22
	v_fmac_f32_e32 v24, v32, v30
	v_sub_f32_e32 v23, v23, v21
	v_add_f32_e32 v29, v20, v23
	v_add_f32_e32 v20, v22, v24
	v_sub_f32_e32 v23, v21, v20
	v_pk_add_f32 v[26:27], v[20:21], v[22:23] neg_lo:[0,1] neg_hi:[0,1]
	v_mov_b32_e32 v25, v20
	v_pk_add_f32 v[20:21], v[26:27], v[24:25] neg_lo:[0,1] neg_hi:[0,1]
	v_cvt_f32_i32_e32 v22, v28
	v_add_f32_e32 v21, v29, v21
	v_add_f32_e32 v20, v20, v21
	;; [unrolled: 1-line block ×4, first 2 shown]
	v_sub_f32_e32 v21, v23, v33
	v_mul_f32_e32 v20, v31, v20
	v_sub_f32_e32 v21, v32, v21
	v_add_f32_e32 v20, v21, v20
	v_add_f32_e32 v24, v23, v20
	v_mul_f32_e32 v26, v24, v24
	v_mov_b32_e32 v21, 0x3ecc95a3
	v_sub_f32_e32 v23, v24, v23
	v_fmac_f32_e32 v21, 0x3e9b6dac, v26
	v_sub_f32_e32 v20, v20, v23
	v_fmaak_f32 v21, v26, v21, 0x3f2aaada
	v_ldexp_f32 v27, v20, 1
	v_mul_f32_e32 v23, v24, v26
	v_mov_b32_e32 v20, 0x3f317218
	v_pk_mul_f32 v[20:21], v[22:23], v[20:21]
	v_ldexp_f32 v25, v24, 1
	v_fma_f32 v23, v22, s33, -v20
	v_fmamk_f32 v24, v22, 0xb102e308, v23
	v_pk_add_f32 v[22:23], v[20:21], v[24:25]
	v_mov_b32_e32 v26, v20
	v_sub_f32_e32 v25, v23, v25
	v_sub_f32_e32 v25, v21, v25
	v_add_f32_e32 v27, v27, v25
	v_pk_add_f32 v[20:21], v[22:23], v[20:21] neg_lo:[0,1] neg_hi:[0,1]
	v_pk_add_f32 v[28:29], v[22:23], v[26:27]
	v_mov_b32_e32 v25, v22
	v_mov_b32_e32 v21, v29
	v_pk_add_f32 v[30:31], v[24:25], v[20:21] neg_lo:[0,1] neg_hi:[0,1]
	v_pk_add_f32 v[20:21], v[24:25], v[20:21]
	v_mov_b32_e32 v26, v27
	v_pk_add_f32 v[24:25], v[20:21], v[22:23] op_sel:[1,0] op_sel_hi:[0,1] neg_lo:[0,1] neg_hi:[0,1]
	v_pk_add_f32 v[32:33], v[28:29], v[24:25] op_sel_hi:[1,0] neg_lo:[0,1] neg_hi:[0,1]
	v_mov_b32_e32 v28, v29
	v_mov_b32_e32 v29, v21
	v_pk_mov_b32 v[24:25], v[22:23], v[24:25] op_sel:[1,0]
	v_mov_b32_e32 v27, v22
	v_pk_add_f32 v[24:25], v[28:29], v[24:25] neg_lo:[0,1] neg_hi:[0,1]
	v_mov_b32_e32 v32, v30
	v_pk_add_f32 v[22:23], v[26:27], v[24:25] neg_lo:[0,1] neg_hi:[0,1]
	v_mov_b32_e32 v31, v21
	v_pk_add_f32 v[24:25], v[32:33], v[22:23]
	s_mov_b32 s33, 0x33800000
	v_pk_add_f32 v[26:27], v[24:25], v[24:25] op_sel:[0,1] op_sel_hi:[1,0]
	s_nop 0
	v_pk_add_f32 v[20:21], v[20:21], v[26:27] op_sel:[1,0] op_sel_hi:[0,1]
	v_mov_b32_e32 v25, v20
	v_pk_add_f32 v[28:29], v[24:25], v[30:31] neg_lo:[0,1] neg_hi:[0,1]
	v_mov_b32_e32 v23, v26
	v_sub_f32_e32 v21, v24, v28
	v_pk_add_f32 v[22:23], v[22:23], v[28:29] neg_lo:[0,1] neg_hi:[0,1]
	v_sub_f32_e32 v21, v30, v21
	v_add_f32_e32 v21, v22, v21
	v_add_f32_e32 v21, v21, v23
	;; [unrolled: 1-line block ×3, first 2 shown]
	v_cndmask_b32_e64 v20, v34, v20, s[48:49]
	v_cmp_lt_f32_e64 s[48:49], |v16|, s33
	s_nop 1
	v_cndmask_b32_e64 v16, v20, v16, s[48:49]
	v_add_f32_e32 v15, v15, v16
	v_cvt_f16_f32_e32 v20, v15
	v_cvt_f32_f16_e32 v22, v20
	v_mov_b32_e32 v21, v20
.LBB387_48:
	s_or_b64 exec, exec, s[50:51]
	v_cvt_f32_f16_sdwa v15, v5 dst_sel:DWORD dst_unused:UNUSED_PAD src0_sel:WORD_1
	v_max_f32_e32 v23, v22, v22
	v_cmp_u_f16_e64 s[50:51], v20, v20
	v_cmp_u_f16_sdwa s[48:49], v5, v5 src0_sel:WORD_1 src1_sel:WORD_1
	v_min_f32_e32 v16, v23, v15
	v_max_f32_e32 v5, v23, v15
	v_cndmask_b32_e64 v16, v16, v22, s[50:51]
	v_cndmask_b32_e64 v5, v5, v22, s[50:51]
	;; [unrolled: 1-line block ×4, first 2 shown]
	s_movk_i32 s33, 0x1f8
	v_cmp_neq_f32_e64 s[50:51], v16, v5
	v_cmp_class_f32_e64 s[52:53], v16, s33
	s_or_b64 s[50:51], s[50:51], s[52:53]
	s_and_saveexec_b64 s[52:53], s[50:51]
	s_cbranch_execz .LBB387_50
; %bb.49:
	v_sub_f32_e32 v16, v16, v5
	s_mov_b32 s50, 0x3fb8aa3b
	v_mul_f32_e32 v20, 0x3fb8aa3b, v16
	v_fma_f32 v21, v16, s50, -v20
	v_rndne_f32_e32 v22, v20
	v_fmamk_f32 v21, v16, 0x32a5705f, v21
	v_sub_f32_e32 v20, v20, v22
	v_add_f32_e32 v20, v20, v21
	v_exp_f32_e32 v20, v20
	v_cvt_i32_f32_e32 v21, v22
	s_mov_b32 s50, 0xc2ce8ed0
	v_cmp_ngt_f32_e64 s[50:51], s50, v16
	v_mov_b32_e32 v34, 0x7f800000
	v_ldexp_f32 v20, v20, v21
	v_cndmask_b32_e64 v20, 0, v20, s[50:51]
	s_mov_b32 s50, 0x42b17218
	v_cmp_nlt_f32_e64 s[50:51], s50, v16
	s_mov_b32 s58, 0x7f800000
	s_nop 0
	v_cndmask_b32_e64 v16, v34, v20, s[50:51]
	v_add_f32_e32 v22, 1.0, v16
	v_add_f32_e32 v20, -1.0, v22
	v_sub_f32_e32 v21, v20, v22
	v_add_f32_e32 v21, 1.0, v21
	v_sub_f32_e32 v20, v16, v20
	v_add_f32_e32 v23, v20, v21
	v_frexp_mant_f32_e32 v24, v22
	s_mov_b32 s50, 0x3f2aaaab
	v_cvt_f64_f32_e32 v[20:21], v22
	v_frexp_exp_i32_f64_e32 v20, v[20:21]
	v_cmp_gt_f32_e64 s[50:51], s50, v24
	s_nop 1
	v_subbrev_co_u32_e64 v28, s[50:51], 0, v20, s[50:51]
	v_sub_u32_e32 v20, 0, v28
	v_ldexp_f32 v21, v22, v20
	v_add_f32_e32 v22, -1.0, v21
	v_add_f32_e32 v24, 1.0, v21
	v_ldexp_f32 v20, v23, v20
	v_add_f32_e32 v23, 1.0, v22
	v_add_f32_e32 v25, -1.0, v24
	v_sub_f32_e32 v23, v21, v23
	v_sub_f32_e32 v21, v21, v25
	v_add_f32_e32 v23, v20, v23
	v_add_f32_e32 v20, v20, v21
	;; [unrolled: 1-line block ×3, first 2 shown]
	v_rcp_f32_e32 v31, v29
	v_sub_f32_e32 v21, v24, v29
	v_add_f32_e32 v30, v20, v21
	v_add_f32_e32 v21, v22, v23
	v_mul_f32_e32 v33, v21, v31
	v_sub_f32_e32 v20, v22, v21
	v_mul_f32_e32 v22, v29, v33
	v_fma_f32 v24, v33, v29, -v22
	v_fmac_f32_e32 v24, v33, v30
	v_add_f32_e32 v32, v23, v20
	v_add_f32_e32 v20, v22, v24
	v_sub_f32_e32 v23, v21, v20
	v_pk_add_f32 v[26:27], v[20:21], v[22:23] neg_lo:[0,1] neg_hi:[0,1]
	v_mov_b32_e32 v25, v20
	v_pk_add_f32 v[20:21], v[26:27], v[24:25] neg_lo:[0,1] neg_hi:[0,1]
	s_mov_b32 s50, 0x3f317218
	v_add_f32_e32 v21, v32, v21
	v_add_f32_e32 v20, v20, v21
	;; [unrolled: 1-line block ×3, first 2 shown]
	v_mul_f32_e32 v32, v31, v21
	v_mul_f32_e32 v22, v29, v32
	v_fma_f32 v24, v32, v29, -v22
	v_fmac_f32_e32 v24, v32, v30
	v_sub_f32_e32 v23, v23, v21
	v_add_f32_e32 v29, v20, v23
	v_add_f32_e32 v20, v22, v24
	v_sub_f32_e32 v23, v21, v20
	v_pk_add_f32 v[26:27], v[20:21], v[22:23] neg_lo:[0,1] neg_hi:[0,1]
	v_mov_b32_e32 v25, v20
	v_pk_add_f32 v[20:21], v[26:27], v[24:25] neg_lo:[0,1] neg_hi:[0,1]
	v_cvt_f32_i32_e32 v22, v28
	v_add_f32_e32 v21, v29, v21
	v_add_f32_e32 v20, v20, v21
	;; [unrolled: 1-line block ×4, first 2 shown]
	v_sub_f32_e32 v21, v23, v33
	v_mul_f32_e32 v20, v31, v20
	v_sub_f32_e32 v21, v32, v21
	v_add_f32_e32 v20, v21, v20
	v_add_f32_e32 v24, v23, v20
	v_mul_f32_e32 v26, v24, v24
	v_mov_b32_e32 v21, 0x3ecc95a3
	v_sub_f32_e32 v23, v24, v23
	v_fmac_f32_e32 v21, 0x3e9b6dac, v26
	v_sub_f32_e32 v20, v20, v23
	v_fmaak_f32 v21, v26, v21, 0x3f2aaada
	v_ldexp_f32 v27, v20, 1
	v_mul_f32_e32 v23, v24, v26
	v_mov_b32_e32 v20, 0x3f317218
	v_pk_mul_f32 v[20:21], v[22:23], v[20:21]
	v_ldexp_f32 v25, v24, 1
	v_fma_f32 v23, v22, s50, -v20
	v_fmamk_f32 v24, v22, 0xb102e308, v23
	v_pk_add_f32 v[22:23], v[20:21], v[24:25]
	v_mov_b32_e32 v26, v20
	v_sub_f32_e32 v25, v23, v25
	v_sub_f32_e32 v25, v21, v25
	v_add_f32_e32 v27, v27, v25
	v_pk_add_f32 v[20:21], v[22:23], v[20:21] neg_lo:[0,1] neg_hi:[0,1]
	v_pk_add_f32 v[28:29], v[22:23], v[26:27]
	v_mov_b32_e32 v25, v22
	v_mov_b32_e32 v21, v29
	v_pk_add_f32 v[30:31], v[24:25], v[20:21] neg_lo:[0,1] neg_hi:[0,1]
	v_pk_add_f32 v[20:21], v[24:25], v[20:21]
	v_mov_b32_e32 v26, v27
	v_pk_add_f32 v[24:25], v[20:21], v[22:23] op_sel:[1,0] op_sel_hi:[0,1] neg_lo:[0,1] neg_hi:[0,1]
	v_pk_add_f32 v[32:33], v[28:29], v[24:25] op_sel_hi:[1,0] neg_lo:[0,1] neg_hi:[0,1]
	v_mov_b32_e32 v28, v29
	v_mov_b32_e32 v29, v21
	v_pk_mov_b32 v[24:25], v[22:23], v[24:25] op_sel:[1,0]
	v_mov_b32_e32 v27, v22
	v_pk_add_f32 v[24:25], v[28:29], v[24:25] neg_lo:[0,1] neg_hi:[0,1]
	v_mov_b32_e32 v32, v30
	v_pk_add_f32 v[22:23], v[26:27], v[24:25] neg_lo:[0,1] neg_hi:[0,1]
	v_mov_b32_e32 v31, v21
	v_pk_add_f32 v[24:25], v[32:33], v[22:23]
	v_cmp_neq_f32_e64 s[50:51], s58, v16
	v_pk_add_f32 v[26:27], v[24:25], v[24:25] op_sel:[0,1] op_sel_hi:[1,0]
	s_nop 0
	v_pk_add_f32 v[20:21], v[20:21], v[26:27] op_sel:[1,0] op_sel_hi:[0,1]
	v_mov_b32_e32 v25, v20
	v_pk_add_f32 v[28:29], v[24:25], v[30:31] neg_lo:[0,1] neg_hi:[0,1]
	v_mov_b32_e32 v23, v26
	v_sub_f32_e32 v21, v24, v28
	v_pk_add_f32 v[22:23], v[22:23], v[28:29] neg_lo:[0,1] neg_hi:[0,1]
	v_sub_f32_e32 v21, v30, v21
	v_add_f32_e32 v21, v22, v21
	v_add_f32_e32 v21, v21, v23
	;; [unrolled: 1-line block ×3, first 2 shown]
	v_cndmask_b32_e64 v20, v34, v20, s[50:51]
	s_mov_b32 s50, 0x33800000
	v_cmp_lt_f32_e64 s[50:51], |v16|, s50
	s_nop 1
	v_cndmask_b32_e64 v16, v20, v16, s[50:51]
	v_add_f32_e32 v5, v5, v16
	v_cvt_f16_f32_e32 v20, v5
	v_cvt_f32_f16_e32 v22, v20
	v_mov_b32_e32 v21, v20
.LBB387_50:
	s_or_b64 exec, exec, s[52:53]
	v_cvt_f32_f16_e32 v5, v19
	v_max_f32_e32 v16, v22, v22
	v_cmp_u_f16_e64 s[52:53], v20, v20
	v_cmp_u_f16_e64 s[50:51], v19, v19
	v_min_f32_e32 v23, v16, v5
	v_max_f32_e32 v16, v16, v5
	v_cndmask_b32_e64 v23, v23, v22, s[52:53]
	v_cndmask_b32_e64 v16, v16, v22, s[52:53]
	;; [unrolled: 1-line block ×4, first 2 shown]
	v_cmp_neq_f32_e64 s[52:53], v23, v16
	v_cmp_class_f32_e64 s[58:59], v23, s33
	s_or_b64 s[52:53], s[52:53], s[58:59]
	s_and_saveexec_b64 s[58:59], s[52:53]
	s_cbranch_execz .LBB387_52
; %bb.51:
	v_sub_f32_e32 v20, v23, v16
	s_mov_b32 s33, 0x3fb8aa3b
	v_mul_f32_e32 v21, 0x3fb8aa3b, v20
	v_fma_f32 v22, v20, s33, -v21
	v_rndne_f32_e32 v23, v21
	v_fmamk_f32 v22, v20, 0x32a5705f, v22
	v_sub_f32_e32 v21, v21, v23
	v_add_f32_e32 v21, v21, v22
	v_exp_f32_e32 v21, v21
	v_cvt_i32_f32_e32 v22, v23
	s_mov_b32 s33, 0xc2ce8ed0
	v_cmp_ngt_f32_e64 s[52:53], s33, v20
	s_mov_b32 s33, 0x42b17218
	v_ldexp_f32 v21, v21, v22
	v_cndmask_b32_e64 v21, 0, v21, s[52:53]
	v_mov_b32_e32 v34, 0x7f800000
	v_cmp_nlt_f32_e64 s[52:53], s33, v20
	s_mov_b32 s33, 0x3f2aaaab
	s_mov_b32 s60, 0x7f800000
	v_cndmask_b32_e64 v35, v34, v21, s[52:53]
	v_add_f32_e32 v22, 1.0, v35
	v_add_f32_e32 v20, -1.0, v22
	v_sub_f32_e32 v21, v20, v22
	v_add_f32_e32 v21, 1.0, v21
	v_sub_f32_e32 v20, v35, v20
	v_add_f32_e32 v23, v20, v21
	v_frexp_mant_f32_e32 v24, v22
	v_cvt_f64_f32_e32 v[20:21], v22
	v_frexp_exp_i32_f64_e32 v20, v[20:21]
	v_cmp_gt_f32_e64 s[52:53], s33, v24
	s_mov_b32 s33, 0x3f317218
	s_nop 0
	v_subbrev_co_u32_e64 v28, s[52:53], 0, v20, s[52:53]
	v_sub_u32_e32 v20, 0, v28
	v_ldexp_f32 v21, v22, v20
	v_add_f32_e32 v22, -1.0, v21
	v_add_f32_e32 v24, 1.0, v21
	v_ldexp_f32 v20, v23, v20
	v_add_f32_e32 v23, 1.0, v22
	v_add_f32_e32 v25, -1.0, v24
	v_sub_f32_e32 v23, v21, v23
	v_sub_f32_e32 v21, v21, v25
	v_add_f32_e32 v23, v20, v23
	v_add_f32_e32 v20, v20, v21
	;; [unrolled: 1-line block ×3, first 2 shown]
	v_rcp_f32_e32 v31, v29
	v_sub_f32_e32 v21, v24, v29
	v_add_f32_e32 v30, v20, v21
	v_add_f32_e32 v21, v22, v23
	v_mul_f32_e32 v33, v21, v31
	v_sub_f32_e32 v20, v22, v21
	v_mul_f32_e32 v22, v29, v33
	v_fma_f32 v24, v33, v29, -v22
	v_fmac_f32_e32 v24, v33, v30
	v_add_f32_e32 v32, v23, v20
	v_add_f32_e32 v20, v22, v24
	v_sub_f32_e32 v23, v21, v20
	v_pk_add_f32 v[26:27], v[20:21], v[22:23] neg_lo:[0,1] neg_hi:[0,1]
	v_mov_b32_e32 v25, v20
	v_pk_add_f32 v[20:21], v[26:27], v[24:25] neg_lo:[0,1] neg_hi:[0,1]
	v_cmp_neq_f32_e64 s[52:53], s60, v35
	v_add_f32_e32 v21, v32, v21
	v_add_f32_e32 v20, v20, v21
	;; [unrolled: 1-line block ×3, first 2 shown]
	v_mul_f32_e32 v32, v31, v21
	v_mul_f32_e32 v22, v29, v32
	v_fma_f32 v24, v32, v29, -v22
	v_fmac_f32_e32 v24, v32, v30
	v_sub_f32_e32 v23, v23, v21
	v_add_f32_e32 v29, v20, v23
	v_add_f32_e32 v20, v22, v24
	v_sub_f32_e32 v23, v21, v20
	v_pk_add_f32 v[26:27], v[20:21], v[22:23] neg_lo:[0,1] neg_hi:[0,1]
	v_mov_b32_e32 v25, v20
	v_pk_add_f32 v[20:21], v[26:27], v[24:25] neg_lo:[0,1] neg_hi:[0,1]
	v_cvt_f32_i32_e32 v22, v28
	v_add_f32_e32 v21, v29, v21
	v_add_f32_e32 v20, v20, v21
	;; [unrolled: 1-line block ×4, first 2 shown]
	v_sub_f32_e32 v21, v23, v33
	v_mul_f32_e32 v20, v31, v20
	v_sub_f32_e32 v21, v32, v21
	v_add_f32_e32 v20, v21, v20
	v_add_f32_e32 v24, v23, v20
	v_mul_f32_e32 v26, v24, v24
	v_mov_b32_e32 v21, 0x3ecc95a3
	v_sub_f32_e32 v23, v24, v23
	v_fmac_f32_e32 v21, 0x3e9b6dac, v26
	v_sub_f32_e32 v20, v20, v23
	v_fmaak_f32 v21, v26, v21, 0x3f2aaada
	v_ldexp_f32 v27, v20, 1
	v_mul_f32_e32 v23, v24, v26
	v_mov_b32_e32 v20, 0x3f317218
	v_pk_mul_f32 v[20:21], v[22:23], v[20:21]
	v_ldexp_f32 v25, v24, 1
	v_fma_f32 v23, v22, s33, -v20
	v_fmamk_f32 v24, v22, 0xb102e308, v23
	v_pk_add_f32 v[22:23], v[20:21], v[24:25]
	v_mov_b32_e32 v26, v20
	v_sub_f32_e32 v25, v23, v25
	v_sub_f32_e32 v25, v21, v25
	v_add_f32_e32 v27, v27, v25
	v_pk_add_f32 v[20:21], v[22:23], v[20:21] neg_lo:[0,1] neg_hi:[0,1]
	v_pk_add_f32 v[28:29], v[22:23], v[26:27]
	v_mov_b32_e32 v25, v22
	v_mov_b32_e32 v21, v29
	v_pk_add_f32 v[30:31], v[24:25], v[20:21] neg_lo:[0,1] neg_hi:[0,1]
	v_pk_add_f32 v[20:21], v[24:25], v[20:21]
	v_mov_b32_e32 v26, v27
	v_pk_add_f32 v[24:25], v[20:21], v[22:23] op_sel:[1,0] op_sel_hi:[0,1] neg_lo:[0,1] neg_hi:[0,1]
	v_pk_add_f32 v[32:33], v[28:29], v[24:25] op_sel_hi:[1,0] neg_lo:[0,1] neg_hi:[0,1]
	v_mov_b32_e32 v28, v29
	v_mov_b32_e32 v29, v21
	v_pk_mov_b32 v[24:25], v[22:23], v[24:25] op_sel:[1,0]
	v_mov_b32_e32 v27, v22
	v_pk_add_f32 v[24:25], v[28:29], v[24:25] neg_lo:[0,1] neg_hi:[0,1]
	v_mov_b32_e32 v32, v30
	v_pk_add_f32 v[22:23], v[26:27], v[24:25] neg_lo:[0,1] neg_hi:[0,1]
	v_mov_b32_e32 v31, v21
	v_pk_add_f32 v[24:25], v[32:33], v[22:23]
	s_mov_b32 s33, 0x33800000
	v_pk_add_f32 v[26:27], v[24:25], v[24:25] op_sel:[0,1] op_sel_hi:[1,0]
	s_nop 0
	v_pk_add_f32 v[20:21], v[20:21], v[26:27] op_sel:[1,0] op_sel_hi:[0,1]
	v_mov_b32_e32 v25, v20
	v_pk_add_f32 v[28:29], v[24:25], v[30:31] neg_lo:[0,1] neg_hi:[0,1]
	v_mov_b32_e32 v23, v26
	v_sub_f32_e32 v21, v24, v28
	v_pk_add_f32 v[22:23], v[22:23], v[28:29] neg_lo:[0,1] neg_hi:[0,1]
	v_sub_f32_e32 v21, v30, v21
	v_add_f32_e32 v21, v22, v21
	v_add_f32_e32 v21, v21, v23
	;; [unrolled: 1-line block ×3, first 2 shown]
	v_cndmask_b32_e64 v20, v34, v20, s[52:53]
	v_cmp_lt_f32_e64 s[52:53], |v35|, s33
	s_nop 1
	v_cndmask_b32_e64 v20, v20, v35, s[52:53]
	v_add_f32_e32 v16, v16, v20
	v_cvt_f16_f32_e32 v20, v16
	v_cvt_f32_f16_e32 v22, v20
	v_mov_b32_e32 v21, v20
.LBB387_52:
	s_or_b64 exec, exec, s[58:59]
	v_cvt_f32_f16_sdwa v16, v19 dst_sel:DWORD dst_unused:UNUSED_PAD src0_sel:WORD_1
	v_max_f32_e32 v23, v22, v22
	v_cmp_u_f16_e64 s[58:59], v20, v20
	v_cmp_u_f16_sdwa s[52:53], v19, v19 src0_sel:WORD_1 src1_sel:WORD_1
	v_min_f32_e32 v24, v23, v16
	v_max_f32_e32 v19, v23, v16
	v_cndmask_b32_e64 v20, v24, v22, s[58:59]
	v_cndmask_b32_e64 v19, v19, v22, s[58:59]
	;; [unrolled: 1-line block ×4, first 2 shown]
	s_movk_i32 s33, 0x1f8
	v_cmp_neq_f32_e64 s[58:59], v20, v19
	v_cmp_class_f32_e64 s[60:61], v20, s33
	s_or_b64 s[58:59], s[58:59], s[60:61]
	s_and_saveexec_b64 s[60:61], s[58:59]
	s_cbranch_execz .LBB387_54
; %bb.53:
	v_sub_f32_e32 v20, v20, v19
	s_mov_b32 s33, 0x3fb8aa3b
	v_mul_f32_e32 v21, 0x3fb8aa3b, v20
	v_fma_f32 v22, v20, s33, -v21
	v_rndne_f32_e32 v23, v21
	v_fmamk_f32 v22, v20, 0x32a5705f, v22
	v_sub_f32_e32 v21, v21, v23
	v_add_f32_e32 v21, v21, v22
	v_exp_f32_e32 v21, v21
	v_cvt_i32_f32_e32 v22, v23
	s_mov_b32 s33, 0xc2ce8ed0
	v_cmp_ngt_f32_e64 s[58:59], s33, v20
	s_mov_b32 s33, 0x42b17218
	v_ldexp_f32 v21, v21, v22
	v_cndmask_b32_e64 v21, 0, v21, s[58:59]
	v_mov_b32_e32 v34, 0x7f800000
	v_cmp_nlt_f32_e64 s[58:59], s33, v20
	s_mov_b32 s33, 0x3f2aaaab
	s_mov_b32 s62, 0x7f800000
	v_cndmask_b32_e64 v35, v34, v21, s[58:59]
	v_add_f32_e32 v22, 1.0, v35
	v_add_f32_e32 v20, -1.0, v22
	v_sub_f32_e32 v21, v20, v22
	v_add_f32_e32 v21, 1.0, v21
	v_sub_f32_e32 v20, v35, v20
	v_add_f32_e32 v23, v20, v21
	v_frexp_mant_f32_e32 v24, v22
	v_cvt_f64_f32_e32 v[20:21], v22
	v_frexp_exp_i32_f64_e32 v20, v[20:21]
	v_cmp_gt_f32_e64 s[58:59], s33, v24
	s_mov_b32 s33, 0x3f317218
	s_nop 0
	v_subbrev_co_u32_e64 v28, s[58:59], 0, v20, s[58:59]
	v_sub_u32_e32 v20, 0, v28
	v_ldexp_f32 v21, v22, v20
	v_add_f32_e32 v22, -1.0, v21
	v_add_f32_e32 v24, 1.0, v21
	v_ldexp_f32 v20, v23, v20
	v_add_f32_e32 v23, 1.0, v22
	v_add_f32_e32 v25, -1.0, v24
	v_sub_f32_e32 v23, v21, v23
	v_sub_f32_e32 v21, v21, v25
	v_add_f32_e32 v23, v20, v23
	v_add_f32_e32 v20, v20, v21
	;; [unrolled: 1-line block ×3, first 2 shown]
	v_rcp_f32_e32 v31, v29
	v_sub_f32_e32 v21, v24, v29
	v_add_f32_e32 v30, v20, v21
	v_add_f32_e32 v21, v22, v23
	v_mul_f32_e32 v33, v21, v31
	v_sub_f32_e32 v20, v22, v21
	v_mul_f32_e32 v22, v29, v33
	v_fma_f32 v24, v33, v29, -v22
	v_fmac_f32_e32 v24, v33, v30
	v_add_f32_e32 v32, v23, v20
	v_add_f32_e32 v20, v22, v24
	v_sub_f32_e32 v23, v21, v20
	v_pk_add_f32 v[26:27], v[20:21], v[22:23] neg_lo:[0,1] neg_hi:[0,1]
	v_mov_b32_e32 v25, v20
	v_pk_add_f32 v[20:21], v[26:27], v[24:25] neg_lo:[0,1] neg_hi:[0,1]
	v_cmp_neq_f32_e64 s[58:59], s62, v35
	v_add_f32_e32 v21, v32, v21
	v_add_f32_e32 v20, v20, v21
	;; [unrolled: 1-line block ×3, first 2 shown]
	v_mul_f32_e32 v32, v31, v21
	v_mul_f32_e32 v22, v29, v32
	v_fma_f32 v24, v32, v29, -v22
	v_fmac_f32_e32 v24, v32, v30
	v_sub_f32_e32 v23, v23, v21
	v_add_f32_e32 v29, v20, v23
	v_add_f32_e32 v20, v22, v24
	v_sub_f32_e32 v23, v21, v20
	v_pk_add_f32 v[26:27], v[20:21], v[22:23] neg_lo:[0,1] neg_hi:[0,1]
	v_mov_b32_e32 v25, v20
	v_pk_add_f32 v[20:21], v[26:27], v[24:25] neg_lo:[0,1] neg_hi:[0,1]
	v_cvt_f32_i32_e32 v22, v28
	v_add_f32_e32 v21, v29, v21
	v_add_f32_e32 v20, v20, v21
	;; [unrolled: 1-line block ×4, first 2 shown]
	v_sub_f32_e32 v21, v23, v33
	v_mul_f32_e32 v20, v31, v20
	v_sub_f32_e32 v21, v32, v21
	v_add_f32_e32 v20, v21, v20
	v_add_f32_e32 v24, v23, v20
	v_mul_f32_e32 v26, v24, v24
	v_mov_b32_e32 v21, 0x3ecc95a3
	v_sub_f32_e32 v23, v24, v23
	v_fmac_f32_e32 v21, 0x3e9b6dac, v26
	v_sub_f32_e32 v20, v20, v23
	v_fmaak_f32 v21, v26, v21, 0x3f2aaada
	v_ldexp_f32 v27, v20, 1
	v_mul_f32_e32 v23, v24, v26
	v_mov_b32_e32 v20, 0x3f317218
	v_pk_mul_f32 v[20:21], v[22:23], v[20:21]
	v_ldexp_f32 v25, v24, 1
	v_fma_f32 v23, v22, s33, -v20
	v_fmamk_f32 v24, v22, 0xb102e308, v23
	v_pk_add_f32 v[22:23], v[20:21], v[24:25]
	v_mov_b32_e32 v26, v20
	v_sub_f32_e32 v25, v23, v25
	v_sub_f32_e32 v25, v21, v25
	v_add_f32_e32 v27, v27, v25
	v_pk_add_f32 v[20:21], v[22:23], v[20:21] neg_lo:[0,1] neg_hi:[0,1]
	v_pk_add_f32 v[28:29], v[22:23], v[26:27]
	v_mov_b32_e32 v25, v22
	v_mov_b32_e32 v21, v29
	v_pk_add_f32 v[30:31], v[24:25], v[20:21] neg_lo:[0,1] neg_hi:[0,1]
	v_pk_add_f32 v[20:21], v[24:25], v[20:21]
	v_mov_b32_e32 v26, v27
	v_pk_add_f32 v[24:25], v[20:21], v[22:23] op_sel:[1,0] op_sel_hi:[0,1] neg_lo:[0,1] neg_hi:[0,1]
	v_pk_add_f32 v[32:33], v[28:29], v[24:25] op_sel_hi:[1,0] neg_lo:[0,1] neg_hi:[0,1]
	v_mov_b32_e32 v28, v29
	v_mov_b32_e32 v29, v21
	v_pk_mov_b32 v[24:25], v[22:23], v[24:25] op_sel:[1,0]
	v_mov_b32_e32 v27, v22
	v_pk_add_f32 v[24:25], v[28:29], v[24:25] neg_lo:[0,1] neg_hi:[0,1]
	v_mov_b32_e32 v32, v30
	v_pk_add_f32 v[22:23], v[26:27], v[24:25] neg_lo:[0,1] neg_hi:[0,1]
	v_mov_b32_e32 v31, v21
	v_pk_add_f32 v[24:25], v[32:33], v[22:23]
	s_mov_b32 s33, 0x33800000
	v_pk_add_f32 v[26:27], v[24:25], v[24:25] op_sel:[0,1] op_sel_hi:[1,0]
	s_nop 0
	v_pk_add_f32 v[20:21], v[20:21], v[26:27] op_sel:[1,0] op_sel_hi:[0,1]
	v_mov_b32_e32 v25, v20
	v_pk_add_f32 v[28:29], v[24:25], v[30:31] neg_lo:[0,1] neg_hi:[0,1]
	v_mov_b32_e32 v23, v26
	v_sub_f32_e32 v21, v24, v28
	v_pk_add_f32 v[22:23], v[22:23], v[28:29] neg_lo:[0,1] neg_hi:[0,1]
	v_sub_f32_e32 v21, v30, v21
	v_add_f32_e32 v21, v22, v21
	v_add_f32_e32 v21, v21, v23
	;; [unrolled: 1-line block ×3, first 2 shown]
	v_cndmask_b32_e64 v20, v34, v20, s[58:59]
	v_cmp_lt_f32_e64 s[58:59], |v35|, s33
	s_nop 1
	v_cndmask_b32_e64 v20, v20, v35, s[58:59]
	v_add_f32_e32 v19, v19, v20
	v_cvt_f16_f32_e32 v21, v19
.LBB387_54:
	s_or_b64 exec, exec, s[60:61]
	v_mbcnt_lo_u32_b32 v19, -1, 0
	v_mbcnt_hi_u32_b32 v20, -1, v19
	v_and_b32_e32 v22, 15, v20
	v_and_b32_e32 v23, 0xffff, v21
	v_cmp_ne_u32_e64 s[58:59], 0, v22
	s_nop 0
	v_mov_b32_dpp v24, v23 row_shr:1 row_mask:0xf bank_mask:0xf
	s_and_saveexec_b64 s[62:63], s[58:59]
	s_cbranch_execz .LBB387_58
; %bb.55:
	v_cvt_f32_f16_e32 v19, v24
	v_cvt_f32_f16_e32 v23, v21
	v_cmp_u_f16_e64 s[58:59], v24, v24
	v_cmp_u_f16_e64 s[60:61], v21, v21
	s_movk_i32 s33, 0x1f8
	v_min_f32_e32 v25, v19, v23
	v_cndmask_b32_e64 v25, v25, v19, s[58:59]
	v_cndmask_b32_e64 v21, v25, v23, s[60:61]
	v_max_f32_e32 v25, v19, v23
	v_cndmask_b32_e64 v19, v25, v19, s[58:59]
	v_cndmask_b32_e64 v19, v19, v23, s[60:61]
	v_cmp_neq_f32_e64 s[58:59], v21, v19
	v_cmp_class_f32_e64 s[60:61], v21, s33
	s_or_b64 s[58:59], s[58:59], s[60:61]
	s_and_saveexec_b64 s[60:61], s[58:59]
	s_cbranch_execz .LBB387_57
; %bb.56:
	v_sub_f32_e32 v21, v21, v19
	s_mov_b32 s33, 0x3fb8aa3b
	v_mul_f32_e32 v23, 0x3fb8aa3b, v21
	v_fma_f32 v24, v21, s33, -v23
	v_rndne_f32_e32 v25, v23
	v_fmamk_f32 v24, v21, 0x32a5705f, v24
	v_sub_f32_e32 v23, v23, v25
	v_add_f32_e32 v23, v23, v24
	v_exp_f32_e32 v23, v23
	v_cvt_i32_f32_e32 v24, v25
	s_mov_b32 s33, 0xc2ce8ed0
	v_cmp_ngt_f32_e64 s[58:59], s33, v21
	s_mov_b32 s33, 0x42b17218
	v_ldexp_f32 v23, v23, v24
	v_cndmask_b32_e64 v23, 0, v23, s[58:59]
	v_mov_b32_e32 v38, 0x7f800000
	v_cmp_nlt_f32_e64 s[58:59], s33, v21
	s_mov_b32 s33, 0x3f2aaaab
	s_mov_b32 s64, 0x7f800000
	v_cndmask_b32_e64 v21, v38, v23, s[58:59]
	v_add_f32_e32 v23, 1.0, v21
	v_add_f32_e32 v24, -1.0, v23
	v_sub_f32_e32 v25, v24, v23
	v_add_f32_e32 v25, 1.0, v25
	v_sub_f32_e32 v24, v21, v24
	v_add_f32_e32 v26, v24, v25
	v_frexp_mant_f32_e32 v27, v23
	v_cvt_f64_f32_e32 v[24:25], v23
	v_frexp_exp_i32_f64_e32 v24, v[24:25]
	v_cmp_gt_f32_e64 s[58:59], s33, v27
	s_mov_b32 s33, 0x3f317218
	s_nop 0
	v_subbrev_co_u32_e64 v32, s[58:59], 0, v24, s[58:59]
	v_sub_u32_e32 v24, 0, v32
	v_ldexp_f32 v23, v23, v24
	v_ldexp_f32 v24, v26, v24
	v_add_f32_e32 v26, -1.0, v23
	v_add_f32_e32 v25, 1.0, v26
	v_sub_f32_e32 v25, v23, v25
	v_add_f32_e32 v27, v24, v25
	v_add_f32_e32 v25, 1.0, v23
	v_add_f32_e32 v28, -1.0, v25
	v_sub_f32_e32 v23, v23, v28
	v_add_f32_e32 v23, v24, v23
	v_add_f32_e32 v33, v25, v23
	v_rcp_f32_e32 v34, v33
	v_sub_f32_e32 v24, v25, v33
	v_add_f32_e32 v25, v26, v27
	v_add_f32_e32 v23, v23, v24
	v_mul_f32_e32 v36, v25, v34
	v_sub_f32_e32 v24, v26, v25
	v_mul_f32_e32 v26, v33, v36
	v_fma_f32 v28, v36, v33, -v26
	v_fmac_f32_e32 v28, v36, v23
	v_add_f32_e32 v35, v27, v24
	v_add_f32_e32 v24, v26, v28
	v_sub_f32_e32 v27, v25, v24
	v_pk_add_f32 v[30:31], v[24:25], v[26:27] neg_lo:[0,1] neg_hi:[0,1]
	v_mov_b32_e32 v29, v24
	v_pk_add_f32 v[24:25], v[30:31], v[28:29] neg_lo:[0,1] neg_hi:[0,1]
	v_cmp_neq_f32_e64 s[58:59], s64, v21
	v_add_f32_e32 v25, v35, v25
	v_add_f32_e32 v24, v24, v25
	;; [unrolled: 1-line block ×3, first 2 shown]
	v_mul_f32_e32 v35, v34, v25
	v_mul_f32_e32 v26, v33, v35
	v_fma_f32 v28, v35, v33, -v26
	v_fmac_f32_e32 v28, v35, v23
	v_sub_f32_e32 v23, v27, v25
	v_add_f32_e32 v23, v24, v23
	v_add_f32_e32 v24, v26, v28
	v_sub_f32_e32 v27, v25, v24
	v_pk_add_f32 v[30:31], v[24:25], v[26:27] neg_lo:[0,1] neg_hi:[0,1]
	v_mov_b32_e32 v29, v24
	v_pk_add_f32 v[24:25], v[30:31], v[28:29] neg_lo:[0,1] neg_hi:[0,1]
	v_cvt_f32_i32_e32 v26, v32
	v_add_f32_e32 v23, v23, v25
	v_add_f32_e32 v23, v24, v23
	;; [unrolled: 1-line block ×4, first 2 shown]
	v_sub_f32_e32 v25, v24, v36
	v_mul_f32_e32 v23, v34, v23
	v_sub_f32_e32 v25, v35, v25
	v_add_f32_e32 v23, v25, v23
	v_add_f32_e32 v27, v24, v23
	v_mul_f32_e32 v28, v27, v27
	v_mov_b32_e32 v25, 0x3ecc95a3
	v_fmac_f32_e32 v25, 0x3e9b6dac, v28
	v_sub_f32_e32 v24, v27, v24
	v_fmaak_f32 v25, v28, v25, 0x3f2aaada
	v_sub_f32_e32 v23, v23, v24
	v_ldexp_f32 v29, v27, 1
	v_mul_f32_e32 v27, v27, v28
	v_mov_b32_e32 v24, 0x3f317218
	v_pk_mul_f32 v[24:25], v[26:27], v[24:25]
	v_ldexp_f32 v23, v23, 1
	v_fma_f32 v27, v26, s33, -v24
	v_fmamk_f32 v28, v26, 0xb102e308, v27
	v_pk_add_f32 v[26:27], v[24:25], v[28:29]
	v_mov_b32_e32 v30, v24
	v_sub_f32_e32 v29, v27, v29
	v_sub_f32_e32 v29, v25, v29
	v_add_f32_e32 v31, v23, v29
	v_pk_add_f32 v[24:25], v[26:27], v[24:25] neg_lo:[0,1] neg_hi:[0,1]
	v_pk_add_f32 v[32:33], v[26:27], v[30:31]
	v_mov_b32_e32 v29, v26
	v_mov_b32_e32 v25, v33
	v_pk_add_f32 v[34:35], v[28:29], v[24:25] neg_lo:[0,1] neg_hi:[0,1]
	v_pk_add_f32 v[24:25], v[28:29], v[24:25]
	v_mov_b32_e32 v30, v31
	v_pk_add_f32 v[28:29], v[24:25], v[26:27] op_sel:[1,0] op_sel_hi:[0,1] neg_lo:[0,1] neg_hi:[0,1]
	v_pk_add_f32 v[36:37], v[32:33], v[28:29] op_sel_hi:[1,0] neg_lo:[0,1] neg_hi:[0,1]
	v_mov_b32_e32 v32, v33
	v_mov_b32_e32 v33, v25
	v_pk_mov_b32 v[28:29], v[26:27], v[28:29] op_sel:[1,0]
	v_mov_b32_e32 v31, v26
	v_pk_add_f32 v[28:29], v[32:33], v[28:29] neg_lo:[0,1] neg_hi:[0,1]
	v_mov_b32_e32 v36, v34
	v_pk_add_f32 v[26:27], v[30:31], v[28:29] neg_lo:[0,1] neg_hi:[0,1]
	v_mov_b32_e32 v35, v25
	v_pk_add_f32 v[28:29], v[36:37], v[26:27]
	s_mov_b32 s33, 0x33800000
	v_pk_add_f32 v[30:31], v[28:29], v[28:29] op_sel:[0,1] op_sel_hi:[1,0]
	s_nop 0
	v_pk_add_f32 v[24:25], v[24:25], v[30:31] op_sel:[1,0] op_sel_hi:[0,1]
	v_mov_b32_e32 v29, v24
	v_pk_add_f32 v[32:33], v[28:29], v[34:35] neg_lo:[0,1] neg_hi:[0,1]
	v_mov_b32_e32 v27, v30
	v_sub_f32_e32 v23, v28, v32
	v_pk_add_f32 v[26:27], v[26:27], v[32:33] neg_lo:[0,1] neg_hi:[0,1]
	v_sub_f32_e32 v23, v34, v23
	v_add_f32_e32 v23, v26, v23
	v_add_f32_e32 v23, v23, v27
	v_add_f32_e32 v23, v24, v23
	v_cndmask_b32_e64 v23, v38, v23, s[58:59]
	v_cmp_lt_f32_e64 s[58:59], |v21|, s33
	s_nop 1
	v_cndmask_b32_e64 v21, v23, v21, s[58:59]
	v_add_f32_e32 v19, v19, v21
	v_cvt_f16_f32_e32 v24, v19
.LBB387_57:
	s_or_b64 exec, exec, s[60:61]
	v_and_b32_e32 v23, 0xffff, v24
	v_mov_b32_e32 v21, v24
.LBB387_58:
	s_or_b64 exec, exec, s[62:63]
	s_load_dwordx2 s[60:61], s[0:1], 0x18
	v_mul_u32_u24_e32 v19, 26, v0
	v_mov_b32_dpp v24, v23 row_shr:2 row_mask:0xf bank_mask:0xf
	v_cmp_lt_u32_e64 s[0:1], 1, v22
	s_and_saveexec_b64 s[62:63], s[0:1]
	s_cbranch_execz .LBB387_62
; %bb.59:
	v_cvt_f32_f16_e32 v25, v24
	v_cvt_f32_f16_e32 v26, v21
	v_cmp_u_f16_e64 s[0:1], v24, v24
	v_cmp_u_f16_e64 s[58:59], v21, v21
	s_movk_i32 s33, 0x1f8
	v_min_f32_e32 v23, v25, v26
	v_max_f32_e32 v21, v25, v26
	v_cndmask_b32_e64 v23, v23, v25, s[0:1]
	v_cndmask_b32_e64 v21, v21, v25, s[0:1]
	;; [unrolled: 1-line block ×4, first 2 shown]
	v_cmp_neq_f32_e64 s[0:1], v23, v21
	v_cmp_class_f32_e64 s[58:59], v23, s33
	s_or_b64 s[0:1], s[0:1], s[58:59]
	s_and_saveexec_b64 s[58:59], s[0:1]
	s_cbranch_execz .LBB387_61
; %bb.60:
	v_sub_f32_e32 v23, v23, v21
	s_mov_b32 s0, 0x3fb8aa3b
	v_mul_f32_e32 v24, 0x3fb8aa3b, v23
	v_fma_f32 v25, v23, s0, -v24
	v_rndne_f32_e32 v26, v24
	v_fmamk_f32 v25, v23, 0x32a5705f, v25
	v_sub_f32_e32 v24, v24, v26
	v_add_f32_e32 v24, v24, v25
	v_exp_f32_e32 v24, v24
	v_cvt_i32_f32_e32 v25, v26
	s_mov_b32 s0, 0xc2ce8ed0
	v_cmp_ngt_f32_e64 s[0:1], s0, v23
	v_mov_b32_e32 v38, 0x7f800000
	v_ldexp_f32 v24, v24, v25
	v_cndmask_b32_e64 v24, 0, v24, s[0:1]
	s_mov_b32 s0, 0x42b17218
	v_cmp_nlt_f32_e64 s[0:1], s0, v23
	s_mov_b32 s33, 0x7f800000
	s_nop 0
	v_cndmask_b32_e64 v23, v38, v24, s[0:1]
	v_add_f32_e32 v26, 1.0, v23
	v_add_f32_e32 v24, -1.0, v26
	v_sub_f32_e32 v25, v24, v26
	v_add_f32_e32 v25, 1.0, v25
	v_sub_f32_e32 v24, v23, v24
	v_add_f32_e32 v27, v24, v25
	v_frexp_mant_f32_e32 v28, v26
	s_mov_b32 s0, 0x3f2aaaab
	v_cvt_f64_f32_e32 v[24:25], v26
	v_frexp_exp_i32_f64_e32 v24, v[24:25]
	v_cmp_gt_f32_e64 s[0:1], s0, v28
	s_nop 1
	v_subbrev_co_u32_e64 v32, s[0:1], 0, v24, s[0:1]
	v_sub_u32_e32 v24, 0, v32
	v_ldexp_f32 v25, v26, v24
	v_add_f32_e32 v26, -1.0, v25
	v_add_f32_e32 v28, 1.0, v25
	v_ldexp_f32 v24, v27, v24
	v_add_f32_e32 v27, 1.0, v26
	v_add_f32_e32 v29, -1.0, v28
	v_sub_f32_e32 v27, v25, v27
	v_sub_f32_e32 v25, v25, v29
	v_add_f32_e32 v27, v24, v27
	v_add_f32_e32 v24, v24, v25
	;; [unrolled: 1-line block ×3, first 2 shown]
	v_rcp_f32_e32 v35, v33
	v_sub_f32_e32 v25, v28, v33
	v_add_f32_e32 v34, v24, v25
	v_add_f32_e32 v25, v26, v27
	v_mul_f32_e32 v37, v25, v35
	v_sub_f32_e32 v24, v26, v25
	v_mul_f32_e32 v26, v33, v37
	v_fma_f32 v28, v37, v33, -v26
	v_fmac_f32_e32 v28, v37, v34
	v_add_f32_e32 v36, v27, v24
	v_add_f32_e32 v24, v26, v28
	v_sub_f32_e32 v27, v25, v24
	v_pk_add_f32 v[30:31], v[24:25], v[26:27] neg_lo:[0,1] neg_hi:[0,1]
	v_mov_b32_e32 v29, v24
	v_pk_add_f32 v[24:25], v[30:31], v[28:29] neg_lo:[0,1] neg_hi:[0,1]
	s_mov_b32 s0, 0x3f317218
	v_add_f32_e32 v25, v36, v25
	v_add_f32_e32 v24, v24, v25
	;; [unrolled: 1-line block ×3, first 2 shown]
	v_mul_f32_e32 v36, v35, v25
	v_mul_f32_e32 v26, v33, v36
	v_fma_f32 v28, v36, v33, -v26
	v_fmac_f32_e32 v28, v36, v34
	v_sub_f32_e32 v27, v27, v25
	v_add_f32_e32 v33, v24, v27
	v_add_f32_e32 v24, v26, v28
	v_sub_f32_e32 v27, v25, v24
	v_pk_add_f32 v[30:31], v[24:25], v[26:27] neg_lo:[0,1] neg_hi:[0,1]
	v_mov_b32_e32 v29, v24
	v_pk_add_f32 v[24:25], v[30:31], v[28:29] neg_lo:[0,1] neg_hi:[0,1]
	v_cvt_f32_i32_e32 v26, v32
	v_add_f32_e32 v25, v33, v25
	v_add_f32_e32 v24, v24, v25
	;; [unrolled: 1-line block ×4, first 2 shown]
	v_sub_f32_e32 v25, v27, v37
	v_mul_f32_e32 v24, v35, v24
	v_sub_f32_e32 v25, v36, v25
	v_add_f32_e32 v24, v25, v24
	v_add_f32_e32 v28, v27, v24
	v_mul_f32_e32 v30, v28, v28
	v_mov_b32_e32 v25, 0x3ecc95a3
	v_sub_f32_e32 v27, v28, v27
	v_fmac_f32_e32 v25, 0x3e9b6dac, v30
	v_sub_f32_e32 v24, v24, v27
	v_fmaak_f32 v25, v30, v25, 0x3f2aaada
	v_ldexp_f32 v31, v24, 1
	v_mul_f32_e32 v27, v28, v30
	v_mov_b32_e32 v24, 0x3f317218
	v_pk_mul_f32 v[24:25], v[26:27], v[24:25]
	v_ldexp_f32 v29, v28, 1
	v_fma_f32 v27, v26, s0, -v24
	v_fmamk_f32 v28, v26, 0xb102e308, v27
	v_pk_add_f32 v[26:27], v[24:25], v[28:29]
	v_mov_b32_e32 v30, v24
	v_sub_f32_e32 v29, v27, v29
	v_sub_f32_e32 v29, v25, v29
	v_add_f32_e32 v31, v31, v29
	v_pk_add_f32 v[24:25], v[26:27], v[24:25] neg_lo:[0,1] neg_hi:[0,1]
	v_pk_add_f32 v[32:33], v[26:27], v[30:31]
	v_mov_b32_e32 v29, v26
	v_mov_b32_e32 v25, v33
	v_pk_add_f32 v[34:35], v[28:29], v[24:25] neg_lo:[0,1] neg_hi:[0,1]
	v_pk_add_f32 v[24:25], v[28:29], v[24:25]
	v_mov_b32_e32 v30, v31
	v_pk_add_f32 v[28:29], v[24:25], v[26:27] op_sel:[1,0] op_sel_hi:[0,1] neg_lo:[0,1] neg_hi:[0,1]
	v_pk_add_f32 v[36:37], v[32:33], v[28:29] op_sel_hi:[1,0] neg_lo:[0,1] neg_hi:[0,1]
	v_mov_b32_e32 v32, v33
	v_mov_b32_e32 v33, v25
	v_pk_mov_b32 v[28:29], v[26:27], v[28:29] op_sel:[1,0]
	v_mov_b32_e32 v31, v26
	v_pk_add_f32 v[28:29], v[32:33], v[28:29] neg_lo:[0,1] neg_hi:[0,1]
	v_mov_b32_e32 v36, v34
	v_pk_add_f32 v[26:27], v[30:31], v[28:29] neg_lo:[0,1] neg_hi:[0,1]
	v_mov_b32_e32 v35, v25
	v_pk_add_f32 v[28:29], v[36:37], v[26:27]
	v_cmp_neq_f32_e64 s[0:1], s33, v23
	v_pk_add_f32 v[30:31], v[28:29], v[28:29] op_sel:[0,1] op_sel_hi:[1,0]
	s_nop 0
	v_pk_add_f32 v[24:25], v[24:25], v[30:31] op_sel:[1,0] op_sel_hi:[0,1]
	v_mov_b32_e32 v29, v24
	v_pk_add_f32 v[32:33], v[28:29], v[34:35] neg_lo:[0,1] neg_hi:[0,1]
	v_mov_b32_e32 v27, v30
	v_sub_f32_e32 v25, v28, v32
	v_pk_add_f32 v[26:27], v[26:27], v[32:33] neg_lo:[0,1] neg_hi:[0,1]
	v_sub_f32_e32 v25, v34, v25
	v_add_f32_e32 v25, v26, v25
	v_add_f32_e32 v25, v25, v27
	;; [unrolled: 1-line block ×3, first 2 shown]
	v_cndmask_b32_e64 v24, v38, v24, s[0:1]
	s_mov_b32 s0, 0x33800000
	v_cmp_lt_f32_e64 s[0:1], |v23|, s0
	s_nop 1
	v_cndmask_b32_e64 v23, v24, v23, s[0:1]
	v_add_f32_e32 v21, v21, v23
	v_cvt_f16_f32_e32 v24, v21
.LBB387_61:
	s_or_b64 exec, exec, s[58:59]
	v_and_b32_e32 v23, 0xffff, v24
	v_mov_b32_e32 v21, v24
.LBB387_62:
	s_or_b64 exec, exec, s[62:63]
	v_mov_b32_dpp v24, v23 row_shr:4 row_mask:0xf bank_mask:0xf
	v_cmp_lt_u32_e64 s[0:1], 3, v22
	s_and_saveexec_b64 s[62:63], s[0:1]
	s_cbranch_execz .LBB387_66
; %bb.63:
	v_cvt_f32_f16_e32 v25, v24
	v_cvt_f32_f16_e32 v26, v21
	v_cmp_u_f16_e64 s[0:1], v24, v24
	v_cmp_u_f16_e64 s[58:59], v21, v21
	s_movk_i32 s33, 0x1f8
	v_min_f32_e32 v23, v25, v26
	v_max_f32_e32 v21, v25, v26
	v_cndmask_b32_e64 v23, v23, v25, s[0:1]
	v_cndmask_b32_e64 v21, v21, v25, s[0:1]
	;; [unrolled: 1-line block ×4, first 2 shown]
	v_cmp_neq_f32_e64 s[0:1], v23, v21
	v_cmp_class_f32_e64 s[58:59], v23, s33
	s_or_b64 s[0:1], s[0:1], s[58:59]
	s_and_saveexec_b64 s[58:59], s[0:1]
	s_cbranch_execz .LBB387_65
; %bb.64:
	v_sub_f32_e32 v23, v23, v21
	s_mov_b32 s0, 0x3fb8aa3b
	v_mul_f32_e32 v24, 0x3fb8aa3b, v23
	v_fma_f32 v25, v23, s0, -v24
	v_rndne_f32_e32 v26, v24
	v_fmamk_f32 v25, v23, 0x32a5705f, v25
	v_sub_f32_e32 v24, v24, v26
	v_add_f32_e32 v24, v24, v25
	v_exp_f32_e32 v24, v24
	v_cvt_i32_f32_e32 v25, v26
	s_mov_b32 s0, 0xc2ce8ed0
	v_cmp_ngt_f32_e64 s[0:1], s0, v23
	v_mov_b32_e32 v38, 0x7f800000
	v_ldexp_f32 v24, v24, v25
	v_cndmask_b32_e64 v24, 0, v24, s[0:1]
	s_mov_b32 s0, 0x42b17218
	v_cmp_nlt_f32_e64 s[0:1], s0, v23
	s_mov_b32 s33, 0x7f800000
	s_nop 0
	v_cndmask_b32_e64 v23, v38, v24, s[0:1]
	v_add_f32_e32 v26, 1.0, v23
	v_add_f32_e32 v24, -1.0, v26
	v_sub_f32_e32 v25, v24, v26
	v_add_f32_e32 v25, 1.0, v25
	v_sub_f32_e32 v24, v23, v24
	v_add_f32_e32 v27, v24, v25
	v_frexp_mant_f32_e32 v28, v26
	s_mov_b32 s0, 0x3f2aaaab
	v_cvt_f64_f32_e32 v[24:25], v26
	v_frexp_exp_i32_f64_e32 v24, v[24:25]
	v_cmp_gt_f32_e64 s[0:1], s0, v28
	s_nop 1
	v_subbrev_co_u32_e64 v32, s[0:1], 0, v24, s[0:1]
	v_sub_u32_e32 v24, 0, v32
	v_ldexp_f32 v25, v26, v24
	v_add_f32_e32 v26, -1.0, v25
	v_add_f32_e32 v28, 1.0, v25
	v_ldexp_f32 v24, v27, v24
	v_add_f32_e32 v27, 1.0, v26
	v_add_f32_e32 v29, -1.0, v28
	v_sub_f32_e32 v27, v25, v27
	v_sub_f32_e32 v25, v25, v29
	v_add_f32_e32 v27, v24, v27
	v_add_f32_e32 v24, v24, v25
	;; [unrolled: 1-line block ×3, first 2 shown]
	v_rcp_f32_e32 v35, v33
	v_sub_f32_e32 v25, v28, v33
	v_add_f32_e32 v34, v24, v25
	v_add_f32_e32 v25, v26, v27
	v_mul_f32_e32 v37, v25, v35
	v_sub_f32_e32 v24, v26, v25
	v_mul_f32_e32 v26, v33, v37
	v_fma_f32 v28, v37, v33, -v26
	v_fmac_f32_e32 v28, v37, v34
	v_add_f32_e32 v36, v27, v24
	v_add_f32_e32 v24, v26, v28
	v_sub_f32_e32 v27, v25, v24
	v_pk_add_f32 v[30:31], v[24:25], v[26:27] neg_lo:[0,1] neg_hi:[0,1]
	v_mov_b32_e32 v29, v24
	v_pk_add_f32 v[24:25], v[30:31], v[28:29] neg_lo:[0,1] neg_hi:[0,1]
	s_mov_b32 s0, 0x3f317218
	v_add_f32_e32 v25, v36, v25
	v_add_f32_e32 v24, v24, v25
	;; [unrolled: 1-line block ×3, first 2 shown]
	v_mul_f32_e32 v36, v35, v25
	v_mul_f32_e32 v26, v33, v36
	v_fma_f32 v28, v36, v33, -v26
	v_fmac_f32_e32 v28, v36, v34
	v_sub_f32_e32 v27, v27, v25
	v_add_f32_e32 v33, v24, v27
	v_add_f32_e32 v24, v26, v28
	v_sub_f32_e32 v27, v25, v24
	v_pk_add_f32 v[30:31], v[24:25], v[26:27] neg_lo:[0,1] neg_hi:[0,1]
	v_mov_b32_e32 v29, v24
	v_pk_add_f32 v[24:25], v[30:31], v[28:29] neg_lo:[0,1] neg_hi:[0,1]
	v_cvt_f32_i32_e32 v26, v32
	v_add_f32_e32 v25, v33, v25
	v_add_f32_e32 v24, v24, v25
	;; [unrolled: 1-line block ×4, first 2 shown]
	v_sub_f32_e32 v25, v27, v37
	v_mul_f32_e32 v24, v35, v24
	v_sub_f32_e32 v25, v36, v25
	v_add_f32_e32 v24, v25, v24
	v_add_f32_e32 v28, v27, v24
	v_mul_f32_e32 v30, v28, v28
	v_mov_b32_e32 v25, 0x3ecc95a3
	v_sub_f32_e32 v27, v28, v27
	v_fmac_f32_e32 v25, 0x3e9b6dac, v30
	v_sub_f32_e32 v24, v24, v27
	v_fmaak_f32 v25, v30, v25, 0x3f2aaada
	v_ldexp_f32 v31, v24, 1
	v_mul_f32_e32 v27, v28, v30
	v_mov_b32_e32 v24, 0x3f317218
	v_pk_mul_f32 v[24:25], v[26:27], v[24:25]
	v_ldexp_f32 v29, v28, 1
	v_fma_f32 v27, v26, s0, -v24
	v_fmamk_f32 v28, v26, 0xb102e308, v27
	v_pk_add_f32 v[26:27], v[24:25], v[28:29]
	v_mov_b32_e32 v30, v24
	v_sub_f32_e32 v29, v27, v29
	v_sub_f32_e32 v29, v25, v29
	v_add_f32_e32 v31, v31, v29
	v_pk_add_f32 v[24:25], v[26:27], v[24:25] neg_lo:[0,1] neg_hi:[0,1]
	v_pk_add_f32 v[32:33], v[26:27], v[30:31]
	v_mov_b32_e32 v29, v26
	v_mov_b32_e32 v25, v33
	v_pk_add_f32 v[34:35], v[28:29], v[24:25] neg_lo:[0,1] neg_hi:[0,1]
	v_pk_add_f32 v[24:25], v[28:29], v[24:25]
	v_mov_b32_e32 v30, v31
	v_pk_add_f32 v[28:29], v[24:25], v[26:27] op_sel:[1,0] op_sel_hi:[0,1] neg_lo:[0,1] neg_hi:[0,1]
	v_pk_add_f32 v[36:37], v[32:33], v[28:29] op_sel_hi:[1,0] neg_lo:[0,1] neg_hi:[0,1]
	v_mov_b32_e32 v32, v33
	v_mov_b32_e32 v33, v25
	v_pk_mov_b32 v[28:29], v[26:27], v[28:29] op_sel:[1,0]
	v_mov_b32_e32 v31, v26
	v_pk_add_f32 v[28:29], v[32:33], v[28:29] neg_lo:[0,1] neg_hi:[0,1]
	v_mov_b32_e32 v36, v34
	v_pk_add_f32 v[26:27], v[30:31], v[28:29] neg_lo:[0,1] neg_hi:[0,1]
	v_mov_b32_e32 v35, v25
	v_pk_add_f32 v[28:29], v[36:37], v[26:27]
	v_cmp_neq_f32_e64 s[0:1], s33, v23
	v_pk_add_f32 v[30:31], v[28:29], v[28:29] op_sel:[0,1] op_sel_hi:[1,0]
	s_nop 0
	v_pk_add_f32 v[24:25], v[24:25], v[30:31] op_sel:[1,0] op_sel_hi:[0,1]
	v_mov_b32_e32 v29, v24
	v_pk_add_f32 v[32:33], v[28:29], v[34:35] neg_lo:[0,1] neg_hi:[0,1]
	v_mov_b32_e32 v27, v30
	v_sub_f32_e32 v25, v28, v32
	v_pk_add_f32 v[26:27], v[26:27], v[32:33] neg_lo:[0,1] neg_hi:[0,1]
	v_sub_f32_e32 v25, v34, v25
	v_add_f32_e32 v25, v26, v25
	v_add_f32_e32 v25, v25, v27
	;; [unrolled: 1-line block ×3, first 2 shown]
	v_cndmask_b32_e64 v24, v38, v24, s[0:1]
	s_mov_b32 s0, 0x33800000
	v_cmp_lt_f32_e64 s[0:1], |v23|, s0
	s_nop 1
	v_cndmask_b32_e64 v23, v24, v23, s[0:1]
	v_add_f32_e32 v21, v21, v23
	v_cvt_f16_f32_e32 v24, v21
.LBB387_65:
	s_or_b64 exec, exec, s[58:59]
	v_and_b32_e32 v23, 0xffff, v24
	v_mov_b32_e32 v21, v24
.LBB387_66:
	s_or_b64 exec, exec, s[62:63]
	v_mov_b32_dpp v24, v23 row_shr:8 row_mask:0xf bank_mask:0xf
	v_cmp_lt_u32_e64 s[0:1], 7, v22
	s_and_saveexec_b64 s[62:63], s[0:1]
	s_cbranch_execz .LBB387_70
; %bb.67:
	v_cvt_f32_f16_e32 v23, v24
	v_cvt_f32_f16_e32 v25, v21
	v_cmp_u_f16_e64 s[0:1], v24, v24
	v_cmp_u_f16_e64 s[58:59], v21, v21
	s_movk_i32 s33, 0x1f8
	v_min_f32_e32 v22, v23, v25
	v_max_f32_e32 v21, v23, v25
	v_cndmask_b32_e64 v22, v22, v23, s[0:1]
	v_cndmask_b32_e64 v21, v21, v23, s[0:1]
	;; [unrolled: 1-line block ×4, first 2 shown]
	v_cmp_neq_f32_e64 s[0:1], v22, v21
	v_cmp_class_f32_e64 s[58:59], v22, s33
	s_or_b64 s[0:1], s[0:1], s[58:59]
	s_and_saveexec_b64 s[58:59], s[0:1]
	s_cbranch_execz .LBB387_69
; %bb.68:
	v_sub_f32_e32 v22, v22, v21
	s_mov_b32 s0, 0x3fb8aa3b
	v_mul_f32_e32 v23, 0x3fb8aa3b, v22
	v_fma_f32 v24, v22, s0, -v23
	v_rndne_f32_e32 v25, v23
	v_fmamk_f32 v24, v22, 0x32a5705f, v24
	v_sub_f32_e32 v23, v23, v25
	v_add_f32_e32 v23, v23, v24
	v_exp_f32_e32 v23, v23
	v_cvt_i32_f32_e32 v24, v25
	s_mov_b32 s0, 0xc2ce8ed0
	v_cmp_ngt_f32_e64 s[0:1], s0, v22
	v_mov_b32_e32 v36, 0x7f800000
	v_ldexp_f32 v23, v23, v24
	v_cndmask_b32_e64 v23, 0, v23, s[0:1]
	s_mov_b32 s0, 0x42b17218
	v_cmp_nlt_f32_e64 s[0:1], s0, v22
	s_mov_b32 s33, 0x7f800000
	s_nop 0
	v_cndmask_b32_e64 v37, v36, v23, s[0:1]
	v_add_f32_e32 v24, 1.0, v37
	v_add_f32_e32 v22, -1.0, v24
	v_sub_f32_e32 v23, v22, v24
	v_add_f32_e32 v23, 1.0, v23
	v_sub_f32_e32 v22, v37, v22
	v_add_f32_e32 v25, v22, v23
	v_frexp_mant_f32_e32 v26, v24
	s_mov_b32 s0, 0x3f2aaaab
	v_cvt_f64_f32_e32 v[22:23], v24
	v_frexp_exp_i32_f64_e32 v22, v[22:23]
	v_cmp_gt_f32_e64 s[0:1], s0, v26
	s_nop 1
	v_subbrev_co_u32_e64 v30, s[0:1], 0, v22, s[0:1]
	v_sub_u32_e32 v22, 0, v30
	v_ldexp_f32 v23, v24, v22
	v_add_f32_e32 v24, -1.0, v23
	v_add_f32_e32 v26, 1.0, v23
	v_ldexp_f32 v22, v25, v22
	v_add_f32_e32 v25, 1.0, v24
	v_add_f32_e32 v27, -1.0, v26
	v_sub_f32_e32 v25, v23, v25
	v_sub_f32_e32 v23, v23, v27
	v_add_f32_e32 v25, v22, v25
	v_add_f32_e32 v22, v22, v23
	;; [unrolled: 1-line block ×3, first 2 shown]
	v_rcp_f32_e32 v33, v31
	v_sub_f32_e32 v23, v26, v31
	v_add_f32_e32 v32, v22, v23
	v_add_f32_e32 v23, v24, v25
	v_mul_f32_e32 v35, v23, v33
	v_sub_f32_e32 v22, v24, v23
	v_mul_f32_e32 v24, v31, v35
	v_fma_f32 v26, v35, v31, -v24
	v_fmac_f32_e32 v26, v35, v32
	v_add_f32_e32 v34, v25, v22
	v_add_f32_e32 v22, v24, v26
	v_sub_f32_e32 v25, v23, v22
	v_pk_add_f32 v[28:29], v[22:23], v[24:25] neg_lo:[0,1] neg_hi:[0,1]
	v_mov_b32_e32 v27, v22
	v_pk_add_f32 v[22:23], v[28:29], v[26:27] neg_lo:[0,1] neg_hi:[0,1]
	s_mov_b32 s0, 0x3f317218
	v_add_f32_e32 v23, v34, v23
	v_add_f32_e32 v22, v22, v23
	;; [unrolled: 1-line block ×3, first 2 shown]
	v_mul_f32_e32 v34, v33, v23
	v_mul_f32_e32 v24, v31, v34
	v_fma_f32 v26, v34, v31, -v24
	v_fmac_f32_e32 v26, v34, v32
	v_sub_f32_e32 v25, v25, v23
	v_add_f32_e32 v31, v22, v25
	v_add_f32_e32 v22, v24, v26
	v_sub_f32_e32 v25, v23, v22
	v_pk_add_f32 v[28:29], v[22:23], v[24:25] neg_lo:[0,1] neg_hi:[0,1]
	v_mov_b32_e32 v27, v22
	v_pk_add_f32 v[22:23], v[28:29], v[26:27] neg_lo:[0,1] neg_hi:[0,1]
	v_cvt_f32_i32_e32 v24, v30
	v_add_f32_e32 v23, v31, v23
	v_add_f32_e32 v22, v22, v23
	;; [unrolled: 1-line block ×4, first 2 shown]
	v_sub_f32_e32 v23, v25, v35
	v_mul_f32_e32 v22, v33, v22
	v_sub_f32_e32 v23, v34, v23
	v_add_f32_e32 v22, v23, v22
	v_add_f32_e32 v26, v25, v22
	v_mul_f32_e32 v28, v26, v26
	v_mov_b32_e32 v23, 0x3ecc95a3
	v_sub_f32_e32 v25, v26, v25
	v_fmac_f32_e32 v23, 0x3e9b6dac, v28
	v_sub_f32_e32 v22, v22, v25
	v_fmaak_f32 v23, v28, v23, 0x3f2aaada
	v_ldexp_f32 v29, v22, 1
	v_mul_f32_e32 v25, v26, v28
	v_mov_b32_e32 v22, 0x3f317218
	v_pk_mul_f32 v[22:23], v[24:25], v[22:23]
	v_ldexp_f32 v27, v26, 1
	v_fma_f32 v25, v24, s0, -v22
	v_fmamk_f32 v26, v24, 0xb102e308, v25
	v_pk_add_f32 v[24:25], v[22:23], v[26:27]
	v_mov_b32_e32 v28, v22
	v_sub_f32_e32 v27, v25, v27
	v_sub_f32_e32 v27, v23, v27
	v_add_f32_e32 v29, v29, v27
	v_pk_add_f32 v[22:23], v[24:25], v[22:23] neg_lo:[0,1] neg_hi:[0,1]
	v_pk_add_f32 v[30:31], v[24:25], v[28:29]
	v_mov_b32_e32 v27, v24
	v_mov_b32_e32 v23, v31
	v_pk_add_f32 v[32:33], v[26:27], v[22:23] neg_lo:[0,1] neg_hi:[0,1]
	v_pk_add_f32 v[22:23], v[26:27], v[22:23]
	v_mov_b32_e32 v28, v29
	v_pk_add_f32 v[26:27], v[22:23], v[24:25] op_sel:[1,0] op_sel_hi:[0,1] neg_lo:[0,1] neg_hi:[0,1]
	v_pk_add_f32 v[34:35], v[30:31], v[26:27] op_sel_hi:[1,0] neg_lo:[0,1] neg_hi:[0,1]
	v_mov_b32_e32 v30, v31
	v_mov_b32_e32 v31, v23
	v_pk_mov_b32 v[26:27], v[24:25], v[26:27] op_sel:[1,0]
	v_mov_b32_e32 v29, v24
	v_pk_add_f32 v[26:27], v[30:31], v[26:27] neg_lo:[0,1] neg_hi:[0,1]
	v_mov_b32_e32 v34, v32
	v_pk_add_f32 v[24:25], v[28:29], v[26:27] neg_lo:[0,1] neg_hi:[0,1]
	v_mov_b32_e32 v33, v23
	v_pk_add_f32 v[26:27], v[34:35], v[24:25]
	v_cmp_neq_f32_e64 s[0:1], s33, v37
	v_pk_add_f32 v[28:29], v[26:27], v[26:27] op_sel:[0,1] op_sel_hi:[1,0]
	s_nop 0
	v_pk_add_f32 v[22:23], v[22:23], v[28:29] op_sel:[1,0] op_sel_hi:[0,1]
	v_mov_b32_e32 v27, v22
	v_pk_add_f32 v[30:31], v[26:27], v[32:33] neg_lo:[0,1] neg_hi:[0,1]
	v_mov_b32_e32 v25, v28
	v_sub_f32_e32 v23, v26, v30
	v_pk_add_f32 v[24:25], v[24:25], v[30:31] neg_lo:[0,1] neg_hi:[0,1]
	v_sub_f32_e32 v23, v32, v23
	v_add_f32_e32 v23, v24, v23
	v_add_f32_e32 v23, v23, v25
	;; [unrolled: 1-line block ×3, first 2 shown]
	v_cndmask_b32_e64 v22, v36, v22, s[0:1]
	s_mov_b32 s0, 0x33800000
	v_cmp_lt_f32_e64 s[0:1], |v37|, s0
	s_nop 1
	v_cndmask_b32_e64 v22, v22, v37, s[0:1]
	v_add_f32_e32 v21, v21, v22
	v_cvt_f16_f32_e32 v24, v21
.LBB387_69:
	s_or_b64 exec, exec, s[58:59]
	v_and_b32_e32 v23, 0xffff, v24
	v_mov_b32_e32 v21, v24
.LBB387_70:
	s_or_b64 exec, exec, s[62:63]
	v_and_b32_e32 v24, 16, v20
	v_mov_b32_dpp v22, v23 row_bcast:15 row_mask:0xf bank_mask:0xf
	v_cmp_ne_u32_e64 s[0:1], 0, v24
	s_and_saveexec_b64 s[62:63], s[0:1]
	s_cbranch_execz .LBB387_74
; %bb.71:
	v_cvt_f32_f16_e32 v24, v22
	v_cvt_f32_f16_e32 v25, v21
	v_cmp_u_f16_e64 s[0:1], v22, v22
	v_cmp_u_f16_e64 s[58:59], v21, v21
	s_movk_i32 s33, 0x1f8
	v_min_f32_e32 v23, v24, v25
	v_max_f32_e32 v21, v24, v25
	v_cndmask_b32_e64 v23, v23, v24, s[0:1]
	v_cndmask_b32_e64 v21, v21, v24, s[0:1]
	;; [unrolled: 1-line block ×4, first 2 shown]
	v_cmp_neq_f32_e64 s[0:1], v23, v21
	v_cmp_class_f32_e64 s[58:59], v23, s33
	s_or_b64 s[0:1], s[0:1], s[58:59]
	s_and_saveexec_b64 s[58:59], s[0:1]
	s_cbranch_execz .LBB387_73
; %bb.72:
	v_sub_f32_e32 v22, v23, v21
	s_mov_b32 s0, 0x3fb8aa3b
	v_mul_f32_e32 v23, 0x3fb8aa3b, v22
	v_fma_f32 v24, v22, s0, -v23
	v_rndne_f32_e32 v25, v23
	v_fmamk_f32 v24, v22, 0x32a5705f, v24
	v_sub_f32_e32 v23, v23, v25
	v_add_f32_e32 v23, v23, v24
	v_exp_f32_e32 v23, v23
	v_cvt_i32_f32_e32 v24, v25
	s_mov_b32 s0, 0xc2ce8ed0
	v_cmp_ngt_f32_e64 s[0:1], s0, v22
	v_mov_b32_e32 v36, 0x7f800000
	v_ldexp_f32 v23, v23, v24
	v_cndmask_b32_e64 v23, 0, v23, s[0:1]
	s_mov_b32 s0, 0x42b17218
	v_cmp_nlt_f32_e64 s[0:1], s0, v22
	s_mov_b32 s33, 0x7f800000
	s_nop 0
	v_cndmask_b32_e64 v37, v36, v23, s[0:1]
	v_add_f32_e32 v24, 1.0, v37
	v_add_f32_e32 v22, -1.0, v24
	v_sub_f32_e32 v23, v22, v24
	v_add_f32_e32 v23, 1.0, v23
	v_sub_f32_e32 v22, v37, v22
	v_add_f32_e32 v25, v22, v23
	v_frexp_mant_f32_e32 v26, v24
	s_mov_b32 s0, 0x3f2aaaab
	v_cvt_f64_f32_e32 v[22:23], v24
	v_frexp_exp_i32_f64_e32 v22, v[22:23]
	v_cmp_gt_f32_e64 s[0:1], s0, v26
	s_nop 1
	v_subbrev_co_u32_e64 v30, s[0:1], 0, v22, s[0:1]
	v_sub_u32_e32 v22, 0, v30
	v_ldexp_f32 v23, v24, v22
	v_add_f32_e32 v24, -1.0, v23
	v_add_f32_e32 v26, 1.0, v23
	v_ldexp_f32 v22, v25, v22
	v_add_f32_e32 v25, 1.0, v24
	v_add_f32_e32 v27, -1.0, v26
	v_sub_f32_e32 v25, v23, v25
	v_sub_f32_e32 v23, v23, v27
	v_add_f32_e32 v25, v22, v25
	v_add_f32_e32 v22, v22, v23
	;; [unrolled: 1-line block ×3, first 2 shown]
	v_rcp_f32_e32 v33, v31
	v_sub_f32_e32 v23, v26, v31
	v_add_f32_e32 v32, v22, v23
	v_add_f32_e32 v23, v24, v25
	v_mul_f32_e32 v35, v23, v33
	v_sub_f32_e32 v22, v24, v23
	v_mul_f32_e32 v24, v31, v35
	v_fma_f32 v26, v35, v31, -v24
	v_fmac_f32_e32 v26, v35, v32
	v_add_f32_e32 v34, v25, v22
	v_add_f32_e32 v22, v24, v26
	v_sub_f32_e32 v25, v23, v22
	v_pk_add_f32 v[28:29], v[22:23], v[24:25] neg_lo:[0,1] neg_hi:[0,1]
	v_mov_b32_e32 v27, v22
	v_pk_add_f32 v[22:23], v[28:29], v[26:27] neg_lo:[0,1] neg_hi:[0,1]
	s_mov_b32 s0, 0x3f317218
	v_add_f32_e32 v23, v34, v23
	v_add_f32_e32 v22, v22, v23
	;; [unrolled: 1-line block ×3, first 2 shown]
	v_mul_f32_e32 v34, v33, v23
	v_mul_f32_e32 v24, v31, v34
	v_fma_f32 v26, v34, v31, -v24
	v_fmac_f32_e32 v26, v34, v32
	v_sub_f32_e32 v25, v25, v23
	v_add_f32_e32 v31, v22, v25
	v_add_f32_e32 v22, v24, v26
	v_sub_f32_e32 v25, v23, v22
	v_pk_add_f32 v[28:29], v[22:23], v[24:25] neg_lo:[0,1] neg_hi:[0,1]
	v_mov_b32_e32 v27, v22
	v_pk_add_f32 v[22:23], v[28:29], v[26:27] neg_lo:[0,1] neg_hi:[0,1]
	v_cvt_f32_i32_e32 v24, v30
	v_add_f32_e32 v23, v31, v23
	v_add_f32_e32 v22, v22, v23
	;; [unrolled: 1-line block ×4, first 2 shown]
	v_sub_f32_e32 v23, v25, v35
	v_mul_f32_e32 v22, v33, v22
	v_sub_f32_e32 v23, v34, v23
	v_add_f32_e32 v22, v23, v22
	v_add_f32_e32 v26, v25, v22
	v_mul_f32_e32 v28, v26, v26
	v_mov_b32_e32 v23, 0x3ecc95a3
	v_sub_f32_e32 v25, v26, v25
	v_fmac_f32_e32 v23, 0x3e9b6dac, v28
	v_sub_f32_e32 v22, v22, v25
	v_fmaak_f32 v23, v28, v23, 0x3f2aaada
	v_ldexp_f32 v29, v22, 1
	v_mul_f32_e32 v25, v26, v28
	v_mov_b32_e32 v22, 0x3f317218
	v_pk_mul_f32 v[22:23], v[24:25], v[22:23]
	v_ldexp_f32 v27, v26, 1
	v_fma_f32 v25, v24, s0, -v22
	v_fmamk_f32 v26, v24, 0xb102e308, v25
	v_pk_add_f32 v[24:25], v[22:23], v[26:27]
	v_mov_b32_e32 v28, v22
	v_sub_f32_e32 v27, v25, v27
	v_sub_f32_e32 v27, v23, v27
	v_add_f32_e32 v29, v29, v27
	v_pk_add_f32 v[22:23], v[24:25], v[22:23] neg_lo:[0,1] neg_hi:[0,1]
	v_pk_add_f32 v[30:31], v[24:25], v[28:29]
	v_mov_b32_e32 v27, v24
	v_mov_b32_e32 v23, v31
	v_pk_add_f32 v[32:33], v[26:27], v[22:23] neg_lo:[0,1] neg_hi:[0,1]
	v_pk_add_f32 v[22:23], v[26:27], v[22:23]
	v_mov_b32_e32 v28, v29
	v_pk_add_f32 v[26:27], v[22:23], v[24:25] op_sel:[1,0] op_sel_hi:[0,1] neg_lo:[0,1] neg_hi:[0,1]
	v_pk_add_f32 v[34:35], v[30:31], v[26:27] op_sel_hi:[1,0] neg_lo:[0,1] neg_hi:[0,1]
	v_mov_b32_e32 v30, v31
	v_mov_b32_e32 v31, v23
	v_pk_mov_b32 v[26:27], v[24:25], v[26:27] op_sel:[1,0]
	v_mov_b32_e32 v29, v24
	v_pk_add_f32 v[26:27], v[30:31], v[26:27] neg_lo:[0,1] neg_hi:[0,1]
	v_mov_b32_e32 v34, v32
	v_pk_add_f32 v[24:25], v[28:29], v[26:27] neg_lo:[0,1] neg_hi:[0,1]
	v_mov_b32_e32 v33, v23
	v_pk_add_f32 v[26:27], v[34:35], v[24:25]
	v_cmp_neq_f32_e64 s[0:1], s33, v37
	v_pk_add_f32 v[28:29], v[26:27], v[26:27] op_sel:[0,1] op_sel_hi:[1,0]
	s_nop 0
	v_pk_add_f32 v[22:23], v[22:23], v[28:29] op_sel:[1,0] op_sel_hi:[0,1]
	v_mov_b32_e32 v27, v22
	v_pk_add_f32 v[30:31], v[26:27], v[32:33] neg_lo:[0,1] neg_hi:[0,1]
	v_mov_b32_e32 v25, v28
	v_sub_f32_e32 v23, v26, v30
	v_pk_add_f32 v[24:25], v[24:25], v[30:31] neg_lo:[0,1] neg_hi:[0,1]
	v_sub_f32_e32 v23, v32, v23
	v_add_f32_e32 v23, v24, v23
	v_add_f32_e32 v23, v23, v25
	;; [unrolled: 1-line block ×3, first 2 shown]
	v_cndmask_b32_e64 v22, v36, v22, s[0:1]
	s_mov_b32 s0, 0x33800000
	v_cmp_lt_f32_e64 s[0:1], |v37|, s0
	s_nop 1
	v_cndmask_b32_e64 v22, v22, v37, s[0:1]
	v_add_f32_e32 v21, v21, v22
	v_cvt_f16_f32_e32 v22, v21
.LBB387_73:
	s_or_b64 exec, exec, s[58:59]
	v_and_b32_e32 v23, 0xffff, v22
	v_mov_b32_e32 v21, v22
.LBB387_74:
	s_or_b64 exec, exec, s[62:63]
	v_mov_b32_dpp v22, v23 row_bcast:31 row_mask:0xf bank_mask:0xf
	v_cmp_lt_u32_e64 s[0:1], 31, v20
	s_and_saveexec_b64 s[62:63], s[0:1]
	s_cbranch_execz .LBB387_78
; %bb.75:
	v_cvt_f32_f16_e32 v24, v22
	v_cvt_f32_f16_e32 v25, v21
	v_cmp_u_f16_e64 s[0:1], v22, v22
	v_cmp_u_f16_e64 s[58:59], v21, v21
	s_movk_i32 s33, 0x1f8
	v_min_f32_e32 v23, v24, v25
	v_max_f32_e32 v21, v24, v25
	v_cndmask_b32_e64 v23, v23, v24, s[0:1]
	v_cndmask_b32_e64 v21, v21, v24, s[0:1]
	;; [unrolled: 1-line block ×4, first 2 shown]
	v_cmp_neq_f32_e64 s[0:1], v23, v21
	v_cmp_class_f32_e64 s[58:59], v23, s33
	s_or_b64 s[0:1], s[0:1], s[58:59]
	s_and_saveexec_b64 s[58:59], s[0:1]
	s_cbranch_execz .LBB387_77
; %bb.76:
	v_sub_f32_e32 v22, v23, v21
	s_mov_b32 s0, 0x3fb8aa3b
	v_mul_f32_e32 v23, 0x3fb8aa3b, v22
	v_fma_f32 v24, v22, s0, -v23
	v_rndne_f32_e32 v25, v23
	v_fmamk_f32 v24, v22, 0x32a5705f, v24
	v_sub_f32_e32 v23, v23, v25
	v_add_f32_e32 v23, v23, v24
	v_exp_f32_e32 v23, v23
	v_cvt_i32_f32_e32 v24, v25
	s_mov_b32 s0, 0xc2ce8ed0
	v_cmp_ngt_f32_e64 s[0:1], s0, v22
	v_mov_b32_e32 v36, 0x7f800000
	v_ldexp_f32 v23, v23, v24
	v_cndmask_b32_e64 v23, 0, v23, s[0:1]
	s_mov_b32 s0, 0x42b17218
	v_cmp_nlt_f32_e64 s[0:1], s0, v22
	s_mov_b32 s33, 0x7f800000
	s_nop 0
	v_cndmask_b32_e64 v37, v36, v23, s[0:1]
	v_add_f32_e32 v24, 1.0, v37
	v_add_f32_e32 v22, -1.0, v24
	v_sub_f32_e32 v23, v22, v24
	v_add_f32_e32 v23, 1.0, v23
	v_sub_f32_e32 v22, v37, v22
	v_add_f32_e32 v25, v22, v23
	v_frexp_mant_f32_e32 v26, v24
	s_mov_b32 s0, 0x3f2aaaab
	v_cvt_f64_f32_e32 v[22:23], v24
	v_frexp_exp_i32_f64_e32 v22, v[22:23]
	v_cmp_gt_f32_e64 s[0:1], s0, v26
	s_nop 1
	v_subbrev_co_u32_e64 v30, s[0:1], 0, v22, s[0:1]
	v_sub_u32_e32 v22, 0, v30
	v_ldexp_f32 v23, v24, v22
	v_add_f32_e32 v24, -1.0, v23
	v_add_f32_e32 v26, 1.0, v23
	v_ldexp_f32 v22, v25, v22
	v_add_f32_e32 v25, 1.0, v24
	v_add_f32_e32 v27, -1.0, v26
	v_sub_f32_e32 v25, v23, v25
	v_sub_f32_e32 v23, v23, v27
	v_add_f32_e32 v25, v22, v25
	v_add_f32_e32 v22, v22, v23
	v_add_f32_e32 v31, v26, v22
	v_rcp_f32_e32 v33, v31
	v_sub_f32_e32 v23, v26, v31
	v_add_f32_e32 v32, v22, v23
	v_add_f32_e32 v23, v24, v25
	v_mul_f32_e32 v35, v23, v33
	v_sub_f32_e32 v22, v24, v23
	v_mul_f32_e32 v24, v31, v35
	v_fma_f32 v26, v35, v31, -v24
	v_fmac_f32_e32 v26, v35, v32
	v_add_f32_e32 v34, v25, v22
	v_add_f32_e32 v22, v24, v26
	v_sub_f32_e32 v25, v23, v22
	v_pk_add_f32 v[28:29], v[22:23], v[24:25] neg_lo:[0,1] neg_hi:[0,1]
	v_mov_b32_e32 v27, v22
	v_pk_add_f32 v[22:23], v[28:29], v[26:27] neg_lo:[0,1] neg_hi:[0,1]
	s_mov_b32 s0, 0x3f317218
	v_add_f32_e32 v23, v34, v23
	v_add_f32_e32 v22, v22, v23
	;; [unrolled: 1-line block ×3, first 2 shown]
	v_mul_f32_e32 v34, v33, v23
	v_mul_f32_e32 v24, v31, v34
	v_fma_f32 v26, v34, v31, -v24
	v_fmac_f32_e32 v26, v34, v32
	v_sub_f32_e32 v25, v25, v23
	v_add_f32_e32 v31, v22, v25
	v_add_f32_e32 v22, v24, v26
	v_sub_f32_e32 v25, v23, v22
	v_pk_add_f32 v[28:29], v[22:23], v[24:25] neg_lo:[0,1] neg_hi:[0,1]
	v_mov_b32_e32 v27, v22
	v_pk_add_f32 v[22:23], v[28:29], v[26:27] neg_lo:[0,1] neg_hi:[0,1]
	v_cvt_f32_i32_e32 v24, v30
	v_add_f32_e32 v23, v31, v23
	v_add_f32_e32 v22, v22, v23
	;; [unrolled: 1-line block ×4, first 2 shown]
	v_sub_f32_e32 v23, v25, v35
	v_mul_f32_e32 v22, v33, v22
	v_sub_f32_e32 v23, v34, v23
	v_add_f32_e32 v22, v23, v22
	v_add_f32_e32 v26, v25, v22
	v_mul_f32_e32 v28, v26, v26
	v_mov_b32_e32 v23, 0x3ecc95a3
	v_sub_f32_e32 v25, v26, v25
	v_fmac_f32_e32 v23, 0x3e9b6dac, v28
	v_sub_f32_e32 v22, v22, v25
	v_fmaak_f32 v23, v28, v23, 0x3f2aaada
	v_ldexp_f32 v29, v22, 1
	v_mul_f32_e32 v25, v26, v28
	v_mov_b32_e32 v22, 0x3f317218
	v_pk_mul_f32 v[22:23], v[24:25], v[22:23]
	v_ldexp_f32 v27, v26, 1
	v_fma_f32 v25, v24, s0, -v22
	v_fmamk_f32 v26, v24, 0xb102e308, v25
	v_pk_add_f32 v[24:25], v[22:23], v[26:27]
	v_mov_b32_e32 v28, v22
	v_sub_f32_e32 v27, v25, v27
	v_sub_f32_e32 v27, v23, v27
	v_add_f32_e32 v29, v29, v27
	v_pk_add_f32 v[22:23], v[24:25], v[22:23] neg_lo:[0,1] neg_hi:[0,1]
	v_pk_add_f32 v[30:31], v[24:25], v[28:29]
	v_mov_b32_e32 v27, v24
	v_mov_b32_e32 v23, v31
	v_pk_add_f32 v[32:33], v[26:27], v[22:23] neg_lo:[0,1] neg_hi:[0,1]
	v_pk_add_f32 v[22:23], v[26:27], v[22:23]
	v_mov_b32_e32 v28, v29
	v_pk_add_f32 v[26:27], v[22:23], v[24:25] op_sel:[1,0] op_sel_hi:[0,1] neg_lo:[0,1] neg_hi:[0,1]
	v_pk_add_f32 v[34:35], v[30:31], v[26:27] op_sel_hi:[1,0] neg_lo:[0,1] neg_hi:[0,1]
	v_mov_b32_e32 v30, v31
	v_mov_b32_e32 v31, v23
	v_pk_mov_b32 v[26:27], v[24:25], v[26:27] op_sel:[1,0]
	v_mov_b32_e32 v29, v24
	v_pk_add_f32 v[26:27], v[30:31], v[26:27] neg_lo:[0,1] neg_hi:[0,1]
	v_mov_b32_e32 v34, v32
	v_pk_add_f32 v[24:25], v[28:29], v[26:27] neg_lo:[0,1] neg_hi:[0,1]
	v_mov_b32_e32 v33, v23
	v_pk_add_f32 v[26:27], v[34:35], v[24:25]
	v_cmp_neq_f32_e64 s[0:1], s33, v37
	v_pk_add_f32 v[28:29], v[26:27], v[26:27] op_sel:[0,1] op_sel_hi:[1,0]
	s_nop 0
	v_pk_add_f32 v[22:23], v[22:23], v[28:29] op_sel:[1,0] op_sel_hi:[0,1]
	v_mov_b32_e32 v27, v22
	v_pk_add_f32 v[30:31], v[26:27], v[32:33] neg_lo:[0,1] neg_hi:[0,1]
	v_mov_b32_e32 v25, v28
	v_sub_f32_e32 v23, v26, v30
	v_pk_add_f32 v[24:25], v[24:25], v[30:31] neg_lo:[0,1] neg_hi:[0,1]
	v_sub_f32_e32 v23, v32, v23
	v_add_f32_e32 v23, v24, v23
	v_add_f32_e32 v23, v23, v25
	;; [unrolled: 1-line block ×3, first 2 shown]
	v_cndmask_b32_e64 v22, v36, v22, s[0:1]
	s_mov_b32 s0, 0x33800000
	v_cmp_lt_f32_e64 s[0:1], |v37|, s0
	s_nop 1
	v_cndmask_b32_e64 v22, v22, v37, s[0:1]
	v_add_f32_e32 v21, v21, v22
	v_cvt_f16_f32_e32 v22, v21
.LBB387_77:
	s_or_b64 exec, exec, s[58:59]
	v_mov_b32_e32 v21, v22
.LBB387_78:
	s_or_b64 exec, exec, s[62:63]
	v_or_b32_e32 v23, 63, v0
	v_lshrrev_b32_e32 v22, 6, v0
	v_cmp_eq_u32_e64 s[0:1], v0, v23
	s_and_saveexec_b64 s[58:59], s[0:1]
; %bb.79:
	v_lshlrev_b32_e32 v23, 1, v22
	ds_write_b16 v23, v21
; %bb.80:
	s_or_b64 exec, exec, s[58:59]
	v_cmp_gt_u32_e64 s[0:1], 2, v0
	s_waitcnt lgkmcnt(0)
	s_barrier
	s_and_saveexec_b64 s[62:63], s[0:1]
	s_cbranch_execz .LBB387_86
; %bb.81:
	ds_read_u16 v23, v8
	v_and_b32_e32 v25, 1, v20
	v_cmp_eq_u32_e64 s[0:1], 1, v25
	s_waitcnt lgkmcnt(0)
	v_and_b32_e32 v24, 0xffff, v23
	s_nop 1
	v_mov_b32_dpp v24, v24 row_shr:1 row_mask:0xf bank_mask:0xf
	s_and_saveexec_b64 s[64:65], s[0:1]
	s_cbranch_execz .LBB387_85
; %bb.82:
	v_cvt_f32_f16_e32 v26, v24
	v_cvt_f32_f16_e32 v27, v23
	v_cmp_u_f16_e64 s[0:1], v24, v24
	v_cmp_u_f16_e64 s[58:59], v23, v23
	s_movk_i32 s33, 0x1f8
	v_min_f32_e32 v25, v26, v27
	v_max_f32_e32 v23, v26, v27
	v_cndmask_b32_e64 v25, v25, v26, s[0:1]
	v_cndmask_b32_e64 v23, v23, v26, s[0:1]
	;; [unrolled: 1-line block ×4, first 2 shown]
	v_cmp_neq_f32_e64 s[0:1], v25, v23
	v_cmp_class_f32_e64 s[58:59], v25, s33
	s_or_b64 s[0:1], s[0:1], s[58:59]
	s_and_saveexec_b64 s[58:59], s[0:1]
	s_cbranch_execz .LBB387_84
; %bb.83:
	v_sub_f32_e32 v24, v25, v23
	s_mov_b32 s0, 0x3fb8aa3b
	v_mul_f32_e32 v25, 0x3fb8aa3b, v24
	v_fma_f32 v26, v24, s0, -v25
	v_rndne_f32_e32 v27, v25
	v_fmamk_f32 v26, v24, 0x32a5705f, v26
	v_sub_f32_e32 v25, v25, v27
	v_add_f32_e32 v25, v25, v26
	v_exp_f32_e32 v25, v25
	v_cvt_i32_f32_e32 v26, v27
	s_mov_b32 s0, 0xc2ce8ed0
	v_cmp_ngt_f32_e64 s[0:1], s0, v24
	v_mov_b32_e32 v38, 0x7f800000
	v_ldexp_f32 v25, v25, v26
	v_cndmask_b32_e64 v25, 0, v25, s[0:1]
	s_mov_b32 s0, 0x42b17218
	v_cmp_nlt_f32_e64 s[0:1], s0, v24
	s_mov_b32 s33, 0x7f800000
	s_nop 0
	v_cndmask_b32_e64 v39, v38, v25, s[0:1]
	v_add_f32_e32 v26, 1.0, v39
	v_add_f32_e32 v24, -1.0, v26
	v_sub_f32_e32 v25, v24, v26
	v_add_f32_e32 v25, 1.0, v25
	v_sub_f32_e32 v24, v39, v24
	v_add_f32_e32 v27, v24, v25
	v_frexp_mant_f32_e32 v28, v26
	s_mov_b32 s0, 0x3f2aaaab
	v_cvt_f64_f32_e32 v[24:25], v26
	v_frexp_exp_i32_f64_e32 v24, v[24:25]
	v_cmp_gt_f32_e64 s[0:1], s0, v28
	s_nop 1
	v_subbrev_co_u32_e64 v32, s[0:1], 0, v24, s[0:1]
	v_sub_u32_e32 v24, 0, v32
	v_ldexp_f32 v25, v26, v24
	v_add_f32_e32 v26, -1.0, v25
	v_add_f32_e32 v28, 1.0, v25
	v_ldexp_f32 v24, v27, v24
	v_add_f32_e32 v27, 1.0, v26
	v_add_f32_e32 v29, -1.0, v28
	v_sub_f32_e32 v27, v25, v27
	v_sub_f32_e32 v25, v25, v29
	v_add_f32_e32 v27, v24, v27
	v_add_f32_e32 v24, v24, v25
	;; [unrolled: 1-line block ×3, first 2 shown]
	v_rcp_f32_e32 v35, v33
	v_sub_f32_e32 v25, v28, v33
	v_add_f32_e32 v34, v24, v25
	v_add_f32_e32 v25, v26, v27
	v_mul_f32_e32 v37, v25, v35
	v_sub_f32_e32 v24, v26, v25
	v_mul_f32_e32 v26, v33, v37
	v_fma_f32 v28, v37, v33, -v26
	v_fmac_f32_e32 v28, v37, v34
	v_add_f32_e32 v36, v27, v24
	v_add_f32_e32 v24, v26, v28
	v_sub_f32_e32 v27, v25, v24
	v_pk_add_f32 v[30:31], v[24:25], v[26:27] neg_lo:[0,1] neg_hi:[0,1]
	v_mov_b32_e32 v29, v24
	v_pk_add_f32 v[24:25], v[30:31], v[28:29] neg_lo:[0,1] neg_hi:[0,1]
	s_mov_b32 s0, 0x3f317218
	v_add_f32_e32 v25, v36, v25
	v_add_f32_e32 v24, v24, v25
	v_add_f32_e32 v25, v27, v24
	v_mul_f32_e32 v36, v35, v25
	v_mul_f32_e32 v26, v33, v36
	v_fma_f32 v28, v36, v33, -v26
	v_fmac_f32_e32 v28, v36, v34
	v_sub_f32_e32 v27, v27, v25
	v_add_f32_e32 v33, v24, v27
	v_add_f32_e32 v24, v26, v28
	v_sub_f32_e32 v27, v25, v24
	v_pk_add_f32 v[30:31], v[24:25], v[26:27] neg_lo:[0,1] neg_hi:[0,1]
	v_mov_b32_e32 v29, v24
	v_pk_add_f32 v[24:25], v[30:31], v[28:29] neg_lo:[0,1] neg_hi:[0,1]
	v_cvt_f32_i32_e32 v26, v32
	v_add_f32_e32 v25, v33, v25
	v_add_f32_e32 v24, v24, v25
	;; [unrolled: 1-line block ×4, first 2 shown]
	v_sub_f32_e32 v25, v27, v37
	v_mul_f32_e32 v24, v35, v24
	v_sub_f32_e32 v25, v36, v25
	v_add_f32_e32 v24, v25, v24
	v_add_f32_e32 v28, v27, v24
	v_mul_f32_e32 v30, v28, v28
	v_mov_b32_e32 v25, 0x3ecc95a3
	v_sub_f32_e32 v27, v28, v27
	v_fmac_f32_e32 v25, 0x3e9b6dac, v30
	v_sub_f32_e32 v24, v24, v27
	v_fmaak_f32 v25, v30, v25, 0x3f2aaada
	v_ldexp_f32 v31, v24, 1
	v_mul_f32_e32 v27, v28, v30
	v_mov_b32_e32 v24, 0x3f317218
	v_pk_mul_f32 v[24:25], v[26:27], v[24:25]
	v_ldexp_f32 v29, v28, 1
	v_fma_f32 v27, v26, s0, -v24
	v_fmamk_f32 v28, v26, 0xb102e308, v27
	v_pk_add_f32 v[26:27], v[24:25], v[28:29]
	v_mov_b32_e32 v30, v24
	v_sub_f32_e32 v29, v27, v29
	v_sub_f32_e32 v29, v25, v29
	v_add_f32_e32 v31, v31, v29
	v_pk_add_f32 v[24:25], v[26:27], v[24:25] neg_lo:[0,1] neg_hi:[0,1]
	v_pk_add_f32 v[32:33], v[26:27], v[30:31]
	v_mov_b32_e32 v29, v26
	v_mov_b32_e32 v25, v33
	v_pk_add_f32 v[34:35], v[28:29], v[24:25] neg_lo:[0,1] neg_hi:[0,1]
	v_pk_add_f32 v[24:25], v[28:29], v[24:25]
	v_mov_b32_e32 v30, v31
	v_pk_add_f32 v[28:29], v[24:25], v[26:27] op_sel:[1,0] op_sel_hi:[0,1] neg_lo:[0,1] neg_hi:[0,1]
	v_pk_add_f32 v[36:37], v[32:33], v[28:29] op_sel_hi:[1,0] neg_lo:[0,1] neg_hi:[0,1]
	v_mov_b32_e32 v32, v33
	v_mov_b32_e32 v33, v25
	v_pk_mov_b32 v[28:29], v[26:27], v[28:29] op_sel:[1,0]
	v_mov_b32_e32 v31, v26
	v_pk_add_f32 v[28:29], v[32:33], v[28:29] neg_lo:[0,1] neg_hi:[0,1]
	v_mov_b32_e32 v36, v34
	v_pk_add_f32 v[26:27], v[30:31], v[28:29] neg_lo:[0,1] neg_hi:[0,1]
	v_mov_b32_e32 v35, v25
	v_pk_add_f32 v[28:29], v[36:37], v[26:27]
	v_cmp_neq_f32_e64 s[0:1], s33, v39
	v_pk_add_f32 v[30:31], v[28:29], v[28:29] op_sel:[0,1] op_sel_hi:[1,0]
	s_nop 0
	v_pk_add_f32 v[24:25], v[24:25], v[30:31] op_sel:[1,0] op_sel_hi:[0,1]
	v_mov_b32_e32 v29, v24
	v_pk_add_f32 v[32:33], v[28:29], v[34:35] neg_lo:[0,1] neg_hi:[0,1]
	v_mov_b32_e32 v27, v30
	v_sub_f32_e32 v25, v28, v32
	v_pk_add_f32 v[26:27], v[26:27], v[32:33] neg_lo:[0,1] neg_hi:[0,1]
	v_sub_f32_e32 v25, v34, v25
	v_add_f32_e32 v25, v26, v25
	v_add_f32_e32 v25, v25, v27
	;; [unrolled: 1-line block ×3, first 2 shown]
	v_cndmask_b32_e64 v24, v38, v24, s[0:1]
	s_mov_b32 s0, 0x33800000
	v_cmp_lt_f32_e64 s[0:1], |v39|, s0
	s_nop 1
	v_cndmask_b32_e64 v24, v24, v39, s[0:1]
	v_add_f32_e32 v23, v23, v24
	v_cvt_f16_f32_e32 v24, v23
.LBB387_84:
	s_or_b64 exec, exec, s[58:59]
	v_mov_b32_e32 v23, v24
.LBB387_85:
	s_or_b64 exec, exec, s[64:65]
	ds_write_b16 v8, v23
.LBB387_86:
	s_or_b64 exec, exec, s[62:63]
	v_cmp_lt_u32_e64 s[0:1], 63, v0
	s_waitcnt lgkmcnt(0)
	s_barrier
                                        ; implicit-def: $vgpr23
	s_and_saveexec_b64 s[58:59], s[0:1]
	s_cbranch_execz .LBB387_90
; %bb.87:
	v_lshl_add_u32 v22, v22, 1, -2
	ds_read_u16 v23, v22
	v_cvt_f32_f16_e32 v22, v21
	s_movk_i32 s33, 0x1f8
	s_waitcnt lgkmcnt(0)
	v_cvt_f32_f16_e32 v24, v23
	v_cmp_u_f16_e64 s[0:1], v23, v23
	v_min_f32_e32 v25, v24, v22
	v_max_f32_e32 v26, v24, v22
	v_cndmask_b32_e64 v25, v25, v24, s[0:1]
	v_cndmask_b32_e64 v26, v26, v24, s[0:1]
	v_cmp_u_f16_e64 s[0:1], v21, v21
	v_mov_b32_e32 v21, v23
	s_nop 0
	v_cndmask_b32_e64 v24, v25, v22, s[0:1]
	v_cndmask_b32_e64 v22, v26, v22, s[0:1]
	v_cmp_neq_f32_e64 s[0:1], v24, v22
	v_cmp_class_f32_e64 s[62:63], v24, s33
	s_or_b64 s[0:1], s[0:1], s[62:63]
	s_and_saveexec_b64 s[62:63], s[0:1]
	s_cbranch_execz .LBB387_89
; %bb.88:
	v_sub_f32_e32 v21, v24, v22
	s_mov_b32 s0, 0x3fb8aa3b
	v_mul_f32_e32 v24, 0x3fb8aa3b, v21
	v_fma_f32 v25, v21, s0, -v24
	v_rndne_f32_e32 v26, v24
	v_fmamk_f32 v25, v21, 0x32a5705f, v25
	v_sub_f32_e32 v24, v24, v26
	v_add_f32_e32 v24, v24, v25
	v_exp_f32_e32 v24, v24
	v_cvt_i32_f32_e32 v25, v26
	s_mov_b32 s0, 0xc2ce8ed0
	v_cmp_ngt_f32_e64 s[0:1], s0, v21
	v_mov_b32_e32 v38, 0x7f800000
	v_ldexp_f32 v24, v24, v25
	v_cndmask_b32_e64 v24, 0, v24, s[0:1]
	s_mov_b32 s0, 0x42b17218
	v_cmp_nlt_f32_e64 s[0:1], s0, v21
	s_mov_b32 s33, 0x7f800000
	s_nop 0
	v_cndmask_b32_e64 v21, v38, v24, s[0:1]
	v_add_f32_e32 v26, 1.0, v21
	v_add_f32_e32 v24, -1.0, v26
	v_sub_f32_e32 v25, v24, v26
	v_add_f32_e32 v25, 1.0, v25
	v_sub_f32_e32 v24, v21, v24
	v_add_f32_e32 v27, v24, v25
	v_frexp_mant_f32_e32 v28, v26
	s_mov_b32 s0, 0x3f2aaaab
	v_cvt_f64_f32_e32 v[24:25], v26
	v_frexp_exp_i32_f64_e32 v24, v[24:25]
	v_cmp_gt_f32_e64 s[0:1], s0, v28
	s_nop 1
	v_subbrev_co_u32_e64 v32, s[0:1], 0, v24, s[0:1]
	v_sub_u32_e32 v24, 0, v32
	v_ldexp_f32 v25, v26, v24
	v_add_f32_e32 v26, -1.0, v25
	v_add_f32_e32 v28, 1.0, v25
	v_ldexp_f32 v24, v27, v24
	v_add_f32_e32 v27, 1.0, v26
	v_add_f32_e32 v29, -1.0, v28
	v_sub_f32_e32 v27, v25, v27
	v_sub_f32_e32 v25, v25, v29
	v_add_f32_e32 v27, v24, v27
	v_add_f32_e32 v24, v24, v25
	;; [unrolled: 1-line block ×3, first 2 shown]
	v_rcp_f32_e32 v35, v33
	v_sub_f32_e32 v25, v28, v33
	v_add_f32_e32 v34, v24, v25
	v_add_f32_e32 v25, v26, v27
	v_mul_f32_e32 v37, v25, v35
	v_sub_f32_e32 v24, v26, v25
	v_mul_f32_e32 v26, v33, v37
	v_fma_f32 v28, v37, v33, -v26
	v_fmac_f32_e32 v28, v37, v34
	v_add_f32_e32 v36, v27, v24
	v_add_f32_e32 v24, v26, v28
	v_sub_f32_e32 v27, v25, v24
	v_pk_add_f32 v[30:31], v[24:25], v[26:27] neg_lo:[0,1] neg_hi:[0,1]
	v_mov_b32_e32 v29, v24
	v_pk_add_f32 v[24:25], v[30:31], v[28:29] neg_lo:[0,1] neg_hi:[0,1]
	s_mov_b32 s0, 0x3f317218
	v_add_f32_e32 v25, v36, v25
	v_add_f32_e32 v24, v24, v25
	;; [unrolled: 1-line block ×3, first 2 shown]
	v_mul_f32_e32 v36, v35, v25
	v_mul_f32_e32 v26, v33, v36
	v_fma_f32 v28, v36, v33, -v26
	v_fmac_f32_e32 v28, v36, v34
	v_sub_f32_e32 v27, v27, v25
	v_add_f32_e32 v33, v24, v27
	v_add_f32_e32 v24, v26, v28
	v_sub_f32_e32 v27, v25, v24
	v_pk_add_f32 v[30:31], v[24:25], v[26:27] neg_lo:[0,1] neg_hi:[0,1]
	v_mov_b32_e32 v29, v24
	v_pk_add_f32 v[24:25], v[30:31], v[28:29] neg_lo:[0,1] neg_hi:[0,1]
	v_cvt_f32_i32_e32 v26, v32
	v_add_f32_e32 v25, v33, v25
	v_add_f32_e32 v24, v24, v25
	v_add_f32_e32 v24, v27, v24
	v_add_f32_e32 v27, v37, v36
	v_sub_f32_e32 v25, v27, v37
	v_mul_f32_e32 v24, v35, v24
	v_sub_f32_e32 v25, v36, v25
	v_add_f32_e32 v24, v25, v24
	v_add_f32_e32 v28, v27, v24
	v_mul_f32_e32 v30, v28, v28
	v_mov_b32_e32 v25, 0x3ecc95a3
	v_sub_f32_e32 v27, v28, v27
	v_fmac_f32_e32 v25, 0x3e9b6dac, v30
	v_sub_f32_e32 v24, v24, v27
	v_fmaak_f32 v25, v30, v25, 0x3f2aaada
	v_ldexp_f32 v31, v24, 1
	v_mul_f32_e32 v27, v28, v30
	v_mov_b32_e32 v24, 0x3f317218
	v_pk_mul_f32 v[24:25], v[26:27], v[24:25]
	v_ldexp_f32 v29, v28, 1
	v_fma_f32 v27, v26, s0, -v24
	v_fmamk_f32 v28, v26, 0xb102e308, v27
	v_pk_add_f32 v[26:27], v[24:25], v[28:29]
	v_mov_b32_e32 v30, v24
	v_sub_f32_e32 v29, v27, v29
	v_sub_f32_e32 v29, v25, v29
	v_add_f32_e32 v31, v31, v29
	v_pk_add_f32 v[24:25], v[26:27], v[24:25] neg_lo:[0,1] neg_hi:[0,1]
	v_pk_add_f32 v[32:33], v[26:27], v[30:31]
	v_mov_b32_e32 v29, v26
	v_mov_b32_e32 v25, v33
	v_pk_add_f32 v[34:35], v[28:29], v[24:25] neg_lo:[0,1] neg_hi:[0,1]
	v_pk_add_f32 v[24:25], v[28:29], v[24:25]
	v_mov_b32_e32 v30, v31
	v_pk_add_f32 v[28:29], v[24:25], v[26:27] op_sel:[1,0] op_sel_hi:[0,1] neg_lo:[0,1] neg_hi:[0,1]
	v_pk_add_f32 v[36:37], v[32:33], v[28:29] op_sel_hi:[1,0] neg_lo:[0,1] neg_hi:[0,1]
	v_mov_b32_e32 v32, v33
	v_mov_b32_e32 v33, v25
	v_pk_mov_b32 v[28:29], v[26:27], v[28:29] op_sel:[1,0]
	v_mov_b32_e32 v31, v26
	v_pk_add_f32 v[28:29], v[32:33], v[28:29] neg_lo:[0,1] neg_hi:[0,1]
	v_mov_b32_e32 v36, v34
	v_pk_add_f32 v[26:27], v[30:31], v[28:29] neg_lo:[0,1] neg_hi:[0,1]
	v_mov_b32_e32 v35, v25
	v_pk_add_f32 v[28:29], v[36:37], v[26:27]
	v_cmp_neq_f32_e64 s[0:1], s33, v21
	v_pk_add_f32 v[30:31], v[28:29], v[28:29] op_sel:[0,1] op_sel_hi:[1,0]
	s_nop 0
	v_pk_add_f32 v[24:25], v[24:25], v[30:31] op_sel:[1,0] op_sel_hi:[0,1]
	v_mov_b32_e32 v29, v24
	v_pk_add_f32 v[32:33], v[28:29], v[34:35] neg_lo:[0,1] neg_hi:[0,1]
	v_mov_b32_e32 v27, v30
	v_sub_f32_e32 v25, v28, v32
	v_pk_add_f32 v[26:27], v[26:27], v[32:33] neg_lo:[0,1] neg_hi:[0,1]
	v_sub_f32_e32 v25, v34, v25
	v_add_f32_e32 v25, v26, v25
	v_add_f32_e32 v25, v25, v27
	v_add_f32_e32 v24, v24, v25
	v_cndmask_b32_e64 v24, v38, v24, s[0:1]
	s_mov_b32 s0, 0x33800000
	v_cmp_lt_f32_e64 s[0:1], |v21|, s0
	s_nop 1
	v_cndmask_b32_e64 v21, v24, v21, s[0:1]
	v_add_f32_e32 v21, v22, v21
	v_cvt_f16_f32_e32 v21, v21
.LBB387_89:
	s_or_b64 exec, exec, s[62:63]
.LBB387_90:
	s_or_b64 exec, exec, s[58:59]
	v_add_u32_e32 v22, -1, v20
	v_and_b32_e32 v24, 64, v20
	v_cmp_lt_i32_e64 s[0:1], v22, v24
	v_and_b32_e32 v21, 0xffff, v21
	s_nop 0
	v_cndmask_b32_e64 v22, v22, v20, s[0:1]
	v_lshlrev_b32_e32 v22, 2, v22
	ds_bpermute_b32 v22, v22, v21
	v_cmp_ne_u32_e64 s[0:1], 0, v0
	v_mov_b32_e32 v21, v2
	s_and_saveexec_b64 s[58:59], s[0:1]
	s_cbranch_execz .LBB387_94
; %bb.91:
	v_cmp_eq_u32_e64 s[0:1], 0, v20
	v_max_f32_e32 v18, v1, v1
	s_movk_i32 s33, 0x1f8
	s_waitcnt lgkmcnt(0)
	v_cndmask_b32_e64 v2, v22, v23, s[0:1]
	v_cvt_f32_f16_e32 v20, v2
	v_cmp_u_f16_e64 s[0:1], v2, v2
	v_min_f32_e32 v17, v20, v18
	v_max_f32_e32 v18, v20, v18
	v_cndmask_b32_e64 v17, v17, v20, s[0:1]
	v_cndmask_b32_e64 v18, v18, v20, s[0:1]
	;; [unrolled: 1-line block ×4, first 2 shown]
	v_cmp_neq_f32_e64 s[0:1], v17, v1
	v_cmp_class_f32_e64 s[54:55], v17, s33
	s_or_b64 s[0:1], s[0:1], s[54:55]
	s_and_saveexec_b64 s[54:55], s[0:1]
	s_cbranch_execz .LBB387_93
; %bb.92:
	v_sub_f32_e32 v2, v17, v1
	s_mov_b32 s0, 0x3fb8aa3b
	v_mul_f32_e32 v17, 0x3fb8aa3b, v2
	v_fma_f32 v18, v2, s0, -v17
	v_rndne_f32_e32 v20, v17
	v_fmamk_f32 v18, v2, 0x32a5705f, v18
	v_sub_f32_e32 v17, v17, v20
	v_add_f32_e32 v17, v17, v18
	v_exp_f32_e32 v17, v17
	v_cvt_i32_f32_e32 v18, v20
	s_mov_b32 s0, 0xc2ce8ed0
	v_cmp_ngt_f32_e64 s[0:1], s0, v2
	s_mov_b32 s33, 0x7f800000
	v_ldexp_f32 v17, v17, v18
	v_cndmask_b32_e64 v17, 0, v17, s[0:1]
	s_mov_b32 s0, 0x42b17218
	v_mov_b32_e32 v18, 0x7f800000
	v_cmp_nlt_f32_e64 s[0:1], s0, v2
	s_nop 1
	v_cndmask_b32_e64 v2, v18, v17, s[0:1]
	v_add_f32_e32 v17, 1.0, v2
	v_add_f32_e32 v20, -1.0, v17
	v_sub_f32_e32 v21, v20, v17
	v_add_f32_e32 v21, 1.0, v21
	v_sub_f32_e32 v20, v2, v20
	v_add_f32_e32 v22, v20, v21
	v_frexp_mant_f32_e32 v23, v17
	s_mov_b32 s0, 0x3f2aaaab
	v_cvt_f64_f32_e32 v[20:21], v17
	v_frexp_exp_i32_f64_e32 v20, v[20:21]
	v_cmp_gt_f32_e64 s[0:1], s0, v23
	s_nop 1
	v_subbrev_co_u32_e64 v28, s[0:1], 0, v20, s[0:1]
	v_sub_u32_e32 v20, 0, v28
	v_ldexp_f32 v17, v17, v20
	v_ldexp_f32 v20, v22, v20
	v_add_f32_e32 v22, -1.0, v17
	v_add_f32_e32 v21, 1.0, v22
	v_sub_f32_e32 v21, v17, v21
	v_add_f32_e32 v23, v20, v21
	v_add_f32_e32 v21, 1.0, v17
	v_add_f32_e32 v24, -1.0, v21
	v_sub_f32_e32 v17, v17, v24
	v_add_f32_e32 v17, v20, v17
	v_add_f32_e32 v29, v21, v17
	v_rcp_f32_e32 v30, v29
	v_sub_f32_e32 v20, v21, v29
	v_add_f32_e32 v21, v22, v23
	v_add_f32_e32 v17, v17, v20
	v_mul_f32_e32 v32, v21, v30
	v_sub_f32_e32 v20, v22, v21
	v_mul_f32_e32 v22, v29, v32
	v_fma_f32 v24, v32, v29, -v22
	v_fmac_f32_e32 v24, v32, v17
	v_add_f32_e32 v31, v23, v20
	v_add_f32_e32 v20, v22, v24
	v_sub_f32_e32 v23, v21, v20
	v_pk_add_f32 v[26:27], v[20:21], v[22:23] neg_lo:[0,1] neg_hi:[0,1]
	v_mov_b32_e32 v25, v20
	v_pk_add_f32 v[20:21], v[26:27], v[24:25] neg_lo:[0,1] neg_hi:[0,1]
	s_mov_b32 s0, 0x3f317218
	v_add_f32_e32 v21, v31, v21
	v_add_f32_e32 v20, v20, v21
	;; [unrolled: 1-line block ×3, first 2 shown]
	v_mul_f32_e32 v31, v30, v21
	v_mul_f32_e32 v22, v29, v31
	v_fma_f32 v24, v31, v29, -v22
	v_fmac_f32_e32 v24, v31, v17
	v_sub_f32_e32 v17, v23, v21
	v_add_f32_e32 v17, v20, v17
	v_add_f32_e32 v20, v22, v24
	v_sub_f32_e32 v23, v21, v20
	v_pk_add_f32 v[26:27], v[20:21], v[22:23] neg_lo:[0,1] neg_hi:[0,1]
	v_mov_b32_e32 v25, v20
	v_pk_add_f32 v[20:21], v[26:27], v[24:25] neg_lo:[0,1] neg_hi:[0,1]
	v_cvt_f32_i32_e32 v22, v28
	v_add_f32_e32 v17, v17, v21
	v_add_f32_e32 v17, v20, v17
	;; [unrolled: 1-line block ×4, first 2 shown]
	v_sub_f32_e32 v21, v20, v32
	v_mul_f32_e32 v17, v30, v17
	v_sub_f32_e32 v21, v31, v21
	v_add_f32_e32 v17, v21, v17
	v_add_f32_e32 v23, v20, v17
	v_mul_f32_e32 v24, v23, v23
	v_mov_b32_e32 v21, 0x3ecc95a3
	v_fmac_f32_e32 v21, 0x3e9b6dac, v24
	v_sub_f32_e32 v20, v23, v20
	v_fmaak_f32 v21, v24, v21, 0x3f2aaada
	v_sub_f32_e32 v17, v17, v20
	v_ldexp_f32 v25, v23, 1
	v_mul_f32_e32 v23, v23, v24
	v_mov_b32_e32 v20, 0x3f317218
	v_pk_mul_f32 v[20:21], v[22:23], v[20:21]
	v_ldexp_f32 v17, v17, 1
	v_fma_f32 v23, v22, s0, -v20
	v_fmamk_f32 v24, v22, 0xb102e308, v23
	v_pk_add_f32 v[22:23], v[20:21], v[24:25]
	v_mov_b32_e32 v26, v20
	v_sub_f32_e32 v25, v23, v25
	v_sub_f32_e32 v25, v21, v25
	v_add_f32_e32 v27, v17, v25
	v_pk_add_f32 v[20:21], v[22:23], v[20:21] neg_lo:[0,1] neg_hi:[0,1]
	v_pk_add_f32 v[28:29], v[22:23], v[26:27]
	v_mov_b32_e32 v25, v22
	v_mov_b32_e32 v21, v29
	v_pk_add_f32 v[30:31], v[24:25], v[20:21] neg_lo:[0,1] neg_hi:[0,1]
	v_pk_add_f32 v[20:21], v[24:25], v[20:21]
	v_mov_b32_e32 v26, v27
	v_pk_add_f32 v[24:25], v[20:21], v[22:23] op_sel:[1,0] op_sel_hi:[0,1] neg_lo:[0,1] neg_hi:[0,1]
	v_pk_add_f32 v[32:33], v[28:29], v[24:25] op_sel_hi:[1,0] neg_lo:[0,1] neg_hi:[0,1]
	v_mov_b32_e32 v28, v29
	v_mov_b32_e32 v29, v21
	v_pk_mov_b32 v[24:25], v[22:23], v[24:25] op_sel:[1,0]
	v_mov_b32_e32 v27, v22
	v_pk_add_f32 v[24:25], v[28:29], v[24:25] neg_lo:[0,1] neg_hi:[0,1]
	v_mov_b32_e32 v32, v30
	v_pk_add_f32 v[22:23], v[26:27], v[24:25] neg_lo:[0,1] neg_hi:[0,1]
	v_mov_b32_e32 v31, v21
	v_pk_add_f32 v[24:25], v[32:33], v[22:23]
	v_cmp_neq_f32_e64 s[0:1], s33, v2
	v_pk_add_f32 v[26:27], v[24:25], v[24:25] op_sel:[0,1] op_sel_hi:[1,0]
	s_nop 0
	v_pk_add_f32 v[20:21], v[20:21], v[26:27] op_sel:[1,0] op_sel_hi:[0,1]
	v_mov_b32_e32 v25, v20
	v_pk_add_f32 v[28:29], v[24:25], v[30:31] neg_lo:[0,1] neg_hi:[0,1]
	v_mov_b32_e32 v23, v26
	v_sub_f32_e32 v17, v24, v28
	v_pk_add_f32 v[22:23], v[22:23], v[28:29] neg_lo:[0,1] neg_hi:[0,1]
	v_sub_f32_e32 v17, v30, v17
	v_add_f32_e32 v17, v22, v17
	v_add_f32_e32 v17, v17, v23
	v_add_f32_e32 v17, v20, v17
	v_cndmask_b32_e64 v17, v18, v17, s[0:1]
	s_mov_b32 s0, 0x33800000
	v_cmp_lt_f32_e64 s[0:1], |v2|, s0
	s_nop 1
	v_cndmask_b32_e64 v2, v17, v2, s[0:1]
	v_add_f32_e32 v1, v1, v2
	v_cvt_f16_f32_e32 v2, v1
	v_cvt_f32_f16_e32 v20, v2
.LBB387_93:
	s_or_b64 exec, exec, s[54:55]
	v_max_f32_e32 v1, v9, v9
	v_max_f32_e32 v18, v20, v20
	v_min_f32_e32 v17, v18, v1
	v_max_f32_e32 v18, v18, v1
	v_mov_b32_e32 v21, v2
	v_mov_b32_e32 v1, v20
	;;#ASMSTART
	;;#ASMEND
.LBB387_94:
	s_or_b64 exec, exec, s[58:59]
	v_cmp_u_f16_e64 s[0:1], v21, v21
	s_movk_i32 s33, 0x1f8
	s_nop 0
	v_cndmask_b32_e64 v17, v17, v1, s[0:1]
	v_cndmask_b32_e64 v20, v17, v9, s[26:27]
	;; [unrolled: 1-line block ×4, first 2 shown]
	v_cmp_neq_f32_e64 s[0:1], v20, v17
	v_cmp_class_f32_e64 s[26:27], v20, s33
	s_or_b64 s[0:1], s[0:1], s[26:27]
	v_mov_b32_e32 v9, v2
	s_and_saveexec_b64 s[26:27], s[0:1]
	s_cbranch_execz .LBB387_96
; %bb.95:
	v_sub_f32_e32 v1, v20, v17
	s_mov_b32 s0, 0x3fb8aa3b
	v_mul_f32_e32 v9, 0x3fb8aa3b, v1
	v_fma_f32 v18, v1, s0, -v9
	v_rndne_f32_e32 v20, v9
	v_fmamk_f32 v18, v1, 0x32a5705f, v18
	v_sub_f32_e32 v9, v9, v20
	v_add_f32_e32 v9, v9, v18
	v_exp_f32_e32 v9, v9
	v_cvt_i32_f32_e32 v18, v20
	s_mov_b32 s0, 0xc2ce8ed0
	v_cmp_ngt_f32_e64 s[0:1], s0, v1
	s_mov_b32 s54, 0x7f800000
	v_ldexp_f32 v9, v9, v18
	v_cndmask_b32_e64 v9, 0, v9, s[0:1]
	s_mov_b32 s0, 0x42b17218
	v_mov_b32_e32 v18, 0x7f800000
	v_cmp_nlt_f32_e64 s[0:1], s0, v1
	s_nop 1
	v_cndmask_b32_e64 v1, v18, v9, s[0:1]
	v_add_f32_e32 v9, 1.0, v1
	v_add_f32_e32 v20, -1.0, v9
	v_sub_f32_e32 v21, v20, v9
	v_add_f32_e32 v21, 1.0, v21
	v_sub_f32_e32 v20, v1, v20
	s_waitcnt lgkmcnt(0)
	v_add_f32_e32 v22, v20, v21
	v_frexp_mant_f32_e32 v23, v9
	s_mov_b32 s0, 0x3f2aaaab
	v_cvt_f64_f32_e32 v[20:21], v9
	v_frexp_exp_i32_f64_e32 v20, v[20:21]
	v_cmp_gt_f32_e64 s[0:1], s0, v23
	s_nop 1
	v_subbrev_co_u32_e64 v28, s[0:1], 0, v20, s[0:1]
	v_sub_u32_e32 v20, 0, v28
	v_ldexp_f32 v9, v9, v20
	v_ldexp_f32 v20, v22, v20
	v_add_f32_e32 v22, -1.0, v9
	v_add_f32_e32 v21, 1.0, v22
	v_sub_f32_e32 v21, v9, v21
	v_add_f32_e32 v23, v20, v21
	v_add_f32_e32 v21, 1.0, v9
	v_add_f32_e32 v24, -1.0, v21
	v_sub_f32_e32 v9, v9, v24
	v_add_f32_e32 v9, v20, v9
	v_add_f32_e32 v29, v21, v9
	v_rcp_f32_e32 v30, v29
	v_sub_f32_e32 v20, v21, v29
	v_add_f32_e32 v21, v22, v23
	v_add_f32_e32 v9, v9, v20
	v_mul_f32_e32 v32, v21, v30
	v_sub_f32_e32 v20, v22, v21
	v_mul_f32_e32 v22, v29, v32
	v_fma_f32 v24, v32, v29, -v22
	v_fmac_f32_e32 v24, v32, v9
	v_add_f32_e32 v31, v23, v20
	v_add_f32_e32 v20, v22, v24
	v_sub_f32_e32 v23, v21, v20
	v_pk_add_f32 v[26:27], v[20:21], v[22:23] neg_lo:[0,1] neg_hi:[0,1]
	v_mov_b32_e32 v25, v20
	v_pk_add_f32 v[20:21], v[26:27], v[24:25] neg_lo:[0,1] neg_hi:[0,1]
	s_mov_b32 s0, 0x3f317218
	v_add_f32_e32 v21, v31, v21
	v_add_f32_e32 v20, v20, v21
	v_add_f32_e32 v21, v23, v20
	v_mul_f32_e32 v31, v30, v21
	v_mul_f32_e32 v22, v29, v31
	v_fma_f32 v24, v31, v29, -v22
	v_fmac_f32_e32 v24, v31, v9
	v_sub_f32_e32 v9, v23, v21
	v_add_f32_e32 v9, v20, v9
	v_add_f32_e32 v20, v22, v24
	v_sub_f32_e32 v23, v21, v20
	v_pk_add_f32 v[26:27], v[20:21], v[22:23] neg_lo:[0,1] neg_hi:[0,1]
	v_mov_b32_e32 v25, v20
	v_pk_add_f32 v[20:21], v[26:27], v[24:25] neg_lo:[0,1] neg_hi:[0,1]
	v_cvt_f32_i32_e32 v22, v28
	v_add_f32_e32 v9, v9, v21
	v_add_f32_e32 v9, v20, v9
	;; [unrolled: 1-line block ×4, first 2 shown]
	v_sub_f32_e32 v21, v20, v32
	v_mul_f32_e32 v9, v30, v9
	v_sub_f32_e32 v21, v31, v21
	v_add_f32_e32 v9, v21, v9
	v_add_f32_e32 v23, v20, v9
	v_mul_f32_e32 v24, v23, v23
	v_mov_b32_e32 v21, 0x3ecc95a3
	v_fmac_f32_e32 v21, 0x3e9b6dac, v24
	v_sub_f32_e32 v20, v23, v20
	v_fmaak_f32 v21, v24, v21, 0x3f2aaada
	v_sub_f32_e32 v9, v9, v20
	v_ldexp_f32 v25, v23, 1
	v_mul_f32_e32 v23, v23, v24
	v_mov_b32_e32 v20, 0x3f317218
	v_pk_mul_f32 v[20:21], v[22:23], v[20:21]
	v_ldexp_f32 v9, v9, 1
	v_fma_f32 v23, v22, s0, -v20
	v_fmamk_f32 v24, v22, 0xb102e308, v23
	v_pk_add_f32 v[22:23], v[20:21], v[24:25]
	v_mov_b32_e32 v26, v20
	v_sub_f32_e32 v25, v23, v25
	v_sub_f32_e32 v25, v21, v25
	v_add_f32_e32 v27, v9, v25
	v_pk_add_f32 v[20:21], v[22:23], v[20:21] neg_lo:[0,1] neg_hi:[0,1]
	v_pk_add_f32 v[28:29], v[22:23], v[26:27]
	v_mov_b32_e32 v25, v22
	v_mov_b32_e32 v21, v29
	v_pk_add_f32 v[30:31], v[24:25], v[20:21] neg_lo:[0,1] neg_hi:[0,1]
	v_pk_add_f32 v[20:21], v[24:25], v[20:21]
	v_mov_b32_e32 v26, v27
	v_pk_add_f32 v[24:25], v[20:21], v[22:23] op_sel:[1,0] op_sel_hi:[0,1] neg_lo:[0,1] neg_hi:[0,1]
	v_pk_add_f32 v[32:33], v[28:29], v[24:25] op_sel_hi:[1,0] neg_lo:[0,1] neg_hi:[0,1]
	v_mov_b32_e32 v28, v29
	v_mov_b32_e32 v29, v21
	v_pk_mov_b32 v[24:25], v[22:23], v[24:25] op_sel:[1,0]
	v_mov_b32_e32 v27, v22
	v_pk_add_f32 v[24:25], v[28:29], v[24:25] neg_lo:[0,1] neg_hi:[0,1]
	v_mov_b32_e32 v32, v30
	v_pk_add_f32 v[22:23], v[26:27], v[24:25] neg_lo:[0,1] neg_hi:[0,1]
	v_mov_b32_e32 v31, v21
	v_pk_add_f32 v[24:25], v[32:33], v[22:23]
	v_cmp_neq_f32_e64 s[0:1], s54, v1
	v_pk_add_f32 v[26:27], v[24:25], v[24:25] op_sel:[0,1] op_sel_hi:[1,0]
	s_nop 0
	v_pk_add_f32 v[20:21], v[20:21], v[26:27] op_sel:[1,0] op_sel_hi:[0,1]
	v_mov_b32_e32 v25, v20
	v_pk_add_f32 v[28:29], v[24:25], v[30:31] neg_lo:[0,1] neg_hi:[0,1]
	v_mov_b32_e32 v23, v26
	v_sub_f32_e32 v9, v24, v28
	v_pk_add_f32 v[22:23], v[22:23], v[28:29] neg_lo:[0,1] neg_hi:[0,1]
	v_sub_f32_e32 v9, v30, v9
	v_add_f32_e32 v9, v22, v9
	v_add_f32_e32 v9, v9, v23
	;; [unrolled: 1-line block ×3, first 2 shown]
	v_cndmask_b32_e64 v9, v18, v9, s[0:1]
	s_mov_b32 s0, 0x33800000
	v_cmp_lt_f32_e64 s[0:1], |v1|, s0
	s_nop 1
	v_cndmask_b32_e64 v1, v9, v1, s[0:1]
	v_add_f32_e32 v1, v17, v1
	v_cvt_f16_f32_e32 v21, v1
	v_cvt_f32_f16_e32 v1, v21
	v_mov_b32_e32 v9, v21
.LBB387_96:
	s_or_b64 exec, exec, s[26:27]
	v_max_f32_e32 v17, v10, v10
	v_max_f32_e32 v20, v1, v1
	v_min_f32_e32 v18, v20, v17
	v_cmp_u_f16_e64 s[0:1], v21, v21
	v_max_f32_e32 v17, v20, v17
	s_nop 0
	v_cndmask_b32_e64 v18, v18, v1, s[0:1]
	v_cndmask_b32_e64 v17, v17, v1, s[0:1]
	;; [unrolled: 1-line block ×4, first 2 shown]
	v_cmp_neq_f32_e64 s[0:1], v18, v17
	v_cmp_class_f32_e64 s[26:27], v18, s33
	s_or_b64 s[0:1], s[0:1], s[26:27]
	v_mov_b32_e32 v10, v9
	s_and_saveexec_b64 s[26:27], s[0:1]
	s_cbranch_execz .LBB387_98
; %bb.97:
	v_sub_f32_e32 v1, v18, v17
	s_mov_b32 s0, 0x3fb8aa3b
	v_mul_f32_e32 v10, 0x3fb8aa3b, v1
	v_fma_f32 v18, v1, s0, -v10
	v_rndne_f32_e32 v20, v10
	v_fmamk_f32 v18, v1, 0x32a5705f, v18
	v_sub_f32_e32 v10, v10, v20
	v_add_f32_e32 v10, v10, v18
	v_exp_f32_e32 v10, v10
	v_cvt_i32_f32_e32 v18, v20
	s_mov_b32 s0, 0xc2ce8ed0
	v_cmp_ngt_f32_e64 s[0:1], s0, v1
	s_mov_b32 s28, 0x7f800000
	v_ldexp_f32 v10, v10, v18
	v_cndmask_b32_e64 v10, 0, v10, s[0:1]
	s_mov_b32 s0, 0x42b17218
	v_mov_b32_e32 v18, 0x7f800000
	v_cmp_nlt_f32_e64 s[0:1], s0, v1
	s_nop 1
	v_cndmask_b32_e64 v1, v18, v10, s[0:1]
	v_add_f32_e32 v10, 1.0, v1
	v_add_f32_e32 v20, -1.0, v10
	v_sub_f32_e32 v21, v20, v10
	v_add_f32_e32 v21, 1.0, v21
	v_sub_f32_e32 v20, v1, v20
	s_waitcnt lgkmcnt(0)
	v_add_f32_e32 v22, v20, v21
	v_frexp_mant_f32_e32 v23, v10
	s_mov_b32 s0, 0x3f2aaaab
	v_cvt_f64_f32_e32 v[20:21], v10
	v_frexp_exp_i32_f64_e32 v20, v[20:21]
	v_cmp_gt_f32_e64 s[0:1], s0, v23
	s_nop 1
	v_subbrev_co_u32_e64 v28, s[0:1], 0, v20, s[0:1]
	v_sub_u32_e32 v20, 0, v28
	v_ldexp_f32 v10, v10, v20
	v_ldexp_f32 v20, v22, v20
	v_add_f32_e32 v22, -1.0, v10
	v_add_f32_e32 v21, 1.0, v22
	v_sub_f32_e32 v21, v10, v21
	v_add_f32_e32 v23, v20, v21
	v_add_f32_e32 v21, 1.0, v10
	v_add_f32_e32 v24, -1.0, v21
	v_sub_f32_e32 v10, v10, v24
	v_add_f32_e32 v10, v20, v10
	v_add_f32_e32 v29, v21, v10
	v_rcp_f32_e32 v30, v29
	v_sub_f32_e32 v20, v21, v29
	v_add_f32_e32 v21, v22, v23
	v_add_f32_e32 v10, v10, v20
	v_mul_f32_e32 v32, v21, v30
	v_sub_f32_e32 v20, v22, v21
	v_mul_f32_e32 v22, v29, v32
	v_fma_f32 v24, v32, v29, -v22
	v_fmac_f32_e32 v24, v32, v10
	v_add_f32_e32 v31, v23, v20
	v_add_f32_e32 v20, v22, v24
	v_sub_f32_e32 v23, v21, v20
	v_pk_add_f32 v[26:27], v[20:21], v[22:23] neg_lo:[0,1] neg_hi:[0,1]
	v_mov_b32_e32 v25, v20
	v_pk_add_f32 v[20:21], v[26:27], v[24:25] neg_lo:[0,1] neg_hi:[0,1]
	s_mov_b32 s0, 0x3f317218
	v_add_f32_e32 v21, v31, v21
	v_add_f32_e32 v20, v20, v21
	;; [unrolled: 1-line block ×3, first 2 shown]
	v_mul_f32_e32 v31, v30, v21
	v_mul_f32_e32 v22, v29, v31
	v_fma_f32 v24, v31, v29, -v22
	v_fmac_f32_e32 v24, v31, v10
	v_sub_f32_e32 v10, v23, v21
	v_add_f32_e32 v10, v20, v10
	v_add_f32_e32 v20, v22, v24
	v_sub_f32_e32 v23, v21, v20
	v_pk_add_f32 v[26:27], v[20:21], v[22:23] neg_lo:[0,1] neg_hi:[0,1]
	v_mov_b32_e32 v25, v20
	v_pk_add_f32 v[20:21], v[26:27], v[24:25] neg_lo:[0,1] neg_hi:[0,1]
	v_cvt_f32_i32_e32 v22, v28
	v_add_f32_e32 v10, v10, v21
	v_add_f32_e32 v10, v20, v10
	;; [unrolled: 1-line block ×4, first 2 shown]
	v_sub_f32_e32 v21, v20, v32
	v_mul_f32_e32 v10, v30, v10
	v_sub_f32_e32 v21, v31, v21
	v_add_f32_e32 v10, v21, v10
	v_add_f32_e32 v23, v20, v10
	v_mul_f32_e32 v24, v23, v23
	v_mov_b32_e32 v21, 0x3ecc95a3
	v_fmac_f32_e32 v21, 0x3e9b6dac, v24
	v_sub_f32_e32 v20, v23, v20
	v_fmaak_f32 v21, v24, v21, 0x3f2aaada
	v_sub_f32_e32 v10, v10, v20
	v_ldexp_f32 v25, v23, 1
	v_mul_f32_e32 v23, v23, v24
	v_mov_b32_e32 v20, 0x3f317218
	v_pk_mul_f32 v[20:21], v[22:23], v[20:21]
	v_ldexp_f32 v10, v10, 1
	v_fma_f32 v23, v22, s0, -v20
	v_fmamk_f32 v24, v22, 0xb102e308, v23
	v_pk_add_f32 v[22:23], v[20:21], v[24:25]
	v_mov_b32_e32 v26, v20
	v_sub_f32_e32 v25, v23, v25
	v_sub_f32_e32 v25, v21, v25
	v_add_f32_e32 v27, v10, v25
	v_pk_add_f32 v[20:21], v[22:23], v[20:21] neg_lo:[0,1] neg_hi:[0,1]
	v_pk_add_f32 v[28:29], v[22:23], v[26:27]
	v_mov_b32_e32 v25, v22
	v_mov_b32_e32 v21, v29
	v_pk_add_f32 v[30:31], v[24:25], v[20:21] neg_lo:[0,1] neg_hi:[0,1]
	v_pk_add_f32 v[20:21], v[24:25], v[20:21]
	v_mov_b32_e32 v26, v27
	v_pk_add_f32 v[24:25], v[20:21], v[22:23] op_sel:[1,0] op_sel_hi:[0,1] neg_lo:[0,1] neg_hi:[0,1]
	v_pk_add_f32 v[32:33], v[28:29], v[24:25] op_sel_hi:[1,0] neg_lo:[0,1] neg_hi:[0,1]
	v_mov_b32_e32 v28, v29
	v_mov_b32_e32 v29, v21
	v_pk_mov_b32 v[24:25], v[22:23], v[24:25] op_sel:[1,0]
	v_mov_b32_e32 v27, v22
	v_pk_add_f32 v[24:25], v[28:29], v[24:25] neg_lo:[0,1] neg_hi:[0,1]
	v_mov_b32_e32 v32, v30
	v_pk_add_f32 v[22:23], v[26:27], v[24:25] neg_lo:[0,1] neg_hi:[0,1]
	v_mov_b32_e32 v31, v21
	v_pk_add_f32 v[24:25], v[32:33], v[22:23]
	v_cmp_neq_f32_e64 s[0:1], s28, v1
	v_pk_add_f32 v[26:27], v[24:25], v[24:25] op_sel:[0,1] op_sel_hi:[1,0]
	s_nop 0
	v_pk_add_f32 v[20:21], v[20:21], v[26:27] op_sel:[1,0] op_sel_hi:[0,1]
	v_mov_b32_e32 v25, v20
	v_pk_add_f32 v[28:29], v[24:25], v[30:31] neg_lo:[0,1] neg_hi:[0,1]
	v_mov_b32_e32 v23, v26
	v_sub_f32_e32 v10, v24, v28
	v_pk_add_f32 v[22:23], v[22:23], v[28:29] neg_lo:[0,1] neg_hi:[0,1]
	v_sub_f32_e32 v10, v30, v10
	v_add_f32_e32 v10, v22, v10
	v_add_f32_e32 v10, v10, v23
	;; [unrolled: 1-line block ×3, first 2 shown]
	v_cndmask_b32_e64 v10, v18, v10, s[0:1]
	s_mov_b32 s0, 0x33800000
	v_cmp_lt_f32_e64 s[0:1], |v1|, s0
	s_nop 1
	v_cndmask_b32_e64 v1, v10, v1, s[0:1]
	v_add_f32_e32 v1, v17, v1
	v_cvt_f16_f32_e32 v21, v1
	v_cvt_f32_f16_e32 v1, v21
	v_mov_b32_e32 v10, v21
.LBB387_98:
	s_or_b64 exec, exec, s[26:27]
	v_max_f32_e32 v17, v11, v11
	v_max_f32_e32 v20, v1, v1
	v_min_f32_e32 v18, v20, v17
	v_cmp_u_f16_e64 s[0:1], v21, v21
	v_max_f32_e32 v17, v20, v17
	s_movk_i32 s28, 0x1f8
	v_cndmask_b32_e64 v18, v18, v1, s[0:1]
	v_cndmask_b32_e64 v17, v17, v1, s[0:1]
	;; [unrolled: 1-line block ×4, first 2 shown]
	v_cmp_neq_f32_e64 s[0:1], v18, v17
	v_cmp_class_f32_e64 s[26:27], v18, s28
	s_or_b64 s[0:1], s[0:1], s[26:27]
	v_mov_b32_e32 v11, v10
	s_and_saveexec_b64 s[26:27], s[0:1]
	s_cbranch_execz .LBB387_100
; %bb.99:
	v_sub_f32_e32 v1, v18, v17
	s_mov_b32 s0, 0x3fb8aa3b
	v_mul_f32_e32 v11, 0x3fb8aa3b, v1
	v_fma_f32 v18, v1, s0, -v11
	v_rndne_f32_e32 v20, v11
	v_fmamk_f32 v18, v1, 0x32a5705f, v18
	v_sub_f32_e32 v11, v11, v20
	v_add_f32_e32 v11, v11, v18
	v_exp_f32_e32 v11, v11
	v_cvt_i32_f32_e32 v18, v20
	s_mov_b32 s0, 0xc2ce8ed0
	v_cmp_ngt_f32_e64 s[0:1], s0, v1
	s_mov_b32 s29, 0x7f800000
	v_ldexp_f32 v11, v11, v18
	v_cndmask_b32_e64 v11, 0, v11, s[0:1]
	s_mov_b32 s0, 0x42b17218
	v_mov_b32_e32 v18, 0x7f800000
	v_cmp_nlt_f32_e64 s[0:1], s0, v1
	s_nop 1
	v_cndmask_b32_e64 v1, v18, v11, s[0:1]
	v_add_f32_e32 v11, 1.0, v1
	v_add_f32_e32 v20, -1.0, v11
	v_sub_f32_e32 v21, v20, v11
	v_add_f32_e32 v21, 1.0, v21
	v_sub_f32_e32 v20, v1, v20
	s_waitcnt lgkmcnt(0)
	v_add_f32_e32 v22, v20, v21
	v_frexp_mant_f32_e32 v23, v11
	s_mov_b32 s0, 0x3f2aaaab
	v_cvt_f64_f32_e32 v[20:21], v11
	v_frexp_exp_i32_f64_e32 v20, v[20:21]
	v_cmp_gt_f32_e64 s[0:1], s0, v23
	s_nop 1
	v_subbrev_co_u32_e64 v28, s[0:1], 0, v20, s[0:1]
	v_sub_u32_e32 v20, 0, v28
	v_ldexp_f32 v11, v11, v20
	v_ldexp_f32 v20, v22, v20
	v_add_f32_e32 v22, -1.0, v11
	v_add_f32_e32 v21, 1.0, v22
	v_sub_f32_e32 v21, v11, v21
	v_add_f32_e32 v23, v20, v21
	v_add_f32_e32 v21, 1.0, v11
	v_add_f32_e32 v24, -1.0, v21
	v_sub_f32_e32 v11, v11, v24
	v_add_f32_e32 v11, v20, v11
	v_add_f32_e32 v29, v21, v11
	v_rcp_f32_e32 v30, v29
	v_sub_f32_e32 v20, v21, v29
	v_add_f32_e32 v21, v22, v23
	v_add_f32_e32 v11, v11, v20
	v_mul_f32_e32 v32, v21, v30
	v_sub_f32_e32 v20, v22, v21
	v_mul_f32_e32 v22, v29, v32
	v_fma_f32 v24, v32, v29, -v22
	v_fmac_f32_e32 v24, v32, v11
	v_add_f32_e32 v31, v23, v20
	v_add_f32_e32 v20, v22, v24
	v_sub_f32_e32 v23, v21, v20
	v_pk_add_f32 v[26:27], v[20:21], v[22:23] neg_lo:[0,1] neg_hi:[0,1]
	v_mov_b32_e32 v25, v20
	v_pk_add_f32 v[20:21], v[26:27], v[24:25] neg_lo:[0,1] neg_hi:[0,1]
	s_mov_b32 s0, 0x3f317218
	v_add_f32_e32 v21, v31, v21
	v_add_f32_e32 v20, v20, v21
	;; [unrolled: 1-line block ×3, first 2 shown]
	v_mul_f32_e32 v31, v30, v21
	v_mul_f32_e32 v22, v29, v31
	v_fma_f32 v24, v31, v29, -v22
	v_fmac_f32_e32 v24, v31, v11
	v_sub_f32_e32 v11, v23, v21
	v_add_f32_e32 v11, v20, v11
	v_add_f32_e32 v20, v22, v24
	v_sub_f32_e32 v23, v21, v20
	v_pk_add_f32 v[26:27], v[20:21], v[22:23] neg_lo:[0,1] neg_hi:[0,1]
	v_mov_b32_e32 v25, v20
	v_pk_add_f32 v[20:21], v[26:27], v[24:25] neg_lo:[0,1] neg_hi:[0,1]
	v_cvt_f32_i32_e32 v22, v28
	v_add_f32_e32 v11, v11, v21
	v_add_f32_e32 v11, v20, v11
	;; [unrolled: 1-line block ×4, first 2 shown]
	v_sub_f32_e32 v21, v20, v32
	v_mul_f32_e32 v11, v30, v11
	v_sub_f32_e32 v21, v31, v21
	v_add_f32_e32 v11, v21, v11
	v_add_f32_e32 v23, v20, v11
	v_mul_f32_e32 v24, v23, v23
	v_mov_b32_e32 v21, 0x3ecc95a3
	v_fmac_f32_e32 v21, 0x3e9b6dac, v24
	v_sub_f32_e32 v20, v23, v20
	v_fmaak_f32 v21, v24, v21, 0x3f2aaada
	v_sub_f32_e32 v11, v11, v20
	v_ldexp_f32 v25, v23, 1
	v_mul_f32_e32 v23, v23, v24
	v_mov_b32_e32 v20, 0x3f317218
	v_pk_mul_f32 v[20:21], v[22:23], v[20:21]
	v_ldexp_f32 v11, v11, 1
	v_fma_f32 v23, v22, s0, -v20
	v_fmamk_f32 v24, v22, 0xb102e308, v23
	v_pk_add_f32 v[22:23], v[20:21], v[24:25]
	v_mov_b32_e32 v26, v20
	v_sub_f32_e32 v25, v23, v25
	v_sub_f32_e32 v25, v21, v25
	v_add_f32_e32 v27, v11, v25
	v_pk_add_f32 v[20:21], v[22:23], v[20:21] neg_lo:[0,1] neg_hi:[0,1]
	v_pk_add_f32 v[28:29], v[22:23], v[26:27]
	v_mov_b32_e32 v25, v22
	v_mov_b32_e32 v21, v29
	v_pk_add_f32 v[30:31], v[24:25], v[20:21] neg_lo:[0,1] neg_hi:[0,1]
	v_pk_add_f32 v[20:21], v[24:25], v[20:21]
	v_mov_b32_e32 v26, v27
	v_pk_add_f32 v[24:25], v[20:21], v[22:23] op_sel:[1,0] op_sel_hi:[0,1] neg_lo:[0,1] neg_hi:[0,1]
	v_pk_add_f32 v[32:33], v[28:29], v[24:25] op_sel_hi:[1,0] neg_lo:[0,1] neg_hi:[0,1]
	v_mov_b32_e32 v28, v29
	v_mov_b32_e32 v29, v21
	v_pk_mov_b32 v[24:25], v[22:23], v[24:25] op_sel:[1,0]
	v_mov_b32_e32 v27, v22
	v_pk_add_f32 v[24:25], v[28:29], v[24:25] neg_lo:[0,1] neg_hi:[0,1]
	v_mov_b32_e32 v32, v30
	v_pk_add_f32 v[22:23], v[26:27], v[24:25] neg_lo:[0,1] neg_hi:[0,1]
	v_mov_b32_e32 v31, v21
	v_pk_add_f32 v[24:25], v[32:33], v[22:23]
	v_cmp_neq_f32_e64 s[0:1], s29, v1
	v_pk_add_f32 v[26:27], v[24:25], v[24:25] op_sel:[0,1] op_sel_hi:[1,0]
	s_nop 0
	v_pk_add_f32 v[20:21], v[20:21], v[26:27] op_sel:[1,0] op_sel_hi:[0,1]
	v_mov_b32_e32 v25, v20
	v_pk_add_f32 v[28:29], v[24:25], v[30:31] neg_lo:[0,1] neg_hi:[0,1]
	v_mov_b32_e32 v23, v26
	v_sub_f32_e32 v11, v24, v28
	v_pk_add_f32 v[22:23], v[22:23], v[28:29] neg_lo:[0,1] neg_hi:[0,1]
	v_sub_f32_e32 v11, v30, v11
	v_add_f32_e32 v11, v22, v11
	v_add_f32_e32 v11, v11, v23
	;; [unrolled: 1-line block ×3, first 2 shown]
	v_cndmask_b32_e64 v11, v18, v11, s[0:1]
	s_mov_b32 s0, 0x33800000
	v_cmp_lt_f32_e64 s[0:1], |v1|, s0
	s_nop 1
	v_cndmask_b32_e64 v1, v11, v1, s[0:1]
	v_add_f32_e32 v1, v17, v1
	v_cvt_f16_f32_e32 v21, v1
	v_cvt_f32_f16_e32 v1, v21
	v_mov_b32_e32 v11, v21
.LBB387_100:
	s_or_b64 exec, exec, s[26:27]
	v_max_f32_e32 v17, v3, v3
	v_max_f32_e32 v20, v1, v1
	v_min_f32_e32 v18, v20, v17
	v_cmp_u_f16_e64 s[0:1], v21, v21
	v_max_f32_e32 v17, v20, v17
	s_nop 0
	v_cndmask_b32_e64 v18, v18, v1, s[0:1]
	v_cndmask_b32_e64 v17, v17, v1, s[0:1]
	;; [unrolled: 1-line block ×4, first 2 shown]
	v_cmp_neq_f32_e64 s[0:1], v18, v17
	v_cmp_class_f32_e64 s[26:27], v18, s28
	s_or_b64 s[0:1], s[0:1], s[26:27]
	v_mov_b32_e32 v3, v11
	s_and_saveexec_b64 s[26:27], s[0:1]
	s_cbranch_execz .LBB387_102
; %bb.101:
	v_sub_f32_e32 v1, v18, v17
	s_mov_b32 s0, 0x3fb8aa3b
	v_mul_f32_e32 v3, 0x3fb8aa3b, v1
	v_fma_f32 v18, v1, s0, -v3
	v_rndne_f32_e32 v20, v3
	v_fmamk_f32 v18, v1, 0x32a5705f, v18
	v_sub_f32_e32 v3, v3, v20
	v_add_f32_e32 v3, v3, v18
	v_exp_f32_e32 v3, v3
	v_cvt_i32_f32_e32 v18, v20
	s_mov_b32 s0, 0xc2ce8ed0
	v_cmp_ngt_f32_e64 s[0:1], s0, v1
	s_mov_b32 s28, 0x7f800000
	v_ldexp_f32 v3, v3, v18
	v_cndmask_b32_e64 v3, 0, v3, s[0:1]
	s_mov_b32 s0, 0x42b17218
	v_mov_b32_e32 v18, 0x7f800000
	v_cmp_nlt_f32_e64 s[0:1], s0, v1
	s_nop 1
	v_cndmask_b32_e64 v1, v18, v3, s[0:1]
	v_add_f32_e32 v3, 1.0, v1
	v_add_f32_e32 v20, -1.0, v3
	v_sub_f32_e32 v21, v20, v3
	v_add_f32_e32 v21, 1.0, v21
	v_sub_f32_e32 v20, v1, v20
	s_waitcnt lgkmcnt(0)
	v_add_f32_e32 v22, v20, v21
	v_frexp_mant_f32_e32 v23, v3
	s_mov_b32 s0, 0x3f2aaaab
	v_cvt_f64_f32_e32 v[20:21], v3
	v_frexp_exp_i32_f64_e32 v20, v[20:21]
	v_cmp_gt_f32_e64 s[0:1], s0, v23
	s_nop 1
	v_subbrev_co_u32_e64 v28, s[0:1], 0, v20, s[0:1]
	v_sub_u32_e32 v20, 0, v28
	v_ldexp_f32 v3, v3, v20
	v_ldexp_f32 v20, v22, v20
	v_add_f32_e32 v22, -1.0, v3
	v_add_f32_e32 v21, 1.0, v22
	v_sub_f32_e32 v21, v3, v21
	v_add_f32_e32 v23, v20, v21
	v_add_f32_e32 v21, 1.0, v3
	v_add_f32_e32 v24, -1.0, v21
	v_sub_f32_e32 v3, v3, v24
	v_add_f32_e32 v3, v20, v3
	v_add_f32_e32 v29, v21, v3
	v_rcp_f32_e32 v30, v29
	v_sub_f32_e32 v20, v21, v29
	v_add_f32_e32 v21, v22, v23
	v_add_f32_e32 v3, v3, v20
	v_mul_f32_e32 v32, v21, v30
	v_sub_f32_e32 v20, v22, v21
	v_mul_f32_e32 v22, v29, v32
	v_fma_f32 v24, v32, v29, -v22
	v_fmac_f32_e32 v24, v32, v3
	v_add_f32_e32 v31, v23, v20
	v_add_f32_e32 v20, v22, v24
	v_sub_f32_e32 v23, v21, v20
	v_pk_add_f32 v[26:27], v[20:21], v[22:23] neg_lo:[0,1] neg_hi:[0,1]
	v_mov_b32_e32 v25, v20
	v_pk_add_f32 v[20:21], v[26:27], v[24:25] neg_lo:[0,1] neg_hi:[0,1]
	s_mov_b32 s0, 0x3f317218
	v_add_f32_e32 v21, v31, v21
	v_add_f32_e32 v20, v20, v21
	v_add_f32_e32 v21, v23, v20
	v_mul_f32_e32 v31, v30, v21
	v_mul_f32_e32 v22, v29, v31
	v_fma_f32 v24, v31, v29, -v22
	v_fmac_f32_e32 v24, v31, v3
	v_sub_f32_e32 v3, v23, v21
	v_add_f32_e32 v3, v20, v3
	v_add_f32_e32 v20, v22, v24
	v_sub_f32_e32 v23, v21, v20
	v_pk_add_f32 v[26:27], v[20:21], v[22:23] neg_lo:[0,1] neg_hi:[0,1]
	v_mov_b32_e32 v25, v20
	v_pk_add_f32 v[20:21], v[26:27], v[24:25] neg_lo:[0,1] neg_hi:[0,1]
	v_cvt_f32_i32_e32 v22, v28
	v_add_f32_e32 v3, v3, v21
	v_add_f32_e32 v3, v20, v3
	;; [unrolled: 1-line block ×4, first 2 shown]
	v_sub_f32_e32 v21, v20, v32
	v_mul_f32_e32 v3, v30, v3
	v_sub_f32_e32 v21, v31, v21
	v_add_f32_e32 v3, v21, v3
	v_add_f32_e32 v23, v20, v3
	v_mul_f32_e32 v24, v23, v23
	v_mov_b32_e32 v21, 0x3ecc95a3
	v_fmac_f32_e32 v21, 0x3e9b6dac, v24
	v_sub_f32_e32 v20, v23, v20
	v_fmaak_f32 v21, v24, v21, 0x3f2aaada
	v_sub_f32_e32 v3, v3, v20
	v_ldexp_f32 v25, v23, 1
	v_mul_f32_e32 v23, v23, v24
	v_mov_b32_e32 v20, 0x3f317218
	v_pk_mul_f32 v[20:21], v[22:23], v[20:21]
	v_ldexp_f32 v3, v3, 1
	v_fma_f32 v23, v22, s0, -v20
	v_fmamk_f32 v24, v22, 0xb102e308, v23
	v_pk_add_f32 v[22:23], v[20:21], v[24:25]
	v_mov_b32_e32 v26, v20
	v_sub_f32_e32 v25, v23, v25
	v_sub_f32_e32 v25, v21, v25
	v_add_f32_e32 v27, v3, v25
	v_pk_add_f32 v[20:21], v[22:23], v[20:21] neg_lo:[0,1] neg_hi:[0,1]
	v_pk_add_f32 v[28:29], v[22:23], v[26:27]
	v_mov_b32_e32 v25, v22
	v_mov_b32_e32 v21, v29
	v_pk_add_f32 v[30:31], v[24:25], v[20:21] neg_lo:[0,1] neg_hi:[0,1]
	v_pk_add_f32 v[20:21], v[24:25], v[20:21]
	v_mov_b32_e32 v26, v27
	v_pk_add_f32 v[24:25], v[20:21], v[22:23] op_sel:[1,0] op_sel_hi:[0,1] neg_lo:[0,1] neg_hi:[0,1]
	v_pk_add_f32 v[32:33], v[28:29], v[24:25] op_sel_hi:[1,0] neg_lo:[0,1] neg_hi:[0,1]
	v_mov_b32_e32 v28, v29
	v_mov_b32_e32 v29, v21
	v_pk_mov_b32 v[24:25], v[22:23], v[24:25] op_sel:[1,0]
	v_mov_b32_e32 v27, v22
	v_pk_add_f32 v[24:25], v[28:29], v[24:25] neg_lo:[0,1] neg_hi:[0,1]
	v_mov_b32_e32 v32, v30
	v_pk_add_f32 v[22:23], v[26:27], v[24:25] neg_lo:[0,1] neg_hi:[0,1]
	v_mov_b32_e32 v31, v21
	v_pk_add_f32 v[24:25], v[32:33], v[22:23]
	v_cmp_neq_f32_e64 s[0:1], s28, v1
	v_pk_add_f32 v[26:27], v[24:25], v[24:25] op_sel:[0,1] op_sel_hi:[1,0]
	s_nop 0
	v_pk_add_f32 v[20:21], v[20:21], v[26:27] op_sel:[1,0] op_sel_hi:[0,1]
	v_mov_b32_e32 v25, v20
	v_pk_add_f32 v[28:29], v[24:25], v[30:31] neg_lo:[0,1] neg_hi:[0,1]
	v_mov_b32_e32 v23, v26
	v_sub_f32_e32 v3, v24, v28
	v_pk_add_f32 v[22:23], v[22:23], v[28:29] neg_lo:[0,1] neg_hi:[0,1]
	v_sub_f32_e32 v3, v30, v3
	v_add_f32_e32 v3, v22, v3
	v_add_f32_e32 v3, v3, v23
	;; [unrolled: 1-line block ×3, first 2 shown]
	v_cndmask_b32_e64 v3, v18, v3, s[0:1]
	s_mov_b32 s0, 0x33800000
	v_cmp_lt_f32_e64 s[0:1], |v1|, s0
	s_nop 1
	v_cndmask_b32_e64 v1, v3, v1, s[0:1]
	v_add_f32_e32 v1, v17, v1
	v_cvt_f16_f32_e32 v21, v1
	v_cvt_f32_f16_e32 v1, v21
	v_mov_b32_e32 v3, v21
.LBB387_102:
	s_or_b64 exec, exec, s[26:27]
	v_max_f32_e32 v17, v12, v12
	v_max_f32_e32 v20, v1, v1
	v_min_f32_e32 v18, v20, v17
	v_cmp_u_f16_e64 s[0:1], v21, v21
	v_max_f32_e32 v17, v20, v17
	s_movk_i32 s28, 0x1f8
	v_cndmask_b32_e64 v18, v18, v1, s[0:1]
	v_cndmask_b32_e64 v17, v17, v1, s[0:1]
	;; [unrolled: 1-line block ×4, first 2 shown]
	v_cmp_neq_f32_e64 s[0:1], v18, v17
	v_cmp_class_f32_e64 s[26:27], v18, s28
	s_or_b64 s[0:1], s[0:1], s[26:27]
	v_mov_b32_e32 v12, v3
	s_and_saveexec_b64 s[26:27], s[0:1]
	s_cbranch_execz .LBB387_104
; %bb.103:
	v_sub_f32_e32 v1, v18, v17
	s_mov_b32 s0, 0x3fb8aa3b
	v_mul_f32_e32 v12, 0x3fb8aa3b, v1
	v_fma_f32 v18, v1, s0, -v12
	v_rndne_f32_e32 v20, v12
	v_fmamk_f32 v18, v1, 0x32a5705f, v18
	v_sub_f32_e32 v12, v12, v20
	v_add_f32_e32 v12, v12, v18
	v_exp_f32_e32 v12, v12
	v_cvt_i32_f32_e32 v18, v20
	s_mov_b32 s0, 0xc2ce8ed0
	v_cmp_ngt_f32_e64 s[0:1], s0, v1
	s_mov_b32 s29, 0x7f800000
	v_ldexp_f32 v12, v12, v18
	v_cndmask_b32_e64 v12, 0, v12, s[0:1]
	s_mov_b32 s0, 0x42b17218
	v_mov_b32_e32 v18, 0x7f800000
	v_cmp_nlt_f32_e64 s[0:1], s0, v1
	s_nop 1
	v_cndmask_b32_e64 v1, v18, v12, s[0:1]
	v_add_f32_e32 v12, 1.0, v1
	v_add_f32_e32 v20, -1.0, v12
	v_sub_f32_e32 v21, v20, v12
	v_add_f32_e32 v21, 1.0, v21
	v_sub_f32_e32 v20, v1, v20
	s_waitcnt lgkmcnt(0)
	v_add_f32_e32 v22, v20, v21
	v_frexp_mant_f32_e32 v23, v12
	s_mov_b32 s0, 0x3f2aaaab
	v_cvt_f64_f32_e32 v[20:21], v12
	v_frexp_exp_i32_f64_e32 v20, v[20:21]
	v_cmp_gt_f32_e64 s[0:1], s0, v23
	s_nop 1
	v_subbrev_co_u32_e64 v28, s[0:1], 0, v20, s[0:1]
	v_sub_u32_e32 v20, 0, v28
	v_ldexp_f32 v12, v12, v20
	v_ldexp_f32 v20, v22, v20
	v_add_f32_e32 v22, -1.0, v12
	v_add_f32_e32 v21, 1.0, v22
	v_sub_f32_e32 v21, v12, v21
	v_add_f32_e32 v23, v20, v21
	v_add_f32_e32 v21, 1.0, v12
	v_add_f32_e32 v24, -1.0, v21
	v_sub_f32_e32 v12, v12, v24
	v_add_f32_e32 v12, v20, v12
	v_add_f32_e32 v29, v21, v12
	v_rcp_f32_e32 v30, v29
	v_sub_f32_e32 v20, v21, v29
	v_add_f32_e32 v21, v22, v23
	v_add_f32_e32 v12, v12, v20
	v_mul_f32_e32 v32, v21, v30
	v_sub_f32_e32 v20, v22, v21
	v_mul_f32_e32 v22, v29, v32
	v_fma_f32 v24, v32, v29, -v22
	v_fmac_f32_e32 v24, v32, v12
	v_add_f32_e32 v31, v23, v20
	v_add_f32_e32 v20, v22, v24
	v_sub_f32_e32 v23, v21, v20
	v_pk_add_f32 v[26:27], v[20:21], v[22:23] neg_lo:[0,1] neg_hi:[0,1]
	v_mov_b32_e32 v25, v20
	v_pk_add_f32 v[20:21], v[26:27], v[24:25] neg_lo:[0,1] neg_hi:[0,1]
	s_mov_b32 s0, 0x3f317218
	v_add_f32_e32 v21, v31, v21
	v_add_f32_e32 v20, v20, v21
	;; [unrolled: 1-line block ×3, first 2 shown]
	v_mul_f32_e32 v31, v30, v21
	v_mul_f32_e32 v22, v29, v31
	v_fma_f32 v24, v31, v29, -v22
	v_fmac_f32_e32 v24, v31, v12
	v_sub_f32_e32 v12, v23, v21
	v_add_f32_e32 v12, v20, v12
	v_add_f32_e32 v20, v22, v24
	v_sub_f32_e32 v23, v21, v20
	v_pk_add_f32 v[26:27], v[20:21], v[22:23] neg_lo:[0,1] neg_hi:[0,1]
	v_mov_b32_e32 v25, v20
	v_pk_add_f32 v[20:21], v[26:27], v[24:25] neg_lo:[0,1] neg_hi:[0,1]
	v_cvt_f32_i32_e32 v22, v28
	v_add_f32_e32 v12, v12, v21
	v_add_f32_e32 v12, v20, v12
	;; [unrolled: 1-line block ×4, first 2 shown]
	v_sub_f32_e32 v21, v20, v32
	v_mul_f32_e32 v12, v30, v12
	v_sub_f32_e32 v21, v31, v21
	v_add_f32_e32 v12, v21, v12
	v_add_f32_e32 v23, v20, v12
	v_mul_f32_e32 v24, v23, v23
	v_mov_b32_e32 v21, 0x3ecc95a3
	v_fmac_f32_e32 v21, 0x3e9b6dac, v24
	v_sub_f32_e32 v20, v23, v20
	v_fmaak_f32 v21, v24, v21, 0x3f2aaada
	v_sub_f32_e32 v12, v12, v20
	v_ldexp_f32 v25, v23, 1
	v_mul_f32_e32 v23, v23, v24
	v_mov_b32_e32 v20, 0x3f317218
	v_pk_mul_f32 v[20:21], v[22:23], v[20:21]
	v_ldexp_f32 v12, v12, 1
	v_fma_f32 v23, v22, s0, -v20
	v_fmamk_f32 v24, v22, 0xb102e308, v23
	v_pk_add_f32 v[22:23], v[20:21], v[24:25]
	v_mov_b32_e32 v26, v20
	v_sub_f32_e32 v25, v23, v25
	v_sub_f32_e32 v25, v21, v25
	v_add_f32_e32 v27, v12, v25
	v_pk_add_f32 v[20:21], v[22:23], v[20:21] neg_lo:[0,1] neg_hi:[0,1]
	v_pk_add_f32 v[28:29], v[22:23], v[26:27]
	v_mov_b32_e32 v25, v22
	v_mov_b32_e32 v21, v29
	v_pk_add_f32 v[30:31], v[24:25], v[20:21] neg_lo:[0,1] neg_hi:[0,1]
	v_pk_add_f32 v[20:21], v[24:25], v[20:21]
	v_mov_b32_e32 v26, v27
	v_pk_add_f32 v[24:25], v[20:21], v[22:23] op_sel:[1,0] op_sel_hi:[0,1] neg_lo:[0,1] neg_hi:[0,1]
	v_pk_add_f32 v[32:33], v[28:29], v[24:25] op_sel_hi:[1,0] neg_lo:[0,1] neg_hi:[0,1]
	v_mov_b32_e32 v28, v29
	v_mov_b32_e32 v29, v21
	v_pk_mov_b32 v[24:25], v[22:23], v[24:25] op_sel:[1,0]
	v_mov_b32_e32 v27, v22
	v_pk_add_f32 v[24:25], v[28:29], v[24:25] neg_lo:[0,1] neg_hi:[0,1]
	v_mov_b32_e32 v32, v30
	v_pk_add_f32 v[22:23], v[26:27], v[24:25] neg_lo:[0,1] neg_hi:[0,1]
	v_mov_b32_e32 v31, v21
	v_pk_add_f32 v[24:25], v[32:33], v[22:23]
	v_cmp_neq_f32_e64 s[0:1], s29, v1
	v_pk_add_f32 v[26:27], v[24:25], v[24:25] op_sel:[0,1] op_sel_hi:[1,0]
	s_nop 0
	v_pk_add_f32 v[20:21], v[20:21], v[26:27] op_sel:[1,0] op_sel_hi:[0,1]
	v_mov_b32_e32 v25, v20
	v_pk_add_f32 v[28:29], v[24:25], v[30:31] neg_lo:[0,1] neg_hi:[0,1]
	v_mov_b32_e32 v23, v26
	v_sub_f32_e32 v12, v24, v28
	v_pk_add_f32 v[22:23], v[22:23], v[28:29] neg_lo:[0,1] neg_hi:[0,1]
	v_sub_f32_e32 v12, v30, v12
	v_add_f32_e32 v12, v22, v12
	v_add_f32_e32 v12, v12, v23
	;; [unrolled: 1-line block ×3, first 2 shown]
	v_cndmask_b32_e64 v12, v18, v12, s[0:1]
	s_mov_b32 s0, 0x33800000
	v_cmp_lt_f32_e64 s[0:1], |v1|, s0
	s_nop 1
	v_cndmask_b32_e64 v1, v12, v1, s[0:1]
	v_add_f32_e32 v1, v17, v1
	v_cvt_f16_f32_e32 v21, v1
	v_cvt_f32_f16_e32 v1, v21
	v_mov_b32_e32 v12, v21
.LBB387_104:
	s_or_b64 exec, exec, s[26:27]
	v_max_f32_e32 v17, v6, v6
	v_max_f32_e32 v20, v1, v1
	v_min_f32_e32 v18, v20, v17
	v_cmp_u_f16_e64 s[0:1], v21, v21
	v_max_f32_e32 v17, v20, v17
	s_nop 0
	v_cndmask_b32_e64 v18, v18, v1, s[0:1]
	v_cndmask_b32_e64 v17, v17, v1, s[0:1]
	;; [unrolled: 1-line block ×4, first 2 shown]
	v_cmp_neq_f32_e64 s[0:1], v18, v17
	v_cmp_class_f32_e64 s[26:27], v18, s28
	s_or_b64 s[0:1], s[0:1], s[26:27]
	v_mov_b32_e32 v6, v12
	s_and_saveexec_b64 s[26:27], s[0:1]
	s_cbranch_execz .LBB387_106
; %bb.105:
	v_sub_f32_e32 v1, v18, v17
	s_mov_b32 s0, 0x3fb8aa3b
	v_mul_f32_e32 v6, 0x3fb8aa3b, v1
	v_fma_f32 v18, v1, s0, -v6
	v_rndne_f32_e32 v20, v6
	v_fmamk_f32 v18, v1, 0x32a5705f, v18
	v_sub_f32_e32 v6, v6, v20
	v_add_f32_e32 v6, v6, v18
	v_exp_f32_e32 v6, v6
	v_cvt_i32_f32_e32 v18, v20
	s_mov_b32 s0, 0xc2ce8ed0
	v_cmp_ngt_f32_e64 s[0:1], s0, v1
	s_mov_b32 s28, 0x7f800000
	v_ldexp_f32 v6, v6, v18
	v_cndmask_b32_e64 v6, 0, v6, s[0:1]
	s_mov_b32 s0, 0x42b17218
	v_mov_b32_e32 v18, 0x7f800000
	v_cmp_nlt_f32_e64 s[0:1], s0, v1
	s_nop 1
	v_cndmask_b32_e64 v1, v18, v6, s[0:1]
	v_add_f32_e32 v6, 1.0, v1
	v_add_f32_e32 v20, -1.0, v6
	v_sub_f32_e32 v21, v20, v6
	v_add_f32_e32 v21, 1.0, v21
	v_sub_f32_e32 v20, v1, v20
	s_waitcnt lgkmcnt(0)
	v_add_f32_e32 v22, v20, v21
	v_frexp_mant_f32_e32 v23, v6
	s_mov_b32 s0, 0x3f2aaaab
	v_cvt_f64_f32_e32 v[20:21], v6
	v_frexp_exp_i32_f64_e32 v20, v[20:21]
	v_cmp_gt_f32_e64 s[0:1], s0, v23
	s_nop 1
	v_subbrev_co_u32_e64 v28, s[0:1], 0, v20, s[0:1]
	v_sub_u32_e32 v20, 0, v28
	v_ldexp_f32 v6, v6, v20
	v_ldexp_f32 v20, v22, v20
	v_add_f32_e32 v22, -1.0, v6
	v_add_f32_e32 v21, 1.0, v22
	v_sub_f32_e32 v21, v6, v21
	v_add_f32_e32 v23, v20, v21
	v_add_f32_e32 v21, 1.0, v6
	v_add_f32_e32 v24, -1.0, v21
	v_sub_f32_e32 v6, v6, v24
	v_add_f32_e32 v6, v20, v6
	v_add_f32_e32 v29, v21, v6
	v_rcp_f32_e32 v30, v29
	v_sub_f32_e32 v20, v21, v29
	v_add_f32_e32 v21, v22, v23
	v_add_f32_e32 v6, v6, v20
	v_mul_f32_e32 v32, v21, v30
	v_sub_f32_e32 v20, v22, v21
	v_mul_f32_e32 v22, v29, v32
	v_fma_f32 v24, v32, v29, -v22
	v_fmac_f32_e32 v24, v32, v6
	v_add_f32_e32 v31, v23, v20
	v_add_f32_e32 v20, v22, v24
	v_sub_f32_e32 v23, v21, v20
	v_pk_add_f32 v[26:27], v[20:21], v[22:23] neg_lo:[0,1] neg_hi:[0,1]
	v_mov_b32_e32 v25, v20
	v_pk_add_f32 v[20:21], v[26:27], v[24:25] neg_lo:[0,1] neg_hi:[0,1]
	s_mov_b32 s0, 0x3f317218
	v_add_f32_e32 v21, v31, v21
	v_add_f32_e32 v20, v20, v21
	v_add_f32_e32 v21, v23, v20
	v_mul_f32_e32 v31, v30, v21
	v_mul_f32_e32 v22, v29, v31
	v_fma_f32 v24, v31, v29, -v22
	v_fmac_f32_e32 v24, v31, v6
	v_sub_f32_e32 v6, v23, v21
	v_add_f32_e32 v6, v20, v6
	v_add_f32_e32 v20, v22, v24
	v_sub_f32_e32 v23, v21, v20
	v_pk_add_f32 v[26:27], v[20:21], v[22:23] neg_lo:[0,1] neg_hi:[0,1]
	v_mov_b32_e32 v25, v20
	v_pk_add_f32 v[20:21], v[26:27], v[24:25] neg_lo:[0,1] neg_hi:[0,1]
	v_cvt_f32_i32_e32 v22, v28
	v_add_f32_e32 v6, v6, v21
	v_add_f32_e32 v6, v20, v6
	;; [unrolled: 1-line block ×4, first 2 shown]
	v_sub_f32_e32 v21, v20, v32
	v_mul_f32_e32 v6, v30, v6
	v_sub_f32_e32 v21, v31, v21
	v_add_f32_e32 v6, v21, v6
	v_add_f32_e32 v23, v20, v6
	v_mul_f32_e32 v24, v23, v23
	v_mov_b32_e32 v21, 0x3ecc95a3
	v_fmac_f32_e32 v21, 0x3e9b6dac, v24
	v_sub_f32_e32 v20, v23, v20
	v_fmaak_f32 v21, v24, v21, 0x3f2aaada
	v_sub_f32_e32 v6, v6, v20
	v_ldexp_f32 v25, v23, 1
	v_mul_f32_e32 v23, v23, v24
	v_mov_b32_e32 v20, 0x3f317218
	v_pk_mul_f32 v[20:21], v[22:23], v[20:21]
	v_ldexp_f32 v6, v6, 1
	v_fma_f32 v23, v22, s0, -v20
	v_fmamk_f32 v24, v22, 0xb102e308, v23
	v_pk_add_f32 v[22:23], v[20:21], v[24:25]
	v_mov_b32_e32 v26, v20
	v_sub_f32_e32 v25, v23, v25
	v_sub_f32_e32 v25, v21, v25
	v_add_f32_e32 v27, v6, v25
	v_pk_add_f32 v[20:21], v[22:23], v[20:21] neg_lo:[0,1] neg_hi:[0,1]
	v_pk_add_f32 v[28:29], v[22:23], v[26:27]
	v_mov_b32_e32 v25, v22
	v_mov_b32_e32 v21, v29
	v_pk_add_f32 v[30:31], v[24:25], v[20:21] neg_lo:[0,1] neg_hi:[0,1]
	v_pk_add_f32 v[20:21], v[24:25], v[20:21]
	v_mov_b32_e32 v26, v27
	v_pk_add_f32 v[24:25], v[20:21], v[22:23] op_sel:[1,0] op_sel_hi:[0,1] neg_lo:[0,1] neg_hi:[0,1]
	v_pk_add_f32 v[32:33], v[28:29], v[24:25] op_sel_hi:[1,0] neg_lo:[0,1] neg_hi:[0,1]
	v_mov_b32_e32 v28, v29
	v_mov_b32_e32 v29, v21
	v_pk_mov_b32 v[24:25], v[22:23], v[24:25] op_sel:[1,0]
	v_mov_b32_e32 v27, v22
	v_pk_add_f32 v[24:25], v[28:29], v[24:25] neg_lo:[0,1] neg_hi:[0,1]
	v_mov_b32_e32 v32, v30
	v_pk_add_f32 v[22:23], v[26:27], v[24:25] neg_lo:[0,1] neg_hi:[0,1]
	v_mov_b32_e32 v31, v21
	v_pk_add_f32 v[24:25], v[32:33], v[22:23]
	v_cmp_neq_f32_e64 s[0:1], s28, v1
	v_pk_add_f32 v[26:27], v[24:25], v[24:25] op_sel:[0,1] op_sel_hi:[1,0]
	s_nop 0
	v_pk_add_f32 v[20:21], v[20:21], v[26:27] op_sel:[1,0] op_sel_hi:[0,1]
	v_mov_b32_e32 v25, v20
	v_pk_add_f32 v[28:29], v[24:25], v[30:31] neg_lo:[0,1] neg_hi:[0,1]
	v_mov_b32_e32 v23, v26
	v_sub_f32_e32 v6, v24, v28
	v_pk_add_f32 v[22:23], v[22:23], v[28:29] neg_lo:[0,1] neg_hi:[0,1]
	v_sub_f32_e32 v6, v30, v6
	v_add_f32_e32 v6, v22, v6
	v_add_f32_e32 v6, v6, v23
	v_add_f32_e32 v6, v20, v6
	v_cndmask_b32_e64 v6, v18, v6, s[0:1]
	s_mov_b32 s0, 0x33800000
	v_cmp_lt_f32_e64 s[0:1], |v1|, s0
	s_nop 1
	v_cndmask_b32_e64 v1, v6, v1, s[0:1]
	v_add_f32_e32 v1, v17, v1
	v_cvt_f16_f32_e32 v21, v1
	v_cvt_f32_f16_e32 v1, v21
	v_mov_b32_e32 v6, v21
.LBB387_106:
	s_or_b64 exec, exec, s[26:27]
	v_max_f32_e32 v17, v13, v13
	v_max_f32_e32 v20, v1, v1
	v_min_f32_e32 v18, v20, v17
	v_cmp_u_f16_e64 s[0:1], v21, v21
	v_max_f32_e32 v17, v20, v17
	s_movk_i32 s28, 0x1f8
	v_cndmask_b32_e64 v18, v18, v1, s[0:1]
	v_cndmask_b32_e64 v17, v17, v1, s[0:1]
	v_cndmask_b32_e64 v18, v18, v13, s[40:41]
	v_cndmask_b32_e64 v17, v17, v13, s[40:41]
	v_cmp_neq_f32_e64 s[0:1], v18, v17
	v_cmp_class_f32_e64 s[26:27], v18, s28
	s_or_b64 s[0:1], s[0:1], s[26:27]
	v_mov_b32_e32 v13, v6
	s_and_saveexec_b64 s[26:27], s[0:1]
	s_cbranch_execz .LBB387_108
; %bb.107:
	v_sub_f32_e32 v1, v18, v17
	s_mov_b32 s0, 0x3fb8aa3b
	v_mul_f32_e32 v13, 0x3fb8aa3b, v1
	v_fma_f32 v18, v1, s0, -v13
	v_rndne_f32_e32 v20, v13
	v_fmamk_f32 v18, v1, 0x32a5705f, v18
	v_sub_f32_e32 v13, v13, v20
	v_add_f32_e32 v13, v13, v18
	v_exp_f32_e32 v13, v13
	v_cvt_i32_f32_e32 v18, v20
	s_mov_b32 s0, 0xc2ce8ed0
	v_cmp_ngt_f32_e64 s[0:1], s0, v1
	s_mov_b32 s29, 0x7f800000
	v_ldexp_f32 v13, v13, v18
	v_cndmask_b32_e64 v13, 0, v13, s[0:1]
	s_mov_b32 s0, 0x42b17218
	v_mov_b32_e32 v18, 0x7f800000
	v_cmp_nlt_f32_e64 s[0:1], s0, v1
	s_nop 1
	v_cndmask_b32_e64 v1, v18, v13, s[0:1]
	v_add_f32_e32 v13, 1.0, v1
	v_add_f32_e32 v20, -1.0, v13
	v_sub_f32_e32 v21, v20, v13
	v_add_f32_e32 v21, 1.0, v21
	v_sub_f32_e32 v20, v1, v20
	s_waitcnt lgkmcnt(0)
	v_add_f32_e32 v22, v20, v21
	v_frexp_mant_f32_e32 v23, v13
	s_mov_b32 s0, 0x3f2aaaab
	v_cvt_f64_f32_e32 v[20:21], v13
	v_frexp_exp_i32_f64_e32 v20, v[20:21]
	v_cmp_gt_f32_e64 s[0:1], s0, v23
	s_nop 1
	v_subbrev_co_u32_e64 v28, s[0:1], 0, v20, s[0:1]
	v_sub_u32_e32 v20, 0, v28
	v_ldexp_f32 v13, v13, v20
	v_ldexp_f32 v20, v22, v20
	v_add_f32_e32 v22, -1.0, v13
	v_add_f32_e32 v21, 1.0, v22
	v_sub_f32_e32 v21, v13, v21
	v_add_f32_e32 v23, v20, v21
	v_add_f32_e32 v21, 1.0, v13
	v_add_f32_e32 v24, -1.0, v21
	v_sub_f32_e32 v13, v13, v24
	v_add_f32_e32 v13, v20, v13
	v_add_f32_e32 v29, v21, v13
	v_rcp_f32_e32 v30, v29
	v_sub_f32_e32 v20, v21, v29
	v_add_f32_e32 v21, v22, v23
	v_add_f32_e32 v13, v13, v20
	v_mul_f32_e32 v32, v21, v30
	v_sub_f32_e32 v20, v22, v21
	v_mul_f32_e32 v22, v29, v32
	v_fma_f32 v24, v32, v29, -v22
	v_fmac_f32_e32 v24, v32, v13
	v_add_f32_e32 v31, v23, v20
	v_add_f32_e32 v20, v22, v24
	v_sub_f32_e32 v23, v21, v20
	v_pk_add_f32 v[26:27], v[20:21], v[22:23] neg_lo:[0,1] neg_hi:[0,1]
	v_mov_b32_e32 v25, v20
	v_pk_add_f32 v[20:21], v[26:27], v[24:25] neg_lo:[0,1] neg_hi:[0,1]
	s_mov_b32 s0, 0x3f317218
	v_add_f32_e32 v21, v31, v21
	v_add_f32_e32 v20, v20, v21
	;; [unrolled: 1-line block ×3, first 2 shown]
	v_mul_f32_e32 v31, v30, v21
	v_mul_f32_e32 v22, v29, v31
	v_fma_f32 v24, v31, v29, -v22
	v_fmac_f32_e32 v24, v31, v13
	v_sub_f32_e32 v13, v23, v21
	v_add_f32_e32 v13, v20, v13
	v_add_f32_e32 v20, v22, v24
	v_sub_f32_e32 v23, v21, v20
	v_pk_add_f32 v[26:27], v[20:21], v[22:23] neg_lo:[0,1] neg_hi:[0,1]
	v_mov_b32_e32 v25, v20
	v_pk_add_f32 v[20:21], v[26:27], v[24:25] neg_lo:[0,1] neg_hi:[0,1]
	v_cvt_f32_i32_e32 v22, v28
	v_add_f32_e32 v13, v13, v21
	v_add_f32_e32 v13, v20, v13
	;; [unrolled: 1-line block ×4, first 2 shown]
	v_sub_f32_e32 v21, v20, v32
	v_mul_f32_e32 v13, v30, v13
	v_sub_f32_e32 v21, v31, v21
	v_add_f32_e32 v13, v21, v13
	v_add_f32_e32 v23, v20, v13
	v_mul_f32_e32 v24, v23, v23
	v_mov_b32_e32 v21, 0x3ecc95a3
	v_fmac_f32_e32 v21, 0x3e9b6dac, v24
	v_sub_f32_e32 v20, v23, v20
	v_fmaak_f32 v21, v24, v21, 0x3f2aaada
	v_sub_f32_e32 v13, v13, v20
	v_ldexp_f32 v25, v23, 1
	v_mul_f32_e32 v23, v23, v24
	v_mov_b32_e32 v20, 0x3f317218
	v_pk_mul_f32 v[20:21], v[22:23], v[20:21]
	v_ldexp_f32 v13, v13, 1
	v_fma_f32 v23, v22, s0, -v20
	v_fmamk_f32 v24, v22, 0xb102e308, v23
	v_pk_add_f32 v[22:23], v[20:21], v[24:25]
	v_mov_b32_e32 v26, v20
	v_sub_f32_e32 v25, v23, v25
	v_sub_f32_e32 v25, v21, v25
	v_add_f32_e32 v27, v13, v25
	v_pk_add_f32 v[20:21], v[22:23], v[20:21] neg_lo:[0,1] neg_hi:[0,1]
	v_pk_add_f32 v[28:29], v[22:23], v[26:27]
	v_mov_b32_e32 v25, v22
	v_mov_b32_e32 v21, v29
	v_pk_add_f32 v[30:31], v[24:25], v[20:21] neg_lo:[0,1] neg_hi:[0,1]
	v_pk_add_f32 v[20:21], v[24:25], v[20:21]
	v_mov_b32_e32 v26, v27
	v_pk_add_f32 v[24:25], v[20:21], v[22:23] op_sel:[1,0] op_sel_hi:[0,1] neg_lo:[0,1] neg_hi:[0,1]
	v_pk_add_f32 v[32:33], v[28:29], v[24:25] op_sel_hi:[1,0] neg_lo:[0,1] neg_hi:[0,1]
	v_mov_b32_e32 v28, v29
	v_mov_b32_e32 v29, v21
	v_pk_mov_b32 v[24:25], v[22:23], v[24:25] op_sel:[1,0]
	v_mov_b32_e32 v27, v22
	v_pk_add_f32 v[24:25], v[28:29], v[24:25] neg_lo:[0,1] neg_hi:[0,1]
	v_mov_b32_e32 v32, v30
	v_pk_add_f32 v[22:23], v[26:27], v[24:25] neg_lo:[0,1] neg_hi:[0,1]
	v_mov_b32_e32 v31, v21
	v_pk_add_f32 v[24:25], v[32:33], v[22:23]
	v_cmp_neq_f32_e64 s[0:1], s29, v1
	v_pk_add_f32 v[26:27], v[24:25], v[24:25] op_sel:[0,1] op_sel_hi:[1,0]
	s_nop 0
	v_pk_add_f32 v[20:21], v[20:21], v[26:27] op_sel:[1,0] op_sel_hi:[0,1]
	v_mov_b32_e32 v25, v20
	v_pk_add_f32 v[28:29], v[24:25], v[30:31] neg_lo:[0,1] neg_hi:[0,1]
	v_mov_b32_e32 v23, v26
	v_sub_f32_e32 v13, v24, v28
	v_pk_add_f32 v[22:23], v[22:23], v[28:29] neg_lo:[0,1] neg_hi:[0,1]
	v_sub_f32_e32 v13, v30, v13
	v_add_f32_e32 v13, v22, v13
	v_add_f32_e32 v13, v13, v23
	;; [unrolled: 1-line block ×3, first 2 shown]
	v_cndmask_b32_e64 v13, v18, v13, s[0:1]
	s_mov_b32 s0, 0x33800000
	v_cmp_lt_f32_e64 s[0:1], |v1|, s0
	s_nop 1
	v_cndmask_b32_e64 v1, v13, v1, s[0:1]
	v_add_f32_e32 v1, v17, v1
	v_cvt_f16_f32_e32 v21, v1
	v_cvt_f32_f16_e32 v1, v21
	v_mov_b32_e32 v13, v21
.LBB387_108:
	s_or_b64 exec, exec, s[26:27]
	v_max_f32_e32 v17, v7, v7
	v_max_f32_e32 v20, v1, v1
	v_min_f32_e32 v18, v20, v17
	v_cmp_u_f16_e64 s[0:1], v21, v21
	v_max_f32_e32 v17, v20, v17
	s_nop 0
	v_cndmask_b32_e64 v18, v18, v1, s[0:1]
	v_cndmask_b32_e64 v17, v17, v1, s[0:1]
	;; [unrolled: 1-line block ×4, first 2 shown]
	v_cmp_neq_f32_e64 s[0:1], v18, v17
	v_cmp_class_f32_e64 s[26:27], v18, s28
	s_or_b64 s[0:1], s[0:1], s[26:27]
	v_mov_b32_e32 v7, v13
	s_and_saveexec_b64 s[26:27], s[0:1]
	s_cbranch_execz .LBB387_110
; %bb.109:
	v_sub_f32_e32 v1, v18, v17
	s_mov_b32 s0, 0x3fb8aa3b
	v_mul_f32_e32 v7, 0x3fb8aa3b, v1
	v_fma_f32 v18, v1, s0, -v7
	v_rndne_f32_e32 v20, v7
	v_fmamk_f32 v18, v1, 0x32a5705f, v18
	v_sub_f32_e32 v7, v7, v20
	v_add_f32_e32 v7, v7, v18
	v_exp_f32_e32 v7, v7
	v_cvt_i32_f32_e32 v18, v20
	s_mov_b32 s0, 0xc2ce8ed0
	v_cmp_ngt_f32_e64 s[0:1], s0, v1
	s_mov_b32 s28, 0x7f800000
	v_ldexp_f32 v7, v7, v18
	v_cndmask_b32_e64 v7, 0, v7, s[0:1]
	s_mov_b32 s0, 0x42b17218
	v_mov_b32_e32 v18, 0x7f800000
	v_cmp_nlt_f32_e64 s[0:1], s0, v1
	s_nop 1
	v_cndmask_b32_e64 v1, v18, v7, s[0:1]
	v_add_f32_e32 v7, 1.0, v1
	v_add_f32_e32 v20, -1.0, v7
	v_sub_f32_e32 v21, v20, v7
	v_add_f32_e32 v21, 1.0, v21
	v_sub_f32_e32 v20, v1, v20
	s_waitcnt lgkmcnt(0)
	v_add_f32_e32 v22, v20, v21
	v_frexp_mant_f32_e32 v23, v7
	s_mov_b32 s0, 0x3f2aaaab
	v_cvt_f64_f32_e32 v[20:21], v7
	v_frexp_exp_i32_f64_e32 v20, v[20:21]
	v_cmp_gt_f32_e64 s[0:1], s0, v23
	s_nop 1
	v_subbrev_co_u32_e64 v28, s[0:1], 0, v20, s[0:1]
	v_sub_u32_e32 v20, 0, v28
	v_ldexp_f32 v7, v7, v20
	v_ldexp_f32 v20, v22, v20
	v_add_f32_e32 v22, -1.0, v7
	v_add_f32_e32 v21, 1.0, v22
	v_sub_f32_e32 v21, v7, v21
	v_add_f32_e32 v23, v20, v21
	v_add_f32_e32 v21, 1.0, v7
	v_add_f32_e32 v24, -1.0, v21
	v_sub_f32_e32 v7, v7, v24
	v_add_f32_e32 v7, v20, v7
	v_add_f32_e32 v29, v21, v7
	v_rcp_f32_e32 v30, v29
	v_sub_f32_e32 v20, v21, v29
	v_add_f32_e32 v21, v22, v23
	v_add_f32_e32 v7, v7, v20
	v_mul_f32_e32 v32, v21, v30
	v_sub_f32_e32 v20, v22, v21
	v_mul_f32_e32 v22, v29, v32
	v_fma_f32 v24, v32, v29, -v22
	v_fmac_f32_e32 v24, v32, v7
	v_add_f32_e32 v31, v23, v20
	v_add_f32_e32 v20, v22, v24
	v_sub_f32_e32 v23, v21, v20
	v_pk_add_f32 v[26:27], v[20:21], v[22:23] neg_lo:[0,1] neg_hi:[0,1]
	v_mov_b32_e32 v25, v20
	v_pk_add_f32 v[20:21], v[26:27], v[24:25] neg_lo:[0,1] neg_hi:[0,1]
	s_mov_b32 s0, 0x3f317218
	v_add_f32_e32 v21, v31, v21
	v_add_f32_e32 v20, v20, v21
	;; [unrolled: 1-line block ×3, first 2 shown]
	v_mul_f32_e32 v31, v30, v21
	v_mul_f32_e32 v22, v29, v31
	v_fma_f32 v24, v31, v29, -v22
	v_fmac_f32_e32 v24, v31, v7
	v_sub_f32_e32 v7, v23, v21
	v_add_f32_e32 v7, v20, v7
	v_add_f32_e32 v20, v22, v24
	v_sub_f32_e32 v23, v21, v20
	v_pk_add_f32 v[26:27], v[20:21], v[22:23] neg_lo:[0,1] neg_hi:[0,1]
	v_mov_b32_e32 v25, v20
	v_pk_add_f32 v[20:21], v[26:27], v[24:25] neg_lo:[0,1] neg_hi:[0,1]
	v_cvt_f32_i32_e32 v22, v28
	v_add_f32_e32 v7, v7, v21
	v_add_f32_e32 v7, v20, v7
	;; [unrolled: 1-line block ×4, first 2 shown]
	v_sub_f32_e32 v21, v20, v32
	v_mul_f32_e32 v7, v30, v7
	v_sub_f32_e32 v21, v31, v21
	v_add_f32_e32 v7, v21, v7
	v_add_f32_e32 v23, v20, v7
	v_mul_f32_e32 v24, v23, v23
	v_mov_b32_e32 v21, 0x3ecc95a3
	v_fmac_f32_e32 v21, 0x3e9b6dac, v24
	v_sub_f32_e32 v20, v23, v20
	v_fmaak_f32 v21, v24, v21, 0x3f2aaada
	v_sub_f32_e32 v7, v7, v20
	v_ldexp_f32 v25, v23, 1
	v_mul_f32_e32 v23, v23, v24
	v_mov_b32_e32 v20, 0x3f317218
	v_pk_mul_f32 v[20:21], v[22:23], v[20:21]
	v_ldexp_f32 v7, v7, 1
	v_fma_f32 v23, v22, s0, -v20
	v_fmamk_f32 v24, v22, 0xb102e308, v23
	v_pk_add_f32 v[22:23], v[20:21], v[24:25]
	v_mov_b32_e32 v26, v20
	v_sub_f32_e32 v25, v23, v25
	v_sub_f32_e32 v25, v21, v25
	v_add_f32_e32 v27, v7, v25
	v_pk_add_f32 v[20:21], v[22:23], v[20:21] neg_lo:[0,1] neg_hi:[0,1]
	v_pk_add_f32 v[28:29], v[22:23], v[26:27]
	v_mov_b32_e32 v25, v22
	v_mov_b32_e32 v21, v29
	v_pk_add_f32 v[30:31], v[24:25], v[20:21] neg_lo:[0,1] neg_hi:[0,1]
	v_pk_add_f32 v[20:21], v[24:25], v[20:21]
	v_mov_b32_e32 v26, v27
	v_pk_add_f32 v[24:25], v[20:21], v[22:23] op_sel:[1,0] op_sel_hi:[0,1] neg_lo:[0,1] neg_hi:[0,1]
	v_pk_add_f32 v[32:33], v[28:29], v[24:25] op_sel_hi:[1,0] neg_lo:[0,1] neg_hi:[0,1]
	v_mov_b32_e32 v28, v29
	v_mov_b32_e32 v29, v21
	v_pk_mov_b32 v[24:25], v[22:23], v[24:25] op_sel:[1,0]
	v_mov_b32_e32 v27, v22
	v_pk_add_f32 v[24:25], v[28:29], v[24:25] neg_lo:[0,1] neg_hi:[0,1]
	v_mov_b32_e32 v32, v30
	v_pk_add_f32 v[22:23], v[26:27], v[24:25] neg_lo:[0,1] neg_hi:[0,1]
	v_mov_b32_e32 v31, v21
	v_pk_add_f32 v[24:25], v[32:33], v[22:23]
	v_cmp_neq_f32_e64 s[0:1], s28, v1
	v_pk_add_f32 v[26:27], v[24:25], v[24:25] op_sel:[0,1] op_sel_hi:[1,0]
	s_nop 0
	v_pk_add_f32 v[20:21], v[20:21], v[26:27] op_sel:[1,0] op_sel_hi:[0,1]
	v_mov_b32_e32 v25, v20
	v_pk_add_f32 v[28:29], v[24:25], v[30:31] neg_lo:[0,1] neg_hi:[0,1]
	v_mov_b32_e32 v23, v26
	v_sub_f32_e32 v7, v24, v28
	v_pk_add_f32 v[22:23], v[22:23], v[28:29] neg_lo:[0,1] neg_hi:[0,1]
	v_sub_f32_e32 v7, v30, v7
	v_add_f32_e32 v7, v22, v7
	v_add_f32_e32 v7, v7, v23
	;; [unrolled: 1-line block ×3, first 2 shown]
	v_cndmask_b32_e64 v7, v18, v7, s[0:1]
	s_mov_b32 s0, 0x33800000
	v_cmp_lt_f32_e64 s[0:1], |v1|, s0
	s_nop 1
	v_cndmask_b32_e64 v1, v7, v1, s[0:1]
	v_add_f32_e32 v1, v17, v1
	v_cvt_f16_f32_e32 v21, v1
	v_cvt_f32_f16_e32 v1, v21
	v_mov_b32_e32 v7, v21
.LBB387_110:
	s_or_b64 exec, exec, s[26:27]
	v_max_f32_e32 v17, v14, v14
	v_max_f32_e32 v20, v1, v1
	v_min_f32_e32 v18, v20, v17
	v_cmp_u_f16_e64 s[0:1], v21, v21
	v_max_f32_e32 v17, v20, v17
	s_movk_i32 s28, 0x1f8
	v_cndmask_b32_e64 v18, v18, v1, s[0:1]
	v_cndmask_b32_e64 v17, v17, v1, s[0:1]
	;; [unrolled: 1-line block ×4, first 2 shown]
	v_cmp_neq_f32_e64 s[0:1], v18, v17
	v_cmp_class_f32_e64 s[26:27], v18, s28
	s_or_b64 s[0:1], s[0:1], s[26:27]
	v_mov_b32_e32 v14, v7
	s_and_saveexec_b64 s[26:27], s[0:1]
	s_cbranch_execz .LBB387_112
; %bb.111:
	v_sub_f32_e32 v1, v18, v17
	s_mov_b32 s0, 0x3fb8aa3b
	v_mul_f32_e32 v14, 0x3fb8aa3b, v1
	v_fma_f32 v18, v1, s0, -v14
	v_rndne_f32_e32 v20, v14
	v_fmamk_f32 v18, v1, 0x32a5705f, v18
	v_sub_f32_e32 v14, v14, v20
	v_add_f32_e32 v14, v14, v18
	v_exp_f32_e32 v14, v14
	v_cvt_i32_f32_e32 v18, v20
	s_mov_b32 s0, 0xc2ce8ed0
	v_cmp_ngt_f32_e64 s[0:1], s0, v1
	s_mov_b32 s29, 0x7f800000
	v_ldexp_f32 v14, v14, v18
	v_cndmask_b32_e64 v14, 0, v14, s[0:1]
	s_mov_b32 s0, 0x42b17218
	v_mov_b32_e32 v18, 0x7f800000
	v_cmp_nlt_f32_e64 s[0:1], s0, v1
	s_nop 1
	v_cndmask_b32_e64 v1, v18, v14, s[0:1]
	v_add_f32_e32 v14, 1.0, v1
	v_add_f32_e32 v20, -1.0, v14
	v_sub_f32_e32 v21, v20, v14
	v_add_f32_e32 v21, 1.0, v21
	v_sub_f32_e32 v20, v1, v20
	s_waitcnt lgkmcnt(0)
	v_add_f32_e32 v22, v20, v21
	v_frexp_mant_f32_e32 v23, v14
	s_mov_b32 s0, 0x3f2aaaab
	v_cvt_f64_f32_e32 v[20:21], v14
	v_frexp_exp_i32_f64_e32 v20, v[20:21]
	v_cmp_gt_f32_e64 s[0:1], s0, v23
	s_nop 1
	v_subbrev_co_u32_e64 v28, s[0:1], 0, v20, s[0:1]
	v_sub_u32_e32 v20, 0, v28
	v_ldexp_f32 v14, v14, v20
	v_ldexp_f32 v20, v22, v20
	v_add_f32_e32 v22, -1.0, v14
	v_add_f32_e32 v21, 1.0, v22
	v_sub_f32_e32 v21, v14, v21
	v_add_f32_e32 v23, v20, v21
	v_add_f32_e32 v21, 1.0, v14
	v_add_f32_e32 v24, -1.0, v21
	v_sub_f32_e32 v14, v14, v24
	v_add_f32_e32 v14, v20, v14
	v_add_f32_e32 v29, v21, v14
	v_rcp_f32_e32 v30, v29
	v_sub_f32_e32 v20, v21, v29
	v_add_f32_e32 v21, v22, v23
	v_add_f32_e32 v14, v14, v20
	v_mul_f32_e32 v32, v21, v30
	v_sub_f32_e32 v20, v22, v21
	v_mul_f32_e32 v22, v29, v32
	v_fma_f32 v24, v32, v29, -v22
	v_fmac_f32_e32 v24, v32, v14
	v_add_f32_e32 v31, v23, v20
	v_add_f32_e32 v20, v22, v24
	v_sub_f32_e32 v23, v21, v20
	v_pk_add_f32 v[26:27], v[20:21], v[22:23] neg_lo:[0,1] neg_hi:[0,1]
	v_mov_b32_e32 v25, v20
	v_pk_add_f32 v[20:21], v[26:27], v[24:25] neg_lo:[0,1] neg_hi:[0,1]
	s_mov_b32 s0, 0x3f317218
	v_add_f32_e32 v21, v31, v21
	v_add_f32_e32 v20, v20, v21
	;; [unrolled: 1-line block ×3, first 2 shown]
	v_mul_f32_e32 v31, v30, v21
	v_mul_f32_e32 v22, v29, v31
	v_fma_f32 v24, v31, v29, -v22
	v_fmac_f32_e32 v24, v31, v14
	v_sub_f32_e32 v14, v23, v21
	v_add_f32_e32 v14, v20, v14
	v_add_f32_e32 v20, v22, v24
	v_sub_f32_e32 v23, v21, v20
	v_pk_add_f32 v[26:27], v[20:21], v[22:23] neg_lo:[0,1] neg_hi:[0,1]
	v_mov_b32_e32 v25, v20
	v_pk_add_f32 v[20:21], v[26:27], v[24:25] neg_lo:[0,1] neg_hi:[0,1]
	v_cvt_f32_i32_e32 v22, v28
	v_add_f32_e32 v14, v14, v21
	v_add_f32_e32 v14, v20, v14
	;; [unrolled: 1-line block ×4, first 2 shown]
	v_sub_f32_e32 v21, v20, v32
	v_mul_f32_e32 v14, v30, v14
	v_sub_f32_e32 v21, v31, v21
	v_add_f32_e32 v14, v21, v14
	v_add_f32_e32 v23, v20, v14
	v_mul_f32_e32 v24, v23, v23
	v_mov_b32_e32 v21, 0x3ecc95a3
	v_fmac_f32_e32 v21, 0x3e9b6dac, v24
	v_sub_f32_e32 v20, v23, v20
	v_fmaak_f32 v21, v24, v21, 0x3f2aaada
	v_sub_f32_e32 v14, v14, v20
	v_ldexp_f32 v25, v23, 1
	v_mul_f32_e32 v23, v23, v24
	v_mov_b32_e32 v20, 0x3f317218
	v_pk_mul_f32 v[20:21], v[22:23], v[20:21]
	v_ldexp_f32 v14, v14, 1
	v_fma_f32 v23, v22, s0, -v20
	v_fmamk_f32 v24, v22, 0xb102e308, v23
	v_pk_add_f32 v[22:23], v[20:21], v[24:25]
	v_mov_b32_e32 v26, v20
	v_sub_f32_e32 v25, v23, v25
	v_sub_f32_e32 v25, v21, v25
	v_add_f32_e32 v27, v14, v25
	v_pk_add_f32 v[20:21], v[22:23], v[20:21] neg_lo:[0,1] neg_hi:[0,1]
	v_pk_add_f32 v[28:29], v[22:23], v[26:27]
	v_mov_b32_e32 v25, v22
	v_mov_b32_e32 v21, v29
	v_pk_add_f32 v[30:31], v[24:25], v[20:21] neg_lo:[0,1] neg_hi:[0,1]
	v_pk_add_f32 v[20:21], v[24:25], v[20:21]
	v_mov_b32_e32 v26, v27
	v_pk_add_f32 v[24:25], v[20:21], v[22:23] op_sel:[1,0] op_sel_hi:[0,1] neg_lo:[0,1] neg_hi:[0,1]
	v_pk_add_f32 v[32:33], v[28:29], v[24:25] op_sel_hi:[1,0] neg_lo:[0,1] neg_hi:[0,1]
	v_mov_b32_e32 v28, v29
	v_mov_b32_e32 v29, v21
	v_pk_mov_b32 v[24:25], v[22:23], v[24:25] op_sel:[1,0]
	v_mov_b32_e32 v27, v22
	v_pk_add_f32 v[24:25], v[28:29], v[24:25] neg_lo:[0,1] neg_hi:[0,1]
	v_mov_b32_e32 v32, v30
	v_pk_add_f32 v[22:23], v[26:27], v[24:25] neg_lo:[0,1] neg_hi:[0,1]
	v_mov_b32_e32 v31, v21
	v_pk_add_f32 v[24:25], v[32:33], v[22:23]
	v_cmp_neq_f32_e64 s[0:1], s29, v1
	v_pk_add_f32 v[26:27], v[24:25], v[24:25] op_sel:[0,1] op_sel_hi:[1,0]
	s_nop 0
	v_pk_add_f32 v[20:21], v[20:21], v[26:27] op_sel:[1,0] op_sel_hi:[0,1]
	v_mov_b32_e32 v25, v20
	v_pk_add_f32 v[28:29], v[24:25], v[30:31] neg_lo:[0,1] neg_hi:[0,1]
	v_mov_b32_e32 v23, v26
	v_sub_f32_e32 v14, v24, v28
	v_pk_add_f32 v[22:23], v[22:23], v[28:29] neg_lo:[0,1] neg_hi:[0,1]
	v_sub_f32_e32 v14, v30, v14
	v_add_f32_e32 v14, v22, v14
	v_add_f32_e32 v14, v14, v23
	;; [unrolled: 1-line block ×3, first 2 shown]
	v_cndmask_b32_e64 v14, v18, v14, s[0:1]
	s_mov_b32 s0, 0x33800000
	v_cmp_lt_f32_e64 s[0:1], |v1|, s0
	s_nop 1
	v_cndmask_b32_e64 v1, v14, v1, s[0:1]
	v_add_f32_e32 v1, v17, v1
	v_cvt_f16_f32_e32 v21, v1
	v_cvt_f32_f16_e32 v1, v21
	v_mov_b32_e32 v14, v21
.LBB387_112:
	s_or_b64 exec, exec, s[26:27]
	v_max_f32_e32 v17, v4, v4
	v_max_f32_e32 v20, v1, v1
	v_min_f32_e32 v18, v20, v17
	v_cmp_u_f16_e64 s[0:1], v21, v21
	v_max_f32_e32 v17, v20, v17
	s_nop 0
	v_cndmask_b32_e64 v18, v18, v1, s[0:1]
	v_cndmask_b32_e64 v17, v17, v1, s[0:1]
	v_cndmask_b32_e64 v18, v18, v4, s[46:47]
	v_cndmask_b32_e64 v17, v17, v4, s[46:47]
	v_cmp_neq_f32_e64 s[0:1], v18, v17
	v_cmp_class_f32_e64 s[26:27], v18, s28
	s_or_b64 s[0:1], s[0:1], s[26:27]
	v_mov_b32_e32 v4, v14
	s_and_saveexec_b64 s[26:27], s[0:1]
	s_cbranch_execz .LBB387_114
; %bb.113:
	v_sub_f32_e32 v1, v18, v17
	s_mov_b32 s0, 0x3fb8aa3b
	v_mul_f32_e32 v4, 0x3fb8aa3b, v1
	v_fma_f32 v18, v1, s0, -v4
	v_rndne_f32_e32 v20, v4
	v_fmamk_f32 v18, v1, 0x32a5705f, v18
	v_sub_f32_e32 v4, v4, v20
	v_add_f32_e32 v4, v4, v18
	v_exp_f32_e32 v4, v4
	v_cvt_i32_f32_e32 v18, v20
	s_mov_b32 s0, 0xc2ce8ed0
	v_cmp_ngt_f32_e64 s[0:1], s0, v1
	s_mov_b32 s28, 0x7f800000
	v_ldexp_f32 v4, v4, v18
	v_cndmask_b32_e64 v4, 0, v4, s[0:1]
	s_mov_b32 s0, 0x42b17218
	v_mov_b32_e32 v18, 0x7f800000
	v_cmp_nlt_f32_e64 s[0:1], s0, v1
	s_nop 1
	v_cndmask_b32_e64 v1, v18, v4, s[0:1]
	v_add_f32_e32 v4, 1.0, v1
	v_add_f32_e32 v20, -1.0, v4
	v_sub_f32_e32 v21, v20, v4
	v_add_f32_e32 v21, 1.0, v21
	v_sub_f32_e32 v20, v1, v20
	s_waitcnt lgkmcnt(0)
	v_add_f32_e32 v22, v20, v21
	v_frexp_mant_f32_e32 v23, v4
	s_mov_b32 s0, 0x3f2aaaab
	v_cvt_f64_f32_e32 v[20:21], v4
	v_frexp_exp_i32_f64_e32 v20, v[20:21]
	v_cmp_gt_f32_e64 s[0:1], s0, v23
	s_nop 1
	v_subbrev_co_u32_e64 v28, s[0:1], 0, v20, s[0:1]
	v_sub_u32_e32 v20, 0, v28
	v_ldexp_f32 v4, v4, v20
	v_ldexp_f32 v20, v22, v20
	v_add_f32_e32 v22, -1.0, v4
	v_add_f32_e32 v21, 1.0, v22
	v_sub_f32_e32 v21, v4, v21
	v_add_f32_e32 v23, v20, v21
	v_add_f32_e32 v21, 1.0, v4
	v_add_f32_e32 v24, -1.0, v21
	v_sub_f32_e32 v4, v4, v24
	v_add_f32_e32 v4, v20, v4
	v_add_f32_e32 v29, v21, v4
	v_rcp_f32_e32 v30, v29
	v_sub_f32_e32 v20, v21, v29
	v_add_f32_e32 v21, v22, v23
	v_add_f32_e32 v4, v4, v20
	v_mul_f32_e32 v32, v21, v30
	v_sub_f32_e32 v20, v22, v21
	v_mul_f32_e32 v22, v29, v32
	v_fma_f32 v24, v32, v29, -v22
	v_fmac_f32_e32 v24, v32, v4
	v_add_f32_e32 v31, v23, v20
	v_add_f32_e32 v20, v22, v24
	v_sub_f32_e32 v23, v21, v20
	v_pk_add_f32 v[26:27], v[20:21], v[22:23] neg_lo:[0,1] neg_hi:[0,1]
	v_mov_b32_e32 v25, v20
	v_pk_add_f32 v[20:21], v[26:27], v[24:25] neg_lo:[0,1] neg_hi:[0,1]
	s_mov_b32 s0, 0x3f317218
	v_add_f32_e32 v21, v31, v21
	v_add_f32_e32 v20, v20, v21
	;; [unrolled: 1-line block ×3, first 2 shown]
	v_mul_f32_e32 v31, v30, v21
	v_mul_f32_e32 v22, v29, v31
	v_fma_f32 v24, v31, v29, -v22
	v_fmac_f32_e32 v24, v31, v4
	v_sub_f32_e32 v4, v23, v21
	v_add_f32_e32 v4, v20, v4
	v_add_f32_e32 v20, v22, v24
	v_sub_f32_e32 v23, v21, v20
	v_pk_add_f32 v[26:27], v[20:21], v[22:23] neg_lo:[0,1] neg_hi:[0,1]
	v_mov_b32_e32 v25, v20
	v_pk_add_f32 v[20:21], v[26:27], v[24:25] neg_lo:[0,1] neg_hi:[0,1]
	v_cvt_f32_i32_e32 v22, v28
	v_add_f32_e32 v4, v4, v21
	v_add_f32_e32 v4, v20, v4
	;; [unrolled: 1-line block ×4, first 2 shown]
	v_sub_f32_e32 v21, v20, v32
	v_mul_f32_e32 v4, v30, v4
	v_sub_f32_e32 v21, v31, v21
	v_add_f32_e32 v4, v21, v4
	v_add_f32_e32 v23, v20, v4
	v_mul_f32_e32 v24, v23, v23
	v_mov_b32_e32 v21, 0x3ecc95a3
	v_fmac_f32_e32 v21, 0x3e9b6dac, v24
	v_sub_f32_e32 v20, v23, v20
	v_fmaak_f32 v21, v24, v21, 0x3f2aaada
	v_sub_f32_e32 v4, v4, v20
	v_ldexp_f32 v25, v23, 1
	v_mul_f32_e32 v23, v23, v24
	v_mov_b32_e32 v20, 0x3f317218
	v_pk_mul_f32 v[20:21], v[22:23], v[20:21]
	v_ldexp_f32 v4, v4, 1
	v_fma_f32 v23, v22, s0, -v20
	v_fmamk_f32 v24, v22, 0xb102e308, v23
	v_pk_add_f32 v[22:23], v[20:21], v[24:25]
	v_mov_b32_e32 v26, v20
	v_sub_f32_e32 v25, v23, v25
	v_sub_f32_e32 v25, v21, v25
	v_add_f32_e32 v27, v4, v25
	v_pk_add_f32 v[20:21], v[22:23], v[20:21] neg_lo:[0,1] neg_hi:[0,1]
	v_pk_add_f32 v[28:29], v[22:23], v[26:27]
	v_mov_b32_e32 v25, v22
	v_mov_b32_e32 v21, v29
	v_pk_add_f32 v[30:31], v[24:25], v[20:21] neg_lo:[0,1] neg_hi:[0,1]
	v_pk_add_f32 v[20:21], v[24:25], v[20:21]
	v_mov_b32_e32 v26, v27
	v_pk_add_f32 v[24:25], v[20:21], v[22:23] op_sel:[1,0] op_sel_hi:[0,1] neg_lo:[0,1] neg_hi:[0,1]
	v_pk_add_f32 v[32:33], v[28:29], v[24:25] op_sel_hi:[1,0] neg_lo:[0,1] neg_hi:[0,1]
	v_mov_b32_e32 v28, v29
	v_mov_b32_e32 v29, v21
	v_pk_mov_b32 v[24:25], v[22:23], v[24:25] op_sel:[1,0]
	v_mov_b32_e32 v27, v22
	v_pk_add_f32 v[24:25], v[28:29], v[24:25] neg_lo:[0,1] neg_hi:[0,1]
	v_mov_b32_e32 v32, v30
	v_pk_add_f32 v[22:23], v[26:27], v[24:25] neg_lo:[0,1] neg_hi:[0,1]
	v_mov_b32_e32 v31, v21
	v_pk_add_f32 v[24:25], v[32:33], v[22:23]
	v_cmp_neq_f32_e64 s[0:1], s28, v1
	v_pk_add_f32 v[26:27], v[24:25], v[24:25] op_sel:[0,1] op_sel_hi:[1,0]
	s_nop 0
	v_pk_add_f32 v[20:21], v[20:21], v[26:27] op_sel:[1,0] op_sel_hi:[0,1]
	v_mov_b32_e32 v25, v20
	v_pk_add_f32 v[28:29], v[24:25], v[30:31] neg_lo:[0,1] neg_hi:[0,1]
	v_mov_b32_e32 v23, v26
	v_sub_f32_e32 v4, v24, v28
	v_pk_add_f32 v[22:23], v[22:23], v[28:29] neg_lo:[0,1] neg_hi:[0,1]
	v_sub_f32_e32 v4, v30, v4
	v_add_f32_e32 v4, v22, v4
	v_add_f32_e32 v4, v4, v23
	;; [unrolled: 1-line block ×3, first 2 shown]
	v_cndmask_b32_e64 v4, v18, v4, s[0:1]
	s_mov_b32 s0, 0x33800000
	v_cmp_lt_f32_e64 s[0:1], |v1|, s0
	s_nop 1
	v_cndmask_b32_e64 v1, v4, v1, s[0:1]
	v_add_f32_e32 v1, v17, v1
	v_cvt_f16_f32_e32 v21, v1
	v_cvt_f32_f16_e32 v1, v21
	v_mov_b32_e32 v4, v21
.LBB387_114:
	s_or_b64 exec, exec, s[26:27]
	v_max_f32_e32 v17, v15, v15
	v_max_f32_e32 v20, v1, v1
	v_min_f32_e32 v18, v20, v17
	v_cmp_u_f16_e64 s[0:1], v21, v21
	v_max_f32_e32 v17, v20, v17
	s_movk_i32 s28, 0x1f8
	v_cndmask_b32_e64 v18, v18, v1, s[0:1]
	v_cndmask_b32_e64 v17, v17, v1, s[0:1]
	;; [unrolled: 1-line block ×4, first 2 shown]
	v_cmp_neq_f32_e64 s[0:1], v18, v17
	v_cmp_class_f32_e64 s[26:27], v18, s28
	s_or_b64 s[0:1], s[0:1], s[26:27]
	v_mov_b32_e32 v15, v4
	s_and_saveexec_b64 s[26:27], s[0:1]
	s_cbranch_execz .LBB387_116
; %bb.115:
	v_sub_f32_e32 v1, v18, v17
	s_mov_b32 s0, 0x3fb8aa3b
	v_mul_f32_e32 v15, 0x3fb8aa3b, v1
	v_fma_f32 v18, v1, s0, -v15
	v_rndne_f32_e32 v20, v15
	v_fmamk_f32 v18, v1, 0x32a5705f, v18
	v_sub_f32_e32 v15, v15, v20
	v_add_f32_e32 v15, v15, v18
	v_exp_f32_e32 v15, v15
	v_cvt_i32_f32_e32 v18, v20
	s_mov_b32 s0, 0xc2ce8ed0
	v_cmp_ngt_f32_e64 s[0:1], s0, v1
	s_mov_b32 s29, 0x7f800000
	v_ldexp_f32 v15, v15, v18
	v_cndmask_b32_e64 v15, 0, v15, s[0:1]
	s_mov_b32 s0, 0x42b17218
	v_mov_b32_e32 v18, 0x7f800000
	v_cmp_nlt_f32_e64 s[0:1], s0, v1
	s_nop 1
	v_cndmask_b32_e64 v1, v18, v15, s[0:1]
	v_add_f32_e32 v15, 1.0, v1
	v_add_f32_e32 v20, -1.0, v15
	v_sub_f32_e32 v21, v20, v15
	v_add_f32_e32 v21, 1.0, v21
	v_sub_f32_e32 v20, v1, v20
	s_waitcnt lgkmcnt(0)
	v_add_f32_e32 v22, v20, v21
	v_frexp_mant_f32_e32 v23, v15
	s_mov_b32 s0, 0x3f2aaaab
	v_cvt_f64_f32_e32 v[20:21], v15
	v_frexp_exp_i32_f64_e32 v20, v[20:21]
	v_cmp_gt_f32_e64 s[0:1], s0, v23
	s_nop 1
	v_subbrev_co_u32_e64 v28, s[0:1], 0, v20, s[0:1]
	v_sub_u32_e32 v20, 0, v28
	v_ldexp_f32 v15, v15, v20
	v_ldexp_f32 v20, v22, v20
	v_add_f32_e32 v22, -1.0, v15
	v_add_f32_e32 v21, 1.0, v22
	v_sub_f32_e32 v21, v15, v21
	v_add_f32_e32 v23, v20, v21
	v_add_f32_e32 v21, 1.0, v15
	v_add_f32_e32 v24, -1.0, v21
	v_sub_f32_e32 v15, v15, v24
	v_add_f32_e32 v15, v20, v15
	v_add_f32_e32 v29, v21, v15
	v_rcp_f32_e32 v30, v29
	v_sub_f32_e32 v20, v21, v29
	v_add_f32_e32 v21, v22, v23
	v_add_f32_e32 v15, v15, v20
	v_mul_f32_e32 v32, v21, v30
	v_sub_f32_e32 v20, v22, v21
	v_mul_f32_e32 v22, v29, v32
	v_fma_f32 v24, v32, v29, -v22
	v_fmac_f32_e32 v24, v32, v15
	v_add_f32_e32 v31, v23, v20
	v_add_f32_e32 v20, v22, v24
	v_sub_f32_e32 v23, v21, v20
	v_pk_add_f32 v[26:27], v[20:21], v[22:23] neg_lo:[0,1] neg_hi:[0,1]
	v_mov_b32_e32 v25, v20
	v_pk_add_f32 v[20:21], v[26:27], v[24:25] neg_lo:[0,1] neg_hi:[0,1]
	s_mov_b32 s0, 0x3f317218
	v_add_f32_e32 v21, v31, v21
	v_add_f32_e32 v20, v20, v21
	;; [unrolled: 1-line block ×3, first 2 shown]
	v_mul_f32_e32 v31, v30, v21
	v_mul_f32_e32 v22, v29, v31
	v_fma_f32 v24, v31, v29, -v22
	v_fmac_f32_e32 v24, v31, v15
	v_sub_f32_e32 v15, v23, v21
	v_add_f32_e32 v15, v20, v15
	v_add_f32_e32 v20, v22, v24
	v_sub_f32_e32 v23, v21, v20
	v_pk_add_f32 v[26:27], v[20:21], v[22:23] neg_lo:[0,1] neg_hi:[0,1]
	v_mov_b32_e32 v25, v20
	v_pk_add_f32 v[20:21], v[26:27], v[24:25] neg_lo:[0,1] neg_hi:[0,1]
	v_cvt_f32_i32_e32 v22, v28
	v_add_f32_e32 v15, v15, v21
	v_add_f32_e32 v15, v20, v15
	;; [unrolled: 1-line block ×4, first 2 shown]
	v_sub_f32_e32 v21, v20, v32
	v_mul_f32_e32 v15, v30, v15
	v_sub_f32_e32 v21, v31, v21
	v_add_f32_e32 v15, v21, v15
	v_add_f32_e32 v23, v20, v15
	v_mul_f32_e32 v24, v23, v23
	v_mov_b32_e32 v21, 0x3ecc95a3
	v_fmac_f32_e32 v21, 0x3e9b6dac, v24
	v_sub_f32_e32 v20, v23, v20
	v_fmaak_f32 v21, v24, v21, 0x3f2aaada
	v_sub_f32_e32 v15, v15, v20
	v_ldexp_f32 v25, v23, 1
	v_mul_f32_e32 v23, v23, v24
	v_mov_b32_e32 v20, 0x3f317218
	v_pk_mul_f32 v[20:21], v[22:23], v[20:21]
	v_ldexp_f32 v15, v15, 1
	v_fma_f32 v23, v22, s0, -v20
	v_fmamk_f32 v24, v22, 0xb102e308, v23
	v_pk_add_f32 v[22:23], v[20:21], v[24:25]
	v_mov_b32_e32 v26, v20
	v_sub_f32_e32 v25, v23, v25
	v_sub_f32_e32 v25, v21, v25
	v_add_f32_e32 v27, v15, v25
	v_pk_add_f32 v[20:21], v[22:23], v[20:21] neg_lo:[0,1] neg_hi:[0,1]
	v_pk_add_f32 v[28:29], v[22:23], v[26:27]
	v_mov_b32_e32 v25, v22
	v_mov_b32_e32 v21, v29
	v_pk_add_f32 v[30:31], v[24:25], v[20:21] neg_lo:[0,1] neg_hi:[0,1]
	v_pk_add_f32 v[20:21], v[24:25], v[20:21]
	v_mov_b32_e32 v26, v27
	v_pk_add_f32 v[24:25], v[20:21], v[22:23] op_sel:[1,0] op_sel_hi:[0,1] neg_lo:[0,1] neg_hi:[0,1]
	v_pk_add_f32 v[32:33], v[28:29], v[24:25] op_sel_hi:[1,0] neg_lo:[0,1] neg_hi:[0,1]
	v_mov_b32_e32 v28, v29
	v_mov_b32_e32 v29, v21
	v_pk_mov_b32 v[24:25], v[22:23], v[24:25] op_sel:[1,0]
	v_mov_b32_e32 v27, v22
	v_pk_add_f32 v[24:25], v[28:29], v[24:25] neg_lo:[0,1] neg_hi:[0,1]
	v_mov_b32_e32 v32, v30
	v_pk_add_f32 v[22:23], v[26:27], v[24:25] neg_lo:[0,1] neg_hi:[0,1]
	v_mov_b32_e32 v31, v21
	v_pk_add_f32 v[24:25], v[32:33], v[22:23]
	v_cmp_neq_f32_e64 s[0:1], s29, v1
	v_pk_add_f32 v[26:27], v[24:25], v[24:25] op_sel:[0,1] op_sel_hi:[1,0]
	s_nop 0
	v_pk_add_f32 v[20:21], v[20:21], v[26:27] op_sel:[1,0] op_sel_hi:[0,1]
	v_mov_b32_e32 v25, v20
	v_pk_add_f32 v[28:29], v[24:25], v[30:31] neg_lo:[0,1] neg_hi:[0,1]
	v_mov_b32_e32 v23, v26
	v_sub_f32_e32 v15, v24, v28
	v_pk_add_f32 v[22:23], v[22:23], v[28:29] neg_lo:[0,1] neg_hi:[0,1]
	v_sub_f32_e32 v15, v30, v15
	v_add_f32_e32 v15, v22, v15
	v_add_f32_e32 v15, v15, v23
	;; [unrolled: 1-line block ×3, first 2 shown]
	v_cndmask_b32_e64 v15, v18, v15, s[0:1]
	s_mov_b32 s0, 0x33800000
	v_cmp_lt_f32_e64 s[0:1], |v1|, s0
	s_nop 1
	v_cndmask_b32_e64 v1, v15, v1, s[0:1]
	v_add_f32_e32 v1, v17, v1
	v_cvt_f16_f32_e32 v21, v1
	v_cvt_f32_f16_e32 v1, v21
	v_mov_b32_e32 v15, v21
.LBB387_116:
	s_or_b64 exec, exec, s[26:27]
	v_max_f32_e32 v17, v5, v5
	v_max_f32_e32 v20, v1, v1
	v_min_f32_e32 v18, v20, v17
	v_cmp_u_f16_e64 s[0:1], v21, v21
	v_max_f32_e32 v17, v20, v17
	s_nop 0
	v_cndmask_b32_e64 v18, v18, v1, s[0:1]
	v_cndmask_b32_e64 v17, v17, v1, s[0:1]
	;; [unrolled: 1-line block ×4, first 2 shown]
	v_cmp_neq_f32_e64 s[0:1], v18, v17
	v_cmp_class_f32_e64 s[26:27], v18, s28
	s_or_b64 s[0:1], s[0:1], s[26:27]
	v_mov_b32_e32 v5, v15
	s_and_saveexec_b64 s[26:27], s[0:1]
	s_cbranch_execz .LBB387_118
; %bb.117:
	v_sub_f32_e32 v1, v18, v17
	s_mov_b32 s0, 0x3fb8aa3b
	v_mul_f32_e32 v5, 0x3fb8aa3b, v1
	v_fma_f32 v18, v1, s0, -v5
	v_rndne_f32_e32 v20, v5
	v_fmamk_f32 v18, v1, 0x32a5705f, v18
	v_sub_f32_e32 v5, v5, v20
	v_add_f32_e32 v5, v5, v18
	v_exp_f32_e32 v5, v5
	v_cvt_i32_f32_e32 v18, v20
	s_mov_b32 s0, 0xc2ce8ed0
	v_cmp_ngt_f32_e64 s[0:1], s0, v1
	s_mov_b32 s28, 0x7f800000
	v_ldexp_f32 v5, v5, v18
	v_cndmask_b32_e64 v5, 0, v5, s[0:1]
	s_mov_b32 s0, 0x42b17218
	v_mov_b32_e32 v18, 0x7f800000
	v_cmp_nlt_f32_e64 s[0:1], s0, v1
	s_nop 1
	v_cndmask_b32_e64 v1, v18, v5, s[0:1]
	v_add_f32_e32 v5, 1.0, v1
	v_add_f32_e32 v20, -1.0, v5
	v_sub_f32_e32 v21, v20, v5
	v_add_f32_e32 v21, 1.0, v21
	v_sub_f32_e32 v20, v1, v20
	s_waitcnt lgkmcnt(0)
	v_add_f32_e32 v22, v20, v21
	v_frexp_mant_f32_e32 v23, v5
	s_mov_b32 s0, 0x3f2aaaab
	v_cvt_f64_f32_e32 v[20:21], v5
	v_frexp_exp_i32_f64_e32 v20, v[20:21]
	v_cmp_gt_f32_e64 s[0:1], s0, v23
	s_nop 1
	v_subbrev_co_u32_e64 v28, s[0:1], 0, v20, s[0:1]
	v_sub_u32_e32 v20, 0, v28
	v_ldexp_f32 v5, v5, v20
	v_ldexp_f32 v20, v22, v20
	v_add_f32_e32 v22, -1.0, v5
	v_add_f32_e32 v21, 1.0, v22
	v_sub_f32_e32 v21, v5, v21
	v_add_f32_e32 v23, v20, v21
	v_add_f32_e32 v21, 1.0, v5
	v_add_f32_e32 v24, -1.0, v21
	v_sub_f32_e32 v5, v5, v24
	v_add_f32_e32 v5, v20, v5
	v_add_f32_e32 v29, v21, v5
	v_rcp_f32_e32 v30, v29
	v_sub_f32_e32 v20, v21, v29
	v_add_f32_e32 v21, v22, v23
	v_add_f32_e32 v5, v5, v20
	v_mul_f32_e32 v32, v21, v30
	v_sub_f32_e32 v20, v22, v21
	v_mul_f32_e32 v22, v29, v32
	v_fma_f32 v24, v32, v29, -v22
	v_fmac_f32_e32 v24, v32, v5
	v_add_f32_e32 v31, v23, v20
	v_add_f32_e32 v20, v22, v24
	v_sub_f32_e32 v23, v21, v20
	v_pk_add_f32 v[26:27], v[20:21], v[22:23] neg_lo:[0,1] neg_hi:[0,1]
	v_mov_b32_e32 v25, v20
	v_pk_add_f32 v[20:21], v[26:27], v[24:25] neg_lo:[0,1] neg_hi:[0,1]
	s_mov_b32 s0, 0x3f317218
	v_add_f32_e32 v21, v31, v21
	v_add_f32_e32 v20, v20, v21
	;; [unrolled: 1-line block ×3, first 2 shown]
	v_mul_f32_e32 v31, v30, v21
	v_mul_f32_e32 v22, v29, v31
	v_fma_f32 v24, v31, v29, -v22
	v_fmac_f32_e32 v24, v31, v5
	v_sub_f32_e32 v5, v23, v21
	v_add_f32_e32 v5, v20, v5
	v_add_f32_e32 v20, v22, v24
	v_sub_f32_e32 v23, v21, v20
	v_pk_add_f32 v[26:27], v[20:21], v[22:23] neg_lo:[0,1] neg_hi:[0,1]
	v_mov_b32_e32 v25, v20
	v_pk_add_f32 v[20:21], v[26:27], v[24:25] neg_lo:[0,1] neg_hi:[0,1]
	v_cvt_f32_i32_e32 v22, v28
	v_add_f32_e32 v5, v5, v21
	v_add_f32_e32 v5, v20, v5
	;; [unrolled: 1-line block ×4, first 2 shown]
	v_sub_f32_e32 v21, v20, v32
	v_mul_f32_e32 v5, v30, v5
	v_sub_f32_e32 v21, v31, v21
	v_add_f32_e32 v5, v21, v5
	v_add_f32_e32 v23, v20, v5
	v_mul_f32_e32 v24, v23, v23
	v_mov_b32_e32 v21, 0x3ecc95a3
	v_fmac_f32_e32 v21, 0x3e9b6dac, v24
	v_sub_f32_e32 v20, v23, v20
	v_fmaak_f32 v21, v24, v21, 0x3f2aaada
	v_sub_f32_e32 v5, v5, v20
	v_ldexp_f32 v25, v23, 1
	v_mul_f32_e32 v23, v23, v24
	v_mov_b32_e32 v20, 0x3f317218
	v_pk_mul_f32 v[20:21], v[22:23], v[20:21]
	v_ldexp_f32 v5, v5, 1
	v_fma_f32 v23, v22, s0, -v20
	v_fmamk_f32 v24, v22, 0xb102e308, v23
	v_pk_add_f32 v[22:23], v[20:21], v[24:25]
	v_mov_b32_e32 v26, v20
	v_sub_f32_e32 v25, v23, v25
	v_sub_f32_e32 v25, v21, v25
	v_add_f32_e32 v27, v5, v25
	v_pk_add_f32 v[20:21], v[22:23], v[20:21] neg_lo:[0,1] neg_hi:[0,1]
	v_pk_add_f32 v[28:29], v[22:23], v[26:27]
	v_mov_b32_e32 v25, v22
	v_mov_b32_e32 v21, v29
	v_pk_add_f32 v[30:31], v[24:25], v[20:21] neg_lo:[0,1] neg_hi:[0,1]
	v_pk_add_f32 v[20:21], v[24:25], v[20:21]
	v_mov_b32_e32 v26, v27
	v_pk_add_f32 v[24:25], v[20:21], v[22:23] op_sel:[1,0] op_sel_hi:[0,1] neg_lo:[0,1] neg_hi:[0,1]
	v_pk_add_f32 v[32:33], v[28:29], v[24:25] op_sel_hi:[1,0] neg_lo:[0,1] neg_hi:[0,1]
	v_mov_b32_e32 v28, v29
	v_mov_b32_e32 v29, v21
	v_pk_mov_b32 v[24:25], v[22:23], v[24:25] op_sel:[1,0]
	v_mov_b32_e32 v27, v22
	v_pk_add_f32 v[24:25], v[28:29], v[24:25] neg_lo:[0,1] neg_hi:[0,1]
	v_mov_b32_e32 v32, v30
	v_pk_add_f32 v[22:23], v[26:27], v[24:25] neg_lo:[0,1] neg_hi:[0,1]
	v_mov_b32_e32 v31, v21
	v_pk_add_f32 v[24:25], v[32:33], v[22:23]
	v_cmp_neq_f32_e64 s[0:1], s28, v1
	v_pk_add_f32 v[26:27], v[24:25], v[24:25] op_sel:[0,1] op_sel_hi:[1,0]
	s_nop 0
	v_pk_add_f32 v[20:21], v[20:21], v[26:27] op_sel:[1,0] op_sel_hi:[0,1]
	v_mov_b32_e32 v25, v20
	v_pk_add_f32 v[28:29], v[24:25], v[30:31] neg_lo:[0,1] neg_hi:[0,1]
	v_mov_b32_e32 v23, v26
	v_sub_f32_e32 v5, v24, v28
	v_pk_add_f32 v[22:23], v[22:23], v[28:29] neg_lo:[0,1] neg_hi:[0,1]
	v_sub_f32_e32 v5, v30, v5
	v_add_f32_e32 v5, v22, v5
	v_add_f32_e32 v5, v5, v23
	;; [unrolled: 1-line block ×3, first 2 shown]
	v_cndmask_b32_e64 v5, v18, v5, s[0:1]
	s_mov_b32 s0, 0x33800000
	v_cmp_lt_f32_e64 s[0:1], |v1|, s0
	s_nop 1
	v_cndmask_b32_e64 v1, v5, v1, s[0:1]
	v_add_f32_e32 v1, v17, v1
	v_cvt_f16_f32_e32 v21, v1
	v_cvt_f32_f16_e32 v1, v21
	v_mov_b32_e32 v5, v21
.LBB387_118:
	s_or_b64 exec, exec, s[26:27]
	v_max_f32_e32 v18, v16, v16
	v_max_f32_e32 v20, v1, v1
	v_min_f32_e32 v17, v20, v18
	v_cmp_u_f16_e64 s[0:1], v21, v21
	v_max_f32_e32 v18, v20, v18
	s_movk_i32 s26, 0x1f8
	v_cndmask_b32_e64 v17, v17, v1, s[0:1]
	v_cndmask_b32_e64 v1, v18, v1, s[0:1]
	;; [unrolled: 1-line block ×4, first 2 shown]
	v_cmp_neq_f32_e64 s[0:1], v17, v1
	v_cmp_class_f32_e64 s[26:27], v17, s26
	s_or_b64 s[0:1], s[0:1], s[26:27]
	v_mov_b32_e32 v16, v5
	s_and_saveexec_b64 s[26:27], s[0:1]
	s_cbranch_execz .LBB387_120
; %bb.119:
	v_sub_f32_e32 v16, v17, v1
	s_mov_b32 s0, 0x3fb8aa3b
	v_mul_f32_e32 v17, 0x3fb8aa3b, v16
	v_fma_f32 v18, v16, s0, -v17
	v_rndne_f32_e32 v20, v17
	v_fmamk_f32 v18, v16, 0x32a5705f, v18
	v_sub_f32_e32 v17, v17, v20
	v_add_f32_e32 v17, v17, v18
	v_exp_f32_e32 v17, v17
	v_cvt_i32_f32_e32 v18, v20
	s_mov_b32 s0, 0xc2ce8ed0
	v_cmp_ngt_f32_e64 s[0:1], s0, v16
	s_mov_b32 s28, 0x7f800000
	v_ldexp_f32 v17, v17, v18
	v_cndmask_b32_e64 v17, 0, v17, s[0:1]
	s_mov_b32 s0, 0x42b17218
	v_mov_b32_e32 v18, 0x7f800000
	v_cmp_nlt_f32_e64 s[0:1], s0, v16
	s_nop 1
	v_cndmask_b32_e64 v32, v18, v17, s[0:1]
	v_add_f32_e32 v20, 1.0, v32
	v_add_f32_e32 v16, -1.0, v20
	v_sub_f32_e32 v17, v16, v20
	v_add_f32_e32 v17, 1.0, v17
	v_sub_f32_e32 v16, v32, v16
	v_add_f32_e32 v21, v16, v17
	s_waitcnt lgkmcnt(0)
	v_frexp_mant_f32_e32 v22, v20
	s_mov_b32 s0, 0x3f2aaaab
	v_cvt_f64_f32_e32 v[16:17], v20
	v_frexp_exp_i32_f64_e32 v16, v[16:17]
	v_cmp_gt_f32_e64 s[0:1], s0, v22
	s_nop 1
	v_subbrev_co_u32_e64 v26, s[0:1], 0, v16, s[0:1]
	v_sub_u32_e32 v16, 0, v26
	v_ldexp_f32 v17, v20, v16
	v_add_f32_e32 v20, -1.0, v17
	v_add_f32_e32 v22, 1.0, v17
	v_ldexp_f32 v16, v21, v16
	v_add_f32_e32 v21, 1.0, v20
	v_add_f32_e32 v23, -1.0, v22
	v_sub_f32_e32 v21, v17, v21
	v_sub_f32_e32 v17, v17, v23
	v_add_f32_e32 v21, v16, v21
	v_add_f32_e32 v16, v16, v17
	;; [unrolled: 1-line block ×3, first 2 shown]
	v_rcp_f32_e32 v29, v27
	v_sub_f32_e32 v17, v22, v27
	v_add_f32_e32 v28, v16, v17
	v_add_f32_e32 v17, v20, v21
	v_mul_f32_e32 v31, v17, v29
	v_sub_f32_e32 v16, v20, v17
	v_mul_f32_e32 v20, v27, v31
	v_fma_f32 v22, v31, v27, -v20
	v_fmac_f32_e32 v22, v31, v28
	v_add_f32_e32 v30, v21, v16
	v_add_f32_e32 v16, v20, v22
	v_sub_f32_e32 v21, v17, v16
	v_pk_add_f32 v[24:25], v[16:17], v[20:21] neg_lo:[0,1] neg_hi:[0,1]
	v_mov_b32_e32 v23, v16
	v_pk_add_f32 v[16:17], v[24:25], v[22:23] neg_lo:[0,1] neg_hi:[0,1]
	s_mov_b32 s0, 0x3f317218
	v_add_f32_e32 v17, v30, v17
	v_add_f32_e32 v16, v16, v17
	;; [unrolled: 1-line block ×3, first 2 shown]
	v_mul_f32_e32 v30, v29, v17
	v_mul_f32_e32 v20, v27, v30
	v_fma_f32 v22, v30, v27, -v20
	v_fmac_f32_e32 v22, v30, v28
	v_sub_f32_e32 v21, v21, v17
	v_add_f32_e32 v27, v16, v21
	v_add_f32_e32 v16, v20, v22
	v_sub_f32_e32 v21, v17, v16
	v_pk_add_f32 v[24:25], v[16:17], v[20:21] neg_lo:[0,1] neg_hi:[0,1]
	v_mov_b32_e32 v23, v16
	v_pk_add_f32 v[16:17], v[24:25], v[22:23] neg_lo:[0,1] neg_hi:[0,1]
	v_cvt_f32_i32_e32 v20, v26
	v_add_f32_e32 v17, v27, v17
	v_add_f32_e32 v16, v16, v17
	;; [unrolled: 1-line block ×4, first 2 shown]
	v_sub_f32_e32 v17, v21, v31
	v_mul_f32_e32 v16, v29, v16
	v_sub_f32_e32 v17, v30, v17
	v_add_f32_e32 v16, v17, v16
	v_add_f32_e32 v22, v21, v16
	v_mul_f32_e32 v24, v22, v22
	v_mov_b32_e32 v17, 0x3ecc95a3
	v_sub_f32_e32 v21, v22, v21
	v_fmac_f32_e32 v17, 0x3e9b6dac, v24
	v_sub_f32_e32 v16, v16, v21
	v_fmaak_f32 v17, v24, v17, 0x3f2aaada
	v_ldexp_f32 v25, v16, 1
	v_mul_f32_e32 v21, v22, v24
	v_mov_b32_e32 v16, 0x3f317218
	v_pk_mul_f32 v[16:17], v[20:21], v[16:17]
	v_ldexp_f32 v23, v22, 1
	v_fma_f32 v21, v20, s0, -v16
	v_fmamk_f32 v22, v20, 0xb102e308, v21
	v_pk_add_f32 v[20:21], v[16:17], v[22:23]
	v_mov_b32_e32 v24, v16
	v_sub_f32_e32 v23, v21, v23
	v_sub_f32_e32 v23, v17, v23
	v_add_f32_e32 v25, v25, v23
	v_pk_add_f32 v[16:17], v[20:21], v[16:17] neg_lo:[0,1] neg_hi:[0,1]
	v_pk_add_f32 v[26:27], v[20:21], v[24:25]
	v_mov_b32_e32 v23, v20
	v_mov_b32_e32 v17, v27
	v_pk_add_f32 v[28:29], v[22:23], v[16:17] neg_lo:[0,1] neg_hi:[0,1]
	v_pk_add_f32 v[16:17], v[22:23], v[16:17]
	v_mov_b32_e32 v24, v25
	v_pk_add_f32 v[22:23], v[16:17], v[20:21] op_sel:[1,0] op_sel_hi:[0,1] neg_lo:[0,1] neg_hi:[0,1]
	v_pk_add_f32 v[30:31], v[26:27], v[22:23] op_sel_hi:[1,0] neg_lo:[0,1] neg_hi:[0,1]
	v_mov_b32_e32 v26, v27
	v_mov_b32_e32 v27, v17
	v_pk_mov_b32 v[22:23], v[20:21], v[22:23] op_sel:[1,0]
	v_mov_b32_e32 v25, v20
	v_pk_add_f32 v[22:23], v[26:27], v[22:23] neg_lo:[0,1] neg_hi:[0,1]
	v_mov_b32_e32 v30, v28
	v_pk_add_f32 v[20:21], v[24:25], v[22:23] neg_lo:[0,1] neg_hi:[0,1]
	v_mov_b32_e32 v29, v17
	v_pk_add_f32 v[22:23], v[30:31], v[20:21]
	v_cmp_neq_f32_e64 s[0:1], s28, v32
	v_pk_add_f32 v[24:25], v[22:23], v[22:23] op_sel:[0,1] op_sel_hi:[1,0]
	s_nop 0
	v_pk_add_f32 v[16:17], v[16:17], v[24:25] op_sel:[1,0] op_sel_hi:[0,1]
	v_mov_b32_e32 v23, v16
	v_pk_add_f32 v[26:27], v[22:23], v[28:29] neg_lo:[0,1] neg_hi:[0,1]
	v_mov_b32_e32 v21, v24
	v_sub_f32_e32 v17, v22, v26
	v_pk_add_f32 v[20:21], v[20:21], v[26:27] neg_lo:[0,1] neg_hi:[0,1]
	v_sub_f32_e32 v17, v28, v17
	v_add_f32_e32 v17, v20, v17
	v_add_f32_e32 v17, v17, v21
	;; [unrolled: 1-line block ×3, first 2 shown]
	v_cndmask_b32_e64 v16, v18, v16, s[0:1]
	s_mov_b32 s0, 0x33800000
	v_cmp_lt_f32_e64 s[0:1], |v32|, s0
	s_nop 1
	v_cndmask_b32_e64 v16, v16, v32, s[0:1]
	v_add_f32_e32 v1, v1, v16
	v_cvt_f16_f32_e32 v16, v1
.LBB387_120:
	s_or_b64 exec, exec, s[26:27]
	s_mov_b32 s0, 0x5040100
	v_add_u32_e32 v1, v8, v19
	v_perm_b32 v10, v11, v10, s0
	v_perm_b32 v2, v9, v2, s0
	s_waitcnt lgkmcnt(0)
	s_barrier
	ds_write2_b32 v1, v2, v10 offset1:1
	v_perm_b32 v2, v13, v6, s0
	v_perm_b32 v3, v12, v3, s0
	ds_write2_b32 v1, v3, v2 offset0:2 offset1:3
	v_perm_b32 v2, v15, v4, s0
	v_perm_b32 v3, v14, v7, s0
	ds_write2_b32 v1, v3, v2 offset0:4 offset1:5
	v_perm_b32 v2, v16, v5, s0
	ds_write_b32 v1, v2 offset:24
	s_waitcnt lgkmcnt(0)
	s_barrier
	ds_read_u16 v15, v8 offset:256
	ds_read_u16 v14, v8 offset:512
	;; [unrolled: 1-line block ×13, first 2 shown]
	v_lshlrev_b32_e32 v0, 1, v0
	v_mov_b32_e32 v1, 0
	v_lshl_add_u64 v[0:1], s[60:61], 0, v[0:1]
	s_and_saveexec_b64 s[0:1], vcc
	s_cbranch_execnz .LBB387_135
; %bb.121:
	s_or_b64 exec, exec, s[0:1]
	s_and_saveexec_b64 s[0:1], s[56:57]
	s_cbranch_execnz .LBB387_136
.LBB387_122:
	s_or_b64 exec, exec, s[0:1]
	s_and_saveexec_b64 s[0:1], s[2:3]
	s_cbranch_execnz .LBB387_137
.LBB387_123:
	s_or_b64 exec, exec, s[0:1]
	s_and_saveexec_b64 s[0:1], s[4:5]
	s_cbranch_execnz .LBB387_138
.LBB387_124:
	s_or_b64 exec, exec, s[0:1]
	s_and_saveexec_b64 s[0:1], s[6:7]
	s_cbranch_execnz .LBB387_139
.LBB387_125:
	s_or_b64 exec, exec, s[0:1]
	s_and_saveexec_b64 s[0:1], s[8:9]
	s_cbranch_execnz .LBB387_140
.LBB387_126:
	s_or_b64 exec, exec, s[0:1]
	s_and_saveexec_b64 s[0:1], s[10:11]
	s_cbranch_execnz .LBB387_141
.LBB387_127:
	s_or_b64 exec, exec, s[0:1]
	s_and_saveexec_b64 s[0:1], s[12:13]
	s_cbranch_execnz .LBB387_142
.LBB387_128:
	s_or_b64 exec, exec, s[0:1]
	s_and_saveexec_b64 s[0:1], s[14:15]
	s_cbranch_execnz .LBB387_143
.LBB387_129:
	s_or_b64 exec, exec, s[0:1]
	s_and_saveexec_b64 s[0:1], s[16:17]
	s_cbranch_execnz .LBB387_144
.LBB387_130:
	s_or_b64 exec, exec, s[0:1]
	s_and_saveexec_b64 s[0:1], s[18:19]
	s_cbranch_execnz .LBB387_145
.LBB387_131:
	s_or_b64 exec, exec, s[0:1]
	s_and_saveexec_b64 s[0:1], s[20:21]
	s_cbranch_execnz .LBB387_146
.LBB387_132:
	s_or_b64 exec, exec, s[0:1]
	s_and_saveexec_b64 s[0:1], s[22:23]
	s_cbranch_execnz .LBB387_147
.LBB387_133:
	s_or_b64 exec, exec, s[0:1]
	s_and_saveexec_b64 s[0:1], s[24:25]
	s_cbranch_execnz .LBB387_148
.LBB387_134:
	s_endpgm
.LBB387_135:
	ds_read_u16 v8, v8
	s_waitcnt lgkmcnt(0)
	global_store_short v[0:1], v8, off
	s_or_b64 exec, exec, s[0:1]
	s_and_saveexec_b64 s[0:1], s[56:57]
	s_cbranch_execz .LBB387_122
.LBB387_136:
	s_waitcnt lgkmcnt(12)
	global_store_short v[0:1], v15, off offset:256
	s_or_b64 exec, exec, s[0:1]
	s_and_saveexec_b64 s[0:1], s[2:3]
	s_cbranch_execz .LBB387_123
.LBB387_137:
	s_waitcnt lgkmcnt(11)
	global_store_short v[0:1], v14, off offset:512
	s_or_b64 exec, exec, s[0:1]
	s_and_saveexec_b64 s[0:1], s[4:5]
	s_cbranch_execz .LBB387_124
.LBB387_138:
	s_waitcnt lgkmcnt(10)
	global_store_short v[0:1], v13, off offset:768
	s_or_b64 exec, exec, s[0:1]
	s_and_saveexec_b64 s[0:1], s[6:7]
	s_cbranch_execz .LBB387_125
.LBB387_139:
	s_waitcnt lgkmcnt(9)
	global_store_short v[0:1], v12, off offset:1024
	s_or_b64 exec, exec, s[0:1]
	s_and_saveexec_b64 s[0:1], s[8:9]
	s_cbranch_execz .LBB387_126
.LBB387_140:
	s_waitcnt lgkmcnt(8)
	global_store_short v[0:1], v11, off offset:1280
	s_or_b64 exec, exec, s[0:1]
	s_and_saveexec_b64 s[0:1], s[10:11]
	s_cbranch_execz .LBB387_127
.LBB387_141:
	s_waitcnt lgkmcnt(7)
	global_store_short v[0:1], v10, off offset:1536
	s_or_b64 exec, exec, s[0:1]
	s_and_saveexec_b64 s[0:1], s[12:13]
	s_cbranch_execz .LBB387_128
.LBB387_142:
	s_waitcnt lgkmcnt(6)
	global_store_short v[0:1], v9, off offset:1792
	s_or_b64 exec, exec, s[0:1]
	s_and_saveexec_b64 s[0:1], s[14:15]
	s_cbranch_execz .LBB387_129
.LBB387_143:
	s_waitcnt lgkmcnt(5)
	global_store_short v[0:1], v7, off offset:2048
	s_or_b64 exec, exec, s[0:1]
	s_and_saveexec_b64 s[0:1], s[16:17]
	s_cbranch_execz .LBB387_130
.LBB387_144:
	s_waitcnt lgkmcnt(4)
	global_store_short v[0:1], v6, off offset:2304
	s_or_b64 exec, exec, s[0:1]
	s_and_saveexec_b64 s[0:1], s[18:19]
	s_cbranch_execz .LBB387_131
.LBB387_145:
	s_waitcnt lgkmcnt(3)
	global_store_short v[0:1], v5, off offset:2560
	s_or_b64 exec, exec, s[0:1]
	s_and_saveexec_b64 s[0:1], s[20:21]
	s_cbranch_execz .LBB387_132
.LBB387_146:
	s_waitcnt lgkmcnt(2)
	global_store_short v[0:1], v4, off offset:2816
	s_or_b64 exec, exec, s[0:1]
	s_and_saveexec_b64 s[0:1], s[22:23]
	s_cbranch_execz .LBB387_133
.LBB387_147:
	s_waitcnt lgkmcnt(1)
	global_store_short v[0:1], v3, off offset:3072
	s_or_b64 exec, exec, s[0:1]
	s_and_saveexec_b64 s[0:1], s[24:25]
	s_cbranch_execz .LBB387_134
.LBB387_148:
	s_waitcnt lgkmcnt(0)
	global_store_short v[0:1], v2, off offset:3328
	s_endpgm
	.section	.rodata,"a",@progbits
	.p2align	6, 0x0
	.amdhsa_kernel _ZN7rocprim17ROCPRIM_400000_NS6detail17trampoline_kernelINS0_14default_configENS1_20scan_config_selectorIN3c104HalfEEEZZNS1_9scan_implILNS1_25lookback_scan_determinismE0ELb0ELb0ES3_PKS6_PS6_S6_ZZZN2at6native31launch_logcumsumexp_cuda_kernelERKNSD_10TensorBaseESH_lENKUlvE_clEvENKUlvE3_clEvEUlS6_S6_E_S6_EEDaPvRmT3_T4_T5_mT6_P12ihipStream_tbENKUlT_T0_E_clISt17integral_constantIbLb1EESY_EEDaST_SU_EUlST_E0_NS1_11comp_targetILNS1_3genE0ELNS1_11target_archE4294967295ELNS1_3gpuE0ELNS1_3repE0EEENS1_30default_config_static_selectorELNS0_4arch9wavefront6targetE1EEEvT1_
		.amdhsa_group_segment_fixed_size 3584
		.amdhsa_private_segment_fixed_size 0
		.amdhsa_kernarg_size 32
		.amdhsa_user_sgpr_count 2
		.amdhsa_user_sgpr_dispatch_ptr 0
		.amdhsa_user_sgpr_queue_ptr 0
		.amdhsa_user_sgpr_kernarg_segment_ptr 1
		.amdhsa_user_sgpr_dispatch_id 0
		.amdhsa_user_sgpr_kernarg_preload_length 0
		.amdhsa_user_sgpr_kernarg_preload_offset 0
		.amdhsa_user_sgpr_private_segment_size 0
		.amdhsa_uses_dynamic_stack 0
		.amdhsa_enable_private_segment 0
		.amdhsa_system_sgpr_workgroup_id_x 1
		.amdhsa_system_sgpr_workgroup_id_y 0
		.amdhsa_system_sgpr_workgroup_id_z 0
		.amdhsa_system_sgpr_workgroup_info 0
		.amdhsa_system_vgpr_workitem_id 0
		.amdhsa_next_free_vgpr 40
		.amdhsa_next_free_sgpr 66
		.amdhsa_accum_offset 40
		.amdhsa_reserve_vcc 1
		.amdhsa_float_round_mode_32 0
		.amdhsa_float_round_mode_16_64 0
		.amdhsa_float_denorm_mode_32 3
		.amdhsa_float_denorm_mode_16_64 3
		.amdhsa_dx10_clamp 1
		.amdhsa_ieee_mode 1
		.amdhsa_fp16_overflow 0
		.amdhsa_tg_split 0
		.amdhsa_exception_fp_ieee_invalid_op 0
		.amdhsa_exception_fp_denorm_src 0
		.amdhsa_exception_fp_ieee_div_zero 0
		.amdhsa_exception_fp_ieee_overflow 0
		.amdhsa_exception_fp_ieee_underflow 0
		.amdhsa_exception_fp_ieee_inexact 0
		.amdhsa_exception_int_div_zero 0
	.end_amdhsa_kernel
	.section	.text._ZN7rocprim17ROCPRIM_400000_NS6detail17trampoline_kernelINS0_14default_configENS1_20scan_config_selectorIN3c104HalfEEEZZNS1_9scan_implILNS1_25lookback_scan_determinismE0ELb0ELb0ES3_PKS6_PS6_S6_ZZZN2at6native31launch_logcumsumexp_cuda_kernelERKNSD_10TensorBaseESH_lENKUlvE_clEvENKUlvE3_clEvEUlS6_S6_E_S6_EEDaPvRmT3_T4_T5_mT6_P12ihipStream_tbENKUlT_T0_E_clISt17integral_constantIbLb1EESY_EEDaST_SU_EUlST_E0_NS1_11comp_targetILNS1_3genE0ELNS1_11target_archE4294967295ELNS1_3gpuE0ELNS1_3repE0EEENS1_30default_config_static_selectorELNS0_4arch9wavefront6targetE1EEEvT1_,"axG",@progbits,_ZN7rocprim17ROCPRIM_400000_NS6detail17trampoline_kernelINS0_14default_configENS1_20scan_config_selectorIN3c104HalfEEEZZNS1_9scan_implILNS1_25lookback_scan_determinismE0ELb0ELb0ES3_PKS6_PS6_S6_ZZZN2at6native31launch_logcumsumexp_cuda_kernelERKNSD_10TensorBaseESH_lENKUlvE_clEvENKUlvE3_clEvEUlS6_S6_E_S6_EEDaPvRmT3_T4_T5_mT6_P12ihipStream_tbENKUlT_T0_E_clISt17integral_constantIbLb1EESY_EEDaST_SU_EUlST_E0_NS1_11comp_targetILNS1_3genE0ELNS1_11target_archE4294967295ELNS1_3gpuE0ELNS1_3repE0EEENS1_30default_config_static_selectorELNS0_4arch9wavefront6targetE1EEEvT1_,comdat
.Lfunc_end387:
	.size	_ZN7rocprim17ROCPRIM_400000_NS6detail17trampoline_kernelINS0_14default_configENS1_20scan_config_selectorIN3c104HalfEEEZZNS1_9scan_implILNS1_25lookback_scan_determinismE0ELb0ELb0ES3_PKS6_PS6_S6_ZZZN2at6native31launch_logcumsumexp_cuda_kernelERKNSD_10TensorBaseESH_lENKUlvE_clEvENKUlvE3_clEvEUlS6_S6_E_S6_EEDaPvRmT3_T4_T5_mT6_P12ihipStream_tbENKUlT_T0_E_clISt17integral_constantIbLb1EESY_EEDaST_SU_EUlST_E0_NS1_11comp_targetILNS1_3genE0ELNS1_11target_archE4294967295ELNS1_3gpuE0ELNS1_3repE0EEENS1_30default_config_static_selectorELNS0_4arch9wavefront6targetE1EEEvT1_, .Lfunc_end387-_ZN7rocprim17ROCPRIM_400000_NS6detail17trampoline_kernelINS0_14default_configENS1_20scan_config_selectorIN3c104HalfEEEZZNS1_9scan_implILNS1_25lookback_scan_determinismE0ELb0ELb0ES3_PKS6_PS6_S6_ZZZN2at6native31launch_logcumsumexp_cuda_kernelERKNSD_10TensorBaseESH_lENKUlvE_clEvENKUlvE3_clEvEUlS6_S6_E_S6_EEDaPvRmT3_T4_T5_mT6_P12ihipStream_tbENKUlT_T0_E_clISt17integral_constantIbLb1EESY_EEDaST_SU_EUlST_E0_NS1_11comp_targetILNS1_3genE0ELNS1_11target_archE4294967295ELNS1_3gpuE0ELNS1_3repE0EEENS1_30default_config_static_selectorELNS0_4arch9wavefront6targetE1EEEvT1_
                                        ; -- End function
	.set _ZN7rocprim17ROCPRIM_400000_NS6detail17trampoline_kernelINS0_14default_configENS1_20scan_config_selectorIN3c104HalfEEEZZNS1_9scan_implILNS1_25lookback_scan_determinismE0ELb0ELb0ES3_PKS6_PS6_S6_ZZZN2at6native31launch_logcumsumexp_cuda_kernelERKNSD_10TensorBaseESH_lENKUlvE_clEvENKUlvE3_clEvEUlS6_S6_E_S6_EEDaPvRmT3_T4_T5_mT6_P12ihipStream_tbENKUlT_T0_E_clISt17integral_constantIbLb1EESY_EEDaST_SU_EUlST_E0_NS1_11comp_targetILNS1_3genE0ELNS1_11target_archE4294967295ELNS1_3gpuE0ELNS1_3repE0EEENS1_30default_config_static_selectorELNS0_4arch9wavefront6targetE1EEEvT1_.num_vgpr, 40
	.set _ZN7rocprim17ROCPRIM_400000_NS6detail17trampoline_kernelINS0_14default_configENS1_20scan_config_selectorIN3c104HalfEEEZZNS1_9scan_implILNS1_25lookback_scan_determinismE0ELb0ELb0ES3_PKS6_PS6_S6_ZZZN2at6native31launch_logcumsumexp_cuda_kernelERKNSD_10TensorBaseESH_lENKUlvE_clEvENKUlvE3_clEvEUlS6_S6_E_S6_EEDaPvRmT3_T4_T5_mT6_P12ihipStream_tbENKUlT_T0_E_clISt17integral_constantIbLb1EESY_EEDaST_SU_EUlST_E0_NS1_11comp_targetILNS1_3genE0ELNS1_11target_archE4294967295ELNS1_3gpuE0ELNS1_3repE0EEENS1_30default_config_static_selectorELNS0_4arch9wavefront6targetE1EEEvT1_.num_agpr, 0
	.set _ZN7rocprim17ROCPRIM_400000_NS6detail17trampoline_kernelINS0_14default_configENS1_20scan_config_selectorIN3c104HalfEEEZZNS1_9scan_implILNS1_25lookback_scan_determinismE0ELb0ELb0ES3_PKS6_PS6_S6_ZZZN2at6native31launch_logcumsumexp_cuda_kernelERKNSD_10TensorBaseESH_lENKUlvE_clEvENKUlvE3_clEvEUlS6_S6_E_S6_EEDaPvRmT3_T4_T5_mT6_P12ihipStream_tbENKUlT_T0_E_clISt17integral_constantIbLb1EESY_EEDaST_SU_EUlST_E0_NS1_11comp_targetILNS1_3genE0ELNS1_11target_archE4294967295ELNS1_3gpuE0ELNS1_3repE0EEENS1_30default_config_static_selectorELNS0_4arch9wavefront6targetE1EEEvT1_.numbered_sgpr, 66
	.set _ZN7rocprim17ROCPRIM_400000_NS6detail17trampoline_kernelINS0_14default_configENS1_20scan_config_selectorIN3c104HalfEEEZZNS1_9scan_implILNS1_25lookback_scan_determinismE0ELb0ELb0ES3_PKS6_PS6_S6_ZZZN2at6native31launch_logcumsumexp_cuda_kernelERKNSD_10TensorBaseESH_lENKUlvE_clEvENKUlvE3_clEvEUlS6_S6_E_S6_EEDaPvRmT3_T4_T5_mT6_P12ihipStream_tbENKUlT_T0_E_clISt17integral_constantIbLb1EESY_EEDaST_SU_EUlST_E0_NS1_11comp_targetILNS1_3genE0ELNS1_11target_archE4294967295ELNS1_3gpuE0ELNS1_3repE0EEENS1_30default_config_static_selectorELNS0_4arch9wavefront6targetE1EEEvT1_.num_named_barrier, 0
	.set _ZN7rocprim17ROCPRIM_400000_NS6detail17trampoline_kernelINS0_14default_configENS1_20scan_config_selectorIN3c104HalfEEEZZNS1_9scan_implILNS1_25lookback_scan_determinismE0ELb0ELb0ES3_PKS6_PS6_S6_ZZZN2at6native31launch_logcumsumexp_cuda_kernelERKNSD_10TensorBaseESH_lENKUlvE_clEvENKUlvE3_clEvEUlS6_S6_E_S6_EEDaPvRmT3_T4_T5_mT6_P12ihipStream_tbENKUlT_T0_E_clISt17integral_constantIbLb1EESY_EEDaST_SU_EUlST_E0_NS1_11comp_targetILNS1_3genE0ELNS1_11target_archE4294967295ELNS1_3gpuE0ELNS1_3repE0EEENS1_30default_config_static_selectorELNS0_4arch9wavefront6targetE1EEEvT1_.private_seg_size, 0
	.set _ZN7rocprim17ROCPRIM_400000_NS6detail17trampoline_kernelINS0_14default_configENS1_20scan_config_selectorIN3c104HalfEEEZZNS1_9scan_implILNS1_25lookback_scan_determinismE0ELb0ELb0ES3_PKS6_PS6_S6_ZZZN2at6native31launch_logcumsumexp_cuda_kernelERKNSD_10TensorBaseESH_lENKUlvE_clEvENKUlvE3_clEvEUlS6_S6_E_S6_EEDaPvRmT3_T4_T5_mT6_P12ihipStream_tbENKUlT_T0_E_clISt17integral_constantIbLb1EESY_EEDaST_SU_EUlST_E0_NS1_11comp_targetILNS1_3genE0ELNS1_11target_archE4294967295ELNS1_3gpuE0ELNS1_3repE0EEENS1_30default_config_static_selectorELNS0_4arch9wavefront6targetE1EEEvT1_.uses_vcc, 1
	.set _ZN7rocprim17ROCPRIM_400000_NS6detail17trampoline_kernelINS0_14default_configENS1_20scan_config_selectorIN3c104HalfEEEZZNS1_9scan_implILNS1_25lookback_scan_determinismE0ELb0ELb0ES3_PKS6_PS6_S6_ZZZN2at6native31launch_logcumsumexp_cuda_kernelERKNSD_10TensorBaseESH_lENKUlvE_clEvENKUlvE3_clEvEUlS6_S6_E_S6_EEDaPvRmT3_T4_T5_mT6_P12ihipStream_tbENKUlT_T0_E_clISt17integral_constantIbLb1EESY_EEDaST_SU_EUlST_E0_NS1_11comp_targetILNS1_3genE0ELNS1_11target_archE4294967295ELNS1_3gpuE0ELNS1_3repE0EEENS1_30default_config_static_selectorELNS0_4arch9wavefront6targetE1EEEvT1_.uses_flat_scratch, 0
	.set _ZN7rocprim17ROCPRIM_400000_NS6detail17trampoline_kernelINS0_14default_configENS1_20scan_config_selectorIN3c104HalfEEEZZNS1_9scan_implILNS1_25lookback_scan_determinismE0ELb0ELb0ES3_PKS6_PS6_S6_ZZZN2at6native31launch_logcumsumexp_cuda_kernelERKNSD_10TensorBaseESH_lENKUlvE_clEvENKUlvE3_clEvEUlS6_S6_E_S6_EEDaPvRmT3_T4_T5_mT6_P12ihipStream_tbENKUlT_T0_E_clISt17integral_constantIbLb1EESY_EEDaST_SU_EUlST_E0_NS1_11comp_targetILNS1_3genE0ELNS1_11target_archE4294967295ELNS1_3gpuE0ELNS1_3repE0EEENS1_30default_config_static_selectorELNS0_4arch9wavefront6targetE1EEEvT1_.has_dyn_sized_stack, 0
	.set _ZN7rocprim17ROCPRIM_400000_NS6detail17trampoline_kernelINS0_14default_configENS1_20scan_config_selectorIN3c104HalfEEEZZNS1_9scan_implILNS1_25lookback_scan_determinismE0ELb0ELb0ES3_PKS6_PS6_S6_ZZZN2at6native31launch_logcumsumexp_cuda_kernelERKNSD_10TensorBaseESH_lENKUlvE_clEvENKUlvE3_clEvEUlS6_S6_E_S6_EEDaPvRmT3_T4_T5_mT6_P12ihipStream_tbENKUlT_T0_E_clISt17integral_constantIbLb1EESY_EEDaST_SU_EUlST_E0_NS1_11comp_targetILNS1_3genE0ELNS1_11target_archE4294967295ELNS1_3gpuE0ELNS1_3repE0EEENS1_30default_config_static_selectorELNS0_4arch9wavefront6targetE1EEEvT1_.has_recursion, 0
	.set _ZN7rocprim17ROCPRIM_400000_NS6detail17trampoline_kernelINS0_14default_configENS1_20scan_config_selectorIN3c104HalfEEEZZNS1_9scan_implILNS1_25lookback_scan_determinismE0ELb0ELb0ES3_PKS6_PS6_S6_ZZZN2at6native31launch_logcumsumexp_cuda_kernelERKNSD_10TensorBaseESH_lENKUlvE_clEvENKUlvE3_clEvEUlS6_S6_E_S6_EEDaPvRmT3_T4_T5_mT6_P12ihipStream_tbENKUlT_T0_E_clISt17integral_constantIbLb1EESY_EEDaST_SU_EUlST_E0_NS1_11comp_targetILNS1_3genE0ELNS1_11target_archE4294967295ELNS1_3gpuE0ELNS1_3repE0EEENS1_30default_config_static_selectorELNS0_4arch9wavefront6targetE1EEEvT1_.has_indirect_call, 0
	.section	.AMDGPU.csdata,"",@progbits
; Kernel info:
; codeLenInByte = 33060
; TotalNumSgprs: 72
; NumVgprs: 40
; NumAgprs: 0
; TotalNumVgprs: 40
; ScratchSize: 0
; MemoryBound: 0
; FloatMode: 240
; IeeeMode: 1
; LDSByteSize: 3584 bytes/workgroup (compile time only)
; SGPRBlocks: 8
; VGPRBlocks: 4
; NumSGPRsForWavesPerEU: 72
; NumVGPRsForWavesPerEU: 40
; AccumOffset: 40
; Occupancy: 8
; WaveLimiterHint : 0
; COMPUTE_PGM_RSRC2:SCRATCH_EN: 0
; COMPUTE_PGM_RSRC2:USER_SGPR: 2
; COMPUTE_PGM_RSRC2:TRAP_HANDLER: 0
; COMPUTE_PGM_RSRC2:TGID_X_EN: 1
; COMPUTE_PGM_RSRC2:TGID_Y_EN: 0
; COMPUTE_PGM_RSRC2:TGID_Z_EN: 0
; COMPUTE_PGM_RSRC2:TIDIG_COMP_CNT: 0
; COMPUTE_PGM_RSRC3_GFX90A:ACCUM_OFFSET: 9
; COMPUTE_PGM_RSRC3_GFX90A:TG_SPLIT: 0
	.section	.text._ZN7rocprim17ROCPRIM_400000_NS6detail17trampoline_kernelINS0_14default_configENS1_20scan_config_selectorIN3c104HalfEEEZZNS1_9scan_implILNS1_25lookback_scan_determinismE0ELb0ELb0ES3_PKS6_PS6_S6_ZZZN2at6native31launch_logcumsumexp_cuda_kernelERKNSD_10TensorBaseESH_lENKUlvE_clEvENKUlvE3_clEvEUlS6_S6_E_S6_EEDaPvRmT3_T4_T5_mT6_P12ihipStream_tbENKUlT_T0_E_clISt17integral_constantIbLb1EESY_EEDaST_SU_EUlST_E0_NS1_11comp_targetILNS1_3genE5ELNS1_11target_archE942ELNS1_3gpuE9ELNS1_3repE0EEENS1_30default_config_static_selectorELNS0_4arch9wavefront6targetE1EEEvT1_,"axG",@progbits,_ZN7rocprim17ROCPRIM_400000_NS6detail17trampoline_kernelINS0_14default_configENS1_20scan_config_selectorIN3c104HalfEEEZZNS1_9scan_implILNS1_25lookback_scan_determinismE0ELb0ELb0ES3_PKS6_PS6_S6_ZZZN2at6native31launch_logcumsumexp_cuda_kernelERKNSD_10TensorBaseESH_lENKUlvE_clEvENKUlvE3_clEvEUlS6_S6_E_S6_EEDaPvRmT3_T4_T5_mT6_P12ihipStream_tbENKUlT_T0_E_clISt17integral_constantIbLb1EESY_EEDaST_SU_EUlST_E0_NS1_11comp_targetILNS1_3genE5ELNS1_11target_archE942ELNS1_3gpuE9ELNS1_3repE0EEENS1_30default_config_static_selectorELNS0_4arch9wavefront6targetE1EEEvT1_,comdat
	.globl	_ZN7rocprim17ROCPRIM_400000_NS6detail17trampoline_kernelINS0_14default_configENS1_20scan_config_selectorIN3c104HalfEEEZZNS1_9scan_implILNS1_25lookback_scan_determinismE0ELb0ELb0ES3_PKS6_PS6_S6_ZZZN2at6native31launch_logcumsumexp_cuda_kernelERKNSD_10TensorBaseESH_lENKUlvE_clEvENKUlvE3_clEvEUlS6_S6_E_S6_EEDaPvRmT3_T4_T5_mT6_P12ihipStream_tbENKUlT_T0_E_clISt17integral_constantIbLb1EESY_EEDaST_SU_EUlST_E0_NS1_11comp_targetILNS1_3genE5ELNS1_11target_archE942ELNS1_3gpuE9ELNS1_3repE0EEENS1_30default_config_static_selectorELNS0_4arch9wavefront6targetE1EEEvT1_ ; -- Begin function _ZN7rocprim17ROCPRIM_400000_NS6detail17trampoline_kernelINS0_14default_configENS1_20scan_config_selectorIN3c104HalfEEEZZNS1_9scan_implILNS1_25lookback_scan_determinismE0ELb0ELb0ES3_PKS6_PS6_S6_ZZZN2at6native31launch_logcumsumexp_cuda_kernelERKNSD_10TensorBaseESH_lENKUlvE_clEvENKUlvE3_clEvEUlS6_S6_E_S6_EEDaPvRmT3_T4_T5_mT6_P12ihipStream_tbENKUlT_T0_E_clISt17integral_constantIbLb1EESY_EEDaST_SU_EUlST_E0_NS1_11comp_targetILNS1_3genE5ELNS1_11target_archE942ELNS1_3gpuE9ELNS1_3repE0EEENS1_30default_config_static_selectorELNS0_4arch9wavefront6targetE1EEEvT1_
	.p2align	8
	.type	_ZN7rocprim17ROCPRIM_400000_NS6detail17trampoline_kernelINS0_14default_configENS1_20scan_config_selectorIN3c104HalfEEEZZNS1_9scan_implILNS1_25lookback_scan_determinismE0ELb0ELb0ES3_PKS6_PS6_S6_ZZZN2at6native31launch_logcumsumexp_cuda_kernelERKNSD_10TensorBaseESH_lENKUlvE_clEvENKUlvE3_clEvEUlS6_S6_E_S6_EEDaPvRmT3_T4_T5_mT6_P12ihipStream_tbENKUlT_T0_E_clISt17integral_constantIbLb1EESY_EEDaST_SU_EUlST_E0_NS1_11comp_targetILNS1_3genE5ELNS1_11target_archE942ELNS1_3gpuE9ELNS1_3repE0EEENS1_30default_config_static_selectorELNS0_4arch9wavefront6targetE1EEEvT1_,@function
_ZN7rocprim17ROCPRIM_400000_NS6detail17trampoline_kernelINS0_14default_configENS1_20scan_config_selectorIN3c104HalfEEEZZNS1_9scan_implILNS1_25lookback_scan_determinismE0ELb0ELb0ES3_PKS6_PS6_S6_ZZZN2at6native31launch_logcumsumexp_cuda_kernelERKNSD_10TensorBaseESH_lENKUlvE_clEvENKUlvE3_clEvEUlS6_S6_E_S6_EEDaPvRmT3_T4_T5_mT6_P12ihipStream_tbENKUlT_T0_E_clISt17integral_constantIbLb1EESY_EEDaST_SU_EUlST_E0_NS1_11comp_targetILNS1_3genE5ELNS1_11target_archE942ELNS1_3gpuE9ELNS1_3repE0EEENS1_30default_config_static_selectorELNS0_4arch9wavefront6targetE1EEEvT1_: ; @_ZN7rocprim17ROCPRIM_400000_NS6detail17trampoline_kernelINS0_14default_configENS1_20scan_config_selectorIN3c104HalfEEEZZNS1_9scan_implILNS1_25lookback_scan_determinismE0ELb0ELb0ES3_PKS6_PS6_S6_ZZZN2at6native31launch_logcumsumexp_cuda_kernelERKNSD_10TensorBaseESH_lENKUlvE_clEvENKUlvE3_clEvEUlS6_S6_E_S6_EEDaPvRmT3_T4_T5_mT6_P12ihipStream_tbENKUlT_T0_E_clISt17integral_constantIbLb1EESY_EEDaST_SU_EUlST_E0_NS1_11comp_targetILNS1_3genE5ELNS1_11target_archE942ELNS1_3gpuE9ELNS1_3repE0EEENS1_30default_config_static_selectorELNS0_4arch9wavefront6targetE1EEEvT1_
; %bb.0:
	.section	.rodata,"a",@progbits
	.p2align	6, 0x0
	.amdhsa_kernel _ZN7rocprim17ROCPRIM_400000_NS6detail17trampoline_kernelINS0_14default_configENS1_20scan_config_selectorIN3c104HalfEEEZZNS1_9scan_implILNS1_25lookback_scan_determinismE0ELb0ELb0ES3_PKS6_PS6_S6_ZZZN2at6native31launch_logcumsumexp_cuda_kernelERKNSD_10TensorBaseESH_lENKUlvE_clEvENKUlvE3_clEvEUlS6_S6_E_S6_EEDaPvRmT3_T4_T5_mT6_P12ihipStream_tbENKUlT_T0_E_clISt17integral_constantIbLb1EESY_EEDaST_SU_EUlST_E0_NS1_11comp_targetILNS1_3genE5ELNS1_11target_archE942ELNS1_3gpuE9ELNS1_3repE0EEENS1_30default_config_static_selectorELNS0_4arch9wavefront6targetE1EEEvT1_
		.amdhsa_group_segment_fixed_size 0
		.amdhsa_private_segment_fixed_size 0
		.amdhsa_kernarg_size 32
		.amdhsa_user_sgpr_count 2
		.amdhsa_user_sgpr_dispatch_ptr 0
		.amdhsa_user_sgpr_queue_ptr 0
		.amdhsa_user_sgpr_kernarg_segment_ptr 1
		.amdhsa_user_sgpr_dispatch_id 0
		.amdhsa_user_sgpr_kernarg_preload_length 0
		.amdhsa_user_sgpr_kernarg_preload_offset 0
		.amdhsa_user_sgpr_private_segment_size 0
		.amdhsa_uses_dynamic_stack 0
		.amdhsa_enable_private_segment 0
		.amdhsa_system_sgpr_workgroup_id_x 1
		.amdhsa_system_sgpr_workgroup_id_y 0
		.amdhsa_system_sgpr_workgroup_id_z 0
		.amdhsa_system_sgpr_workgroup_info 0
		.amdhsa_system_vgpr_workitem_id 0
		.amdhsa_next_free_vgpr 1
		.amdhsa_next_free_sgpr 0
		.amdhsa_accum_offset 4
		.amdhsa_reserve_vcc 0
		.amdhsa_float_round_mode_32 0
		.amdhsa_float_round_mode_16_64 0
		.amdhsa_float_denorm_mode_32 3
		.amdhsa_float_denorm_mode_16_64 3
		.amdhsa_dx10_clamp 1
		.amdhsa_ieee_mode 1
		.amdhsa_fp16_overflow 0
		.amdhsa_tg_split 0
		.amdhsa_exception_fp_ieee_invalid_op 0
		.amdhsa_exception_fp_denorm_src 0
		.amdhsa_exception_fp_ieee_div_zero 0
		.amdhsa_exception_fp_ieee_overflow 0
		.amdhsa_exception_fp_ieee_underflow 0
		.amdhsa_exception_fp_ieee_inexact 0
		.amdhsa_exception_int_div_zero 0
	.end_amdhsa_kernel
	.section	.text._ZN7rocprim17ROCPRIM_400000_NS6detail17trampoline_kernelINS0_14default_configENS1_20scan_config_selectorIN3c104HalfEEEZZNS1_9scan_implILNS1_25lookback_scan_determinismE0ELb0ELb0ES3_PKS6_PS6_S6_ZZZN2at6native31launch_logcumsumexp_cuda_kernelERKNSD_10TensorBaseESH_lENKUlvE_clEvENKUlvE3_clEvEUlS6_S6_E_S6_EEDaPvRmT3_T4_T5_mT6_P12ihipStream_tbENKUlT_T0_E_clISt17integral_constantIbLb1EESY_EEDaST_SU_EUlST_E0_NS1_11comp_targetILNS1_3genE5ELNS1_11target_archE942ELNS1_3gpuE9ELNS1_3repE0EEENS1_30default_config_static_selectorELNS0_4arch9wavefront6targetE1EEEvT1_,"axG",@progbits,_ZN7rocprim17ROCPRIM_400000_NS6detail17trampoline_kernelINS0_14default_configENS1_20scan_config_selectorIN3c104HalfEEEZZNS1_9scan_implILNS1_25lookback_scan_determinismE0ELb0ELb0ES3_PKS6_PS6_S6_ZZZN2at6native31launch_logcumsumexp_cuda_kernelERKNSD_10TensorBaseESH_lENKUlvE_clEvENKUlvE3_clEvEUlS6_S6_E_S6_EEDaPvRmT3_T4_T5_mT6_P12ihipStream_tbENKUlT_T0_E_clISt17integral_constantIbLb1EESY_EEDaST_SU_EUlST_E0_NS1_11comp_targetILNS1_3genE5ELNS1_11target_archE942ELNS1_3gpuE9ELNS1_3repE0EEENS1_30default_config_static_selectorELNS0_4arch9wavefront6targetE1EEEvT1_,comdat
.Lfunc_end388:
	.size	_ZN7rocprim17ROCPRIM_400000_NS6detail17trampoline_kernelINS0_14default_configENS1_20scan_config_selectorIN3c104HalfEEEZZNS1_9scan_implILNS1_25lookback_scan_determinismE0ELb0ELb0ES3_PKS6_PS6_S6_ZZZN2at6native31launch_logcumsumexp_cuda_kernelERKNSD_10TensorBaseESH_lENKUlvE_clEvENKUlvE3_clEvEUlS6_S6_E_S6_EEDaPvRmT3_T4_T5_mT6_P12ihipStream_tbENKUlT_T0_E_clISt17integral_constantIbLb1EESY_EEDaST_SU_EUlST_E0_NS1_11comp_targetILNS1_3genE5ELNS1_11target_archE942ELNS1_3gpuE9ELNS1_3repE0EEENS1_30default_config_static_selectorELNS0_4arch9wavefront6targetE1EEEvT1_, .Lfunc_end388-_ZN7rocprim17ROCPRIM_400000_NS6detail17trampoline_kernelINS0_14default_configENS1_20scan_config_selectorIN3c104HalfEEEZZNS1_9scan_implILNS1_25lookback_scan_determinismE0ELb0ELb0ES3_PKS6_PS6_S6_ZZZN2at6native31launch_logcumsumexp_cuda_kernelERKNSD_10TensorBaseESH_lENKUlvE_clEvENKUlvE3_clEvEUlS6_S6_E_S6_EEDaPvRmT3_T4_T5_mT6_P12ihipStream_tbENKUlT_T0_E_clISt17integral_constantIbLb1EESY_EEDaST_SU_EUlST_E0_NS1_11comp_targetILNS1_3genE5ELNS1_11target_archE942ELNS1_3gpuE9ELNS1_3repE0EEENS1_30default_config_static_selectorELNS0_4arch9wavefront6targetE1EEEvT1_
                                        ; -- End function
	.set _ZN7rocprim17ROCPRIM_400000_NS6detail17trampoline_kernelINS0_14default_configENS1_20scan_config_selectorIN3c104HalfEEEZZNS1_9scan_implILNS1_25lookback_scan_determinismE0ELb0ELb0ES3_PKS6_PS6_S6_ZZZN2at6native31launch_logcumsumexp_cuda_kernelERKNSD_10TensorBaseESH_lENKUlvE_clEvENKUlvE3_clEvEUlS6_S6_E_S6_EEDaPvRmT3_T4_T5_mT6_P12ihipStream_tbENKUlT_T0_E_clISt17integral_constantIbLb1EESY_EEDaST_SU_EUlST_E0_NS1_11comp_targetILNS1_3genE5ELNS1_11target_archE942ELNS1_3gpuE9ELNS1_3repE0EEENS1_30default_config_static_selectorELNS0_4arch9wavefront6targetE1EEEvT1_.num_vgpr, 0
	.set _ZN7rocprim17ROCPRIM_400000_NS6detail17trampoline_kernelINS0_14default_configENS1_20scan_config_selectorIN3c104HalfEEEZZNS1_9scan_implILNS1_25lookback_scan_determinismE0ELb0ELb0ES3_PKS6_PS6_S6_ZZZN2at6native31launch_logcumsumexp_cuda_kernelERKNSD_10TensorBaseESH_lENKUlvE_clEvENKUlvE3_clEvEUlS6_S6_E_S6_EEDaPvRmT3_T4_T5_mT6_P12ihipStream_tbENKUlT_T0_E_clISt17integral_constantIbLb1EESY_EEDaST_SU_EUlST_E0_NS1_11comp_targetILNS1_3genE5ELNS1_11target_archE942ELNS1_3gpuE9ELNS1_3repE0EEENS1_30default_config_static_selectorELNS0_4arch9wavefront6targetE1EEEvT1_.num_agpr, 0
	.set _ZN7rocprim17ROCPRIM_400000_NS6detail17trampoline_kernelINS0_14default_configENS1_20scan_config_selectorIN3c104HalfEEEZZNS1_9scan_implILNS1_25lookback_scan_determinismE0ELb0ELb0ES3_PKS6_PS6_S6_ZZZN2at6native31launch_logcumsumexp_cuda_kernelERKNSD_10TensorBaseESH_lENKUlvE_clEvENKUlvE3_clEvEUlS6_S6_E_S6_EEDaPvRmT3_T4_T5_mT6_P12ihipStream_tbENKUlT_T0_E_clISt17integral_constantIbLb1EESY_EEDaST_SU_EUlST_E0_NS1_11comp_targetILNS1_3genE5ELNS1_11target_archE942ELNS1_3gpuE9ELNS1_3repE0EEENS1_30default_config_static_selectorELNS0_4arch9wavefront6targetE1EEEvT1_.numbered_sgpr, 0
	.set _ZN7rocprim17ROCPRIM_400000_NS6detail17trampoline_kernelINS0_14default_configENS1_20scan_config_selectorIN3c104HalfEEEZZNS1_9scan_implILNS1_25lookback_scan_determinismE0ELb0ELb0ES3_PKS6_PS6_S6_ZZZN2at6native31launch_logcumsumexp_cuda_kernelERKNSD_10TensorBaseESH_lENKUlvE_clEvENKUlvE3_clEvEUlS6_S6_E_S6_EEDaPvRmT3_T4_T5_mT6_P12ihipStream_tbENKUlT_T0_E_clISt17integral_constantIbLb1EESY_EEDaST_SU_EUlST_E0_NS1_11comp_targetILNS1_3genE5ELNS1_11target_archE942ELNS1_3gpuE9ELNS1_3repE0EEENS1_30default_config_static_selectorELNS0_4arch9wavefront6targetE1EEEvT1_.num_named_barrier, 0
	.set _ZN7rocprim17ROCPRIM_400000_NS6detail17trampoline_kernelINS0_14default_configENS1_20scan_config_selectorIN3c104HalfEEEZZNS1_9scan_implILNS1_25lookback_scan_determinismE0ELb0ELb0ES3_PKS6_PS6_S6_ZZZN2at6native31launch_logcumsumexp_cuda_kernelERKNSD_10TensorBaseESH_lENKUlvE_clEvENKUlvE3_clEvEUlS6_S6_E_S6_EEDaPvRmT3_T4_T5_mT6_P12ihipStream_tbENKUlT_T0_E_clISt17integral_constantIbLb1EESY_EEDaST_SU_EUlST_E0_NS1_11comp_targetILNS1_3genE5ELNS1_11target_archE942ELNS1_3gpuE9ELNS1_3repE0EEENS1_30default_config_static_selectorELNS0_4arch9wavefront6targetE1EEEvT1_.private_seg_size, 0
	.set _ZN7rocprim17ROCPRIM_400000_NS6detail17trampoline_kernelINS0_14default_configENS1_20scan_config_selectorIN3c104HalfEEEZZNS1_9scan_implILNS1_25lookback_scan_determinismE0ELb0ELb0ES3_PKS6_PS6_S6_ZZZN2at6native31launch_logcumsumexp_cuda_kernelERKNSD_10TensorBaseESH_lENKUlvE_clEvENKUlvE3_clEvEUlS6_S6_E_S6_EEDaPvRmT3_T4_T5_mT6_P12ihipStream_tbENKUlT_T0_E_clISt17integral_constantIbLb1EESY_EEDaST_SU_EUlST_E0_NS1_11comp_targetILNS1_3genE5ELNS1_11target_archE942ELNS1_3gpuE9ELNS1_3repE0EEENS1_30default_config_static_selectorELNS0_4arch9wavefront6targetE1EEEvT1_.uses_vcc, 0
	.set _ZN7rocprim17ROCPRIM_400000_NS6detail17trampoline_kernelINS0_14default_configENS1_20scan_config_selectorIN3c104HalfEEEZZNS1_9scan_implILNS1_25lookback_scan_determinismE0ELb0ELb0ES3_PKS6_PS6_S6_ZZZN2at6native31launch_logcumsumexp_cuda_kernelERKNSD_10TensorBaseESH_lENKUlvE_clEvENKUlvE3_clEvEUlS6_S6_E_S6_EEDaPvRmT3_T4_T5_mT6_P12ihipStream_tbENKUlT_T0_E_clISt17integral_constantIbLb1EESY_EEDaST_SU_EUlST_E0_NS1_11comp_targetILNS1_3genE5ELNS1_11target_archE942ELNS1_3gpuE9ELNS1_3repE0EEENS1_30default_config_static_selectorELNS0_4arch9wavefront6targetE1EEEvT1_.uses_flat_scratch, 0
	.set _ZN7rocprim17ROCPRIM_400000_NS6detail17trampoline_kernelINS0_14default_configENS1_20scan_config_selectorIN3c104HalfEEEZZNS1_9scan_implILNS1_25lookback_scan_determinismE0ELb0ELb0ES3_PKS6_PS6_S6_ZZZN2at6native31launch_logcumsumexp_cuda_kernelERKNSD_10TensorBaseESH_lENKUlvE_clEvENKUlvE3_clEvEUlS6_S6_E_S6_EEDaPvRmT3_T4_T5_mT6_P12ihipStream_tbENKUlT_T0_E_clISt17integral_constantIbLb1EESY_EEDaST_SU_EUlST_E0_NS1_11comp_targetILNS1_3genE5ELNS1_11target_archE942ELNS1_3gpuE9ELNS1_3repE0EEENS1_30default_config_static_selectorELNS0_4arch9wavefront6targetE1EEEvT1_.has_dyn_sized_stack, 0
	.set _ZN7rocprim17ROCPRIM_400000_NS6detail17trampoline_kernelINS0_14default_configENS1_20scan_config_selectorIN3c104HalfEEEZZNS1_9scan_implILNS1_25lookback_scan_determinismE0ELb0ELb0ES3_PKS6_PS6_S6_ZZZN2at6native31launch_logcumsumexp_cuda_kernelERKNSD_10TensorBaseESH_lENKUlvE_clEvENKUlvE3_clEvEUlS6_S6_E_S6_EEDaPvRmT3_T4_T5_mT6_P12ihipStream_tbENKUlT_T0_E_clISt17integral_constantIbLb1EESY_EEDaST_SU_EUlST_E0_NS1_11comp_targetILNS1_3genE5ELNS1_11target_archE942ELNS1_3gpuE9ELNS1_3repE0EEENS1_30default_config_static_selectorELNS0_4arch9wavefront6targetE1EEEvT1_.has_recursion, 0
	.set _ZN7rocprim17ROCPRIM_400000_NS6detail17trampoline_kernelINS0_14default_configENS1_20scan_config_selectorIN3c104HalfEEEZZNS1_9scan_implILNS1_25lookback_scan_determinismE0ELb0ELb0ES3_PKS6_PS6_S6_ZZZN2at6native31launch_logcumsumexp_cuda_kernelERKNSD_10TensorBaseESH_lENKUlvE_clEvENKUlvE3_clEvEUlS6_S6_E_S6_EEDaPvRmT3_T4_T5_mT6_P12ihipStream_tbENKUlT_T0_E_clISt17integral_constantIbLb1EESY_EEDaST_SU_EUlST_E0_NS1_11comp_targetILNS1_3genE5ELNS1_11target_archE942ELNS1_3gpuE9ELNS1_3repE0EEENS1_30default_config_static_selectorELNS0_4arch9wavefront6targetE1EEEvT1_.has_indirect_call, 0
	.section	.AMDGPU.csdata,"",@progbits
; Kernel info:
; codeLenInByte = 0
; TotalNumSgprs: 6
; NumVgprs: 0
; NumAgprs: 0
; TotalNumVgprs: 0
; ScratchSize: 0
; MemoryBound: 0
; FloatMode: 240
; IeeeMode: 1
; LDSByteSize: 0 bytes/workgroup (compile time only)
; SGPRBlocks: 0
; VGPRBlocks: 0
; NumSGPRsForWavesPerEU: 6
; NumVGPRsForWavesPerEU: 1
; AccumOffset: 4
; Occupancy: 8
; WaveLimiterHint : 0
; COMPUTE_PGM_RSRC2:SCRATCH_EN: 0
; COMPUTE_PGM_RSRC2:USER_SGPR: 2
; COMPUTE_PGM_RSRC2:TRAP_HANDLER: 0
; COMPUTE_PGM_RSRC2:TGID_X_EN: 1
; COMPUTE_PGM_RSRC2:TGID_Y_EN: 0
; COMPUTE_PGM_RSRC2:TGID_Z_EN: 0
; COMPUTE_PGM_RSRC2:TIDIG_COMP_CNT: 0
; COMPUTE_PGM_RSRC3_GFX90A:ACCUM_OFFSET: 0
; COMPUTE_PGM_RSRC3_GFX90A:TG_SPLIT: 0
	.section	.text._ZN7rocprim17ROCPRIM_400000_NS6detail17trampoline_kernelINS0_14default_configENS1_20scan_config_selectorIN3c104HalfEEEZZNS1_9scan_implILNS1_25lookback_scan_determinismE0ELb0ELb0ES3_PKS6_PS6_S6_ZZZN2at6native31launch_logcumsumexp_cuda_kernelERKNSD_10TensorBaseESH_lENKUlvE_clEvENKUlvE3_clEvEUlS6_S6_E_S6_EEDaPvRmT3_T4_T5_mT6_P12ihipStream_tbENKUlT_T0_E_clISt17integral_constantIbLb1EESY_EEDaST_SU_EUlST_E0_NS1_11comp_targetILNS1_3genE4ELNS1_11target_archE910ELNS1_3gpuE8ELNS1_3repE0EEENS1_30default_config_static_selectorELNS0_4arch9wavefront6targetE1EEEvT1_,"axG",@progbits,_ZN7rocprim17ROCPRIM_400000_NS6detail17trampoline_kernelINS0_14default_configENS1_20scan_config_selectorIN3c104HalfEEEZZNS1_9scan_implILNS1_25lookback_scan_determinismE0ELb0ELb0ES3_PKS6_PS6_S6_ZZZN2at6native31launch_logcumsumexp_cuda_kernelERKNSD_10TensorBaseESH_lENKUlvE_clEvENKUlvE3_clEvEUlS6_S6_E_S6_EEDaPvRmT3_T4_T5_mT6_P12ihipStream_tbENKUlT_T0_E_clISt17integral_constantIbLb1EESY_EEDaST_SU_EUlST_E0_NS1_11comp_targetILNS1_3genE4ELNS1_11target_archE910ELNS1_3gpuE8ELNS1_3repE0EEENS1_30default_config_static_selectorELNS0_4arch9wavefront6targetE1EEEvT1_,comdat
	.globl	_ZN7rocprim17ROCPRIM_400000_NS6detail17trampoline_kernelINS0_14default_configENS1_20scan_config_selectorIN3c104HalfEEEZZNS1_9scan_implILNS1_25lookback_scan_determinismE0ELb0ELb0ES3_PKS6_PS6_S6_ZZZN2at6native31launch_logcumsumexp_cuda_kernelERKNSD_10TensorBaseESH_lENKUlvE_clEvENKUlvE3_clEvEUlS6_S6_E_S6_EEDaPvRmT3_T4_T5_mT6_P12ihipStream_tbENKUlT_T0_E_clISt17integral_constantIbLb1EESY_EEDaST_SU_EUlST_E0_NS1_11comp_targetILNS1_3genE4ELNS1_11target_archE910ELNS1_3gpuE8ELNS1_3repE0EEENS1_30default_config_static_selectorELNS0_4arch9wavefront6targetE1EEEvT1_ ; -- Begin function _ZN7rocprim17ROCPRIM_400000_NS6detail17trampoline_kernelINS0_14default_configENS1_20scan_config_selectorIN3c104HalfEEEZZNS1_9scan_implILNS1_25lookback_scan_determinismE0ELb0ELb0ES3_PKS6_PS6_S6_ZZZN2at6native31launch_logcumsumexp_cuda_kernelERKNSD_10TensorBaseESH_lENKUlvE_clEvENKUlvE3_clEvEUlS6_S6_E_S6_EEDaPvRmT3_T4_T5_mT6_P12ihipStream_tbENKUlT_T0_E_clISt17integral_constantIbLb1EESY_EEDaST_SU_EUlST_E0_NS1_11comp_targetILNS1_3genE4ELNS1_11target_archE910ELNS1_3gpuE8ELNS1_3repE0EEENS1_30default_config_static_selectorELNS0_4arch9wavefront6targetE1EEEvT1_
	.p2align	8
	.type	_ZN7rocprim17ROCPRIM_400000_NS6detail17trampoline_kernelINS0_14default_configENS1_20scan_config_selectorIN3c104HalfEEEZZNS1_9scan_implILNS1_25lookback_scan_determinismE0ELb0ELb0ES3_PKS6_PS6_S6_ZZZN2at6native31launch_logcumsumexp_cuda_kernelERKNSD_10TensorBaseESH_lENKUlvE_clEvENKUlvE3_clEvEUlS6_S6_E_S6_EEDaPvRmT3_T4_T5_mT6_P12ihipStream_tbENKUlT_T0_E_clISt17integral_constantIbLb1EESY_EEDaST_SU_EUlST_E0_NS1_11comp_targetILNS1_3genE4ELNS1_11target_archE910ELNS1_3gpuE8ELNS1_3repE0EEENS1_30default_config_static_selectorELNS0_4arch9wavefront6targetE1EEEvT1_,@function
_ZN7rocprim17ROCPRIM_400000_NS6detail17trampoline_kernelINS0_14default_configENS1_20scan_config_selectorIN3c104HalfEEEZZNS1_9scan_implILNS1_25lookback_scan_determinismE0ELb0ELb0ES3_PKS6_PS6_S6_ZZZN2at6native31launch_logcumsumexp_cuda_kernelERKNSD_10TensorBaseESH_lENKUlvE_clEvENKUlvE3_clEvEUlS6_S6_E_S6_EEDaPvRmT3_T4_T5_mT6_P12ihipStream_tbENKUlT_T0_E_clISt17integral_constantIbLb1EESY_EEDaST_SU_EUlST_E0_NS1_11comp_targetILNS1_3genE4ELNS1_11target_archE910ELNS1_3gpuE8ELNS1_3repE0EEENS1_30default_config_static_selectorELNS0_4arch9wavefront6targetE1EEEvT1_: ; @_ZN7rocprim17ROCPRIM_400000_NS6detail17trampoline_kernelINS0_14default_configENS1_20scan_config_selectorIN3c104HalfEEEZZNS1_9scan_implILNS1_25lookback_scan_determinismE0ELb0ELb0ES3_PKS6_PS6_S6_ZZZN2at6native31launch_logcumsumexp_cuda_kernelERKNSD_10TensorBaseESH_lENKUlvE_clEvENKUlvE3_clEvEUlS6_S6_E_S6_EEDaPvRmT3_T4_T5_mT6_P12ihipStream_tbENKUlT_T0_E_clISt17integral_constantIbLb1EESY_EEDaST_SU_EUlST_E0_NS1_11comp_targetILNS1_3genE4ELNS1_11target_archE910ELNS1_3gpuE8ELNS1_3repE0EEENS1_30default_config_static_selectorELNS0_4arch9wavefront6targetE1EEEvT1_
; %bb.0:
	.section	.rodata,"a",@progbits
	.p2align	6, 0x0
	.amdhsa_kernel _ZN7rocprim17ROCPRIM_400000_NS6detail17trampoline_kernelINS0_14default_configENS1_20scan_config_selectorIN3c104HalfEEEZZNS1_9scan_implILNS1_25lookback_scan_determinismE0ELb0ELb0ES3_PKS6_PS6_S6_ZZZN2at6native31launch_logcumsumexp_cuda_kernelERKNSD_10TensorBaseESH_lENKUlvE_clEvENKUlvE3_clEvEUlS6_S6_E_S6_EEDaPvRmT3_T4_T5_mT6_P12ihipStream_tbENKUlT_T0_E_clISt17integral_constantIbLb1EESY_EEDaST_SU_EUlST_E0_NS1_11comp_targetILNS1_3genE4ELNS1_11target_archE910ELNS1_3gpuE8ELNS1_3repE0EEENS1_30default_config_static_selectorELNS0_4arch9wavefront6targetE1EEEvT1_
		.amdhsa_group_segment_fixed_size 0
		.amdhsa_private_segment_fixed_size 0
		.amdhsa_kernarg_size 32
		.amdhsa_user_sgpr_count 2
		.amdhsa_user_sgpr_dispatch_ptr 0
		.amdhsa_user_sgpr_queue_ptr 0
		.amdhsa_user_sgpr_kernarg_segment_ptr 1
		.amdhsa_user_sgpr_dispatch_id 0
		.amdhsa_user_sgpr_kernarg_preload_length 0
		.amdhsa_user_sgpr_kernarg_preload_offset 0
		.amdhsa_user_sgpr_private_segment_size 0
		.amdhsa_uses_dynamic_stack 0
		.amdhsa_enable_private_segment 0
		.amdhsa_system_sgpr_workgroup_id_x 1
		.amdhsa_system_sgpr_workgroup_id_y 0
		.amdhsa_system_sgpr_workgroup_id_z 0
		.amdhsa_system_sgpr_workgroup_info 0
		.amdhsa_system_vgpr_workitem_id 0
		.amdhsa_next_free_vgpr 1
		.amdhsa_next_free_sgpr 0
		.amdhsa_accum_offset 4
		.amdhsa_reserve_vcc 0
		.amdhsa_float_round_mode_32 0
		.amdhsa_float_round_mode_16_64 0
		.amdhsa_float_denorm_mode_32 3
		.amdhsa_float_denorm_mode_16_64 3
		.amdhsa_dx10_clamp 1
		.amdhsa_ieee_mode 1
		.amdhsa_fp16_overflow 0
		.amdhsa_tg_split 0
		.amdhsa_exception_fp_ieee_invalid_op 0
		.amdhsa_exception_fp_denorm_src 0
		.amdhsa_exception_fp_ieee_div_zero 0
		.amdhsa_exception_fp_ieee_overflow 0
		.amdhsa_exception_fp_ieee_underflow 0
		.amdhsa_exception_fp_ieee_inexact 0
		.amdhsa_exception_int_div_zero 0
	.end_amdhsa_kernel
	.section	.text._ZN7rocprim17ROCPRIM_400000_NS6detail17trampoline_kernelINS0_14default_configENS1_20scan_config_selectorIN3c104HalfEEEZZNS1_9scan_implILNS1_25lookback_scan_determinismE0ELb0ELb0ES3_PKS6_PS6_S6_ZZZN2at6native31launch_logcumsumexp_cuda_kernelERKNSD_10TensorBaseESH_lENKUlvE_clEvENKUlvE3_clEvEUlS6_S6_E_S6_EEDaPvRmT3_T4_T5_mT6_P12ihipStream_tbENKUlT_T0_E_clISt17integral_constantIbLb1EESY_EEDaST_SU_EUlST_E0_NS1_11comp_targetILNS1_3genE4ELNS1_11target_archE910ELNS1_3gpuE8ELNS1_3repE0EEENS1_30default_config_static_selectorELNS0_4arch9wavefront6targetE1EEEvT1_,"axG",@progbits,_ZN7rocprim17ROCPRIM_400000_NS6detail17trampoline_kernelINS0_14default_configENS1_20scan_config_selectorIN3c104HalfEEEZZNS1_9scan_implILNS1_25lookback_scan_determinismE0ELb0ELb0ES3_PKS6_PS6_S6_ZZZN2at6native31launch_logcumsumexp_cuda_kernelERKNSD_10TensorBaseESH_lENKUlvE_clEvENKUlvE3_clEvEUlS6_S6_E_S6_EEDaPvRmT3_T4_T5_mT6_P12ihipStream_tbENKUlT_T0_E_clISt17integral_constantIbLb1EESY_EEDaST_SU_EUlST_E0_NS1_11comp_targetILNS1_3genE4ELNS1_11target_archE910ELNS1_3gpuE8ELNS1_3repE0EEENS1_30default_config_static_selectorELNS0_4arch9wavefront6targetE1EEEvT1_,comdat
.Lfunc_end389:
	.size	_ZN7rocprim17ROCPRIM_400000_NS6detail17trampoline_kernelINS0_14default_configENS1_20scan_config_selectorIN3c104HalfEEEZZNS1_9scan_implILNS1_25lookback_scan_determinismE0ELb0ELb0ES3_PKS6_PS6_S6_ZZZN2at6native31launch_logcumsumexp_cuda_kernelERKNSD_10TensorBaseESH_lENKUlvE_clEvENKUlvE3_clEvEUlS6_S6_E_S6_EEDaPvRmT3_T4_T5_mT6_P12ihipStream_tbENKUlT_T0_E_clISt17integral_constantIbLb1EESY_EEDaST_SU_EUlST_E0_NS1_11comp_targetILNS1_3genE4ELNS1_11target_archE910ELNS1_3gpuE8ELNS1_3repE0EEENS1_30default_config_static_selectorELNS0_4arch9wavefront6targetE1EEEvT1_, .Lfunc_end389-_ZN7rocprim17ROCPRIM_400000_NS6detail17trampoline_kernelINS0_14default_configENS1_20scan_config_selectorIN3c104HalfEEEZZNS1_9scan_implILNS1_25lookback_scan_determinismE0ELb0ELb0ES3_PKS6_PS6_S6_ZZZN2at6native31launch_logcumsumexp_cuda_kernelERKNSD_10TensorBaseESH_lENKUlvE_clEvENKUlvE3_clEvEUlS6_S6_E_S6_EEDaPvRmT3_T4_T5_mT6_P12ihipStream_tbENKUlT_T0_E_clISt17integral_constantIbLb1EESY_EEDaST_SU_EUlST_E0_NS1_11comp_targetILNS1_3genE4ELNS1_11target_archE910ELNS1_3gpuE8ELNS1_3repE0EEENS1_30default_config_static_selectorELNS0_4arch9wavefront6targetE1EEEvT1_
                                        ; -- End function
	.set _ZN7rocprim17ROCPRIM_400000_NS6detail17trampoline_kernelINS0_14default_configENS1_20scan_config_selectorIN3c104HalfEEEZZNS1_9scan_implILNS1_25lookback_scan_determinismE0ELb0ELb0ES3_PKS6_PS6_S6_ZZZN2at6native31launch_logcumsumexp_cuda_kernelERKNSD_10TensorBaseESH_lENKUlvE_clEvENKUlvE3_clEvEUlS6_S6_E_S6_EEDaPvRmT3_T4_T5_mT6_P12ihipStream_tbENKUlT_T0_E_clISt17integral_constantIbLb1EESY_EEDaST_SU_EUlST_E0_NS1_11comp_targetILNS1_3genE4ELNS1_11target_archE910ELNS1_3gpuE8ELNS1_3repE0EEENS1_30default_config_static_selectorELNS0_4arch9wavefront6targetE1EEEvT1_.num_vgpr, 0
	.set _ZN7rocprim17ROCPRIM_400000_NS6detail17trampoline_kernelINS0_14default_configENS1_20scan_config_selectorIN3c104HalfEEEZZNS1_9scan_implILNS1_25lookback_scan_determinismE0ELb0ELb0ES3_PKS6_PS6_S6_ZZZN2at6native31launch_logcumsumexp_cuda_kernelERKNSD_10TensorBaseESH_lENKUlvE_clEvENKUlvE3_clEvEUlS6_S6_E_S6_EEDaPvRmT3_T4_T5_mT6_P12ihipStream_tbENKUlT_T0_E_clISt17integral_constantIbLb1EESY_EEDaST_SU_EUlST_E0_NS1_11comp_targetILNS1_3genE4ELNS1_11target_archE910ELNS1_3gpuE8ELNS1_3repE0EEENS1_30default_config_static_selectorELNS0_4arch9wavefront6targetE1EEEvT1_.num_agpr, 0
	.set _ZN7rocprim17ROCPRIM_400000_NS6detail17trampoline_kernelINS0_14default_configENS1_20scan_config_selectorIN3c104HalfEEEZZNS1_9scan_implILNS1_25lookback_scan_determinismE0ELb0ELb0ES3_PKS6_PS6_S6_ZZZN2at6native31launch_logcumsumexp_cuda_kernelERKNSD_10TensorBaseESH_lENKUlvE_clEvENKUlvE3_clEvEUlS6_S6_E_S6_EEDaPvRmT3_T4_T5_mT6_P12ihipStream_tbENKUlT_T0_E_clISt17integral_constantIbLb1EESY_EEDaST_SU_EUlST_E0_NS1_11comp_targetILNS1_3genE4ELNS1_11target_archE910ELNS1_3gpuE8ELNS1_3repE0EEENS1_30default_config_static_selectorELNS0_4arch9wavefront6targetE1EEEvT1_.numbered_sgpr, 0
	.set _ZN7rocprim17ROCPRIM_400000_NS6detail17trampoline_kernelINS0_14default_configENS1_20scan_config_selectorIN3c104HalfEEEZZNS1_9scan_implILNS1_25lookback_scan_determinismE0ELb0ELb0ES3_PKS6_PS6_S6_ZZZN2at6native31launch_logcumsumexp_cuda_kernelERKNSD_10TensorBaseESH_lENKUlvE_clEvENKUlvE3_clEvEUlS6_S6_E_S6_EEDaPvRmT3_T4_T5_mT6_P12ihipStream_tbENKUlT_T0_E_clISt17integral_constantIbLb1EESY_EEDaST_SU_EUlST_E0_NS1_11comp_targetILNS1_3genE4ELNS1_11target_archE910ELNS1_3gpuE8ELNS1_3repE0EEENS1_30default_config_static_selectorELNS0_4arch9wavefront6targetE1EEEvT1_.num_named_barrier, 0
	.set _ZN7rocprim17ROCPRIM_400000_NS6detail17trampoline_kernelINS0_14default_configENS1_20scan_config_selectorIN3c104HalfEEEZZNS1_9scan_implILNS1_25lookback_scan_determinismE0ELb0ELb0ES3_PKS6_PS6_S6_ZZZN2at6native31launch_logcumsumexp_cuda_kernelERKNSD_10TensorBaseESH_lENKUlvE_clEvENKUlvE3_clEvEUlS6_S6_E_S6_EEDaPvRmT3_T4_T5_mT6_P12ihipStream_tbENKUlT_T0_E_clISt17integral_constantIbLb1EESY_EEDaST_SU_EUlST_E0_NS1_11comp_targetILNS1_3genE4ELNS1_11target_archE910ELNS1_3gpuE8ELNS1_3repE0EEENS1_30default_config_static_selectorELNS0_4arch9wavefront6targetE1EEEvT1_.private_seg_size, 0
	.set _ZN7rocprim17ROCPRIM_400000_NS6detail17trampoline_kernelINS0_14default_configENS1_20scan_config_selectorIN3c104HalfEEEZZNS1_9scan_implILNS1_25lookback_scan_determinismE0ELb0ELb0ES3_PKS6_PS6_S6_ZZZN2at6native31launch_logcumsumexp_cuda_kernelERKNSD_10TensorBaseESH_lENKUlvE_clEvENKUlvE3_clEvEUlS6_S6_E_S6_EEDaPvRmT3_T4_T5_mT6_P12ihipStream_tbENKUlT_T0_E_clISt17integral_constantIbLb1EESY_EEDaST_SU_EUlST_E0_NS1_11comp_targetILNS1_3genE4ELNS1_11target_archE910ELNS1_3gpuE8ELNS1_3repE0EEENS1_30default_config_static_selectorELNS0_4arch9wavefront6targetE1EEEvT1_.uses_vcc, 0
	.set _ZN7rocprim17ROCPRIM_400000_NS6detail17trampoline_kernelINS0_14default_configENS1_20scan_config_selectorIN3c104HalfEEEZZNS1_9scan_implILNS1_25lookback_scan_determinismE0ELb0ELb0ES3_PKS6_PS6_S6_ZZZN2at6native31launch_logcumsumexp_cuda_kernelERKNSD_10TensorBaseESH_lENKUlvE_clEvENKUlvE3_clEvEUlS6_S6_E_S6_EEDaPvRmT3_T4_T5_mT6_P12ihipStream_tbENKUlT_T0_E_clISt17integral_constantIbLb1EESY_EEDaST_SU_EUlST_E0_NS1_11comp_targetILNS1_3genE4ELNS1_11target_archE910ELNS1_3gpuE8ELNS1_3repE0EEENS1_30default_config_static_selectorELNS0_4arch9wavefront6targetE1EEEvT1_.uses_flat_scratch, 0
	.set _ZN7rocprim17ROCPRIM_400000_NS6detail17trampoline_kernelINS0_14default_configENS1_20scan_config_selectorIN3c104HalfEEEZZNS1_9scan_implILNS1_25lookback_scan_determinismE0ELb0ELb0ES3_PKS6_PS6_S6_ZZZN2at6native31launch_logcumsumexp_cuda_kernelERKNSD_10TensorBaseESH_lENKUlvE_clEvENKUlvE3_clEvEUlS6_S6_E_S6_EEDaPvRmT3_T4_T5_mT6_P12ihipStream_tbENKUlT_T0_E_clISt17integral_constantIbLb1EESY_EEDaST_SU_EUlST_E0_NS1_11comp_targetILNS1_3genE4ELNS1_11target_archE910ELNS1_3gpuE8ELNS1_3repE0EEENS1_30default_config_static_selectorELNS0_4arch9wavefront6targetE1EEEvT1_.has_dyn_sized_stack, 0
	.set _ZN7rocprim17ROCPRIM_400000_NS6detail17trampoline_kernelINS0_14default_configENS1_20scan_config_selectorIN3c104HalfEEEZZNS1_9scan_implILNS1_25lookback_scan_determinismE0ELb0ELb0ES3_PKS6_PS6_S6_ZZZN2at6native31launch_logcumsumexp_cuda_kernelERKNSD_10TensorBaseESH_lENKUlvE_clEvENKUlvE3_clEvEUlS6_S6_E_S6_EEDaPvRmT3_T4_T5_mT6_P12ihipStream_tbENKUlT_T0_E_clISt17integral_constantIbLb1EESY_EEDaST_SU_EUlST_E0_NS1_11comp_targetILNS1_3genE4ELNS1_11target_archE910ELNS1_3gpuE8ELNS1_3repE0EEENS1_30default_config_static_selectorELNS0_4arch9wavefront6targetE1EEEvT1_.has_recursion, 0
	.set _ZN7rocprim17ROCPRIM_400000_NS6detail17trampoline_kernelINS0_14default_configENS1_20scan_config_selectorIN3c104HalfEEEZZNS1_9scan_implILNS1_25lookback_scan_determinismE0ELb0ELb0ES3_PKS6_PS6_S6_ZZZN2at6native31launch_logcumsumexp_cuda_kernelERKNSD_10TensorBaseESH_lENKUlvE_clEvENKUlvE3_clEvEUlS6_S6_E_S6_EEDaPvRmT3_T4_T5_mT6_P12ihipStream_tbENKUlT_T0_E_clISt17integral_constantIbLb1EESY_EEDaST_SU_EUlST_E0_NS1_11comp_targetILNS1_3genE4ELNS1_11target_archE910ELNS1_3gpuE8ELNS1_3repE0EEENS1_30default_config_static_selectorELNS0_4arch9wavefront6targetE1EEEvT1_.has_indirect_call, 0
	.section	.AMDGPU.csdata,"",@progbits
; Kernel info:
; codeLenInByte = 0
; TotalNumSgprs: 6
; NumVgprs: 0
; NumAgprs: 0
; TotalNumVgprs: 0
; ScratchSize: 0
; MemoryBound: 0
; FloatMode: 240
; IeeeMode: 1
; LDSByteSize: 0 bytes/workgroup (compile time only)
; SGPRBlocks: 0
; VGPRBlocks: 0
; NumSGPRsForWavesPerEU: 6
; NumVGPRsForWavesPerEU: 1
; AccumOffset: 4
; Occupancy: 8
; WaveLimiterHint : 0
; COMPUTE_PGM_RSRC2:SCRATCH_EN: 0
; COMPUTE_PGM_RSRC2:USER_SGPR: 2
; COMPUTE_PGM_RSRC2:TRAP_HANDLER: 0
; COMPUTE_PGM_RSRC2:TGID_X_EN: 1
; COMPUTE_PGM_RSRC2:TGID_Y_EN: 0
; COMPUTE_PGM_RSRC2:TGID_Z_EN: 0
; COMPUTE_PGM_RSRC2:TIDIG_COMP_CNT: 0
; COMPUTE_PGM_RSRC3_GFX90A:ACCUM_OFFSET: 0
; COMPUTE_PGM_RSRC3_GFX90A:TG_SPLIT: 0
	.section	.text._ZN7rocprim17ROCPRIM_400000_NS6detail17trampoline_kernelINS0_14default_configENS1_20scan_config_selectorIN3c104HalfEEEZZNS1_9scan_implILNS1_25lookback_scan_determinismE0ELb0ELb0ES3_PKS6_PS6_S6_ZZZN2at6native31launch_logcumsumexp_cuda_kernelERKNSD_10TensorBaseESH_lENKUlvE_clEvENKUlvE3_clEvEUlS6_S6_E_S6_EEDaPvRmT3_T4_T5_mT6_P12ihipStream_tbENKUlT_T0_E_clISt17integral_constantIbLb1EESY_EEDaST_SU_EUlST_E0_NS1_11comp_targetILNS1_3genE3ELNS1_11target_archE908ELNS1_3gpuE7ELNS1_3repE0EEENS1_30default_config_static_selectorELNS0_4arch9wavefront6targetE1EEEvT1_,"axG",@progbits,_ZN7rocprim17ROCPRIM_400000_NS6detail17trampoline_kernelINS0_14default_configENS1_20scan_config_selectorIN3c104HalfEEEZZNS1_9scan_implILNS1_25lookback_scan_determinismE0ELb0ELb0ES3_PKS6_PS6_S6_ZZZN2at6native31launch_logcumsumexp_cuda_kernelERKNSD_10TensorBaseESH_lENKUlvE_clEvENKUlvE3_clEvEUlS6_S6_E_S6_EEDaPvRmT3_T4_T5_mT6_P12ihipStream_tbENKUlT_T0_E_clISt17integral_constantIbLb1EESY_EEDaST_SU_EUlST_E0_NS1_11comp_targetILNS1_3genE3ELNS1_11target_archE908ELNS1_3gpuE7ELNS1_3repE0EEENS1_30default_config_static_selectorELNS0_4arch9wavefront6targetE1EEEvT1_,comdat
	.globl	_ZN7rocprim17ROCPRIM_400000_NS6detail17trampoline_kernelINS0_14default_configENS1_20scan_config_selectorIN3c104HalfEEEZZNS1_9scan_implILNS1_25lookback_scan_determinismE0ELb0ELb0ES3_PKS6_PS6_S6_ZZZN2at6native31launch_logcumsumexp_cuda_kernelERKNSD_10TensorBaseESH_lENKUlvE_clEvENKUlvE3_clEvEUlS6_S6_E_S6_EEDaPvRmT3_T4_T5_mT6_P12ihipStream_tbENKUlT_T0_E_clISt17integral_constantIbLb1EESY_EEDaST_SU_EUlST_E0_NS1_11comp_targetILNS1_3genE3ELNS1_11target_archE908ELNS1_3gpuE7ELNS1_3repE0EEENS1_30default_config_static_selectorELNS0_4arch9wavefront6targetE1EEEvT1_ ; -- Begin function _ZN7rocprim17ROCPRIM_400000_NS6detail17trampoline_kernelINS0_14default_configENS1_20scan_config_selectorIN3c104HalfEEEZZNS1_9scan_implILNS1_25lookback_scan_determinismE0ELb0ELb0ES3_PKS6_PS6_S6_ZZZN2at6native31launch_logcumsumexp_cuda_kernelERKNSD_10TensorBaseESH_lENKUlvE_clEvENKUlvE3_clEvEUlS6_S6_E_S6_EEDaPvRmT3_T4_T5_mT6_P12ihipStream_tbENKUlT_T0_E_clISt17integral_constantIbLb1EESY_EEDaST_SU_EUlST_E0_NS1_11comp_targetILNS1_3genE3ELNS1_11target_archE908ELNS1_3gpuE7ELNS1_3repE0EEENS1_30default_config_static_selectorELNS0_4arch9wavefront6targetE1EEEvT1_
	.p2align	8
	.type	_ZN7rocprim17ROCPRIM_400000_NS6detail17trampoline_kernelINS0_14default_configENS1_20scan_config_selectorIN3c104HalfEEEZZNS1_9scan_implILNS1_25lookback_scan_determinismE0ELb0ELb0ES3_PKS6_PS6_S6_ZZZN2at6native31launch_logcumsumexp_cuda_kernelERKNSD_10TensorBaseESH_lENKUlvE_clEvENKUlvE3_clEvEUlS6_S6_E_S6_EEDaPvRmT3_T4_T5_mT6_P12ihipStream_tbENKUlT_T0_E_clISt17integral_constantIbLb1EESY_EEDaST_SU_EUlST_E0_NS1_11comp_targetILNS1_3genE3ELNS1_11target_archE908ELNS1_3gpuE7ELNS1_3repE0EEENS1_30default_config_static_selectorELNS0_4arch9wavefront6targetE1EEEvT1_,@function
_ZN7rocprim17ROCPRIM_400000_NS6detail17trampoline_kernelINS0_14default_configENS1_20scan_config_selectorIN3c104HalfEEEZZNS1_9scan_implILNS1_25lookback_scan_determinismE0ELb0ELb0ES3_PKS6_PS6_S6_ZZZN2at6native31launch_logcumsumexp_cuda_kernelERKNSD_10TensorBaseESH_lENKUlvE_clEvENKUlvE3_clEvEUlS6_S6_E_S6_EEDaPvRmT3_T4_T5_mT6_P12ihipStream_tbENKUlT_T0_E_clISt17integral_constantIbLb1EESY_EEDaST_SU_EUlST_E0_NS1_11comp_targetILNS1_3genE3ELNS1_11target_archE908ELNS1_3gpuE7ELNS1_3repE0EEENS1_30default_config_static_selectorELNS0_4arch9wavefront6targetE1EEEvT1_: ; @_ZN7rocprim17ROCPRIM_400000_NS6detail17trampoline_kernelINS0_14default_configENS1_20scan_config_selectorIN3c104HalfEEEZZNS1_9scan_implILNS1_25lookback_scan_determinismE0ELb0ELb0ES3_PKS6_PS6_S6_ZZZN2at6native31launch_logcumsumexp_cuda_kernelERKNSD_10TensorBaseESH_lENKUlvE_clEvENKUlvE3_clEvEUlS6_S6_E_S6_EEDaPvRmT3_T4_T5_mT6_P12ihipStream_tbENKUlT_T0_E_clISt17integral_constantIbLb1EESY_EEDaST_SU_EUlST_E0_NS1_11comp_targetILNS1_3genE3ELNS1_11target_archE908ELNS1_3gpuE7ELNS1_3repE0EEENS1_30default_config_static_selectorELNS0_4arch9wavefront6targetE1EEEvT1_
; %bb.0:
	.section	.rodata,"a",@progbits
	.p2align	6, 0x0
	.amdhsa_kernel _ZN7rocprim17ROCPRIM_400000_NS6detail17trampoline_kernelINS0_14default_configENS1_20scan_config_selectorIN3c104HalfEEEZZNS1_9scan_implILNS1_25lookback_scan_determinismE0ELb0ELb0ES3_PKS6_PS6_S6_ZZZN2at6native31launch_logcumsumexp_cuda_kernelERKNSD_10TensorBaseESH_lENKUlvE_clEvENKUlvE3_clEvEUlS6_S6_E_S6_EEDaPvRmT3_T4_T5_mT6_P12ihipStream_tbENKUlT_T0_E_clISt17integral_constantIbLb1EESY_EEDaST_SU_EUlST_E0_NS1_11comp_targetILNS1_3genE3ELNS1_11target_archE908ELNS1_3gpuE7ELNS1_3repE0EEENS1_30default_config_static_selectorELNS0_4arch9wavefront6targetE1EEEvT1_
		.amdhsa_group_segment_fixed_size 0
		.amdhsa_private_segment_fixed_size 0
		.amdhsa_kernarg_size 32
		.amdhsa_user_sgpr_count 2
		.amdhsa_user_sgpr_dispatch_ptr 0
		.amdhsa_user_sgpr_queue_ptr 0
		.amdhsa_user_sgpr_kernarg_segment_ptr 1
		.amdhsa_user_sgpr_dispatch_id 0
		.amdhsa_user_sgpr_kernarg_preload_length 0
		.amdhsa_user_sgpr_kernarg_preload_offset 0
		.amdhsa_user_sgpr_private_segment_size 0
		.amdhsa_uses_dynamic_stack 0
		.amdhsa_enable_private_segment 0
		.amdhsa_system_sgpr_workgroup_id_x 1
		.amdhsa_system_sgpr_workgroup_id_y 0
		.amdhsa_system_sgpr_workgroup_id_z 0
		.amdhsa_system_sgpr_workgroup_info 0
		.amdhsa_system_vgpr_workitem_id 0
		.amdhsa_next_free_vgpr 1
		.amdhsa_next_free_sgpr 0
		.amdhsa_accum_offset 4
		.amdhsa_reserve_vcc 0
		.amdhsa_float_round_mode_32 0
		.amdhsa_float_round_mode_16_64 0
		.amdhsa_float_denorm_mode_32 3
		.amdhsa_float_denorm_mode_16_64 3
		.amdhsa_dx10_clamp 1
		.amdhsa_ieee_mode 1
		.amdhsa_fp16_overflow 0
		.amdhsa_tg_split 0
		.amdhsa_exception_fp_ieee_invalid_op 0
		.amdhsa_exception_fp_denorm_src 0
		.amdhsa_exception_fp_ieee_div_zero 0
		.amdhsa_exception_fp_ieee_overflow 0
		.amdhsa_exception_fp_ieee_underflow 0
		.amdhsa_exception_fp_ieee_inexact 0
		.amdhsa_exception_int_div_zero 0
	.end_amdhsa_kernel
	.section	.text._ZN7rocprim17ROCPRIM_400000_NS6detail17trampoline_kernelINS0_14default_configENS1_20scan_config_selectorIN3c104HalfEEEZZNS1_9scan_implILNS1_25lookback_scan_determinismE0ELb0ELb0ES3_PKS6_PS6_S6_ZZZN2at6native31launch_logcumsumexp_cuda_kernelERKNSD_10TensorBaseESH_lENKUlvE_clEvENKUlvE3_clEvEUlS6_S6_E_S6_EEDaPvRmT3_T4_T5_mT6_P12ihipStream_tbENKUlT_T0_E_clISt17integral_constantIbLb1EESY_EEDaST_SU_EUlST_E0_NS1_11comp_targetILNS1_3genE3ELNS1_11target_archE908ELNS1_3gpuE7ELNS1_3repE0EEENS1_30default_config_static_selectorELNS0_4arch9wavefront6targetE1EEEvT1_,"axG",@progbits,_ZN7rocprim17ROCPRIM_400000_NS6detail17trampoline_kernelINS0_14default_configENS1_20scan_config_selectorIN3c104HalfEEEZZNS1_9scan_implILNS1_25lookback_scan_determinismE0ELb0ELb0ES3_PKS6_PS6_S6_ZZZN2at6native31launch_logcumsumexp_cuda_kernelERKNSD_10TensorBaseESH_lENKUlvE_clEvENKUlvE3_clEvEUlS6_S6_E_S6_EEDaPvRmT3_T4_T5_mT6_P12ihipStream_tbENKUlT_T0_E_clISt17integral_constantIbLb1EESY_EEDaST_SU_EUlST_E0_NS1_11comp_targetILNS1_3genE3ELNS1_11target_archE908ELNS1_3gpuE7ELNS1_3repE0EEENS1_30default_config_static_selectorELNS0_4arch9wavefront6targetE1EEEvT1_,comdat
.Lfunc_end390:
	.size	_ZN7rocprim17ROCPRIM_400000_NS6detail17trampoline_kernelINS0_14default_configENS1_20scan_config_selectorIN3c104HalfEEEZZNS1_9scan_implILNS1_25lookback_scan_determinismE0ELb0ELb0ES3_PKS6_PS6_S6_ZZZN2at6native31launch_logcumsumexp_cuda_kernelERKNSD_10TensorBaseESH_lENKUlvE_clEvENKUlvE3_clEvEUlS6_S6_E_S6_EEDaPvRmT3_T4_T5_mT6_P12ihipStream_tbENKUlT_T0_E_clISt17integral_constantIbLb1EESY_EEDaST_SU_EUlST_E0_NS1_11comp_targetILNS1_3genE3ELNS1_11target_archE908ELNS1_3gpuE7ELNS1_3repE0EEENS1_30default_config_static_selectorELNS0_4arch9wavefront6targetE1EEEvT1_, .Lfunc_end390-_ZN7rocprim17ROCPRIM_400000_NS6detail17trampoline_kernelINS0_14default_configENS1_20scan_config_selectorIN3c104HalfEEEZZNS1_9scan_implILNS1_25lookback_scan_determinismE0ELb0ELb0ES3_PKS6_PS6_S6_ZZZN2at6native31launch_logcumsumexp_cuda_kernelERKNSD_10TensorBaseESH_lENKUlvE_clEvENKUlvE3_clEvEUlS6_S6_E_S6_EEDaPvRmT3_T4_T5_mT6_P12ihipStream_tbENKUlT_T0_E_clISt17integral_constantIbLb1EESY_EEDaST_SU_EUlST_E0_NS1_11comp_targetILNS1_3genE3ELNS1_11target_archE908ELNS1_3gpuE7ELNS1_3repE0EEENS1_30default_config_static_selectorELNS0_4arch9wavefront6targetE1EEEvT1_
                                        ; -- End function
	.set _ZN7rocprim17ROCPRIM_400000_NS6detail17trampoline_kernelINS0_14default_configENS1_20scan_config_selectorIN3c104HalfEEEZZNS1_9scan_implILNS1_25lookback_scan_determinismE0ELb0ELb0ES3_PKS6_PS6_S6_ZZZN2at6native31launch_logcumsumexp_cuda_kernelERKNSD_10TensorBaseESH_lENKUlvE_clEvENKUlvE3_clEvEUlS6_S6_E_S6_EEDaPvRmT3_T4_T5_mT6_P12ihipStream_tbENKUlT_T0_E_clISt17integral_constantIbLb1EESY_EEDaST_SU_EUlST_E0_NS1_11comp_targetILNS1_3genE3ELNS1_11target_archE908ELNS1_3gpuE7ELNS1_3repE0EEENS1_30default_config_static_selectorELNS0_4arch9wavefront6targetE1EEEvT1_.num_vgpr, 0
	.set _ZN7rocprim17ROCPRIM_400000_NS6detail17trampoline_kernelINS0_14default_configENS1_20scan_config_selectorIN3c104HalfEEEZZNS1_9scan_implILNS1_25lookback_scan_determinismE0ELb0ELb0ES3_PKS6_PS6_S6_ZZZN2at6native31launch_logcumsumexp_cuda_kernelERKNSD_10TensorBaseESH_lENKUlvE_clEvENKUlvE3_clEvEUlS6_S6_E_S6_EEDaPvRmT3_T4_T5_mT6_P12ihipStream_tbENKUlT_T0_E_clISt17integral_constantIbLb1EESY_EEDaST_SU_EUlST_E0_NS1_11comp_targetILNS1_3genE3ELNS1_11target_archE908ELNS1_3gpuE7ELNS1_3repE0EEENS1_30default_config_static_selectorELNS0_4arch9wavefront6targetE1EEEvT1_.num_agpr, 0
	.set _ZN7rocprim17ROCPRIM_400000_NS6detail17trampoline_kernelINS0_14default_configENS1_20scan_config_selectorIN3c104HalfEEEZZNS1_9scan_implILNS1_25lookback_scan_determinismE0ELb0ELb0ES3_PKS6_PS6_S6_ZZZN2at6native31launch_logcumsumexp_cuda_kernelERKNSD_10TensorBaseESH_lENKUlvE_clEvENKUlvE3_clEvEUlS6_S6_E_S6_EEDaPvRmT3_T4_T5_mT6_P12ihipStream_tbENKUlT_T0_E_clISt17integral_constantIbLb1EESY_EEDaST_SU_EUlST_E0_NS1_11comp_targetILNS1_3genE3ELNS1_11target_archE908ELNS1_3gpuE7ELNS1_3repE0EEENS1_30default_config_static_selectorELNS0_4arch9wavefront6targetE1EEEvT1_.numbered_sgpr, 0
	.set _ZN7rocprim17ROCPRIM_400000_NS6detail17trampoline_kernelINS0_14default_configENS1_20scan_config_selectorIN3c104HalfEEEZZNS1_9scan_implILNS1_25lookback_scan_determinismE0ELb0ELb0ES3_PKS6_PS6_S6_ZZZN2at6native31launch_logcumsumexp_cuda_kernelERKNSD_10TensorBaseESH_lENKUlvE_clEvENKUlvE3_clEvEUlS6_S6_E_S6_EEDaPvRmT3_T4_T5_mT6_P12ihipStream_tbENKUlT_T0_E_clISt17integral_constantIbLb1EESY_EEDaST_SU_EUlST_E0_NS1_11comp_targetILNS1_3genE3ELNS1_11target_archE908ELNS1_3gpuE7ELNS1_3repE0EEENS1_30default_config_static_selectorELNS0_4arch9wavefront6targetE1EEEvT1_.num_named_barrier, 0
	.set _ZN7rocprim17ROCPRIM_400000_NS6detail17trampoline_kernelINS0_14default_configENS1_20scan_config_selectorIN3c104HalfEEEZZNS1_9scan_implILNS1_25lookback_scan_determinismE0ELb0ELb0ES3_PKS6_PS6_S6_ZZZN2at6native31launch_logcumsumexp_cuda_kernelERKNSD_10TensorBaseESH_lENKUlvE_clEvENKUlvE3_clEvEUlS6_S6_E_S6_EEDaPvRmT3_T4_T5_mT6_P12ihipStream_tbENKUlT_T0_E_clISt17integral_constantIbLb1EESY_EEDaST_SU_EUlST_E0_NS1_11comp_targetILNS1_3genE3ELNS1_11target_archE908ELNS1_3gpuE7ELNS1_3repE0EEENS1_30default_config_static_selectorELNS0_4arch9wavefront6targetE1EEEvT1_.private_seg_size, 0
	.set _ZN7rocprim17ROCPRIM_400000_NS6detail17trampoline_kernelINS0_14default_configENS1_20scan_config_selectorIN3c104HalfEEEZZNS1_9scan_implILNS1_25lookback_scan_determinismE0ELb0ELb0ES3_PKS6_PS6_S6_ZZZN2at6native31launch_logcumsumexp_cuda_kernelERKNSD_10TensorBaseESH_lENKUlvE_clEvENKUlvE3_clEvEUlS6_S6_E_S6_EEDaPvRmT3_T4_T5_mT6_P12ihipStream_tbENKUlT_T0_E_clISt17integral_constantIbLb1EESY_EEDaST_SU_EUlST_E0_NS1_11comp_targetILNS1_3genE3ELNS1_11target_archE908ELNS1_3gpuE7ELNS1_3repE0EEENS1_30default_config_static_selectorELNS0_4arch9wavefront6targetE1EEEvT1_.uses_vcc, 0
	.set _ZN7rocprim17ROCPRIM_400000_NS6detail17trampoline_kernelINS0_14default_configENS1_20scan_config_selectorIN3c104HalfEEEZZNS1_9scan_implILNS1_25lookback_scan_determinismE0ELb0ELb0ES3_PKS6_PS6_S6_ZZZN2at6native31launch_logcumsumexp_cuda_kernelERKNSD_10TensorBaseESH_lENKUlvE_clEvENKUlvE3_clEvEUlS6_S6_E_S6_EEDaPvRmT3_T4_T5_mT6_P12ihipStream_tbENKUlT_T0_E_clISt17integral_constantIbLb1EESY_EEDaST_SU_EUlST_E0_NS1_11comp_targetILNS1_3genE3ELNS1_11target_archE908ELNS1_3gpuE7ELNS1_3repE0EEENS1_30default_config_static_selectorELNS0_4arch9wavefront6targetE1EEEvT1_.uses_flat_scratch, 0
	.set _ZN7rocprim17ROCPRIM_400000_NS6detail17trampoline_kernelINS0_14default_configENS1_20scan_config_selectorIN3c104HalfEEEZZNS1_9scan_implILNS1_25lookback_scan_determinismE0ELb0ELb0ES3_PKS6_PS6_S6_ZZZN2at6native31launch_logcumsumexp_cuda_kernelERKNSD_10TensorBaseESH_lENKUlvE_clEvENKUlvE3_clEvEUlS6_S6_E_S6_EEDaPvRmT3_T4_T5_mT6_P12ihipStream_tbENKUlT_T0_E_clISt17integral_constantIbLb1EESY_EEDaST_SU_EUlST_E0_NS1_11comp_targetILNS1_3genE3ELNS1_11target_archE908ELNS1_3gpuE7ELNS1_3repE0EEENS1_30default_config_static_selectorELNS0_4arch9wavefront6targetE1EEEvT1_.has_dyn_sized_stack, 0
	.set _ZN7rocprim17ROCPRIM_400000_NS6detail17trampoline_kernelINS0_14default_configENS1_20scan_config_selectorIN3c104HalfEEEZZNS1_9scan_implILNS1_25lookback_scan_determinismE0ELb0ELb0ES3_PKS6_PS6_S6_ZZZN2at6native31launch_logcumsumexp_cuda_kernelERKNSD_10TensorBaseESH_lENKUlvE_clEvENKUlvE3_clEvEUlS6_S6_E_S6_EEDaPvRmT3_T4_T5_mT6_P12ihipStream_tbENKUlT_T0_E_clISt17integral_constantIbLb1EESY_EEDaST_SU_EUlST_E0_NS1_11comp_targetILNS1_3genE3ELNS1_11target_archE908ELNS1_3gpuE7ELNS1_3repE0EEENS1_30default_config_static_selectorELNS0_4arch9wavefront6targetE1EEEvT1_.has_recursion, 0
	.set _ZN7rocprim17ROCPRIM_400000_NS6detail17trampoline_kernelINS0_14default_configENS1_20scan_config_selectorIN3c104HalfEEEZZNS1_9scan_implILNS1_25lookback_scan_determinismE0ELb0ELb0ES3_PKS6_PS6_S6_ZZZN2at6native31launch_logcumsumexp_cuda_kernelERKNSD_10TensorBaseESH_lENKUlvE_clEvENKUlvE3_clEvEUlS6_S6_E_S6_EEDaPvRmT3_T4_T5_mT6_P12ihipStream_tbENKUlT_T0_E_clISt17integral_constantIbLb1EESY_EEDaST_SU_EUlST_E0_NS1_11comp_targetILNS1_3genE3ELNS1_11target_archE908ELNS1_3gpuE7ELNS1_3repE0EEENS1_30default_config_static_selectorELNS0_4arch9wavefront6targetE1EEEvT1_.has_indirect_call, 0
	.section	.AMDGPU.csdata,"",@progbits
; Kernel info:
; codeLenInByte = 0
; TotalNumSgprs: 6
; NumVgprs: 0
; NumAgprs: 0
; TotalNumVgprs: 0
; ScratchSize: 0
; MemoryBound: 0
; FloatMode: 240
; IeeeMode: 1
; LDSByteSize: 0 bytes/workgroup (compile time only)
; SGPRBlocks: 0
; VGPRBlocks: 0
; NumSGPRsForWavesPerEU: 6
; NumVGPRsForWavesPerEU: 1
; AccumOffset: 4
; Occupancy: 8
; WaveLimiterHint : 0
; COMPUTE_PGM_RSRC2:SCRATCH_EN: 0
; COMPUTE_PGM_RSRC2:USER_SGPR: 2
; COMPUTE_PGM_RSRC2:TRAP_HANDLER: 0
; COMPUTE_PGM_RSRC2:TGID_X_EN: 1
; COMPUTE_PGM_RSRC2:TGID_Y_EN: 0
; COMPUTE_PGM_RSRC2:TGID_Z_EN: 0
; COMPUTE_PGM_RSRC2:TIDIG_COMP_CNT: 0
; COMPUTE_PGM_RSRC3_GFX90A:ACCUM_OFFSET: 0
; COMPUTE_PGM_RSRC3_GFX90A:TG_SPLIT: 0
	.section	.text._ZN7rocprim17ROCPRIM_400000_NS6detail17trampoline_kernelINS0_14default_configENS1_20scan_config_selectorIN3c104HalfEEEZZNS1_9scan_implILNS1_25lookback_scan_determinismE0ELb0ELb0ES3_PKS6_PS6_S6_ZZZN2at6native31launch_logcumsumexp_cuda_kernelERKNSD_10TensorBaseESH_lENKUlvE_clEvENKUlvE3_clEvEUlS6_S6_E_S6_EEDaPvRmT3_T4_T5_mT6_P12ihipStream_tbENKUlT_T0_E_clISt17integral_constantIbLb1EESY_EEDaST_SU_EUlST_E0_NS1_11comp_targetILNS1_3genE2ELNS1_11target_archE906ELNS1_3gpuE6ELNS1_3repE0EEENS1_30default_config_static_selectorELNS0_4arch9wavefront6targetE1EEEvT1_,"axG",@progbits,_ZN7rocprim17ROCPRIM_400000_NS6detail17trampoline_kernelINS0_14default_configENS1_20scan_config_selectorIN3c104HalfEEEZZNS1_9scan_implILNS1_25lookback_scan_determinismE0ELb0ELb0ES3_PKS6_PS6_S6_ZZZN2at6native31launch_logcumsumexp_cuda_kernelERKNSD_10TensorBaseESH_lENKUlvE_clEvENKUlvE3_clEvEUlS6_S6_E_S6_EEDaPvRmT3_T4_T5_mT6_P12ihipStream_tbENKUlT_T0_E_clISt17integral_constantIbLb1EESY_EEDaST_SU_EUlST_E0_NS1_11comp_targetILNS1_3genE2ELNS1_11target_archE906ELNS1_3gpuE6ELNS1_3repE0EEENS1_30default_config_static_selectorELNS0_4arch9wavefront6targetE1EEEvT1_,comdat
	.globl	_ZN7rocprim17ROCPRIM_400000_NS6detail17trampoline_kernelINS0_14default_configENS1_20scan_config_selectorIN3c104HalfEEEZZNS1_9scan_implILNS1_25lookback_scan_determinismE0ELb0ELb0ES3_PKS6_PS6_S6_ZZZN2at6native31launch_logcumsumexp_cuda_kernelERKNSD_10TensorBaseESH_lENKUlvE_clEvENKUlvE3_clEvEUlS6_S6_E_S6_EEDaPvRmT3_T4_T5_mT6_P12ihipStream_tbENKUlT_T0_E_clISt17integral_constantIbLb1EESY_EEDaST_SU_EUlST_E0_NS1_11comp_targetILNS1_3genE2ELNS1_11target_archE906ELNS1_3gpuE6ELNS1_3repE0EEENS1_30default_config_static_selectorELNS0_4arch9wavefront6targetE1EEEvT1_ ; -- Begin function _ZN7rocprim17ROCPRIM_400000_NS6detail17trampoline_kernelINS0_14default_configENS1_20scan_config_selectorIN3c104HalfEEEZZNS1_9scan_implILNS1_25lookback_scan_determinismE0ELb0ELb0ES3_PKS6_PS6_S6_ZZZN2at6native31launch_logcumsumexp_cuda_kernelERKNSD_10TensorBaseESH_lENKUlvE_clEvENKUlvE3_clEvEUlS6_S6_E_S6_EEDaPvRmT3_T4_T5_mT6_P12ihipStream_tbENKUlT_T0_E_clISt17integral_constantIbLb1EESY_EEDaST_SU_EUlST_E0_NS1_11comp_targetILNS1_3genE2ELNS1_11target_archE906ELNS1_3gpuE6ELNS1_3repE0EEENS1_30default_config_static_selectorELNS0_4arch9wavefront6targetE1EEEvT1_
	.p2align	8
	.type	_ZN7rocprim17ROCPRIM_400000_NS6detail17trampoline_kernelINS0_14default_configENS1_20scan_config_selectorIN3c104HalfEEEZZNS1_9scan_implILNS1_25lookback_scan_determinismE0ELb0ELb0ES3_PKS6_PS6_S6_ZZZN2at6native31launch_logcumsumexp_cuda_kernelERKNSD_10TensorBaseESH_lENKUlvE_clEvENKUlvE3_clEvEUlS6_S6_E_S6_EEDaPvRmT3_T4_T5_mT6_P12ihipStream_tbENKUlT_T0_E_clISt17integral_constantIbLb1EESY_EEDaST_SU_EUlST_E0_NS1_11comp_targetILNS1_3genE2ELNS1_11target_archE906ELNS1_3gpuE6ELNS1_3repE0EEENS1_30default_config_static_selectorELNS0_4arch9wavefront6targetE1EEEvT1_,@function
_ZN7rocprim17ROCPRIM_400000_NS6detail17trampoline_kernelINS0_14default_configENS1_20scan_config_selectorIN3c104HalfEEEZZNS1_9scan_implILNS1_25lookback_scan_determinismE0ELb0ELb0ES3_PKS6_PS6_S6_ZZZN2at6native31launch_logcumsumexp_cuda_kernelERKNSD_10TensorBaseESH_lENKUlvE_clEvENKUlvE3_clEvEUlS6_S6_E_S6_EEDaPvRmT3_T4_T5_mT6_P12ihipStream_tbENKUlT_T0_E_clISt17integral_constantIbLb1EESY_EEDaST_SU_EUlST_E0_NS1_11comp_targetILNS1_3genE2ELNS1_11target_archE906ELNS1_3gpuE6ELNS1_3repE0EEENS1_30default_config_static_selectorELNS0_4arch9wavefront6targetE1EEEvT1_: ; @_ZN7rocprim17ROCPRIM_400000_NS6detail17trampoline_kernelINS0_14default_configENS1_20scan_config_selectorIN3c104HalfEEEZZNS1_9scan_implILNS1_25lookback_scan_determinismE0ELb0ELb0ES3_PKS6_PS6_S6_ZZZN2at6native31launch_logcumsumexp_cuda_kernelERKNSD_10TensorBaseESH_lENKUlvE_clEvENKUlvE3_clEvEUlS6_S6_E_S6_EEDaPvRmT3_T4_T5_mT6_P12ihipStream_tbENKUlT_T0_E_clISt17integral_constantIbLb1EESY_EEDaST_SU_EUlST_E0_NS1_11comp_targetILNS1_3genE2ELNS1_11target_archE906ELNS1_3gpuE6ELNS1_3repE0EEENS1_30default_config_static_selectorELNS0_4arch9wavefront6targetE1EEEvT1_
; %bb.0:
	.section	.rodata,"a",@progbits
	.p2align	6, 0x0
	.amdhsa_kernel _ZN7rocprim17ROCPRIM_400000_NS6detail17trampoline_kernelINS0_14default_configENS1_20scan_config_selectorIN3c104HalfEEEZZNS1_9scan_implILNS1_25lookback_scan_determinismE0ELb0ELb0ES3_PKS6_PS6_S6_ZZZN2at6native31launch_logcumsumexp_cuda_kernelERKNSD_10TensorBaseESH_lENKUlvE_clEvENKUlvE3_clEvEUlS6_S6_E_S6_EEDaPvRmT3_T4_T5_mT6_P12ihipStream_tbENKUlT_T0_E_clISt17integral_constantIbLb1EESY_EEDaST_SU_EUlST_E0_NS1_11comp_targetILNS1_3genE2ELNS1_11target_archE906ELNS1_3gpuE6ELNS1_3repE0EEENS1_30default_config_static_selectorELNS0_4arch9wavefront6targetE1EEEvT1_
		.amdhsa_group_segment_fixed_size 0
		.amdhsa_private_segment_fixed_size 0
		.amdhsa_kernarg_size 32
		.amdhsa_user_sgpr_count 2
		.amdhsa_user_sgpr_dispatch_ptr 0
		.amdhsa_user_sgpr_queue_ptr 0
		.amdhsa_user_sgpr_kernarg_segment_ptr 1
		.amdhsa_user_sgpr_dispatch_id 0
		.amdhsa_user_sgpr_kernarg_preload_length 0
		.amdhsa_user_sgpr_kernarg_preload_offset 0
		.amdhsa_user_sgpr_private_segment_size 0
		.amdhsa_uses_dynamic_stack 0
		.amdhsa_enable_private_segment 0
		.amdhsa_system_sgpr_workgroup_id_x 1
		.amdhsa_system_sgpr_workgroup_id_y 0
		.amdhsa_system_sgpr_workgroup_id_z 0
		.amdhsa_system_sgpr_workgroup_info 0
		.amdhsa_system_vgpr_workitem_id 0
		.amdhsa_next_free_vgpr 1
		.amdhsa_next_free_sgpr 0
		.amdhsa_accum_offset 4
		.amdhsa_reserve_vcc 0
		.amdhsa_float_round_mode_32 0
		.amdhsa_float_round_mode_16_64 0
		.amdhsa_float_denorm_mode_32 3
		.amdhsa_float_denorm_mode_16_64 3
		.amdhsa_dx10_clamp 1
		.amdhsa_ieee_mode 1
		.amdhsa_fp16_overflow 0
		.amdhsa_tg_split 0
		.amdhsa_exception_fp_ieee_invalid_op 0
		.amdhsa_exception_fp_denorm_src 0
		.amdhsa_exception_fp_ieee_div_zero 0
		.amdhsa_exception_fp_ieee_overflow 0
		.amdhsa_exception_fp_ieee_underflow 0
		.amdhsa_exception_fp_ieee_inexact 0
		.amdhsa_exception_int_div_zero 0
	.end_amdhsa_kernel
	.section	.text._ZN7rocprim17ROCPRIM_400000_NS6detail17trampoline_kernelINS0_14default_configENS1_20scan_config_selectorIN3c104HalfEEEZZNS1_9scan_implILNS1_25lookback_scan_determinismE0ELb0ELb0ES3_PKS6_PS6_S6_ZZZN2at6native31launch_logcumsumexp_cuda_kernelERKNSD_10TensorBaseESH_lENKUlvE_clEvENKUlvE3_clEvEUlS6_S6_E_S6_EEDaPvRmT3_T4_T5_mT6_P12ihipStream_tbENKUlT_T0_E_clISt17integral_constantIbLb1EESY_EEDaST_SU_EUlST_E0_NS1_11comp_targetILNS1_3genE2ELNS1_11target_archE906ELNS1_3gpuE6ELNS1_3repE0EEENS1_30default_config_static_selectorELNS0_4arch9wavefront6targetE1EEEvT1_,"axG",@progbits,_ZN7rocprim17ROCPRIM_400000_NS6detail17trampoline_kernelINS0_14default_configENS1_20scan_config_selectorIN3c104HalfEEEZZNS1_9scan_implILNS1_25lookback_scan_determinismE0ELb0ELb0ES3_PKS6_PS6_S6_ZZZN2at6native31launch_logcumsumexp_cuda_kernelERKNSD_10TensorBaseESH_lENKUlvE_clEvENKUlvE3_clEvEUlS6_S6_E_S6_EEDaPvRmT3_T4_T5_mT6_P12ihipStream_tbENKUlT_T0_E_clISt17integral_constantIbLb1EESY_EEDaST_SU_EUlST_E0_NS1_11comp_targetILNS1_3genE2ELNS1_11target_archE906ELNS1_3gpuE6ELNS1_3repE0EEENS1_30default_config_static_selectorELNS0_4arch9wavefront6targetE1EEEvT1_,comdat
.Lfunc_end391:
	.size	_ZN7rocprim17ROCPRIM_400000_NS6detail17trampoline_kernelINS0_14default_configENS1_20scan_config_selectorIN3c104HalfEEEZZNS1_9scan_implILNS1_25lookback_scan_determinismE0ELb0ELb0ES3_PKS6_PS6_S6_ZZZN2at6native31launch_logcumsumexp_cuda_kernelERKNSD_10TensorBaseESH_lENKUlvE_clEvENKUlvE3_clEvEUlS6_S6_E_S6_EEDaPvRmT3_T4_T5_mT6_P12ihipStream_tbENKUlT_T0_E_clISt17integral_constantIbLb1EESY_EEDaST_SU_EUlST_E0_NS1_11comp_targetILNS1_3genE2ELNS1_11target_archE906ELNS1_3gpuE6ELNS1_3repE0EEENS1_30default_config_static_selectorELNS0_4arch9wavefront6targetE1EEEvT1_, .Lfunc_end391-_ZN7rocprim17ROCPRIM_400000_NS6detail17trampoline_kernelINS0_14default_configENS1_20scan_config_selectorIN3c104HalfEEEZZNS1_9scan_implILNS1_25lookback_scan_determinismE0ELb0ELb0ES3_PKS6_PS6_S6_ZZZN2at6native31launch_logcumsumexp_cuda_kernelERKNSD_10TensorBaseESH_lENKUlvE_clEvENKUlvE3_clEvEUlS6_S6_E_S6_EEDaPvRmT3_T4_T5_mT6_P12ihipStream_tbENKUlT_T0_E_clISt17integral_constantIbLb1EESY_EEDaST_SU_EUlST_E0_NS1_11comp_targetILNS1_3genE2ELNS1_11target_archE906ELNS1_3gpuE6ELNS1_3repE0EEENS1_30default_config_static_selectorELNS0_4arch9wavefront6targetE1EEEvT1_
                                        ; -- End function
	.set _ZN7rocprim17ROCPRIM_400000_NS6detail17trampoline_kernelINS0_14default_configENS1_20scan_config_selectorIN3c104HalfEEEZZNS1_9scan_implILNS1_25lookback_scan_determinismE0ELb0ELb0ES3_PKS6_PS6_S6_ZZZN2at6native31launch_logcumsumexp_cuda_kernelERKNSD_10TensorBaseESH_lENKUlvE_clEvENKUlvE3_clEvEUlS6_S6_E_S6_EEDaPvRmT3_T4_T5_mT6_P12ihipStream_tbENKUlT_T0_E_clISt17integral_constantIbLb1EESY_EEDaST_SU_EUlST_E0_NS1_11comp_targetILNS1_3genE2ELNS1_11target_archE906ELNS1_3gpuE6ELNS1_3repE0EEENS1_30default_config_static_selectorELNS0_4arch9wavefront6targetE1EEEvT1_.num_vgpr, 0
	.set _ZN7rocprim17ROCPRIM_400000_NS6detail17trampoline_kernelINS0_14default_configENS1_20scan_config_selectorIN3c104HalfEEEZZNS1_9scan_implILNS1_25lookback_scan_determinismE0ELb0ELb0ES3_PKS6_PS6_S6_ZZZN2at6native31launch_logcumsumexp_cuda_kernelERKNSD_10TensorBaseESH_lENKUlvE_clEvENKUlvE3_clEvEUlS6_S6_E_S6_EEDaPvRmT3_T4_T5_mT6_P12ihipStream_tbENKUlT_T0_E_clISt17integral_constantIbLb1EESY_EEDaST_SU_EUlST_E0_NS1_11comp_targetILNS1_3genE2ELNS1_11target_archE906ELNS1_3gpuE6ELNS1_3repE0EEENS1_30default_config_static_selectorELNS0_4arch9wavefront6targetE1EEEvT1_.num_agpr, 0
	.set _ZN7rocprim17ROCPRIM_400000_NS6detail17trampoline_kernelINS0_14default_configENS1_20scan_config_selectorIN3c104HalfEEEZZNS1_9scan_implILNS1_25lookback_scan_determinismE0ELb0ELb0ES3_PKS6_PS6_S6_ZZZN2at6native31launch_logcumsumexp_cuda_kernelERKNSD_10TensorBaseESH_lENKUlvE_clEvENKUlvE3_clEvEUlS6_S6_E_S6_EEDaPvRmT3_T4_T5_mT6_P12ihipStream_tbENKUlT_T0_E_clISt17integral_constantIbLb1EESY_EEDaST_SU_EUlST_E0_NS1_11comp_targetILNS1_3genE2ELNS1_11target_archE906ELNS1_3gpuE6ELNS1_3repE0EEENS1_30default_config_static_selectorELNS0_4arch9wavefront6targetE1EEEvT1_.numbered_sgpr, 0
	.set _ZN7rocprim17ROCPRIM_400000_NS6detail17trampoline_kernelINS0_14default_configENS1_20scan_config_selectorIN3c104HalfEEEZZNS1_9scan_implILNS1_25lookback_scan_determinismE0ELb0ELb0ES3_PKS6_PS6_S6_ZZZN2at6native31launch_logcumsumexp_cuda_kernelERKNSD_10TensorBaseESH_lENKUlvE_clEvENKUlvE3_clEvEUlS6_S6_E_S6_EEDaPvRmT3_T4_T5_mT6_P12ihipStream_tbENKUlT_T0_E_clISt17integral_constantIbLb1EESY_EEDaST_SU_EUlST_E0_NS1_11comp_targetILNS1_3genE2ELNS1_11target_archE906ELNS1_3gpuE6ELNS1_3repE0EEENS1_30default_config_static_selectorELNS0_4arch9wavefront6targetE1EEEvT1_.num_named_barrier, 0
	.set _ZN7rocprim17ROCPRIM_400000_NS6detail17trampoline_kernelINS0_14default_configENS1_20scan_config_selectorIN3c104HalfEEEZZNS1_9scan_implILNS1_25lookback_scan_determinismE0ELb0ELb0ES3_PKS6_PS6_S6_ZZZN2at6native31launch_logcumsumexp_cuda_kernelERKNSD_10TensorBaseESH_lENKUlvE_clEvENKUlvE3_clEvEUlS6_S6_E_S6_EEDaPvRmT3_T4_T5_mT6_P12ihipStream_tbENKUlT_T0_E_clISt17integral_constantIbLb1EESY_EEDaST_SU_EUlST_E0_NS1_11comp_targetILNS1_3genE2ELNS1_11target_archE906ELNS1_3gpuE6ELNS1_3repE0EEENS1_30default_config_static_selectorELNS0_4arch9wavefront6targetE1EEEvT1_.private_seg_size, 0
	.set _ZN7rocprim17ROCPRIM_400000_NS6detail17trampoline_kernelINS0_14default_configENS1_20scan_config_selectorIN3c104HalfEEEZZNS1_9scan_implILNS1_25lookback_scan_determinismE0ELb0ELb0ES3_PKS6_PS6_S6_ZZZN2at6native31launch_logcumsumexp_cuda_kernelERKNSD_10TensorBaseESH_lENKUlvE_clEvENKUlvE3_clEvEUlS6_S6_E_S6_EEDaPvRmT3_T4_T5_mT6_P12ihipStream_tbENKUlT_T0_E_clISt17integral_constantIbLb1EESY_EEDaST_SU_EUlST_E0_NS1_11comp_targetILNS1_3genE2ELNS1_11target_archE906ELNS1_3gpuE6ELNS1_3repE0EEENS1_30default_config_static_selectorELNS0_4arch9wavefront6targetE1EEEvT1_.uses_vcc, 0
	.set _ZN7rocprim17ROCPRIM_400000_NS6detail17trampoline_kernelINS0_14default_configENS1_20scan_config_selectorIN3c104HalfEEEZZNS1_9scan_implILNS1_25lookback_scan_determinismE0ELb0ELb0ES3_PKS6_PS6_S6_ZZZN2at6native31launch_logcumsumexp_cuda_kernelERKNSD_10TensorBaseESH_lENKUlvE_clEvENKUlvE3_clEvEUlS6_S6_E_S6_EEDaPvRmT3_T4_T5_mT6_P12ihipStream_tbENKUlT_T0_E_clISt17integral_constantIbLb1EESY_EEDaST_SU_EUlST_E0_NS1_11comp_targetILNS1_3genE2ELNS1_11target_archE906ELNS1_3gpuE6ELNS1_3repE0EEENS1_30default_config_static_selectorELNS0_4arch9wavefront6targetE1EEEvT1_.uses_flat_scratch, 0
	.set _ZN7rocprim17ROCPRIM_400000_NS6detail17trampoline_kernelINS0_14default_configENS1_20scan_config_selectorIN3c104HalfEEEZZNS1_9scan_implILNS1_25lookback_scan_determinismE0ELb0ELb0ES3_PKS6_PS6_S6_ZZZN2at6native31launch_logcumsumexp_cuda_kernelERKNSD_10TensorBaseESH_lENKUlvE_clEvENKUlvE3_clEvEUlS6_S6_E_S6_EEDaPvRmT3_T4_T5_mT6_P12ihipStream_tbENKUlT_T0_E_clISt17integral_constantIbLb1EESY_EEDaST_SU_EUlST_E0_NS1_11comp_targetILNS1_3genE2ELNS1_11target_archE906ELNS1_3gpuE6ELNS1_3repE0EEENS1_30default_config_static_selectorELNS0_4arch9wavefront6targetE1EEEvT1_.has_dyn_sized_stack, 0
	.set _ZN7rocprim17ROCPRIM_400000_NS6detail17trampoline_kernelINS0_14default_configENS1_20scan_config_selectorIN3c104HalfEEEZZNS1_9scan_implILNS1_25lookback_scan_determinismE0ELb0ELb0ES3_PKS6_PS6_S6_ZZZN2at6native31launch_logcumsumexp_cuda_kernelERKNSD_10TensorBaseESH_lENKUlvE_clEvENKUlvE3_clEvEUlS6_S6_E_S6_EEDaPvRmT3_T4_T5_mT6_P12ihipStream_tbENKUlT_T0_E_clISt17integral_constantIbLb1EESY_EEDaST_SU_EUlST_E0_NS1_11comp_targetILNS1_3genE2ELNS1_11target_archE906ELNS1_3gpuE6ELNS1_3repE0EEENS1_30default_config_static_selectorELNS0_4arch9wavefront6targetE1EEEvT1_.has_recursion, 0
	.set _ZN7rocprim17ROCPRIM_400000_NS6detail17trampoline_kernelINS0_14default_configENS1_20scan_config_selectorIN3c104HalfEEEZZNS1_9scan_implILNS1_25lookback_scan_determinismE0ELb0ELb0ES3_PKS6_PS6_S6_ZZZN2at6native31launch_logcumsumexp_cuda_kernelERKNSD_10TensorBaseESH_lENKUlvE_clEvENKUlvE3_clEvEUlS6_S6_E_S6_EEDaPvRmT3_T4_T5_mT6_P12ihipStream_tbENKUlT_T0_E_clISt17integral_constantIbLb1EESY_EEDaST_SU_EUlST_E0_NS1_11comp_targetILNS1_3genE2ELNS1_11target_archE906ELNS1_3gpuE6ELNS1_3repE0EEENS1_30default_config_static_selectorELNS0_4arch9wavefront6targetE1EEEvT1_.has_indirect_call, 0
	.section	.AMDGPU.csdata,"",@progbits
; Kernel info:
; codeLenInByte = 0
; TotalNumSgprs: 6
; NumVgprs: 0
; NumAgprs: 0
; TotalNumVgprs: 0
; ScratchSize: 0
; MemoryBound: 0
; FloatMode: 240
; IeeeMode: 1
; LDSByteSize: 0 bytes/workgroup (compile time only)
; SGPRBlocks: 0
; VGPRBlocks: 0
; NumSGPRsForWavesPerEU: 6
; NumVGPRsForWavesPerEU: 1
; AccumOffset: 4
; Occupancy: 8
; WaveLimiterHint : 0
; COMPUTE_PGM_RSRC2:SCRATCH_EN: 0
; COMPUTE_PGM_RSRC2:USER_SGPR: 2
; COMPUTE_PGM_RSRC2:TRAP_HANDLER: 0
; COMPUTE_PGM_RSRC2:TGID_X_EN: 1
; COMPUTE_PGM_RSRC2:TGID_Y_EN: 0
; COMPUTE_PGM_RSRC2:TGID_Z_EN: 0
; COMPUTE_PGM_RSRC2:TIDIG_COMP_CNT: 0
; COMPUTE_PGM_RSRC3_GFX90A:ACCUM_OFFSET: 0
; COMPUTE_PGM_RSRC3_GFX90A:TG_SPLIT: 0
	.section	.text._ZN7rocprim17ROCPRIM_400000_NS6detail17trampoline_kernelINS0_14default_configENS1_20scan_config_selectorIN3c104HalfEEEZZNS1_9scan_implILNS1_25lookback_scan_determinismE0ELb0ELb0ES3_PKS6_PS6_S6_ZZZN2at6native31launch_logcumsumexp_cuda_kernelERKNSD_10TensorBaseESH_lENKUlvE_clEvENKUlvE3_clEvEUlS6_S6_E_S6_EEDaPvRmT3_T4_T5_mT6_P12ihipStream_tbENKUlT_T0_E_clISt17integral_constantIbLb1EESY_EEDaST_SU_EUlST_E0_NS1_11comp_targetILNS1_3genE10ELNS1_11target_archE1201ELNS1_3gpuE5ELNS1_3repE0EEENS1_30default_config_static_selectorELNS0_4arch9wavefront6targetE1EEEvT1_,"axG",@progbits,_ZN7rocprim17ROCPRIM_400000_NS6detail17trampoline_kernelINS0_14default_configENS1_20scan_config_selectorIN3c104HalfEEEZZNS1_9scan_implILNS1_25lookback_scan_determinismE0ELb0ELb0ES3_PKS6_PS6_S6_ZZZN2at6native31launch_logcumsumexp_cuda_kernelERKNSD_10TensorBaseESH_lENKUlvE_clEvENKUlvE3_clEvEUlS6_S6_E_S6_EEDaPvRmT3_T4_T5_mT6_P12ihipStream_tbENKUlT_T0_E_clISt17integral_constantIbLb1EESY_EEDaST_SU_EUlST_E0_NS1_11comp_targetILNS1_3genE10ELNS1_11target_archE1201ELNS1_3gpuE5ELNS1_3repE0EEENS1_30default_config_static_selectorELNS0_4arch9wavefront6targetE1EEEvT1_,comdat
	.globl	_ZN7rocprim17ROCPRIM_400000_NS6detail17trampoline_kernelINS0_14default_configENS1_20scan_config_selectorIN3c104HalfEEEZZNS1_9scan_implILNS1_25lookback_scan_determinismE0ELb0ELb0ES3_PKS6_PS6_S6_ZZZN2at6native31launch_logcumsumexp_cuda_kernelERKNSD_10TensorBaseESH_lENKUlvE_clEvENKUlvE3_clEvEUlS6_S6_E_S6_EEDaPvRmT3_T4_T5_mT6_P12ihipStream_tbENKUlT_T0_E_clISt17integral_constantIbLb1EESY_EEDaST_SU_EUlST_E0_NS1_11comp_targetILNS1_3genE10ELNS1_11target_archE1201ELNS1_3gpuE5ELNS1_3repE0EEENS1_30default_config_static_selectorELNS0_4arch9wavefront6targetE1EEEvT1_ ; -- Begin function _ZN7rocprim17ROCPRIM_400000_NS6detail17trampoline_kernelINS0_14default_configENS1_20scan_config_selectorIN3c104HalfEEEZZNS1_9scan_implILNS1_25lookback_scan_determinismE0ELb0ELb0ES3_PKS6_PS6_S6_ZZZN2at6native31launch_logcumsumexp_cuda_kernelERKNSD_10TensorBaseESH_lENKUlvE_clEvENKUlvE3_clEvEUlS6_S6_E_S6_EEDaPvRmT3_T4_T5_mT6_P12ihipStream_tbENKUlT_T0_E_clISt17integral_constantIbLb1EESY_EEDaST_SU_EUlST_E0_NS1_11comp_targetILNS1_3genE10ELNS1_11target_archE1201ELNS1_3gpuE5ELNS1_3repE0EEENS1_30default_config_static_selectorELNS0_4arch9wavefront6targetE1EEEvT1_
	.p2align	8
	.type	_ZN7rocprim17ROCPRIM_400000_NS6detail17trampoline_kernelINS0_14default_configENS1_20scan_config_selectorIN3c104HalfEEEZZNS1_9scan_implILNS1_25lookback_scan_determinismE0ELb0ELb0ES3_PKS6_PS6_S6_ZZZN2at6native31launch_logcumsumexp_cuda_kernelERKNSD_10TensorBaseESH_lENKUlvE_clEvENKUlvE3_clEvEUlS6_S6_E_S6_EEDaPvRmT3_T4_T5_mT6_P12ihipStream_tbENKUlT_T0_E_clISt17integral_constantIbLb1EESY_EEDaST_SU_EUlST_E0_NS1_11comp_targetILNS1_3genE10ELNS1_11target_archE1201ELNS1_3gpuE5ELNS1_3repE0EEENS1_30default_config_static_selectorELNS0_4arch9wavefront6targetE1EEEvT1_,@function
_ZN7rocprim17ROCPRIM_400000_NS6detail17trampoline_kernelINS0_14default_configENS1_20scan_config_selectorIN3c104HalfEEEZZNS1_9scan_implILNS1_25lookback_scan_determinismE0ELb0ELb0ES3_PKS6_PS6_S6_ZZZN2at6native31launch_logcumsumexp_cuda_kernelERKNSD_10TensorBaseESH_lENKUlvE_clEvENKUlvE3_clEvEUlS6_S6_E_S6_EEDaPvRmT3_T4_T5_mT6_P12ihipStream_tbENKUlT_T0_E_clISt17integral_constantIbLb1EESY_EEDaST_SU_EUlST_E0_NS1_11comp_targetILNS1_3genE10ELNS1_11target_archE1201ELNS1_3gpuE5ELNS1_3repE0EEENS1_30default_config_static_selectorELNS0_4arch9wavefront6targetE1EEEvT1_: ; @_ZN7rocprim17ROCPRIM_400000_NS6detail17trampoline_kernelINS0_14default_configENS1_20scan_config_selectorIN3c104HalfEEEZZNS1_9scan_implILNS1_25lookback_scan_determinismE0ELb0ELb0ES3_PKS6_PS6_S6_ZZZN2at6native31launch_logcumsumexp_cuda_kernelERKNSD_10TensorBaseESH_lENKUlvE_clEvENKUlvE3_clEvEUlS6_S6_E_S6_EEDaPvRmT3_T4_T5_mT6_P12ihipStream_tbENKUlT_T0_E_clISt17integral_constantIbLb1EESY_EEDaST_SU_EUlST_E0_NS1_11comp_targetILNS1_3genE10ELNS1_11target_archE1201ELNS1_3gpuE5ELNS1_3repE0EEENS1_30default_config_static_selectorELNS0_4arch9wavefront6targetE1EEEvT1_
; %bb.0:
	.section	.rodata,"a",@progbits
	.p2align	6, 0x0
	.amdhsa_kernel _ZN7rocprim17ROCPRIM_400000_NS6detail17trampoline_kernelINS0_14default_configENS1_20scan_config_selectorIN3c104HalfEEEZZNS1_9scan_implILNS1_25lookback_scan_determinismE0ELb0ELb0ES3_PKS6_PS6_S6_ZZZN2at6native31launch_logcumsumexp_cuda_kernelERKNSD_10TensorBaseESH_lENKUlvE_clEvENKUlvE3_clEvEUlS6_S6_E_S6_EEDaPvRmT3_T4_T5_mT6_P12ihipStream_tbENKUlT_T0_E_clISt17integral_constantIbLb1EESY_EEDaST_SU_EUlST_E0_NS1_11comp_targetILNS1_3genE10ELNS1_11target_archE1201ELNS1_3gpuE5ELNS1_3repE0EEENS1_30default_config_static_selectorELNS0_4arch9wavefront6targetE1EEEvT1_
		.amdhsa_group_segment_fixed_size 0
		.amdhsa_private_segment_fixed_size 0
		.amdhsa_kernarg_size 32
		.amdhsa_user_sgpr_count 2
		.amdhsa_user_sgpr_dispatch_ptr 0
		.amdhsa_user_sgpr_queue_ptr 0
		.amdhsa_user_sgpr_kernarg_segment_ptr 1
		.amdhsa_user_sgpr_dispatch_id 0
		.amdhsa_user_sgpr_kernarg_preload_length 0
		.amdhsa_user_sgpr_kernarg_preload_offset 0
		.amdhsa_user_sgpr_private_segment_size 0
		.amdhsa_uses_dynamic_stack 0
		.amdhsa_enable_private_segment 0
		.amdhsa_system_sgpr_workgroup_id_x 1
		.amdhsa_system_sgpr_workgroup_id_y 0
		.amdhsa_system_sgpr_workgroup_id_z 0
		.amdhsa_system_sgpr_workgroup_info 0
		.amdhsa_system_vgpr_workitem_id 0
		.amdhsa_next_free_vgpr 1
		.amdhsa_next_free_sgpr 0
		.amdhsa_accum_offset 4
		.amdhsa_reserve_vcc 0
		.amdhsa_float_round_mode_32 0
		.amdhsa_float_round_mode_16_64 0
		.amdhsa_float_denorm_mode_32 3
		.amdhsa_float_denorm_mode_16_64 3
		.amdhsa_dx10_clamp 1
		.amdhsa_ieee_mode 1
		.amdhsa_fp16_overflow 0
		.amdhsa_tg_split 0
		.amdhsa_exception_fp_ieee_invalid_op 0
		.amdhsa_exception_fp_denorm_src 0
		.amdhsa_exception_fp_ieee_div_zero 0
		.amdhsa_exception_fp_ieee_overflow 0
		.amdhsa_exception_fp_ieee_underflow 0
		.amdhsa_exception_fp_ieee_inexact 0
		.amdhsa_exception_int_div_zero 0
	.end_amdhsa_kernel
	.section	.text._ZN7rocprim17ROCPRIM_400000_NS6detail17trampoline_kernelINS0_14default_configENS1_20scan_config_selectorIN3c104HalfEEEZZNS1_9scan_implILNS1_25lookback_scan_determinismE0ELb0ELb0ES3_PKS6_PS6_S6_ZZZN2at6native31launch_logcumsumexp_cuda_kernelERKNSD_10TensorBaseESH_lENKUlvE_clEvENKUlvE3_clEvEUlS6_S6_E_S6_EEDaPvRmT3_T4_T5_mT6_P12ihipStream_tbENKUlT_T0_E_clISt17integral_constantIbLb1EESY_EEDaST_SU_EUlST_E0_NS1_11comp_targetILNS1_3genE10ELNS1_11target_archE1201ELNS1_3gpuE5ELNS1_3repE0EEENS1_30default_config_static_selectorELNS0_4arch9wavefront6targetE1EEEvT1_,"axG",@progbits,_ZN7rocprim17ROCPRIM_400000_NS6detail17trampoline_kernelINS0_14default_configENS1_20scan_config_selectorIN3c104HalfEEEZZNS1_9scan_implILNS1_25lookback_scan_determinismE0ELb0ELb0ES3_PKS6_PS6_S6_ZZZN2at6native31launch_logcumsumexp_cuda_kernelERKNSD_10TensorBaseESH_lENKUlvE_clEvENKUlvE3_clEvEUlS6_S6_E_S6_EEDaPvRmT3_T4_T5_mT6_P12ihipStream_tbENKUlT_T0_E_clISt17integral_constantIbLb1EESY_EEDaST_SU_EUlST_E0_NS1_11comp_targetILNS1_3genE10ELNS1_11target_archE1201ELNS1_3gpuE5ELNS1_3repE0EEENS1_30default_config_static_selectorELNS0_4arch9wavefront6targetE1EEEvT1_,comdat
.Lfunc_end392:
	.size	_ZN7rocprim17ROCPRIM_400000_NS6detail17trampoline_kernelINS0_14default_configENS1_20scan_config_selectorIN3c104HalfEEEZZNS1_9scan_implILNS1_25lookback_scan_determinismE0ELb0ELb0ES3_PKS6_PS6_S6_ZZZN2at6native31launch_logcumsumexp_cuda_kernelERKNSD_10TensorBaseESH_lENKUlvE_clEvENKUlvE3_clEvEUlS6_S6_E_S6_EEDaPvRmT3_T4_T5_mT6_P12ihipStream_tbENKUlT_T0_E_clISt17integral_constantIbLb1EESY_EEDaST_SU_EUlST_E0_NS1_11comp_targetILNS1_3genE10ELNS1_11target_archE1201ELNS1_3gpuE5ELNS1_3repE0EEENS1_30default_config_static_selectorELNS0_4arch9wavefront6targetE1EEEvT1_, .Lfunc_end392-_ZN7rocprim17ROCPRIM_400000_NS6detail17trampoline_kernelINS0_14default_configENS1_20scan_config_selectorIN3c104HalfEEEZZNS1_9scan_implILNS1_25lookback_scan_determinismE0ELb0ELb0ES3_PKS6_PS6_S6_ZZZN2at6native31launch_logcumsumexp_cuda_kernelERKNSD_10TensorBaseESH_lENKUlvE_clEvENKUlvE3_clEvEUlS6_S6_E_S6_EEDaPvRmT3_T4_T5_mT6_P12ihipStream_tbENKUlT_T0_E_clISt17integral_constantIbLb1EESY_EEDaST_SU_EUlST_E0_NS1_11comp_targetILNS1_3genE10ELNS1_11target_archE1201ELNS1_3gpuE5ELNS1_3repE0EEENS1_30default_config_static_selectorELNS0_4arch9wavefront6targetE1EEEvT1_
                                        ; -- End function
	.set _ZN7rocprim17ROCPRIM_400000_NS6detail17trampoline_kernelINS0_14default_configENS1_20scan_config_selectorIN3c104HalfEEEZZNS1_9scan_implILNS1_25lookback_scan_determinismE0ELb0ELb0ES3_PKS6_PS6_S6_ZZZN2at6native31launch_logcumsumexp_cuda_kernelERKNSD_10TensorBaseESH_lENKUlvE_clEvENKUlvE3_clEvEUlS6_S6_E_S6_EEDaPvRmT3_T4_T5_mT6_P12ihipStream_tbENKUlT_T0_E_clISt17integral_constantIbLb1EESY_EEDaST_SU_EUlST_E0_NS1_11comp_targetILNS1_3genE10ELNS1_11target_archE1201ELNS1_3gpuE5ELNS1_3repE0EEENS1_30default_config_static_selectorELNS0_4arch9wavefront6targetE1EEEvT1_.num_vgpr, 0
	.set _ZN7rocprim17ROCPRIM_400000_NS6detail17trampoline_kernelINS0_14default_configENS1_20scan_config_selectorIN3c104HalfEEEZZNS1_9scan_implILNS1_25lookback_scan_determinismE0ELb0ELb0ES3_PKS6_PS6_S6_ZZZN2at6native31launch_logcumsumexp_cuda_kernelERKNSD_10TensorBaseESH_lENKUlvE_clEvENKUlvE3_clEvEUlS6_S6_E_S6_EEDaPvRmT3_T4_T5_mT6_P12ihipStream_tbENKUlT_T0_E_clISt17integral_constantIbLb1EESY_EEDaST_SU_EUlST_E0_NS1_11comp_targetILNS1_3genE10ELNS1_11target_archE1201ELNS1_3gpuE5ELNS1_3repE0EEENS1_30default_config_static_selectorELNS0_4arch9wavefront6targetE1EEEvT1_.num_agpr, 0
	.set _ZN7rocprim17ROCPRIM_400000_NS6detail17trampoline_kernelINS0_14default_configENS1_20scan_config_selectorIN3c104HalfEEEZZNS1_9scan_implILNS1_25lookback_scan_determinismE0ELb0ELb0ES3_PKS6_PS6_S6_ZZZN2at6native31launch_logcumsumexp_cuda_kernelERKNSD_10TensorBaseESH_lENKUlvE_clEvENKUlvE3_clEvEUlS6_S6_E_S6_EEDaPvRmT3_T4_T5_mT6_P12ihipStream_tbENKUlT_T0_E_clISt17integral_constantIbLb1EESY_EEDaST_SU_EUlST_E0_NS1_11comp_targetILNS1_3genE10ELNS1_11target_archE1201ELNS1_3gpuE5ELNS1_3repE0EEENS1_30default_config_static_selectorELNS0_4arch9wavefront6targetE1EEEvT1_.numbered_sgpr, 0
	.set _ZN7rocprim17ROCPRIM_400000_NS6detail17trampoline_kernelINS0_14default_configENS1_20scan_config_selectorIN3c104HalfEEEZZNS1_9scan_implILNS1_25lookback_scan_determinismE0ELb0ELb0ES3_PKS6_PS6_S6_ZZZN2at6native31launch_logcumsumexp_cuda_kernelERKNSD_10TensorBaseESH_lENKUlvE_clEvENKUlvE3_clEvEUlS6_S6_E_S6_EEDaPvRmT3_T4_T5_mT6_P12ihipStream_tbENKUlT_T0_E_clISt17integral_constantIbLb1EESY_EEDaST_SU_EUlST_E0_NS1_11comp_targetILNS1_3genE10ELNS1_11target_archE1201ELNS1_3gpuE5ELNS1_3repE0EEENS1_30default_config_static_selectorELNS0_4arch9wavefront6targetE1EEEvT1_.num_named_barrier, 0
	.set _ZN7rocprim17ROCPRIM_400000_NS6detail17trampoline_kernelINS0_14default_configENS1_20scan_config_selectorIN3c104HalfEEEZZNS1_9scan_implILNS1_25lookback_scan_determinismE0ELb0ELb0ES3_PKS6_PS6_S6_ZZZN2at6native31launch_logcumsumexp_cuda_kernelERKNSD_10TensorBaseESH_lENKUlvE_clEvENKUlvE3_clEvEUlS6_S6_E_S6_EEDaPvRmT3_T4_T5_mT6_P12ihipStream_tbENKUlT_T0_E_clISt17integral_constantIbLb1EESY_EEDaST_SU_EUlST_E0_NS1_11comp_targetILNS1_3genE10ELNS1_11target_archE1201ELNS1_3gpuE5ELNS1_3repE0EEENS1_30default_config_static_selectorELNS0_4arch9wavefront6targetE1EEEvT1_.private_seg_size, 0
	.set _ZN7rocprim17ROCPRIM_400000_NS6detail17trampoline_kernelINS0_14default_configENS1_20scan_config_selectorIN3c104HalfEEEZZNS1_9scan_implILNS1_25lookback_scan_determinismE0ELb0ELb0ES3_PKS6_PS6_S6_ZZZN2at6native31launch_logcumsumexp_cuda_kernelERKNSD_10TensorBaseESH_lENKUlvE_clEvENKUlvE3_clEvEUlS6_S6_E_S6_EEDaPvRmT3_T4_T5_mT6_P12ihipStream_tbENKUlT_T0_E_clISt17integral_constantIbLb1EESY_EEDaST_SU_EUlST_E0_NS1_11comp_targetILNS1_3genE10ELNS1_11target_archE1201ELNS1_3gpuE5ELNS1_3repE0EEENS1_30default_config_static_selectorELNS0_4arch9wavefront6targetE1EEEvT1_.uses_vcc, 0
	.set _ZN7rocprim17ROCPRIM_400000_NS6detail17trampoline_kernelINS0_14default_configENS1_20scan_config_selectorIN3c104HalfEEEZZNS1_9scan_implILNS1_25lookback_scan_determinismE0ELb0ELb0ES3_PKS6_PS6_S6_ZZZN2at6native31launch_logcumsumexp_cuda_kernelERKNSD_10TensorBaseESH_lENKUlvE_clEvENKUlvE3_clEvEUlS6_S6_E_S6_EEDaPvRmT3_T4_T5_mT6_P12ihipStream_tbENKUlT_T0_E_clISt17integral_constantIbLb1EESY_EEDaST_SU_EUlST_E0_NS1_11comp_targetILNS1_3genE10ELNS1_11target_archE1201ELNS1_3gpuE5ELNS1_3repE0EEENS1_30default_config_static_selectorELNS0_4arch9wavefront6targetE1EEEvT1_.uses_flat_scratch, 0
	.set _ZN7rocprim17ROCPRIM_400000_NS6detail17trampoline_kernelINS0_14default_configENS1_20scan_config_selectorIN3c104HalfEEEZZNS1_9scan_implILNS1_25lookback_scan_determinismE0ELb0ELb0ES3_PKS6_PS6_S6_ZZZN2at6native31launch_logcumsumexp_cuda_kernelERKNSD_10TensorBaseESH_lENKUlvE_clEvENKUlvE3_clEvEUlS6_S6_E_S6_EEDaPvRmT3_T4_T5_mT6_P12ihipStream_tbENKUlT_T0_E_clISt17integral_constantIbLb1EESY_EEDaST_SU_EUlST_E0_NS1_11comp_targetILNS1_3genE10ELNS1_11target_archE1201ELNS1_3gpuE5ELNS1_3repE0EEENS1_30default_config_static_selectorELNS0_4arch9wavefront6targetE1EEEvT1_.has_dyn_sized_stack, 0
	.set _ZN7rocprim17ROCPRIM_400000_NS6detail17trampoline_kernelINS0_14default_configENS1_20scan_config_selectorIN3c104HalfEEEZZNS1_9scan_implILNS1_25lookback_scan_determinismE0ELb0ELb0ES3_PKS6_PS6_S6_ZZZN2at6native31launch_logcumsumexp_cuda_kernelERKNSD_10TensorBaseESH_lENKUlvE_clEvENKUlvE3_clEvEUlS6_S6_E_S6_EEDaPvRmT3_T4_T5_mT6_P12ihipStream_tbENKUlT_T0_E_clISt17integral_constantIbLb1EESY_EEDaST_SU_EUlST_E0_NS1_11comp_targetILNS1_3genE10ELNS1_11target_archE1201ELNS1_3gpuE5ELNS1_3repE0EEENS1_30default_config_static_selectorELNS0_4arch9wavefront6targetE1EEEvT1_.has_recursion, 0
	.set _ZN7rocprim17ROCPRIM_400000_NS6detail17trampoline_kernelINS0_14default_configENS1_20scan_config_selectorIN3c104HalfEEEZZNS1_9scan_implILNS1_25lookback_scan_determinismE0ELb0ELb0ES3_PKS6_PS6_S6_ZZZN2at6native31launch_logcumsumexp_cuda_kernelERKNSD_10TensorBaseESH_lENKUlvE_clEvENKUlvE3_clEvEUlS6_S6_E_S6_EEDaPvRmT3_T4_T5_mT6_P12ihipStream_tbENKUlT_T0_E_clISt17integral_constantIbLb1EESY_EEDaST_SU_EUlST_E0_NS1_11comp_targetILNS1_3genE10ELNS1_11target_archE1201ELNS1_3gpuE5ELNS1_3repE0EEENS1_30default_config_static_selectorELNS0_4arch9wavefront6targetE1EEEvT1_.has_indirect_call, 0
	.section	.AMDGPU.csdata,"",@progbits
; Kernel info:
; codeLenInByte = 0
; TotalNumSgprs: 6
; NumVgprs: 0
; NumAgprs: 0
; TotalNumVgprs: 0
; ScratchSize: 0
; MemoryBound: 0
; FloatMode: 240
; IeeeMode: 1
; LDSByteSize: 0 bytes/workgroup (compile time only)
; SGPRBlocks: 0
; VGPRBlocks: 0
; NumSGPRsForWavesPerEU: 6
; NumVGPRsForWavesPerEU: 1
; AccumOffset: 4
; Occupancy: 8
; WaveLimiterHint : 0
; COMPUTE_PGM_RSRC2:SCRATCH_EN: 0
; COMPUTE_PGM_RSRC2:USER_SGPR: 2
; COMPUTE_PGM_RSRC2:TRAP_HANDLER: 0
; COMPUTE_PGM_RSRC2:TGID_X_EN: 1
; COMPUTE_PGM_RSRC2:TGID_Y_EN: 0
; COMPUTE_PGM_RSRC2:TGID_Z_EN: 0
; COMPUTE_PGM_RSRC2:TIDIG_COMP_CNT: 0
; COMPUTE_PGM_RSRC3_GFX90A:ACCUM_OFFSET: 0
; COMPUTE_PGM_RSRC3_GFX90A:TG_SPLIT: 0
	.section	.text._ZN7rocprim17ROCPRIM_400000_NS6detail17trampoline_kernelINS0_14default_configENS1_20scan_config_selectorIN3c104HalfEEEZZNS1_9scan_implILNS1_25lookback_scan_determinismE0ELb0ELb0ES3_PKS6_PS6_S6_ZZZN2at6native31launch_logcumsumexp_cuda_kernelERKNSD_10TensorBaseESH_lENKUlvE_clEvENKUlvE3_clEvEUlS6_S6_E_S6_EEDaPvRmT3_T4_T5_mT6_P12ihipStream_tbENKUlT_T0_E_clISt17integral_constantIbLb1EESY_EEDaST_SU_EUlST_E0_NS1_11comp_targetILNS1_3genE10ELNS1_11target_archE1200ELNS1_3gpuE4ELNS1_3repE0EEENS1_30default_config_static_selectorELNS0_4arch9wavefront6targetE1EEEvT1_,"axG",@progbits,_ZN7rocprim17ROCPRIM_400000_NS6detail17trampoline_kernelINS0_14default_configENS1_20scan_config_selectorIN3c104HalfEEEZZNS1_9scan_implILNS1_25lookback_scan_determinismE0ELb0ELb0ES3_PKS6_PS6_S6_ZZZN2at6native31launch_logcumsumexp_cuda_kernelERKNSD_10TensorBaseESH_lENKUlvE_clEvENKUlvE3_clEvEUlS6_S6_E_S6_EEDaPvRmT3_T4_T5_mT6_P12ihipStream_tbENKUlT_T0_E_clISt17integral_constantIbLb1EESY_EEDaST_SU_EUlST_E0_NS1_11comp_targetILNS1_3genE10ELNS1_11target_archE1200ELNS1_3gpuE4ELNS1_3repE0EEENS1_30default_config_static_selectorELNS0_4arch9wavefront6targetE1EEEvT1_,comdat
	.globl	_ZN7rocprim17ROCPRIM_400000_NS6detail17trampoline_kernelINS0_14default_configENS1_20scan_config_selectorIN3c104HalfEEEZZNS1_9scan_implILNS1_25lookback_scan_determinismE0ELb0ELb0ES3_PKS6_PS6_S6_ZZZN2at6native31launch_logcumsumexp_cuda_kernelERKNSD_10TensorBaseESH_lENKUlvE_clEvENKUlvE3_clEvEUlS6_S6_E_S6_EEDaPvRmT3_T4_T5_mT6_P12ihipStream_tbENKUlT_T0_E_clISt17integral_constantIbLb1EESY_EEDaST_SU_EUlST_E0_NS1_11comp_targetILNS1_3genE10ELNS1_11target_archE1200ELNS1_3gpuE4ELNS1_3repE0EEENS1_30default_config_static_selectorELNS0_4arch9wavefront6targetE1EEEvT1_ ; -- Begin function _ZN7rocprim17ROCPRIM_400000_NS6detail17trampoline_kernelINS0_14default_configENS1_20scan_config_selectorIN3c104HalfEEEZZNS1_9scan_implILNS1_25lookback_scan_determinismE0ELb0ELb0ES3_PKS6_PS6_S6_ZZZN2at6native31launch_logcumsumexp_cuda_kernelERKNSD_10TensorBaseESH_lENKUlvE_clEvENKUlvE3_clEvEUlS6_S6_E_S6_EEDaPvRmT3_T4_T5_mT6_P12ihipStream_tbENKUlT_T0_E_clISt17integral_constantIbLb1EESY_EEDaST_SU_EUlST_E0_NS1_11comp_targetILNS1_3genE10ELNS1_11target_archE1200ELNS1_3gpuE4ELNS1_3repE0EEENS1_30default_config_static_selectorELNS0_4arch9wavefront6targetE1EEEvT1_
	.p2align	8
	.type	_ZN7rocprim17ROCPRIM_400000_NS6detail17trampoline_kernelINS0_14default_configENS1_20scan_config_selectorIN3c104HalfEEEZZNS1_9scan_implILNS1_25lookback_scan_determinismE0ELb0ELb0ES3_PKS6_PS6_S6_ZZZN2at6native31launch_logcumsumexp_cuda_kernelERKNSD_10TensorBaseESH_lENKUlvE_clEvENKUlvE3_clEvEUlS6_S6_E_S6_EEDaPvRmT3_T4_T5_mT6_P12ihipStream_tbENKUlT_T0_E_clISt17integral_constantIbLb1EESY_EEDaST_SU_EUlST_E0_NS1_11comp_targetILNS1_3genE10ELNS1_11target_archE1200ELNS1_3gpuE4ELNS1_3repE0EEENS1_30default_config_static_selectorELNS0_4arch9wavefront6targetE1EEEvT1_,@function
_ZN7rocprim17ROCPRIM_400000_NS6detail17trampoline_kernelINS0_14default_configENS1_20scan_config_selectorIN3c104HalfEEEZZNS1_9scan_implILNS1_25lookback_scan_determinismE0ELb0ELb0ES3_PKS6_PS6_S6_ZZZN2at6native31launch_logcumsumexp_cuda_kernelERKNSD_10TensorBaseESH_lENKUlvE_clEvENKUlvE3_clEvEUlS6_S6_E_S6_EEDaPvRmT3_T4_T5_mT6_P12ihipStream_tbENKUlT_T0_E_clISt17integral_constantIbLb1EESY_EEDaST_SU_EUlST_E0_NS1_11comp_targetILNS1_3genE10ELNS1_11target_archE1200ELNS1_3gpuE4ELNS1_3repE0EEENS1_30default_config_static_selectorELNS0_4arch9wavefront6targetE1EEEvT1_: ; @_ZN7rocprim17ROCPRIM_400000_NS6detail17trampoline_kernelINS0_14default_configENS1_20scan_config_selectorIN3c104HalfEEEZZNS1_9scan_implILNS1_25lookback_scan_determinismE0ELb0ELb0ES3_PKS6_PS6_S6_ZZZN2at6native31launch_logcumsumexp_cuda_kernelERKNSD_10TensorBaseESH_lENKUlvE_clEvENKUlvE3_clEvEUlS6_S6_E_S6_EEDaPvRmT3_T4_T5_mT6_P12ihipStream_tbENKUlT_T0_E_clISt17integral_constantIbLb1EESY_EEDaST_SU_EUlST_E0_NS1_11comp_targetILNS1_3genE10ELNS1_11target_archE1200ELNS1_3gpuE4ELNS1_3repE0EEENS1_30default_config_static_selectorELNS0_4arch9wavefront6targetE1EEEvT1_
; %bb.0:
	.section	.rodata,"a",@progbits
	.p2align	6, 0x0
	.amdhsa_kernel _ZN7rocprim17ROCPRIM_400000_NS6detail17trampoline_kernelINS0_14default_configENS1_20scan_config_selectorIN3c104HalfEEEZZNS1_9scan_implILNS1_25lookback_scan_determinismE0ELb0ELb0ES3_PKS6_PS6_S6_ZZZN2at6native31launch_logcumsumexp_cuda_kernelERKNSD_10TensorBaseESH_lENKUlvE_clEvENKUlvE3_clEvEUlS6_S6_E_S6_EEDaPvRmT3_T4_T5_mT6_P12ihipStream_tbENKUlT_T0_E_clISt17integral_constantIbLb1EESY_EEDaST_SU_EUlST_E0_NS1_11comp_targetILNS1_3genE10ELNS1_11target_archE1200ELNS1_3gpuE4ELNS1_3repE0EEENS1_30default_config_static_selectorELNS0_4arch9wavefront6targetE1EEEvT1_
		.amdhsa_group_segment_fixed_size 0
		.amdhsa_private_segment_fixed_size 0
		.amdhsa_kernarg_size 32
		.amdhsa_user_sgpr_count 2
		.amdhsa_user_sgpr_dispatch_ptr 0
		.amdhsa_user_sgpr_queue_ptr 0
		.amdhsa_user_sgpr_kernarg_segment_ptr 1
		.amdhsa_user_sgpr_dispatch_id 0
		.amdhsa_user_sgpr_kernarg_preload_length 0
		.amdhsa_user_sgpr_kernarg_preload_offset 0
		.amdhsa_user_sgpr_private_segment_size 0
		.amdhsa_uses_dynamic_stack 0
		.amdhsa_enable_private_segment 0
		.amdhsa_system_sgpr_workgroup_id_x 1
		.amdhsa_system_sgpr_workgroup_id_y 0
		.amdhsa_system_sgpr_workgroup_id_z 0
		.amdhsa_system_sgpr_workgroup_info 0
		.amdhsa_system_vgpr_workitem_id 0
		.amdhsa_next_free_vgpr 1
		.amdhsa_next_free_sgpr 0
		.amdhsa_accum_offset 4
		.amdhsa_reserve_vcc 0
		.amdhsa_float_round_mode_32 0
		.amdhsa_float_round_mode_16_64 0
		.amdhsa_float_denorm_mode_32 3
		.amdhsa_float_denorm_mode_16_64 3
		.amdhsa_dx10_clamp 1
		.amdhsa_ieee_mode 1
		.amdhsa_fp16_overflow 0
		.amdhsa_tg_split 0
		.amdhsa_exception_fp_ieee_invalid_op 0
		.amdhsa_exception_fp_denorm_src 0
		.amdhsa_exception_fp_ieee_div_zero 0
		.amdhsa_exception_fp_ieee_overflow 0
		.amdhsa_exception_fp_ieee_underflow 0
		.amdhsa_exception_fp_ieee_inexact 0
		.amdhsa_exception_int_div_zero 0
	.end_amdhsa_kernel
	.section	.text._ZN7rocprim17ROCPRIM_400000_NS6detail17trampoline_kernelINS0_14default_configENS1_20scan_config_selectorIN3c104HalfEEEZZNS1_9scan_implILNS1_25lookback_scan_determinismE0ELb0ELb0ES3_PKS6_PS6_S6_ZZZN2at6native31launch_logcumsumexp_cuda_kernelERKNSD_10TensorBaseESH_lENKUlvE_clEvENKUlvE3_clEvEUlS6_S6_E_S6_EEDaPvRmT3_T4_T5_mT6_P12ihipStream_tbENKUlT_T0_E_clISt17integral_constantIbLb1EESY_EEDaST_SU_EUlST_E0_NS1_11comp_targetILNS1_3genE10ELNS1_11target_archE1200ELNS1_3gpuE4ELNS1_3repE0EEENS1_30default_config_static_selectorELNS0_4arch9wavefront6targetE1EEEvT1_,"axG",@progbits,_ZN7rocprim17ROCPRIM_400000_NS6detail17trampoline_kernelINS0_14default_configENS1_20scan_config_selectorIN3c104HalfEEEZZNS1_9scan_implILNS1_25lookback_scan_determinismE0ELb0ELb0ES3_PKS6_PS6_S6_ZZZN2at6native31launch_logcumsumexp_cuda_kernelERKNSD_10TensorBaseESH_lENKUlvE_clEvENKUlvE3_clEvEUlS6_S6_E_S6_EEDaPvRmT3_T4_T5_mT6_P12ihipStream_tbENKUlT_T0_E_clISt17integral_constantIbLb1EESY_EEDaST_SU_EUlST_E0_NS1_11comp_targetILNS1_3genE10ELNS1_11target_archE1200ELNS1_3gpuE4ELNS1_3repE0EEENS1_30default_config_static_selectorELNS0_4arch9wavefront6targetE1EEEvT1_,comdat
.Lfunc_end393:
	.size	_ZN7rocprim17ROCPRIM_400000_NS6detail17trampoline_kernelINS0_14default_configENS1_20scan_config_selectorIN3c104HalfEEEZZNS1_9scan_implILNS1_25lookback_scan_determinismE0ELb0ELb0ES3_PKS6_PS6_S6_ZZZN2at6native31launch_logcumsumexp_cuda_kernelERKNSD_10TensorBaseESH_lENKUlvE_clEvENKUlvE3_clEvEUlS6_S6_E_S6_EEDaPvRmT3_T4_T5_mT6_P12ihipStream_tbENKUlT_T0_E_clISt17integral_constantIbLb1EESY_EEDaST_SU_EUlST_E0_NS1_11comp_targetILNS1_3genE10ELNS1_11target_archE1200ELNS1_3gpuE4ELNS1_3repE0EEENS1_30default_config_static_selectorELNS0_4arch9wavefront6targetE1EEEvT1_, .Lfunc_end393-_ZN7rocprim17ROCPRIM_400000_NS6detail17trampoline_kernelINS0_14default_configENS1_20scan_config_selectorIN3c104HalfEEEZZNS1_9scan_implILNS1_25lookback_scan_determinismE0ELb0ELb0ES3_PKS6_PS6_S6_ZZZN2at6native31launch_logcumsumexp_cuda_kernelERKNSD_10TensorBaseESH_lENKUlvE_clEvENKUlvE3_clEvEUlS6_S6_E_S6_EEDaPvRmT3_T4_T5_mT6_P12ihipStream_tbENKUlT_T0_E_clISt17integral_constantIbLb1EESY_EEDaST_SU_EUlST_E0_NS1_11comp_targetILNS1_3genE10ELNS1_11target_archE1200ELNS1_3gpuE4ELNS1_3repE0EEENS1_30default_config_static_selectorELNS0_4arch9wavefront6targetE1EEEvT1_
                                        ; -- End function
	.set _ZN7rocprim17ROCPRIM_400000_NS6detail17trampoline_kernelINS0_14default_configENS1_20scan_config_selectorIN3c104HalfEEEZZNS1_9scan_implILNS1_25lookback_scan_determinismE0ELb0ELb0ES3_PKS6_PS6_S6_ZZZN2at6native31launch_logcumsumexp_cuda_kernelERKNSD_10TensorBaseESH_lENKUlvE_clEvENKUlvE3_clEvEUlS6_S6_E_S6_EEDaPvRmT3_T4_T5_mT6_P12ihipStream_tbENKUlT_T0_E_clISt17integral_constantIbLb1EESY_EEDaST_SU_EUlST_E0_NS1_11comp_targetILNS1_3genE10ELNS1_11target_archE1200ELNS1_3gpuE4ELNS1_3repE0EEENS1_30default_config_static_selectorELNS0_4arch9wavefront6targetE1EEEvT1_.num_vgpr, 0
	.set _ZN7rocprim17ROCPRIM_400000_NS6detail17trampoline_kernelINS0_14default_configENS1_20scan_config_selectorIN3c104HalfEEEZZNS1_9scan_implILNS1_25lookback_scan_determinismE0ELb0ELb0ES3_PKS6_PS6_S6_ZZZN2at6native31launch_logcumsumexp_cuda_kernelERKNSD_10TensorBaseESH_lENKUlvE_clEvENKUlvE3_clEvEUlS6_S6_E_S6_EEDaPvRmT3_T4_T5_mT6_P12ihipStream_tbENKUlT_T0_E_clISt17integral_constantIbLb1EESY_EEDaST_SU_EUlST_E0_NS1_11comp_targetILNS1_3genE10ELNS1_11target_archE1200ELNS1_3gpuE4ELNS1_3repE0EEENS1_30default_config_static_selectorELNS0_4arch9wavefront6targetE1EEEvT1_.num_agpr, 0
	.set _ZN7rocprim17ROCPRIM_400000_NS6detail17trampoline_kernelINS0_14default_configENS1_20scan_config_selectorIN3c104HalfEEEZZNS1_9scan_implILNS1_25lookback_scan_determinismE0ELb0ELb0ES3_PKS6_PS6_S6_ZZZN2at6native31launch_logcumsumexp_cuda_kernelERKNSD_10TensorBaseESH_lENKUlvE_clEvENKUlvE3_clEvEUlS6_S6_E_S6_EEDaPvRmT3_T4_T5_mT6_P12ihipStream_tbENKUlT_T0_E_clISt17integral_constantIbLb1EESY_EEDaST_SU_EUlST_E0_NS1_11comp_targetILNS1_3genE10ELNS1_11target_archE1200ELNS1_3gpuE4ELNS1_3repE0EEENS1_30default_config_static_selectorELNS0_4arch9wavefront6targetE1EEEvT1_.numbered_sgpr, 0
	.set _ZN7rocprim17ROCPRIM_400000_NS6detail17trampoline_kernelINS0_14default_configENS1_20scan_config_selectorIN3c104HalfEEEZZNS1_9scan_implILNS1_25lookback_scan_determinismE0ELb0ELb0ES3_PKS6_PS6_S6_ZZZN2at6native31launch_logcumsumexp_cuda_kernelERKNSD_10TensorBaseESH_lENKUlvE_clEvENKUlvE3_clEvEUlS6_S6_E_S6_EEDaPvRmT3_T4_T5_mT6_P12ihipStream_tbENKUlT_T0_E_clISt17integral_constantIbLb1EESY_EEDaST_SU_EUlST_E0_NS1_11comp_targetILNS1_3genE10ELNS1_11target_archE1200ELNS1_3gpuE4ELNS1_3repE0EEENS1_30default_config_static_selectorELNS0_4arch9wavefront6targetE1EEEvT1_.num_named_barrier, 0
	.set _ZN7rocprim17ROCPRIM_400000_NS6detail17trampoline_kernelINS0_14default_configENS1_20scan_config_selectorIN3c104HalfEEEZZNS1_9scan_implILNS1_25lookback_scan_determinismE0ELb0ELb0ES3_PKS6_PS6_S6_ZZZN2at6native31launch_logcumsumexp_cuda_kernelERKNSD_10TensorBaseESH_lENKUlvE_clEvENKUlvE3_clEvEUlS6_S6_E_S6_EEDaPvRmT3_T4_T5_mT6_P12ihipStream_tbENKUlT_T0_E_clISt17integral_constantIbLb1EESY_EEDaST_SU_EUlST_E0_NS1_11comp_targetILNS1_3genE10ELNS1_11target_archE1200ELNS1_3gpuE4ELNS1_3repE0EEENS1_30default_config_static_selectorELNS0_4arch9wavefront6targetE1EEEvT1_.private_seg_size, 0
	.set _ZN7rocprim17ROCPRIM_400000_NS6detail17trampoline_kernelINS0_14default_configENS1_20scan_config_selectorIN3c104HalfEEEZZNS1_9scan_implILNS1_25lookback_scan_determinismE0ELb0ELb0ES3_PKS6_PS6_S6_ZZZN2at6native31launch_logcumsumexp_cuda_kernelERKNSD_10TensorBaseESH_lENKUlvE_clEvENKUlvE3_clEvEUlS6_S6_E_S6_EEDaPvRmT3_T4_T5_mT6_P12ihipStream_tbENKUlT_T0_E_clISt17integral_constantIbLb1EESY_EEDaST_SU_EUlST_E0_NS1_11comp_targetILNS1_3genE10ELNS1_11target_archE1200ELNS1_3gpuE4ELNS1_3repE0EEENS1_30default_config_static_selectorELNS0_4arch9wavefront6targetE1EEEvT1_.uses_vcc, 0
	.set _ZN7rocprim17ROCPRIM_400000_NS6detail17trampoline_kernelINS0_14default_configENS1_20scan_config_selectorIN3c104HalfEEEZZNS1_9scan_implILNS1_25lookback_scan_determinismE0ELb0ELb0ES3_PKS6_PS6_S6_ZZZN2at6native31launch_logcumsumexp_cuda_kernelERKNSD_10TensorBaseESH_lENKUlvE_clEvENKUlvE3_clEvEUlS6_S6_E_S6_EEDaPvRmT3_T4_T5_mT6_P12ihipStream_tbENKUlT_T0_E_clISt17integral_constantIbLb1EESY_EEDaST_SU_EUlST_E0_NS1_11comp_targetILNS1_3genE10ELNS1_11target_archE1200ELNS1_3gpuE4ELNS1_3repE0EEENS1_30default_config_static_selectorELNS0_4arch9wavefront6targetE1EEEvT1_.uses_flat_scratch, 0
	.set _ZN7rocprim17ROCPRIM_400000_NS6detail17trampoline_kernelINS0_14default_configENS1_20scan_config_selectorIN3c104HalfEEEZZNS1_9scan_implILNS1_25lookback_scan_determinismE0ELb0ELb0ES3_PKS6_PS6_S6_ZZZN2at6native31launch_logcumsumexp_cuda_kernelERKNSD_10TensorBaseESH_lENKUlvE_clEvENKUlvE3_clEvEUlS6_S6_E_S6_EEDaPvRmT3_T4_T5_mT6_P12ihipStream_tbENKUlT_T0_E_clISt17integral_constantIbLb1EESY_EEDaST_SU_EUlST_E0_NS1_11comp_targetILNS1_3genE10ELNS1_11target_archE1200ELNS1_3gpuE4ELNS1_3repE0EEENS1_30default_config_static_selectorELNS0_4arch9wavefront6targetE1EEEvT1_.has_dyn_sized_stack, 0
	.set _ZN7rocprim17ROCPRIM_400000_NS6detail17trampoline_kernelINS0_14default_configENS1_20scan_config_selectorIN3c104HalfEEEZZNS1_9scan_implILNS1_25lookback_scan_determinismE0ELb0ELb0ES3_PKS6_PS6_S6_ZZZN2at6native31launch_logcumsumexp_cuda_kernelERKNSD_10TensorBaseESH_lENKUlvE_clEvENKUlvE3_clEvEUlS6_S6_E_S6_EEDaPvRmT3_T4_T5_mT6_P12ihipStream_tbENKUlT_T0_E_clISt17integral_constantIbLb1EESY_EEDaST_SU_EUlST_E0_NS1_11comp_targetILNS1_3genE10ELNS1_11target_archE1200ELNS1_3gpuE4ELNS1_3repE0EEENS1_30default_config_static_selectorELNS0_4arch9wavefront6targetE1EEEvT1_.has_recursion, 0
	.set _ZN7rocprim17ROCPRIM_400000_NS6detail17trampoline_kernelINS0_14default_configENS1_20scan_config_selectorIN3c104HalfEEEZZNS1_9scan_implILNS1_25lookback_scan_determinismE0ELb0ELb0ES3_PKS6_PS6_S6_ZZZN2at6native31launch_logcumsumexp_cuda_kernelERKNSD_10TensorBaseESH_lENKUlvE_clEvENKUlvE3_clEvEUlS6_S6_E_S6_EEDaPvRmT3_T4_T5_mT6_P12ihipStream_tbENKUlT_T0_E_clISt17integral_constantIbLb1EESY_EEDaST_SU_EUlST_E0_NS1_11comp_targetILNS1_3genE10ELNS1_11target_archE1200ELNS1_3gpuE4ELNS1_3repE0EEENS1_30default_config_static_selectorELNS0_4arch9wavefront6targetE1EEEvT1_.has_indirect_call, 0
	.section	.AMDGPU.csdata,"",@progbits
; Kernel info:
; codeLenInByte = 0
; TotalNumSgprs: 6
; NumVgprs: 0
; NumAgprs: 0
; TotalNumVgprs: 0
; ScratchSize: 0
; MemoryBound: 0
; FloatMode: 240
; IeeeMode: 1
; LDSByteSize: 0 bytes/workgroup (compile time only)
; SGPRBlocks: 0
; VGPRBlocks: 0
; NumSGPRsForWavesPerEU: 6
; NumVGPRsForWavesPerEU: 1
; AccumOffset: 4
; Occupancy: 8
; WaveLimiterHint : 0
; COMPUTE_PGM_RSRC2:SCRATCH_EN: 0
; COMPUTE_PGM_RSRC2:USER_SGPR: 2
; COMPUTE_PGM_RSRC2:TRAP_HANDLER: 0
; COMPUTE_PGM_RSRC2:TGID_X_EN: 1
; COMPUTE_PGM_RSRC2:TGID_Y_EN: 0
; COMPUTE_PGM_RSRC2:TGID_Z_EN: 0
; COMPUTE_PGM_RSRC2:TIDIG_COMP_CNT: 0
; COMPUTE_PGM_RSRC3_GFX90A:ACCUM_OFFSET: 0
; COMPUTE_PGM_RSRC3_GFX90A:TG_SPLIT: 0
	.section	.text._ZN7rocprim17ROCPRIM_400000_NS6detail17trampoline_kernelINS0_14default_configENS1_20scan_config_selectorIN3c104HalfEEEZZNS1_9scan_implILNS1_25lookback_scan_determinismE0ELb0ELb0ES3_PKS6_PS6_S6_ZZZN2at6native31launch_logcumsumexp_cuda_kernelERKNSD_10TensorBaseESH_lENKUlvE_clEvENKUlvE3_clEvEUlS6_S6_E_S6_EEDaPvRmT3_T4_T5_mT6_P12ihipStream_tbENKUlT_T0_E_clISt17integral_constantIbLb1EESY_EEDaST_SU_EUlST_E0_NS1_11comp_targetILNS1_3genE9ELNS1_11target_archE1100ELNS1_3gpuE3ELNS1_3repE0EEENS1_30default_config_static_selectorELNS0_4arch9wavefront6targetE1EEEvT1_,"axG",@progbits,_ZN7rocprim17ROCPRIM_400000_NS6detail17trampoline_kernelINS0_14default_configENS1_20scan_config_selectorIN3c104HalfEEEZZNS1_9scan_implILNS1_25lookback_scan_determinismE0ELb0ELb0ES3_PKS6_PS6_S6_ZZZN2at6native31launch_logcumsumexp_cuda_kernelERKNSD_10TensorBaseESH_lENKUlvE_clEvENKUlvE3_clEvEUlS6_S6_E_S6_EEDaPvRmT3_T4_T5_mT6_P12ihipStream_tbENKUlT_T0_E_clISt17integral_constantIbLb1EESY_EEDaST_SU_EUlST_E0_NS1_11comp_targetILNS1_3genE9ELNS1_11target_archE1100ELNS1_3gpuE3ELNS1_3repE0EEENS1_30default_config_static_selectorELNS0_4arch9wavefront6targetE1EEEvT1_,comdat
	.globl	_ZN7rocprim17ROCPRIM_400000_NS6detail17trampoline_kernelINS0_14default_configENS1_20scan_config_selectorIN3c104HalfEEEZZNS1_9scan_implILNS1_25lookback_scan_determinismE0ELb0ELb0ES3_PKS6_PS6_S6_ZZZN2at6native31launch_logcumsumexp_cuda_kernelERKNSD_10TensorBaseESH_lENKUlvE_clEvENKUlvE3_clEvEUlS6_S6_E_S6_EEDaPvRmT3_T4_T5_mT6_P12ihipStream_tbENKUlT_T0_E_clISt17integral_constantIbLb1EESY_EEDaST_SU_EUlST_E0_NS1_11comp_targetILNS1_3genE9ELNS1_11target_archE1100ELNS1_3gpuE3ELNS1_3repE0EEENS1_30default_config_static_selectorELNS0_4arch9wavefront6targetE1EEEvT1_ ; -- Begin function _ZN7rocprim17ROCPRIM_400000_NS6detail17trampoline_kernelINS0_14default_configENS1_20scan_config_selectorIN3c104HalfEEEZZNS1_9scan_implILNS1_25lookback_scan_determinismE0ELb0ELb0ES3_PKS6_PS6_S6_ZZZN2at6native31launch_logcumsumexp_cuda_kernelERKNSD_10TensorBaseESH_lENKUlvE_clEvENKUlvE3_clEvEUlS6_S6_E_S6_EEDaPvRmT3_T4_T5_mT6_P12ihipStream_tbENKUlT_T0_E_clISt17integral_constantIbLb1EESY_EEDaST_SU_EUlST_E0_NS1_11comp_targetILNS1_3genE9ELNS1_11target_archE1100ELNS1_3gpuE3ELNS1_3repE0EEENS1_30default_config_static_selectorELNS0_4arch9wavefront6targetE1EEEvT1_
	.p2align	8
	.type	_ZN7rocprim17ROCPRIM_400000_NS6detail17trampoline_kernelINS0_14default_configENS1_20scan_config_selectorIN3c104HalfEEEZZNS1_9scan_implILNS1_25lookback_scan_determinismE0ELb0ELb0ES3_PKS6_PS6_S6_ZZZN2at6native31launch_logcumsumexp_cuda_kernelERKNSD_10TensorBaseESH_lENKUlvE_clEvENKUlvE3_clEvEUlS6_S6_E_S6_EEDaPvRmT3_T4_T5_mT6_P12ihipStream_tbENKUlT_T0_E_clISt17integral_constantIbLb1EESY_EEDaST_SU_EUlST_E0_NS1_11comp_targetILNS1_3genE9ELNS1_11target_archE1100ELNS1_3gpuE3ELNS1_3repE0EEENS1_30default_config_static_selectorELNS0_4arch9wavefront6targetE1EEEvT1_,@function
_ZN7rocprim17ROCPRIM_400000_NS6detail17trampoline_kernelINS0_14default_configENS1_20scan_config_selectorIN3c104HalfEEEZZNS1_9scan_implILNS1_25lookback_scan_determinismE0ELb0ELb0ES3_PKS6_PS6_S6_ZZZN2at6native31launch_logcumsumexp_cuda_kernelERKNSD_10TensorBaseESH_lENKUlvE_clEvENKUlvE3_clEvEUlS6_S6_E_S6_EEDaPvRmT3_T4_T5_mT6_P12ihipStream_tbENKUlT_T0_E_clISt17integral_constantIbLb1EESY_EEDaST_SU_EUlST_E0_NS1_11comp_targetILNS1_3genE9ELNS1_11target_archE1100ELNS1_3gpuE3ELNS1_3repE0EEENS1_30default_config_static_selectorELNS0_4arch9wavefront6targetE1EEEvT1_: ; @_ZN7rocprim17ROCPRIM_400000_NS6detail17trampoline_kernelINS0_14default_configENS1_20scan_config_selectorIN3c104HalfEEEZZNS1_9scan_implILNS1_25lookback_scan_determinismE0ELb0ELb0ES3_PKS6_PS6_S6_ZZZN2at6native31launch_logcumsumexp_cuda_kernelERKNSD_10TensorBaseESH_lENKUlvE_clEvENKUlvE3_clEvEUlS6_S6_E_S6_EEDaPvRmT3_T4_T5_mT6_P12ihipStream_tbENKUlT_T0_E_clISt17integral_constantIbLb1EESY_EEDaST_SU_EUlST_E0_NS1_11comp_targetILNS1_3genE9ELNS1_11target_archE1100ELNS1_3gpuE3ELNS1_3repE0EEENS1_30default_config_static_selectorELNS0_4arch9wavefront6targetE1EEEvT1_
; %bb.0:
	.section	.rodata,"a",@progbits
	.p2align	6, 0x0
	.amdhsa_kernel _ZN7rocprim17ROCPRIM_400000_NS6detail17trampoline_kernelINS0_14default_configENS1_20scan_config_selectorIN3c104HalfEEEZZNS1_9scan_implILNS1_25lookback_scan_determinismE0ELb0ELb0ES3_PKS6_PS6_S6_ZZZN2at6native31launch_logcumsumexp_cuda_kernelERKNSD_10TensorBaseESH_lENKUlvE_clEvENKUlvE3_clEvEUlS6_S6_E_S6_EEDaPvRmT3_T4_T5_mT6_P12ihipStream_tbENKUlT_T0_E_clISt17integral_constantIbLb1EESY_EEDaST_SU_EUlST_E0_NS1_11comp_targetILNS1_3genE9ELNS1_11target_archE1100ELNS1_3gpuE3ELNS1_3repE0EEENS1_30default_config_static_selectorELNS0_4arch9wavefront6targetE1EEEvT1_
		.amdhsa_group_segment_fixed_size 0
		.amdhsa_private_segment_fixed_size 0
		.amdhsa_kernarg_size 32
		.amdhsa_user_sgpr_count 2
		.amdhsa_user_sgpr_dispatch_ptr 0
		.amdhsa_user_sgpr_queue_ptr 0
		.amdhsa_user_sgpr_kernarg_segment_ptr 1
		.amdhsa_user_sgpr_dispatch_id 0
		.amdhsa_user_sgpr_kernarg_preload_length 0
		.amdhsa_user_sgpr_kernarg_preload_offset 0
		.amdhsa_user_sgpr_private_segment_size 0
		.amdhsa_uses_dynamic_stack 0
		.amdhsa_enable_private_segment 0
		.amdhsa_system_sgpr_workgroup_id_x 1
		.amdhsa_system_sgpr_workgroup_id_y 0
		.amdhsa_system_sgpr_workgroup_id_z 0
		.amdhsa_system_sgpr_workgroup_info 0
		.amdhsa_system_vgpr_workitem_id 0
		.amdhsa_next_free_vgpr 1
		.amdhsa_next_free_sgpr 0
		.amdhsa_accum_offset 4
		.amdhsa_reserve_vcc 0
		.amdhsa_float_round_mode_32 0
		.amdhsa_float_round_mode_16_64 0
		.amdhsa_float_denorm_mode_32 3
		.amdhsa_float_denorm_mode_16_64 3
		.amdhsa_dx10_clamp 1
		.amdhsa_ieee_mode 1
		.amdhsa_fp16_overflow 0
		.amdhsa_tg_split 0
		.amdhsa_exception_fp_ieee_invalid_op 0
		.amdhsa_exception_fp_denorm_src 0
		.amdhsa_exception_fp_ieee_div_zero 0
		.amdhsa_exception_fp_ieee_overflow 0
		.amdhsa_exception_fp_ieee_underflow 0
		.amdhsa_exception_fp_ieee_inexact 0
		.amdhsa_exception_int_div_zero 0
	.end_amdhsa_kernel
	.section	.text._ZN7rocprim17ROCPRIM_400000_NS6detail17trampoline_kernelINS0_14default_configENS1_20scan_config_selectorIN3c104HalfEEEZZNS1_9scan_implILNS1_25lookback_scan_determinismE0ELb0ELb0ES3_PKS6_PS6_S6_ZZZN2at6native31launch_logcumsumexp_cuda_kernelERKNSD_10TensorBaseESH_lENKUlvE_clEvENKUlvE3_clEvEUlS6_S6_E_S6_EEDaPvRmT3_T4_T5_mT6_P12ihipStream_tbENKUlT_T0_E_clISt17integral_constantIbLb1EESY_EEDaST_SU_EUlST_E0_NS1_11comp_targetILNS1_3genE9ELNS1_11target_archE1100ELNS1_3gpuE3ELNS1_3repE0EEENS1_30default_config_static_selectorELNS0_4arch9wavefront6targetE1EEEvT1_,"axG",@progbits,_ZN7rocprim17ROCPRIM_400000_NS6detail17trampoline_kernelINS0_14default_configENS1_20scan_config_selectorIN3c104HalfEEEZZNS1_9scan_implILNS1_25lookback_scan_determinismE0ELb0ELb0ES3_PKS6_PS6_S6_ZZZN2at6native31launch_logcumsumexp_cuda_kernelERKNSD_10TensorBaseESH_lENKUlvE_clEvENKUlvE3_clEvEUlS6_S6_E_S6_EEDaPvRmT3_T4_T5_mT6_P12ihipStream_tbENKUlT_T0_E_clISt17integral_constantIbLb1EESY_EEDaST_SU_EUlST_E0_NS1_11comp_targetILNS1_3genE9ELNS1_11target_archE1100ELNS1_3gpuE3ELNS1_3repE0EEENS1_30default_config_static_selectorELNS0_4arch9wavefront6targetE1EEEvT1_,comdat
.Lfunc_end394:
	.size	_ZN7rocprim17ROCPRIM_400000_NS6detail17trampoline_kernelINS0_14default_configENS1_20scan_config_selectorIN3c104HalfEEEZZNS1_9scan_implILNS1_25lookback_scan_determinismE0ELb0ELb0ES3_PKS6_PS6_S6_ZZZN2at6native31launch_logcumsumexp_cuda_kernelERKNSD_10TensorBaseESH_lENKUlvE_clEvENKUlvE3_clEvEUlS6_S6_E_S6_EEDaPvRmT3_T4_T5_mT6_P12ihipStream_tbENKUlT_T0_E_clISt17integral_constantIbLb1EESY_EEDaST_SU_EUlST_E0_NS1_11comp_targetILNS1_3genE9ELNS1_11target_archE1100ELNS1_3gpuE3ELNS1_3repE0EEENS1_30default_config_static_selectorELNS0_4arch9wavefront6targetE1EEEvT1_, .Lfunc_end394-_ZN7rocprim17ROCPRIM_400000_NS6detail17trampoline_kernelINS0_14default_configENS1_20scan_config_selectorIN3c104HalfEEEZZNS1_9scan_implILNS1_25lookback_scan_determinismE0ELb0ELb0ES3_PKS6_PS6_S6_ZZZN2at6native31launch_logcumsumexp_cuda_kernelERKNSD_10TensorBaseESH_lENKUlvE_clEvENKUlvE3_clEvEUlS6_S6_E_S6_EEDaPvRmT3_T4_T5_mT6_P12ihipStream_tbENKUlT_T0_E_clISt17integral_constantIbLb1EESY_EEDaST_SU_EUlST_E0_NS1_11comp_targetILNS1_3genE9ELNS1_11target_archE1100ELNS1_3gpuE3ELNS1_3repE0EEENS1_30default_config_static_selectorELNS0_4arch9wavefront6targetE1EEEvT1_
                                        ; -- End function
	.set _ZN7rocprim17ROCPRIM_400000_NS6detail17trampoline_kernelINS0_14default_configENS1_20scan_config_selectorIN3c104HalfEEEZZNS1_9scan_implILNS1_25lookback_scan_determinismE0ELb0ELb0ES3_PKS6_PS6_S6_ZZZN2at6native31launch_logcumsumexp_cuda_kernelERKNSD_10TensorBaseESH_lENKUlvE_clEvENKUlvE3_clEvEUlS6_S6_E_S6_EEDaPvRmT3_T4_T5_mT6_P12ihipStream_tbENKUlT_T0_E_clISt17integral_constantIbLb1EESY_EEDaST_SU_EUlST_E0_NS1_11comp_targetILNS1_3genE9ELNS1_11target_archE1100ELNS1_3gpuE3ELNS1_3repE0EEENS1_30default_config_static_selectorELNS0_4arch9wavefront6targetE1EEEvT1_.num_vgpr, 0
	.set _ZN7rocprim17ROCPRIM_400000_NS6detail17trampoline_kernelINS0_14default_configENS1_20scan_config_selectorIN3c104HalfEEEZZNS1_9scan_implILNS1_25lookback_scan_determinismE0ELb0ELb0ES3_PKS6_PS6_S6_ZZZN2at6native31launch_logcumsumexp_cuda_kernelERKNSD_10TensorBaseESH_lENKUlvE_clEvENKUlvE3_clEvEUlS6_S6_E_S6_EEDaPvRmT3_T4_T5_mT6_P12ihipStream_tbENKUlT_T0_E_clISt17integral_constantIbLb1EESY_EEDaST_SU_EUlST_E0_NS1_11comp_targetILNS1_3genE9ELNS1_11target_archE1100ELNS1_3gpuE3ELNS1_3repE0EEENS1_30default_config_static_selectorELNS0_4arch9wavefront6targetE1EEEvT1_.num_agpr, 0
	.set _ZN7rocprim17ROCPRIM_400000_NS6detail17trampoline_kernelINS0_14default_configENS1_20scan_config_selectorIN3c104HalfEEEZZNS1_9scan_implILNS1_25lookback_scan_determinismE0ELb0ELb0ES3_PKS6_PS6_S6_ZZZN2at6native31launch_logcumsumexp_cuda_kernelERKNSD_10TensorBaseESH_lENKUlvE_clEvENKUlvE3_clEvEUlS6_S6_E_S6_EEDaPvRmT3_T4_T5_mT6_P12ihipStream_tbENKUlT_T0_E_clISt17integral_constantIbLb1EESY_EEDaST_SU_EUlST_E0_NS1_11comp_targetILNS1_3genE9ELNS1_11target_archE1100ELNS1_3gpuE3ELNS1_3repE0EEENS1_30default_config_static_selectorELNS0_4arch9wavefront6targetE1EEEvT1_.numbered_sgpr, 0
	.set _ZN7rocprim17ROCPRIM_400000_NS6detail17trampoline_kernelINS0_14default_configENS1_20scan_config_selectorIN3c104HalfEEEZZNS1_9scan_implILNS1_25lookback_scan_determinismE0ELb0ELb0ES3_PKS6_PS6_S6_ZZZN2at6native31launch_logcumsumexp_cuda_kernelERKNSD_10TensorBaseESH_lENKUlvE_clEvENKUlvE3_clEvEUlS6_S6_E_S6_EEDaPvRmT3_T4_T5_mT6_P12ihipStream_tbENKUlT_T0_E_clISt17integral_constantIbLb1EESY_EEDaST_SU_EUlST_E0_NS1_11comp_targetILNS1_3genE9ELNS1_11target_archE1100ELNS1_3gpuE3ELNS1_3repE0EEENS1_30default_config_static_selectorELNS0_4arch9wavefront6targetE1EEEvT1_.num_named_barrier, 0
	.set _ZN7rocprim17ROCPRIM_400000_NS6detail17trampoline_kernelINS0_14default_configENS1_20scan_config_selectorIN3c104HalfEEEZZNS1_9scan_implILNS1_25lookback_scan_determinismE0ELb0ELb0ES3_PKS6_PS6_S6_ZZZN2at6native31launch_logcumsumexp_cuda_kernelERKNSD_10TensorBaseESH_lENKUlvE_clEvENKUlvE3_clEvEUlS6_S6_E_S6_EEDaPvRmT3_T4_T5_mT6_P12ihipStream_tbENKUlT_T0_E_clISt17integral_constantIbLb1EESY_EEDaST_SU_EUlST_E0_NS1_11comp_targetILNS1_3genE9ELNS1_11target_archE1100ELNS1_3gpuE3ELNS1_3repE0EEENS1_30default_config_static_selectorELNS0_4arch9wavefront6targetE1EEEvT1_.private_seg_size, 0
	.set _ZN7rocprim17ROCPRIM_400000_NS6detail17trampoline_kernelINS0_14default_configENS1_20scan_config_selectorIN3c104HalfEEEZZNS1_9scan_implILNS1_25lookback_scan_determinismE0ELb0ELb0ES3_PKS6_PS6_S6_ZZZN2at6native31launch_logcumsumexp_cuda_kernelERKNSD_10TensorBaseESH_lENKUlvE_clEvENKUlvE3_clEvEUlS6_S6_E_S6_EEDaPvRmT3_T4_T5_mT6_P12ihipStream_tbENKUlT_T0_E_clISt17integral_constantIbLb1EESY_EEDaST_SU_EUlST_E0_NS1_11comp_targetILNS1_3genE9ELNS1_11target_archE1100ELNS1_3gpuE3ELNS1_3repE0EEENS1_30default_config_static_selectorELNS0_4arch9wavefront6targetE1EEEvT1_.uses_vcc, 0
	.set _ZN7rocprim17ROCPRIM_400000_NS6detail17trampoline_kernelINS0_14default_configENS1_20scan_config_selectorIN3c104HalfEEEZZNS1_9scan_implILNS1_25lookback_scan_determinismE0ELb0ELb0ES3_PKS6_PS6_S6_ZZZN2at6native31launch_logcumsumexp_cuda_kernelERKNSD_10TensorBaseESH_lENKUlvE_clEvENKUlvE3_clEvEUlS6_S6_E_S6_EEDaPvRmT3_T4_T5_mT6_P12ihipStream_tbENKUlT_T0_E_clISt17integral_constantIbLb1EESY_EEDaST_SU_EUlST_E0_NS1_11comp_targetILNS1_3genE9ELNS1_11target_archE1100ELNS1_3gpuE3ELNS1_3repE0EEENS1_30default_config_static_selectorELNS0_4arch9wavefront6targetE1EEEvT1_.uses_flat_scratch, 0
	.set _ZN7rocprim17ROCPRIM_400000_NS6detail17trampoline_kernelINS0_14default_configENS1_20scan_config_selectorIN3c104HalfEEEZZNS1_9scan_implILNS1_25lookback_scan_determinismE0ELb0ELb0ES3_PKS6_PS6_S6_ZZZN2at6native31launch_logcumsumexp_cuda_kernelERKNSD_10TensorBaseESH_lENKUlvE_clEvENKUlvE3_clEvEUlS6_S6_E_S6_EEDaPvRmT3_T4_T5_mT6_P12ihipStream_tbENKUlT_T0_E_clISt17integral_constantIbLb1EESY_EEDaST_SU_EUlST_E0_NS1_11comp_targetILNS1_3genE9ELNS1_11target_archE1100ELNS1_3gpuE3ELNS1_3repE0EEENS1_30default_config_static_selectorELNS0_4arch9wavefront6targetE1EEEvT1_.has_dyn_sized_stack, 0
	.set _ZN7rocprim17ROCPRIM_400000_NS6detail17trampoline_kernelINS0_14default_configENS1_20scan_config_selectorIN3c104HalfEEEZZNS1_9scan_implILNS1_25lookback_scan_determinismE0ELb0ELb0ES3_PKS6_PS6_S6_ZZZN2at6native31launch_logcumsumexp_cuda_kernelERKNSD_10TensorBaseESH_lENKUlvE_clEvENKUlvE3_clEvEUlS6_S6_E_S6_EEDaPvRmT3_T4_T5_mT6_P12ihipStream_tbENKUlT_T0_E_clISt17integral_constantIbLb1EESY_EEDaST_SU_EUlST_E0_NS1_11comp_targetILNS1_3genE9ELNS1_11target_archE1100ELNS1_3gpuE3ELNS1_3repE0EEENS1_30default_config_static_selectorELNS0_4arch9wavefront6targetE1EEEvT1_.has_recursion, 0
	.set _ZN7rocprim17ROCPRIM_400000_NS6detail17trampoline_kernelINS0_14default_configENS1_20scan_config_selectorIN3c104HalfEEEZZNS1_9scan_implILNS1_25lookback_scan_determinismE0ELb0ELb0ES3_PKS6_PS6_S6_ZZZN2at6native31launch_logcumsumexp_cuda_kernelERKNSD_10TensorBaseESH_lENKUlvE_clEvENKUlvE3_clEvEUlS6_S6_E_S6_EEDaPvRmT3_T4_T5_mT6_P12ihipStream_tbENKUlT_T0_E_clISt17integral_constantIbLb1EESY_EEDaST_SU_EUlST_E0_NS1_11comp_targetILNS1_3genE9ELNS1_11target_archE1100ELNS1_3gpuE3ELNS1_3repE0EEENS1_30default_config_static_selectorELNS0_4arch9wavefront6targetE1EEEvT1_.has_indirect_call, 0
	.section	.AMDGPU.csdata,"",@progbits
; Kernel info:
; codeLenInByte = 0
; TotalNumSgprs: 6
; NumVgprs: 0
; NumAgprs: 0
; TotalNumVgprs: 0
; ScratchSize: 0
; MemoryBound: 0
; FloatMode: 240
; IeeeMode: 1
; LDSByteSize: 0 bytes/workgroup (compile time only)
; SGPRBlocks: 0
; VGPRBlocks: 0
; NumSGPRsForWavesPerEU: 6
; NumVGPRsForWavesPerEU: 1
; AccumOffset: 4
; Occupancy: 8
; WaveLimiterHint : 0
; COMPUTE_PGM_RSRC2:SCRATCH_EN: 0
; COMPUTE_PGM_RSRC2:USER_SGPR: 2
; COMPUTE_PGM_RSRC2:TRAP_HANDLER: 0
; COMPUTE_PGM_RSRC2:TGID_X_EN: 1
; COMPUTE_PGM_RSRC2:TGID_Y_EN: 0
; COMPUTE_PGM_RSRC2:TGID_Z_EN: 0
; COMPUTE_PGM_RSRC2:TIDIG_COMP_CNT: 0
; COMPUTE_PGM_RSRC3_GFX90A:ACCUM_OFFSET: 0
; COMPUTE_PGM_RSRC3_GFX90A:TG_SPLIT: 0
	.section	.text._ZN7rocprim17ROCPRIM_400000_NS6detail17trampoline_kernelINS0_14default_configENS1_20scan_config_selectorIN3c104HalfEEEZZNS1_9scan_implILNS1_25lookback_scan_determinismE0ELb0ELb0ES3_PKS6_PS6_S6_ZZZN2at6native31launch_logcumsumexp_cuda_kernelERKNSD_10TensorBaseESH_lENKUlvE_clEvENKUlvE3_clEvEUlS6_S6_E_S6_EEDaPvRmT3_T4_T5_mT6_P12ihipStream_tbENKUlT_T0_E_clISt17integral_constantIbLb1EESY_EEDaST_SU_EUlST_E0_NS1_11comp_targetILNS1_3genE8ELNS1_11target_archE1030ELNS1_3gpuE2ELNS1_3repE0EEENS1_30default_config_static_selectorELNS0_4arch9wavefront6targetE1EEEvT1_,"axG",@progbits,_ZN7rocprim17ROCPRIM_400000_NS6detail17trampoline_kernelINS0_14default_configENS1_20scan_config_selectorIN3c104HalfEEEZZNS1_9scan_implILNS1_25lookback_scan_determinismE0ELb0ELb0ES3_PKS6_PS6_S6_ZZZN2at6native31launch_logcumsumexp_cuda_kernelERKNSD_10TensorBaseESH_lENKUlvE_clEvENKUlvE3_clEvEUlS6_S6_E_S6_EEDaPvRmT3_T4_T5_mT6_P12ihipStream_tbENKUlT_T0_E_clISt17integral_constantIbLb1EESY_EEDaST_SU_EUlST_E0_NS1_11comp_targetILNS1_3genE8ELNS1_11target_archE1030ELNS1_3gpuE2ELNS1_3repE0EEENS1_30default_config_static_selectorELNS0_4arch9wavefront6targetE1EEEvT1_,comdat
	.globl	_ZN7rocprim17ROCPRIM_400000_NS6detail17trampoline_kernelINS0_14default_configENS1_20scan_config_selectorIN3c104HalfEEEZZNS1_9scan_implILNS1_25lookback_scan_determinismE0ELb0ELb0ES3_PKS6_PS6_S6_ZZZN2at6native31launch_logcumsumexp_cuda_kernelERKNSD_10TensorBaseESH_lENKUlvE_clEvENKUlvE3_clEvEUlS6_S6_E_S6_EEDaPvRmT3_T4_T5_mT6_P12ihipStream_tbENKUlT_T0_E_clISt17integral_constantIbLb1EESY_EEDaST_SU_EUlST_E0_NS1_11comp_targetILNS1_3genE8ELNS1_11target_archE1030ELNS1_3gpuE2ELNS1_3repE0EEENS1_30default_config_static_selectorELNS0_4arch9wavefront6targetE1EEEvT1_ ; -- Begin function _ZN7rocprim17ROCPRIM_400000_NS6detail17trampoline_kernelINS0_14default_configENS1_20scan_config_selectorIN3c104HalfEEEZZNS1_9scan_implILNS1_25lookback_scan_determinismE0ELb0ELb0ES3_PKS6_PS6_S6_ZZZN2at6native31launch_logcumsumexp_cuda_kernelERKNSD_10TensorBaseESH_lENKUlvE_clEvENKUlvE3_clEvEUlS6_S6_E_S6_EEDaPvRmT3_T4_T5_mT6_P12ihipStream_tbENKUlT_T0_E_clISt17integral_constantIbLb1EESY_EEDaST_SU_EUlST_E0_NS1_11comp_targetILNS1_3genE8ELNS1_11target_archE1030ELNS1_3gpuE2ELNS1_3repE0EEENS1_30default_config_static_selectorELNS0_4arch9wavefront6targetE1EEEvT1_
	.p2align	8
	.type	_ZN7rocprim17ROCPRIM_400000_NS6detail17trampoline_kernelINS0_14default_configENS1_20scan_config_selectorIN3c104HalfEEEZZNS1_9scan_implILNS1_25lookback_scan_determinismE0ELb0ELb0ES3_PKS6_PS6_S6_ZZZN2at6native31launch_logcumsumexp_cuda_kernelERKNSD_10TensorBaseESH_lENKUlvE_clEvENKUlvE3_clEvEUlS6_S6_E_S6_EEDaPvRmT3_T4_T5_mT6_P12ihipStream_tbENKUlT_T0_E_clISt17integral_constantIbLb1EESY_EEDaST_SU_EUlST_E0_NS1_11comp_targetILNS1_3genE8ELNS1_11target_archE1030ELNS1_3gpuE2ELNS1_3repE0EEENS1_30default_config_static_selectorELNS0_4arch9wavefront6targetE1EEEvT1_,@function
_ZN7rocprim17ROCPRIM_400000_NS6detail17trampoline_kernelINS0_14default_configENS1_20scan_config_selectorIN3c104HalfEEEZZNS1_9scan_implILNS1_25lookback_scan_determinismE0ELb0ELb0ES3_PKS6_PS6_S6_ZZZN2at6native31launch_logcumsumexp_cuda_kernelERKNSD_10TensorBaseESH_lENKUlvE_clEvENKUlvE3_clEvEUlS6_S6_E_S6_EEDaPvRmT3_T4_T5_mT6_P12ihipStream_tbENKUlT_T0_E_clISt17integral_constantIbLb1EESY_EEDaST_SU_EUlST_E0_NS1_11comp_targetILNS1_3genE8ELNS1_11target_archE1030ELNS1_3gpuE2ELNS1_3repE0EEENS1_30default_config_static_selectorELNS0_4arch9wavefront6targetE1EEEvT1_: ; @_ZN7rocprim17ROCPRIM_400000_NS6detail17trampoline_kernelINS0_14default_configENS1_20scan_config_selectorIN3c104HalfEEEZZNS1_9scan_implILNS1_25lookback_scan_determinismE0ELb0ELb0ES3_PKS6_PS6_S6_ZZZN2at6native31launch_logcumsumexp_cuda_kernelERKNSD_10TensorBaseESH_lENKUlvE_clEvENKUlvE3_clEvEUlS6_S6_E_S6_EEDaPvRmT3_T4_T5_mT6_P12ihipStream_tbENKUlT_T0_E_clISt17integral_constantIbLb1EESY_EEDaST_SU_EUlST_E0_NS1_11comp_targetILNS1_3genE8ELNS1_11target_archE1030ELNS1_3gpuE2ELNS1_3repE0EEENS1_30default_config_static_selectorELNS0_4arch9wavefront6targetE1EEEvT1_
; %bb.0:
	.section	.rodata,"a",@progbits
	.p2align	6, 0x0
	.amdhsa_kernel _ZN7rocprim17ROCPRIM_400000_NS6detail17trampoline_kernelINS0_14default_configENS1_20scan_config_selectorIN3c104HalfEEEZZNS1_9scan_implILNS1_25lookback_scan_determinismE0ELb0ELb0ES3_PKS6_PS6_S6_ZZZN2at6native31launch_logcumsumexp_cuda_kernelERKNSD_10TensorBaseESH_lENKUlvE_clEvENKUlvE3_clEvEUlS6_S6_E_S6_EEDaPvRmT3_T4_T5_mT6_P12ihipStream_tbENKUlT_T0_E_clISt17integral_constantIbLb1EESY_EEDaST_SU_EUlST_E0_NS1_11comp_targetILNS1_3genE8ELNS1_11target_archE1030ELNS1_3gpuE2ELNS1_3repE0EEENS1_30default_config_static_selectorELNS0_4arch9wavefront6targetE1EEEvT1_
		.amdhsa_group_segment_fixed_size 0
		.amdhsa_private_segment_fixed_size 0
		.amdhsa_kernarg_size 32
		.amdhsa_user_sgpr_count 2
		.amdhsa_user_sgpr_dispatch_ptr 0
		.amdhsa_user_sgpr_queue_ptr 0
		.amdhsa_user_sgpr_kernarg_segment_ptr 1
		.amdhsa_user_sgpr_dispatch_id 0
		.amdhsa_user_sgpr_kernarg_preload_length 0
		.amdhsa_user_sgpr_kernarg_preload_offset 0
		.amdhsa_user_sgpr_private_segment_size 0
		.amdhsa_uses_dynamic_stack 0
		.amdhsa_enable_private_segment 0
		.amdhsa_system_sgpr_workgroup_id_x 1
		.amdhsa_system_sgpr_workgroup_id_y 0
		.amdhsa_system_sgpr_workgroup_id_z 0
		.amdhsa_system_sgpr_workgroup_info 0
		.amdhsa_system_vgpr_workitem_id 0
		.amdhsa_next_free_vgpr 1
		.amdhsa_next_free_sgpr 0
		.amdhsa_accum_offset 4
		.amdhsa_reserve_vcc 0
		.amdhsa_float_round_mode_32 0
		.amdhsa_float_round_mode_16_64 0
		.amdhsa_float_denorm_mode_32 3
		.amdhsa_float_denorm_mode_16_64 3
		.amdhsa_dx10_clamp 1
		.amdhsa_ieee_mode 1
		.amdhsa_fp16_overflow 0
		.amdhsa_tg_split 0
		.amdhsa_exception_fp_ieee_invalid_op 0
		.amdhsa_exception_fp_denorm_src 0
		.amdhsa_exception_fp_ieee_div_zero 0
		.amdhsa_exception_fp_ieee_overflow 0
		.amdhsa_exception_fp_ieee_underflow 0
		.amdhsa_exception_fp_ieee_inexact 0
		.amdhsa_exception_int_div_zero 0
	.end_amdhsa_kernel
	.section	.text._ZN7rocprim17ROCPRIM_400000_NS6detail17trampoline_kernelINS0_14default_configENS1_20scan_config_selectorIN3c104HalfEEEZZNS1_9scan_implILNS1_25lookback_scan_determinismE0ELb0ELb0ES3_PKS6_PS6_S6_ZZZN2at6native31launch_logcumsumexp_cuda_kernelERKNSD_10TensorBaseESH_lENKUlvE_clEvENKUlvE3_clEvEUlS6_S6_E_S6_EEDaPvRmT3_T4_T5_mT6_P12ihipStream_tbENKUlT_T0_E_clISt17integral_constantIbLb1EESY_EEDaST_SU_EUlST_E0_NS1_11comp_targetILNS1_3genE8ELNS1_11target_archE1030ELNS1_3gpuE2ELNS1_3repE0EEENS1_30default_config_static_selectorELNS0_4arch9wavefront6targetE1EEEvT1_,"axG",@progbits,_ZN7rocprim17ROCPRIM_400000_NS6detail17trampoline_kernelINS0_14default_configENS1_20scan_config_selectorIN3c104HalfEEEZZNS1_9scan_implILNS1_25lookback_scan_determinismE0ELb0ELb0ES3_PKS6_PS6_S6_ZZZN2at6native31launch_logcumsumexp_cuda_kernelERKNSD_10TensorBaseESH_lENKUlvE_clEvENKUlvE3_clEvEUlS6_S6_E_S6_EEDaPvRmT3_T4_T5_mT6_P12ihipStream_tbENKUlT_T0_E_clISt17integral_constantIbLb1EESY_EEDaST_SU_EUlST_E0_NS1_11comp_targetILNS1_3genE8ELNS1_11target_archE1030ELNS1_3gpuE2ELNS1_3repE0EEENS1_30default_config_static_selectorELNS0_4arch9wavefront6targetE1EEEvT1_,comdat
.Lfunc_end395:
	.size	_ZN7rocprim17ROCPRIM_400000_NS6detail17trampoline_kernelINS0_14default_configENS1_20scan_config_selectorIN3c104HalfEEEZZNS1_9scan_implILNS1_25lookback_scan_determinismE0ELb0ELb0ES3_PKS6_PS6_S6_ZZZN2at6native31launch_logcumsumexp_cuda_kernelERKNSD_10TensorBaseESH_lENKUlvE_clEvENKUlvE3_clEvEUlS6_S6_E_S6_EEDaPvRmT3_T4_T5_mT6_P12ihipStream_tbENKUlT_T0_E_clISt17integral_constantIbLb1EESY_EEDaST_SU_EUlST_E0_NS1_11comp_targetILNS1_3genE8ELNS1_11target_archE1030ELNS1_3gpuE2ELNS1_3repE0EEENS1_30default_config_static_selectorELNS0_4arch9wavefront6targetE1EEEvT1_, .Lfunc_end395-_ZN7rocprim17ROCPRIM_400000_NS6detail17trampoline_kernelINS0_14default_configENS1_20scan_config_selectorIN3c104HalfEEEZZNS1_9scan_implILNS1_25lookback_scan_determinismE0ELb0ELb0ES3_PKS6_PS6_S6_ZZZN2at6native31launch_logcumsumexp_cuda_kernelERKNSD_10TensorBaseESH_lENKUlvE_clEvENKUlvE3_clEvEUlS6_S6_E_S6_EEDaPvRmT3_T4_T5_mT6_P12ihipStream_tbENKUlT_T0_E_clISt17integral_constantIbLb1EESY_EEDaST_SU_EUlST_E0_NS1_11comp_targetILNS1_3genE8ELNS1_11target_archE1030ELNS1_3gpuE2ELNS1_3repE0EEENS1_30default_config_static_selectorELNS0_4arch9wavefront6targetE1EEEvT1_
                                        ; -- End function
	.set _ZN7rocprim17ROCPRIM_400000_NS6detail17trampoline_kernelINS0_14default_configENS1_20scan_config_selectorIN3c104HalfEEEZZNS1_9scan_implILNS1_25lookback_scan_determinismE0ELb0ELb0ES3_PKS6_PS6_S6_ZZZN2at6native31launch_logcumsumexp_cuda_kernelERKNSD_10TensorBaseESH_lENKUlvE_clEvENKUlvE3_clEvEUlS6_S6_E_S6_EEDaPvRmT3_T4_T5_mT6_P12ihipStream_tbENKUlT_T0_E_clISt17integral_constantIbLb1EESY_EEDaST_SU_EUlST_E0_NS1_11comp_targetILNS1_3genE8ELNS1_11target_archE1030ELNS1_3gpuE2ELNS1_3repE0EEENS1_30default_config_static_selectorELNS0_4arch9wavefront6targetE1EEEvT1_.num_vgpr, 0
	.set _ZN7rocprim17ROCPRIM_400000_NS6detail17trampoline_kernelINS0_14default_configENS1_20scan_config_selectorIN3c104HalfEEEZZNS1_9scan_implILNS1_25lookback_scan_determinismE0ELb0ELb0ES3_PKS6_PS6_S6_ZZZN2at6native31launch_logcumsumexp_cuda_kernelERKNSD_10TensorBaseESH_lENKUlvE_clEvENKUlvE3_clEvEUlS6_S6_E_S6_EEDaPvRmT3_T4_T5_mT6_P12ihipStream_tbENKUlT_T0_E_clISt17integral_constantIbLb1EESY_EEDaST_SU_EUlST_E0_NS1_11comp_targetILNS1_3genE8ELNS1_11target_archE1030ELNS1_3gpuE2ELNS1_3repE0EEENS1_30default_config_static_selectorELNS0_4arch9wavefront6targetE1EEEvT1_.num_agpr, 0
	.set _ZN7rocprim17ROCPRIM_400000_NS6detail17trampoline_kernelINS0_14default_configENS1_20scan_config_selectorIN3c104HalfEEEZZNS1_9scan_implILNS1_25lookback_scan_determinismE0ELb0ELb0ES3_PKS6_PS6_S6_ZZZN2at6native31launch_logcumsumexp_cuda_kernelERKNSD_10TensorBaseESH_lENKUlvE_clEvENKUlvE3_clEvEUlS6_S6_E_S6_EEDaPvRmT3_T4_T5_mT6_P12ihipStream_tbENKUlT_T0_E_clISt17integral_constantIbLb1EESY_EEDaST_SU_EUlST_E0_NS1_11comp_targetILNS1_3genE8ELNS1_11target_archE1030ELNS1_3gpuE2ELNS1_3repE0EEENS1_30default_config_static_selectorELNS0_4arch9wavefront6targetE1EEEvT1_.numbered_sgpr, 0
	.set _ZN7rocprim17ROCPRIM_400000_NS6detail17trampoline_kernelINS0_14default_configENS1_20scan_config_selectorIN3c104HalfEEEZZNS1_9scan_implILNS1_25lookback_scan_determinismE0ELb0ELb0ES3_PKS6_PS6_S6_ZZZN2at6native31launch_logcumsumexp_cuda_kernelERKNSD_10TensorBaseESH_lENKUlvE_clEvENKUlvE3_clEvEUlS6_S6_E_S6_EEDaPvRmT3_T4_T5_mT6_P12ihipStream_tbENKUlT_T0_E_clISt17integral_constantIbLb1EESY_EEDaST_SU_EUlST_E0_NS1_11comp_targetILNS1_3genE8ELNS1_11target_archE1030ELNS1_3gpuE2ELNS1_3repE0EEENS1_30default_config_static_selectorELNS0_4arch9wavefront6targetE1EEEvT1_.num_named_barrier, 0
	.set _ZN7rocprim17ROCPRIM_400000_NS6detail17trampoline_kernelINS0_14default_configENS1_20scan_config_selectorIN3c104HalfEEEZZNS1_9scan_implILNS1_25lookback_scan_determinismE0ELb0ELb0ES3_PKS6_PS6_S6_ZZZN2at6native31launch_logcumsumexp_cuda_kernelERKNSD_10TensorBaseESH_lENKUlvE_clEvENKUlvE3_clEvEUlS6_S6_E_S6_EEDaPvRmT3_T4_T5_mT6_P12ihipStream_tbENKUlT_T0_E_clISt17integral_constantIbLb1EESY_EEDaST_SU_EUlST_E0_NS1_11comp_targetILNS1_3genE8ELNS1_11target_archE1030ELNS1_3gpuE2ELNS1_3repE0EEENS1_30default_config_static_selectorELNS0_4arch9wavefront6targetE1EEEvT1_.private_seg_size, 0
	.set _ZN7rocprim17ROCPRIM_400000_NS6detail17trampoline_kernelINS0_14default_configENS1_20scan_config_selectorIN3c104HalfEEEZZNS1_9scan_implILNS1_25lookback_scan_determinismE0ELb0ELb0ES3_PKS6_PS6_S6_ZZZN2at6native31launch_logcumsumexp_cuda_kernelERKNSD_10TensorBaseESH_lENKUlvE_clEvENKUlvE3_clEvEUlS6_S6_E_S6_EEDaPvRmT3_T4_T5_mT6_P12ihipStream_tbENKUlT_T0_E_clISt17integral_constantIbLb1EESY_EEDaST_SU_EUlST_E0_NS1_11comp_targetILNS1_3genE8ELNS1_11target_archE1030ELNS1_3gpuE2ELNS1_3repE0EEENS1_30default_config_static_selectorELNS0_4arch9wavefront6targetE1EEEvT1_.uses_vcc, 0
	.set _ZN7rocprim17ROCPRIM_400000_NS6detail17trampoline_kernelINS0_14default_configENS1_20scan_config_selectorIN3c104HalfEEEZZNS1_9scan_implILNS1_25lookback_scan_determinismE0ELb0ELb0ES3_PKS6_PS6_S6_ZZZN2at6native31launch_logcumsumexp_cuda_kernelERKNSD_10TensorBaseESH_lENKUlvE_clEvENKUlvE3_clEvEUlS6_S6_E_S6_EEDaPvRmT3_T4_T5_mT6_P12ihipStream_tbENKUlT_T0_E_clISt17integral_constantIbLb1EESY_EEDaST_SU_EUlST_E0_NS1_11comp_targetILNS1_3genE8ELNS1_11target_archE1030ELNS1_3gpuE2ELNS1_3repE0EEENS1_30default_config_static_selectorELNS0_4arch9wavefront6targetE1EEEvT1_.uses_flat_scratch, 0
	.set _ZN7rocprim17ROCPRIM_400000_NS6detail17trampoline_kernelINS0_14default_configENS1_20scan_config_selectorIN3c104HalfEEEZZNS1_9scan_implILNS1_25lookback_scan_determinismE0ELb0ELb0ES3_PKS6_PS6_S6_ZZZN2at6native31launch_logcumsumexp_cuda_kernelERKNSD_10TensorBaseESH_lENKUlvE_clEvENKUlvE3_clEvEUlS6_S6_E_S6_EEDaPvRmT3_T4_T5_mT6_P12ihipStream_tbENKUlT_T0_E_clISt17integral_constantIbLb1EESY_EEDaST_SU_EUlST_E0_NS1_11comp_targetILNS1_3genE8ELNS1_11target_archE1030ELNS1_3gpuE2ELNS1_3repE0EEENS1_30default_config_static_selectorELNS0_4arch9wavefront6targetE1EEEvT1_.has_dyn_sized_stack, 0
	.set _ZN7rocprim17ROCPRIM_400000_NS6detail17trampoline_kernelINS0_14default_configENS1_20scan_config_selectorIN3c104HalfEEEZZNS1_9scan_implILNS1_25lookback_scan_determinismE0ELb0ELb0ES3_PKS6_PS6_S6_ZZZN2at6native31launch_logcumsumexp_cuda_kernelERKNSD_10TensorBaseESH_lENKUlvE_clEvENKUlvE3_clEvEUlS6_S6_E_S6_EEDaPvRmT3_T4_T5_mT6_P12ihipStream_tbENKUlT_T0_E_clISt17integral_constantIbLb1EESY_EEDaST_SU_EUlST_E0_NS1_11comp_targetILNS1_3genE8ELNS1_11target_archE1030ELNS1_3gpuE2ELNS1_3repE0EEENS1_30default_config_static_selectorELNS0_4arch9wavefront6targetE1EEEvT1_.has_recursion, 0
	.set _ZN7rocprim17ROCPRIM_400000_NS6detail17trampoline_kernelINS0_14default_configENS1_20scan_config_selectorIN3c104HalfEEEZZNS1_9scan_implILNS1_25lookback_scan_determinismE0ELb0ELb0ES3_PKS6_PS6_S6_ZZZN2at6native31launch_logcumsumexp_cuda_kernelERKNSD_10TensorBaseESH_lENKUlvE_clEvENKUlvE3_clEvEUlS6_S6_E_S6_EEDaPvRmT3_T4_T5_mT6_P12ihipStream_tbENKUlT_T0_E_clISt17integral_constantIbLb1EESY_EEDaST_SU_EUlST_E0_NS1_11comp_targetILNS1_3genE8ELNS1_11target_archE1030ELNS1_3gpuE2ELNS1_3repE0EEENS1_30default_config_static_selectorELNS0_4arch9wavefront6targetE1EEEvT1_.has_indirect_call, 0
	.section	.AMDGPU.csdata,"",@progbits
; Kernel info:
; codeLenInByte = 0
; TotalNumSgprs: 6
; NumVgprs: 0
; NumAgprs: 0
; TotalNumVgprs: 0
; ScratchSize: 0
; MemoryBound: 0
; FloatMode: 240
; IeeeMode: 1
; LDSByteSize: 0 bytes/workgroup (compile time only)
; SGPRBlocks: 0
; VGPRBlocks: 0
; NumSGPRsForWavesPerEU: 6
; NumVGPRsForWavesPerEU: 1
; AccumOffset: 4
; Occupancy: 8
; WaveLimiterHint : 0
; COMPUTE_PGM_RSRC2:SCRATCH_EN: 0
; COMPUTE_PGM_RSRC2:USER_SGPR: 2
; COMPUTE_PGM_RSRC2:TRAP_HANDLER: 0
; COMPUTE_PGM_RSRC2:TGID_X_EN: 1
; COMPUTE_PGM_RSRC2:TGID_Y_EN: 0
; COMPUTE_PGM_RSRC2:TGID_Z_EN: 0
; COMPUTE_PGM_RSRC2:TIDIG_COMP_CNT: 0
; COMPUTE_PGM_RSRC3_GFX90A:ACCUM_OFFSET: 0
; COMPUTE_PGM_RSRC3_GFX90A:TG_SPLIT: 0
	.section	.text._ZN7rocprim17ROCPRIM_400000_NS6detail31init_lookback_scan_state_kernelINS1_19lookback_scan_stateIN3c104HalfELb1ELb1EEENS1_16block_id_wrapperIjLb0EEEEEvT_jT0_jPNS9_10value_typeE,"axG",@progbits,_ZN7rocprim17ROCPRIM_400000_NS6detail31init_lookback_scan_state_kernelINS1_19lookback_scan_stateIN3c104HalfELb1ELb1EEENS1_16block_id_wrapperIjLb0EEEEEvT_jT0_jPNS9_10value_typeE,comdat
	.protected	_ZN7rocprim17ROCPRIM_400000_NS6detail31init_lookback_scan_state_kernelINS1_19lookback_scan_stateIN3c104HalfELb1ELb1EEENS1_16block_id_wrapperIjLb0EEEEEvT_jT0_jPNS9_10value_typeE ; -- Begin function _ZN7rocprim17ROCPRIM_400000_NS6detail31init_lookback_scan_state_kernelINS1_19lookback_scan_stateIN3c104HalfELb1ELb1EEENS1_16block_id_wrapperIjLb0EEEEEvT_jT0_jPNS9_10value_typeE
	.globl	_ZN7rocprim17ROCPRIM_400000_NS6detail31init_lookback_scan_state_kernelINS1_19lookback_scan_stateIN3c104HalfELb1ELb1EEENS1_16block_id_wrapperIjLb0EEEEEvT_jT0_jPNS9_10value_typeE
	.p2align	8
	.type	_ZN7rocprim17ROCPRIM_400000_NS6detail31init_lookback_scan_state_kernelINS1_19lookback_scan_stateIN3c104HalfELb1ELb1EEENS1_16block_id_wrapperIjLb0EEEEEvT_jT0_jPNS9_10value_typeE,@function
_ZN7rocprim17ROCPRIM_400000_NS6detail31init_lookback_scan_state_kernelINS1_19lookback_scan_stateIN3c104HalfELb1ELb1EEENS1_16block_id_wrapperIjLb0EEEEEvT_jT0_jPNS9_10value_typeE: ; @_ZN7rocprim17ROCPRIM_400000_NS6detail31init_lookback_scan_state_kernelINS1_19lookback_scan_stateIN3c104HalfELb1ELb1EEENS1_16block_id_wrapperIjLb0EEEEEvT_jT0_jPNS9_10value_typeE
; %bb.0:
	s_load_dword s3, s[0:1], 0x2c
	s_load_dwordx2 s[6:7], s[0:1], 0x18
	s_load_dwordx2 s[4:5], s[0:1], 0x0
	s_load_dword s8, s[0:1], 0x8
	s_waitcnt lgkmcnt(0)
	s_and_b32 s3, s3, 0xffff
	s_mul_i32 s2, s2, s3
	s_cmp_eq_u64 s[6:7], 0
	v_add_u32_e32 v0, s2, v0
	s_cbranch_scc1 .LBB396_9
; %bb.1:
	s_load_dword s2, s[0:1], 0x10
	s_mov_b32 s3, 0
	s_waitcnt lgkmcnt(0)
	s_cmp_lt_u32 s2, s8
	s_cselect_b32 s0, s2, 0
	v_cmp_eq_u32_e32 vcc, s0, v0
	s_and_saveexec_b64 s[0:1], vcc
	s_cbranch_execz .LBB396_8
; %bb.2:
	s_add_i32 s2, s2, 64
	s_lshl_b64 s[2:3], s[2:3], 2
	s_add_u32 s2, s4, s2
	s_addc_u32 s3, s5, s3
	v_mov_b32_e32 v1, 0
	global_load_dword v2, v1, s[2:3] sc1
	s_waitcnt vmcnt(0)
	v_and_b32_e32 v3, 0xff0000, v2
	v_cmp_ne_u32_e32 vcc, 0, v3
	s_cbranch_vccnz .LBB396_7
; %bb.3:
	s_mov_b32 s9, 1
.LBB396_4:                              ; =>This Loop Header: Depth=1
                                        ;     Child Loop BB396_5 Depth 2
	s_mov_b32 s10, s9
.LBB396_5:                              ;   Parent Loop BB396_4 Depth=1
                                        ; =>  This Inner Loop Header: Depth=2
	s_add_i32 s10, s10, -1
	s_cmp_eq_u32 s10, 0
	s_sleep 1
	s_cbranch_scc0 .LBB396_5
; %bb.6:                                ;   in Loop: Header=BB396_4 Depth=1
	global_load_dword v2, v1, s[2:3] sc1
	s_cmp_lt_u32 s9, 32
	s_cselect_b64 s[10:11], -1, 0
	s_cmp_lg_u64 s[10:11], 0
	s_addc_u32 s9, s9, 0
	s_waitcnt vmcnt(0)
	v_and_b32_e32 v3, 0xff0000, v2
	v_cmp_ne_u32_e32 vcc, 0, v3
	s_cbranch_vccz .LBB396_4
.LBB396_7:
	v_mov_b32_e32 v1, 0
	global_store_short v1, v2, s[6:7]
.LBB396_8:
	s_or_b64 exec, exec, s[0:1]
.LBB396_9:
	v_cmp_gt_u32_e32 vcc, s8, v0
	s_and_saveexec_b64 s[0:1], vcc
	s_cbranch_execnz .LBB396_12
; %bb.10:
	s_or_b64 exec, exec, s[0:1]
	v_cmp_gt_u32_e32 vcc, 64, v0
	s_and_saveexec_b64 s[0:1], vcc
	s_cbranch_execnz .LBB396_13
.LBB396_11:
	s_endpgm
.LBB396_12:
	v_add_u32_e32 v2, 64, v0
	v_mov_b32_e32 v3, 0
	v_lshl_add_u64 v[4:5], v[2:3], 2, s[4:5]
	global_store_dword v[4:5], v3, off
	s_or_b64 exec, exec, s[0:1]
	v_cmp_gt_u32_e32 vcc, 64, v0
	s_and_saveexec_b64 s[0:1], vcc
	s_cbranch_execz .LBB396_11
.LBB396_13:
	v_mov_b32_e32 v1, 0
	v_lshl_add_u64 v[0:1], v[0:1], 2, s[4:5]
	v_mov_b32_e32 v2, 0xff0000
	global_store_dword v[0:1], v2, off
	s_endpgm
	.section	.rodata,"a",@progbits
	.p2align	6, 0x0
	.amdhsa_kernel _ZN7rocprim17ROCPRIM_400000_NS6detail31init_lookback_scan_state_kernelINS1_19lookback_scan_stateIN3c104HalfELb1ELb1EEENS1_16block_id_wrapperIjLb0EEEEEvT_jT0_jPNS9_10value_typeE
		.amdhsa_group_segment_fixed_size 0
		.amdhsa_private_segment_fixed_size 0
		.amdhsa_kernarg_size 288
		.amdhsa_user_sgpr_count 2
		.amdhsa_user_sgpr_dispatch_ptr 0
		.amdhsa_user_sgpr_queue_ptr 0
		.amdhsa_user_sgpr_kernarg_segment_ptr 1
		.amdhsa_user_sgpr_dispatch_id 0
		.amdhsa_user_sgpr_kernarg_preload_length 0
		.amdhsa_user_sgpr_kernarg_preload_offset 0
		.amdhsa_user_sgpr_private_segment_size 0
		.amdhsa_uses_dynamic_stack 0
		.amdhsa_enable_private_segment 0
		.amdhsa_system_sgpr_workgroup_id_x 1
		.amdhsa_system_sgpr_workgroup_id_y 0
		.amdhsa_system_sgpr_workgroup_id_z 0
		.amdhsa_system_sgpr_workgroup_info 0
		.amdhsa_system_vgpr_workitem_id 0
		.amdhsa_next_free_vgpr 6
		.amdhsa_next_free_sgpr 12
		.amdhsa_accum_offset 8
		.amdhsa_reserve_vcc 1
		.amdhsa_float_round_mode_32 0
		.amdhsa_float_round_mode_16_64 0
		.amdhsa_float_denorm_mode_32 3
		.amdhsa_float_denorm_mode_16_64 3
		.amdhsa_dx10_clamp 1
		.amdhsa_ieee_mode 1
		.amdhsa_fp16_overflow 0
		.amdhsa_tg_split 0
		.amdhsa_exception_fp_ieee_invalid_op 0
		.amdhsa_exception_fp_denorm_src 0
		.amdhsa_exception_fp_ieee_div_zero 0
		.amdhsa_exception_fp_ieee_overflow 0
		.amdhsa_exception_fp_ieee_underflow 0
		.amdhsa_exception_fp_ieee_inexact 0
		.amdhsa_exception_int_div_zero 0
	.end_amdhsa_kernel
	.section	.text._ZN7rocprim17ROCPRIM_400000_NS6detail31init_lookback_scan_state_kernelINS1_19lookback_scan_stateIN3c104HalfELb1ELb1EEENS1_16block_id_wrapperIjLb0EEEEEvT_jT0_jPNS9_10value_typeE,"axG",@progbits,_ZN7rocprim17ROCPRIM_400000_NS6detail31init_lookback_scan_state_kernelINS1_19lookback_scan_stateIN3c104HalfELb1ELb1EEENS1_16block_id_wrapperIjLb0EEEEEvT_jT0_jPNS9_10value_typeE,comdat
.Lfunc_end396:
	.size	_ZN7rocprim17ROCPRIM_400000_NS6detail31init_lookback_scan_state_kernelINS1_19lookback_scan_stateIN3c104HalfELb1ELb1EEENS1_16block_id_wrapperIjLb0EEEEEvT_jT0_jPNS9_10value_typeE, .Lfunc_end396-_ZN7rocprim17ROCPRIM_400000_NS6detail31init_lookback_scan_state_kernelINS1_19lookback_scan_stateIN3c104HalfELb1ELb1EEENS1_16block_id_wrapperIjLb0EEEEEvT_jT0_jPNS9_10value_typeE
                                        ; -- End function
	.set _ZN7rocprim17ROCPRIM_400000_NS6detail31init_lookback_scan_state_kernelINS1_19lookback_scan_stateIN3c104HalfELb1ELb1EEENS1_16block_id_wrapperIjLb0EEEEEvT_jT0_jPNS9_10value_typeE.num_vgpr, 6
	.set _ZN7rocprim17ROCPRIM_400000_NS6detail31init_lookback_scan_state_kernelINS1_19lookback_scan_stateIN3c104HalfELb1ELb1EEENS1_16block_id_wrapperIjLb0EEEEEvT_jT0_jPNS9_10value_typeE.num_agpr, 0
	.set _ZN7rocprim17ROCPRIM_400000_NS6detail31init_lookback_scan_state_kernelINS1_19lookback_scan_stateIN3c104HalfELb1ELb1EEENS1_16block_id_wrapperIjLb0EEEEEvT_jT0_jPNS9_10value_typeE.numbered_sgpr, 12
	.set _ZN7rocprim17ROCPRIM_400000_NS6detail31init_lookback_scan_state_kernelINS1_19lookback_scan_stateIN3c104HalfELb1ELb1EEENS1_16block_id_wrapperIjLb0EEEEEvT_jT0_jPNS9_10value_typeE.num_named_barrier, 0
	.set _ZN7rocprim17ROCPRIM_400000_NS6detail31init_lookback_scan_state_kernelINS1_19lookback_scan_stateIN3c104HalfELb1ELb1EEENS1_16block_id_wrapperIjLb0EEEEEvT_jT0_jPNS9_10value_typeE.private_seg_size, 0
	.set _ZN7rocprim17ROCPRIM_400000_NS6detail31init_lookback_scan_state_kernelINS1_19lookback_scan_stateIN3c104HalfELb1ELb1EEENS1_16block_id_wrapperIjLb0EEEEEvT_jT0_jPNS9_10value_typeE.uses_vcc, 1
	.set _ZN7rocprim17ROCPRIM_400000_NS6detail31init_lookback_scan_state_kernelINS1_19lookback_scan_stateIN3c104HalfELb1ELb1EEENS1_16block_id_wrapperIjLb0EEEEEvT_jT0_jPNS9_10value_typeE.uses_flat_scratch, 0
	.set _ZN7rocprim17ROCPRIM_400000_NS6detail31init_lookback_scan_state_kernelINS1_19lookback_scan_stateIN3c104HalfELb1ELb1EEENS1_16block_id_wrapperIjLb0EEEEEvT_jT0_jPNS9_10value_typeE.has_dyn_sized_stack, 0
	.set _ZN7rocprim17ROCPRIM_400000_NS6detail31init_lookback_scan_state_kernelINS1_19lookback_scan_stateIN3c104HalfELb1ELb1EEENS1_16block_id_wrapperIjLb0EEEEEvT_jT0_jPNS9_10value_typeE.has_recursion, 0
	.set _ZN7rocprim17ROCPRIM_400000_NS6detail31init_lookback_scan_state_kernelINS1_19lookback_scan_stateIN3c104HalfELb1ELb1EEENS1_16block_id_wrapperIjLb0EEEEEvT_jT0_jPNS9_10value_typeE.has_indirect_call, 0
	.section	.AMDGPU.csdata,"",@progbits
; Kernel info:
; codeLenInByte = 332
; TotalNumSgprs: 18
; NumVgprs: 6
; NumAgprs: 0
; TotalNumVgprs: 6
; ScratchSize: 0
; MemoryBound: 0
; FloatMode: 240
; IeeeMode: 1
; LDSByteSize: 0 bytes/workgroup (compile time only)
; SGPRBlocks: 2
; VGPRBlocks: 0
; NumSGPRsForWavesPerEU: 18
; NumVGPRsForWavesPerEU: 6
; AccumOffset: 8
; Occupancy: 8
; WaveLimiterHint : 0
; COMPUTE_PGM_RSRC2:SCRATCH_EN: 0
; COMPUTE_PGM_RSRC2:USER_SGPR: 2
; COMPUTE_PGM_RSRC2:TRAP_HANDLER: 0
; COMPUTE_PGM_RSRC2:TGID_X_EN: 1
; COMPUTE_PGM_RSRC2:TGID_Y_EN: 0
; COMPUTE_PGM_RSRC2:TGID_Z_EN: 0
; COMPUTE_PGM_RSRC2:TIDIG_COMP_CNT: 0
; COMPUTE_PGM_RSRC3_GFX90A:ACCUM_OFFSET: 1
; COMPUTE_PGM_RSRC3_GFX90A:TG_SPLIT: 0
	.section	.text._ZN7rocprim17ROCPRIM_400000_NS6detail17trampoline_kernelINS0_14default_configENS1_20scan_config_selectorIN3c104HalfEEEZZNS1_9scan_implILNS1_25lookback_scan_determinismE0ELb0ELb0ES3_PKS6_PS6_S6_ZZZN2at6native31launch_logcumsumexp_cuda_kernelERKNSD_10TensorBaseESH_lENKUlvE_clEvENKUlvE3_clEvEUlS6_S6_E_S6_EEDaPvRmT3_T4_T5_mT6_P12ihipStream_tbENKUlT_T0_E_clISt17integral_constantIbLb1EESX_IbLb0EEEEDaST_SU_EUlST_E_NS1_11comp_targetILNS1_3genE0ELNS1_11target_archE4294967295ELNS1_3gpuE0ELNS1_3repE0EEENS1_30default_config_static_selectorELNS0_4arch9wavefront6targetE1EEEvT1_,"axG",@progbits,_ZN7rocprim17ROCPRIM_400000_NS6detail17trampoline_kernelINS0_14default_configENS1_20scan_config_selectorIN3c104HalfEEEZZNS1_9scan_implILNS1_25lookback_scan_determinismE0ELb0ELb0ES3_PKS6_PS6_S6_ZZZN2at6native31launch_logcumsumexp_cuda_kernelERKNSD_10TensorBaseESH_lENKUlvE_clEvENKUlvE3_clEvEUlS6_S6_E_S6_EEDaPvRmT3_T4_T5_mT6_P12ihipStream_tbENKUlT_T0_E_clISt17integral_constantIbLb1EESX_IbLb0EEEEDaST_SU_EUlST_E_NS1_11comp_targetILNS1_3genE0ELNS1_11target_archE4294967295ELNS1_3gpuE0ELNS1_3repE0EEENS1_30default_config_static_selectorELNS0_4arch9wavefront6targetE1EEEvT1_,comdat
	.globl	_ZN7rocprim17ROCPRIM_400000_NS6detail17trampoline_kernelINS0_14default_configENS1_20scan_config_selectorIN3c104HalfEEEZZNS1_9scan_implILNS1_25lookback_scan_determinismE0ELb0ELb0ES3_PKS6_PS6_S6_ZZZN2at6native31launch_logcumsumexp_cuda_kernelERKNSD_10TensorBaseESH_lENKUlvE_clEvENKUlvE3_clEvEUlS6_S6_E_S6_EEDaPvRmT3_T4_T5_mT6_P12ihipStream_tbENKUlT_T0_E_clISt17integral_constantIbLb1EESX_IbLb0EEEEDaST_SU_EUlST_E_NS1_11comp_targetILNS1_3genE0ELNS1_11target_archE4294967295ELNS1_3gpuE0ELNS1_3repE0EEENS1_30default_config_static_selectorELNS0_4arch9wavefront6targetE1EEEvT1_ ; -- Begin function _ZN7rocprim17ROCPRIM_400000_NS6detail17trampoline_kernelINS0_14default_configENS1_20scan_config_selectorIN3c104HalfEEEZZNS1_9scan_implILNS1_25lookback_scan_determinismE0ELb0ELb0ES3_PKS6_PS6_S6_ZZZN2at6native31launch_logcumsumexp_cuda_kernelERKNSD_10TensorBaseESH_lENKUlvE_clEvENKUlvE3_clEvEUlS6_S6_E_S6_EEDaPvRmT3_T4_T5_mT6_P12ihipStream_tbENKUlT_T0_E_clISt17integral_constantIbLb1EESX_IbLb0EEEEDaST_SU_EUlST_E_NS1_11comp_targetILNS1_3genE0ELNS1_11target_archE4294967295ELNS1_3gpuE0ELNS1_3repE0EEENS1_30default_config_static_selectorELNS0_4arch9wavefront6targetE1EEEvT1_
	.p2align	8
	.type	_ZN7rocprim17ROCPRIM_400000_NS6detail17trampoline_kernelINS0_14default_configENS1_20scan_config_selectorIN3c104HalfEEEZZNS1_9scan_implILNS1_25lookback_scan_determinismE0ELb0ELb0ES3_PKS6_PS6_S6_ZZZN2at6native31launch_logcumsumexp_cuda_kernelERKNSD_10TensorBaseESH_lENKUlvE_clEvENKUlvE3_clEvEUlS6_S6_E_S6_EEDaPvRmT3_T4_T5_mT6_P12ihipStream_tbENKUlT_T0_E_clISt17integral_constantIbLb1EESX_IbLb0EEEEDaST_SU_EUlST_E_NS1_11comp_targetILNS1_3genE0ELNS1_11target_archE4294967295ELNS1_3gpuE0ELNS1_3repE0EEENS1_30default_config_static_selectorELNS0_4arch9wavefront6targetE1EEEvT1_,@function
_ZN7rocprim17ROCPRIM_400000_NS6detail17trampoline_kernelINS0_14default_configENS1_20scan_config_selectorIN3c104HalfEEEZZNS1_9scan_implILNS1_25lookback_scan_determinismE0ELb0ELb0ES3_PKS6_PS6_S6_ZZZN2at6native31launch_logcumsumexp_cuda_kernelERKNSD_10TensorBaseESH_lENKUlvE_clEvENKUlvE3_clEvEUlS6_S6_E_S6_EEDaPvRmT3_T4_T5_mT6_P12ihipStream_tbENKUlT_T0_E_clISt17integral_constantIbLb1EESX_IbLb0EEEEDaST_SU_EUlST_E_NS1_11comp_targetILNS1_3genE0ELNS1_11target_archE4294967295ELNS1_3gpuE0ELNS1_3repE0EEENS1_30default_config_static_selectorELNS0_4arch9wavefront6targetE1EEEvT1_: ; @_ZN7rocprim17ROCPRIM_400000_NS6detail17trampoline_kernelINS0_14default_configENS1_20scan_config_selectorIN3c104HalfEEEZZNS1_9scan_implILNS1_25lookback_scan_determinismE0ELb0ELb0ES3_PKS6_PS6_S6_ZZZN2at6native31launch_logcumsumexp_cuda_kernelERKNSD_10TensorBaseESH_lENKUlvE_clEvENKUlvE3_clEvEUlS6_S6_E_S6_EEDaPvRmT3_T4_T5_mT6_P12ihipStream_tbENKUlT_T0_E_clISt17integral_constantIbLb1EESX_IbLb0EEEEDaST_SU_EUlST_E_NS1_11comp_targetILNS1_3genE0ELNS1_11target_archE4294967295ELNS1_3gpuE0ELNS1_3repE0EEENS1_30default_config_static_selectorELNS0_4arch9wavefront6targetE1EEEvT1_
; %bb.0:
	s_endpgm
	.section	.rodata,"a",@progbits
	.p2align	6, 0x0
	.amdhsa_kernel _ZN7rocprim17ROCPRIM_400000_NS6detail17trampoline_kernelINS0_14default_configENS1_20scan_config_selectorIN3c104HalfEEEZZNS1_9scan_implILNS1_25lookback_scan_determinismE0ELb0ELb0ES3_PKS6_PS6_S6_ZZZN2at6native31launch_logcumsumexp_cuda_kernelERKNSD_10TensorBaseESH_lENKUlvE_clEvENKUlvE3_clEvEUlS6_S6_E_S6_EEDaPvRmT3_T4_T5_mT6_P12ihipStream_tbENKUlT_T0_E_clISt17integral_constantIbLb1EESX_IbLb0EEEEDaST_SU_EUlST_E_NS1_11comp_targetILNS1_3genE0ELNS1_11target_archE4294967295ELNS1_3gpuE0ELNS1_3repE0EEENS1_30default_config_static_selectorELNS0_4arch9wavefront6targetE1EEEvT1_
		.amdhsa_group_segment_fixed_size 0
		.amdhsa_private_segment_fixed_size 0
		.amdhsa_kernarg_size 96
		.amdhsa_user_sgpr_count 2
		.amdhsa_user_sgpr_dispatch_ptr 0
		.amdhsa_user_sgpr_queue_ptr 0
		.amdhsa_user_sgpr_kernarg_segment_ptr 1
		.amdhsa_user_sgpr_dispatch_id 0
		.amdhsa_user_sgpr_kernarg_preload_length 0
		.amdhsa_user_sgpr_kernarg_preload_offset 0
		.amdhsa_user_sgpr_private_segment_size 0
		.amdhsa_uses_dynamic_stack 0
		.amdhsa_enable_private_segment 0
		.amdhsa_system_sgpr_workgroup_id_x 1
		.amdhsa_system_sgpr_workgroup_id_y 0
		.amdhsa_system_sgpr_workgroup_id_z 0
		.amdhsa_system_sgpr_workgroup_info 0
		.amdhsa_system_vgpr_workitem_id 0
		.amdhsa_next_free_vgpr 1
		.amdhsa_next_free_sgpr 0
		.amdhsa_accum_offset 4
		.amdhsa_reserve_vcc 0
		.amdhsa_float_round_mode_32 0
		.amdhsa_float_round_mode_16_64 0
		.amdhsa_float_denorm_mode_32 3
		.amdhsa_float_denorm_mode_16_64 3
		.amdhsa_dx10_clamp 1
		.amdhsa_ieee_mode 1
		.amdhsa_fp16_overflow 0
		.amdhsa_tg_split 0
		.amdhsa_exception_fp_ieee_invalid_op 0
		.amdhsa_exception_fp_denorm_src 0
		.amdhsa_exception_fp_ieee_div_zero 0
		.amdhsa_exception_fp_ieee_overflow 0
		.amdhsa_exception_fp_ieee_underflow 0
		.amdhsa_exception_fp_ieee_inexact 0
		.amdhsa_exception_int_div_zero 0
	.end_amdhsa_kernel
	.section	.text._ZN7rocprim17ROCPRIM_400000_NS6detail17trampoline_kernelINS0_14default_configENS1_20scan_config_selectorIN3c104HalfEEEZZNS1_9scan_implILNS1_25lookback_scan_determinismE0ELb0ELb0ES3_PKS6_PS6_S6_ZZZN2at6native31launch_logcumsumexp_cuda_kernelERKNSD_10TensorBaseESH_lENKUlvE_clEvENKUlvE3_clEvEUlS6_S6_E_S6_EEDaPvRmT3_T4_T5_mT6_P12ihipStream_tbENKUlT_T0_E_clISt17integral_constantIbLb1EESX_IbLb0EEEEDaST_SU_EUlST_E_NS1_11comp_targetILNS1_3genE0ELNS1_11target_archE4294967295ELNS1_3gpuE0ELNS1_3repE0EEENS1_30default_config_static_selectorELNS0_4arch9wavefront6targetE1EEEvT1_,"axG",@progbits,_ZN7rocprim17ROCPRIM_400000_NS6detail17trampoline_kernelINS0_14default_configENS1_20scan_config_selectorIN3c104HalfEEEZZNS1_9scan_implILNS1_25lookback_scan_determinismE0ELb0ELb0ES3_PKS6_PS6_S6_ZZZN2at6native31launch_logcumsumexp_cuda_kernelERKNSD_10TensorBaseESH_lENKUlvE_clEvENKUlvE3_clEvEUlS6_S6_E_S6_EEDaPvRmT3_T4_T5_mT6_P12ihipStream_tbENKUlT_T0_E_clISt17integral_constantIbLb1EESX_IbLb0EEEEDaST_SU_EUlST_E_NS1_11comp_targetILNS1_3genE0ELNS1_11target_archE4294967295ELNS1_3gpuE0ELNS1_3repE0EEENS1_30default_config_static_selectorELNS0_4arch9wavefront6targetE1EEEvT1_,comdat
.Lfunc_end397:
	.size	_ZN7rocprim17ROCPRIM_400000_NS6detail17trampoline_kernelINS0_14default_configENS1_20scan_config_selectorIN3c104HalfEEEZZNS1_9scan_implILNS1_25lookback_scan_determinismE0ELb0ELb0ES3_PKS6_PS6_S6_ZZZN2at6native31launch_logcumsumexp_cuda_kernelERKNSD_10TensorBaseESH_lENKUlvE_clEvENKUlvE3_clEvEUlS6_S6_E_S6_EEDaPvRmT3_T4_T5_mT6_P12ihipStream_tbENKUlT_T0_E_clISt17integral_constantIbLb1EESX_IbLb0EEEEDaST_SU_EUlST_E_NS1_11comp_targetILNS1_3genE0ELNS1_11target_archE4294967295ELNS1_3gpuE0ELNS1_3repE0EEENS1_30default_config_static_selectorELNS0_4arch9wavefront6targetE1EEEvT1_, .Lfunc_end397-_ZN7rocprim17ROCPRIM_400000_NS6detail17trampoline_kernelINS0_14default_configENS1_20scan_config_selectorIN3c104HalfEEEZZNS1_9scan_implILNS1_25lookback_scan_determinismE0ELb0ELb0ES3_PKS6_PS6_S6_ZZZN2at6native31launch_logcumsumexp_cuda_kernelERKNSD_10TensorBaseESH_lENKUlvE_clEvENKUlvE3_clEvEUlS6_S6_E_S6_EEDaPvRmT3_T4_T5_mT6_P12ihipStream_tbENKUlT_T0_E_clISt17integral_constantIbLb1EESX_IbLb0EEEEDaST_SU_EUlST_E_NS1_11comp_targetILNS1_3genE0ELNS1_11target_archE4294967295ELNS1_3gpuE0ELNS1_3repE0EEENS1_30default_config_static_selectorELNS0_4arch9wavefront6targetE1EEEvT1_
                                        ; -- End function
	.set _ZN7rocprim17ROCPRIM_400000_NS6detail17trampoline_kernelINS0_14default_configENS1_20scan_config_selectorIN3c104HalfEEEZZNS1_9scan_implILNS1_25lookback_scan_determinismE0ELb0ELb0ES3_PKS6_PS6_S6_ZZZN2at6native31launch_logcumsumexp_cuda_kernelERKNSD_10TensorBaseESH_lENKUlvE_clEvENKUlvE3_clEvEUlS6_S6_E_S6_EEDaPvRmT3_T4_T5_mT6_P12ihipStream_tbENKUlT_T0_E_clISt17integral_constantIbLb1EESX_IbLb0EEEEDaST_SU_EUlST_E_NS1_11comp_targetILNS1_3genE0ELNS1_11target_archE4294967295ELNS1_3gpuE0ELNS1_3repE0EEENS1_30default_config_static_selectorELNS0_4arch9wavefront6targetE1EEEvT1_.num_vgpr, 0
	.set _ZN7rocprim17ROCPRIM_400000_NS6detail17trampoline_kernelINS0_14default_configENS1_20scan_config_selectorIN3c104HalfEEEZZNS1_9scan_implILNS1_25lookback_scan_determinismE0ELb0ELb0ES3_PKS6_PS6_S6_ZZZN2at6native31launch_logcumsumexp_cuda_kernelERKNSD_10TensorBaseESH_lENKUlvE_clEvENKUlvE3_clEvEUlS6_S6_E_S6_EEDaPvRmT3_T4_T5_mT6_P12ihipStream_tbENKUlT_T0_E_clISt17integral_constantIbLb1EESX_IbLb0EEEEDaST_SU_EUlST_E_NS1_11comp_targetILNS1_3genE0ELNS1_11target_archE4294967295ELNS1_3gpuE0ELNS1_3repE0EEENS1_30default_config_static_selectorELNS0_4arch9wavefront6targetE1EEEvT1_.num_agpr, 0
	.set _ZN7rocprim17ROCPRIM_400000_NS6detail17trampoline_kernelINS0_14default_configENS1_20scan_config_selectorIN3c104HalfEEEZZNS1_9scan_implILNS1_25lookback_scan_determinismE0ELb0ELb0ES3_PKS6_PS6_S6_ZZZN2at6native31launch_logcumsumexp_cuda_kernelERKNSD_10TensorBaseESH_lENKUlvE_clEvENKUlvE3_clEvEUlS6_S6_E_S6_EEDaPvRmT3_T4_T5_mT6_P12ihipStream_tbENKUlT_T0_E_clISt17integral_constantIbLb1EESX_IbLb0EEEEDaST_SU_EUlST_E_NS1_11comp_targetILNS1_3genE0ELNS1_11target_archE4294967295ELNS1_3gpuE0ELNS1_3repE0EEENS1_30default_config_static_selectorELNS0_4arch9wavefront6targetE1EEEvT1_.numbered_sgpr, 0
	.set _ZN7rocprim17ROCPRIM_400000_NS6detail17trampoline_kernelINS0_14default_configENS1_20scan_config_selectorIN3c104HalfEEEZZNS1_9scan_implILNS1_25lookback_scan_determinismE0ELb0ELb0ES3_PKS6_PS6_S6_ZZZN2at6native31launch_logcumsumexp_cuda_kernelERKNSD_10TensorBaseESH_lENKUlvE_clEvENKUlvE3_clEvEUlS6_S6_E_S6_EEDaPvRmT3_T4_T5_mT6_P12ihipStream_tbENKUlT_T0_E_clISt17integral_constantIbLb1EESX_IbLb0EEEEDaST_SU_EUlST_E_NS1_11comp_targetILNS1_3genE0ELNS1_11target_archE4294967295ELNS1_3gpuE0ELNS1_3repE0EEENS1_30default_config_static_selectorELNS0_4arch9wavefront6targetE1EEEvT1_.num_named_barrier, 0
	.set _ZN7rocprim17ROCPRIM_400000_NS6detail17trampoline_kernelINS0_14default_configENS1_20scan_config_selectorIN3c104HalfEEEZZNS1_9scan_implILNS1_25lookback_scan_determinismE0ELb0ELb0ES3_PKS6_PS6_S6_ZZZN2at6native31launch_logcumsumexp_cuda_kernelERKNSD_10TensorBaseESH_lENKUlvE_clEvENKUlvE3_clEvEUlS6_S6_E_S6_EEDaPvRmT3_T4_T5_mT6_P12ihipStream_tbENKUlT_T0_E_clISt17integral_constantIbLb1EESX_IbLb0EEEEDaST_SU_EUlST_E_NS1_11comp_targetILNS1_3genE0ELNS1_11target_archE4294967295ELNS1_3gpuE0ELNS1_3repE0EEENS1_30default_config_static_selectorELNS0_4arch9wavefront6targetE1EEEvT1_.private_seg_size, 0
	.set _ZN7rocprim17ROCPRIM_400000_NS6detail17trampoline_kernelINS0_14default_configENS1_20scan_config_selectorIN3c104HalfEEEZZNS1_9scan_implILNS1_25lookback_scan_determinismE0ELb0ELb0ES3_PKS6_PS6_S6_ZZZN2at6native31launch_logcumsumexp_cuda_kernelERKNSD_10TensorBaseESH_lENKUlvE_clEvENKUlvE3_clEvEUlS6_S6_E_S6_EEDaPvRmT3_T4_T5_mT6_P12ihipStream_tbENKUlT_T0_E_clISt17integral_constantIbLb1EESX_IbLb0EEEEDaST_SU_EUlST_E_NS1_11comp_targetILNS1_3genE0ELNS1_11target_archE4294967295ELNS1_3gpuE0ELNS1_3repE0EEENS1_30default_config_static_selectorELNS0_4arch9wavefront6targetE1EEEvT1_.uses_vcc, 0
	.set _ZN7rocprim17ROCPRIM_400000_NS6detail17trampoline_kernelINS0_14default_configENS1_20scan_config_selectorIN3c104HalfEEEZZNS1_9scan_implILNS1_25lookback_scan_determinismE0ELb0ELb0ES3_PKS6_PS6_S6_ZZZN2at6native31launch_logcumsumexp_cuda_kernelERKNSD_10TensorBaseESH_lENKUlvE_clEvENKUlvE3_clEvEUlS6_S6_E_S6_EEDaPvRmT3_T4_T5_mT6_P12ihipStream_tbENKUlT_T0_E_clISt17integral_constantIbLb1EESX_IbLb0EEEEDaST_SU_EUlST_E_NS1_11comp_targetILNS1_3genE0ELNS1_11target_archE4294967295ELNS1_3gpuE0ELNS1_3repE0EEENS1_30default_config_static_selectorELNS0_4arch9wavefront6targetE1EEEvT1_.uses_flat_scratch, 0
	.set _ZN7rocprim17ROCPRIM_400000_NS6detail17trampoline_kernelINS0_14default_configENS1_20scan_config_selectorIN3c104HalfEEEZZNS1_9scan_implILNS1_25lookback_scan_determinismE0ELb0ELb0ES3_PKS6_PS6_S6_ZZZN2at6native31launch_logcumsumexp_cuda_kernelERKNSD_10TensorBaseESH_lENKUlvE_clEvENKUlvE3_clEvEUlS6_S6_E_S6_EEDaPvRmT3_T4_T5_mT6_P12ihipStream_tbENKUlT_T0_E_clISt17integral_constantIbLb1EESX_IbLb0EEEEDaST_SU_EUlST_E_NS1_11comp_targetILNS1_3genE0ELNS1_11target_archE4294967295ELNS1_3gpuE0ELNS1_3repE0EEENS1_30default_config_static_selectorELNS0_4arch9wavefront6targetE1EEEvT1_.has_dyn_sized_stack, 0
	.set _ZN7rocprim17ROCPRIM_400000_NS6detail17trampoline_kernelINS0_14default_configENS1_20scan_config_selectorIN3c104HalfEEEZZNS1_9scan_implILNS1_25lookback_scan_determinismE0ELb0ELb0ES3_PKS6_PS6_S6_ZZZN2at6native31launch_logcumsumexp_cuda_kernelERKNSD_10TensorBaseESH_lENKUlvE_clEvENKUlvE3_clEvEUlS6_S6_E_S6_EEDaPvRmT3_T4_T5_mT6_P12ihipStream_tbENKUlT_T0_E_clISt17integral_constantIbLb1EESX_IbLb0EEEEDaST_SU_EUlST_E_NS1_11comp_targetILNS1_3genE0ELNS1_11target_archE4294967295ELNS1_3gpuE0ELNS1_3repE0EEENS1_30default_config_static_selectorELNS0_4arch9wavefront6targetE1EEEvT1_.has_recursion, 0
	.set _ZN7rocprim17ROCPRIM_400000_NS6detail17trampoline_kernelINS0_14default_configENS1_20scan_config_selectorIN3c104HalfEEEZZNS1_9scan_implILNS1_25lookback_scan_determinismE0ELb0ELb0ES3_PKS6_PS6_S6_ZZZN2at6native31launch_logcumsumexp_cuda_kernelERKNSD_10TensorBaseESH_lENKUlvE_clEvENKUlvE3_clEvEUlS6_S6_E_S6_EEDaPvRmT3_T4_T5_mT6_P12ihipStream_tbENKUlT_T0_E_clISt17integral_constantIbLb1EESX_IbLb0EEEEDaST_SU_EUlST_E_NS1_11comp_targetILNS1_3genE0ELNS1_11target_archE4294967295ELNS1_3gpuE0ELNS1_3repE0EEENS1_30default_config_static_selectorELNS0_4arch9wavefront6targetE1EEEvT1_.has_indirect_call, 0
	.section	.AMDGPU.csdata,"",@progbits
; Kernel info:
; codeLenInByte = 4
; TotalNumSgprs: 6
; NumVgprs: 0
; NumAgprs: 0
; TotalNumVgprs: 0
; ScratchSize: 0
; MemoryBound: 0
; FloatMode: 240
; IeeeMode: 1
; LDSByteSize: 0 bytes/workgroup (compile time only)
; SGPRBlocks: 0
; VGPRBlocks: 0
; NumSGPRsForWavesPerEU: 6
; NumVGPRsForWavesPerEU: 1
; AccumOffset: 4
; Occupancy: 8
; WaveLimiterHint : 0
; COMPUTE_PGM_RSRC2:SCRATCH_EN: 0
; COMPUTE_PGM_RSRC2:USER_SGPR: 2
; COMPUTE_PGM_RSRC2:TRAP_HANDLER: 0
; COMPUTE_PGM_RSRC2:TGID_X_EN: 1
; COMPUTE_PGM_RSRC2:TGID_Y_EN: 0
; COMPUTE_PGM_RSRC2:TGID_Z_EN: 0
; COMPUTE_PGM_RSRC2:TIDIG_COMP_CNT: 0
; COMPUTE_PGM_RSRC3_GFX90A:ACCUM_OFFSET: 0
; COMPUTE_PGM_RSRC3_GFX90A:TG_SPLIT: 0
	.section	.text._ZN7rocprim17ROCPRIM_400000_NS6detail17trampoline_kernelINS0_14default_configENS1_20scan_config_selectorIN3c104HalfEEEZZNS1_9scan_implILNS1_25lookback_scan_determinismE0ELb0ELb0ES3_PKS6_PS6_S6_ZZZN2at6native31launch_logcumsumexp_cuda_kernelERKNSD_10TensorBaseESH_lENKUlvE_clEvENKUlvE3_clEvEUlS6_S6_E_S6_EEDaPvRmT3_T4_T5_mT6_P12ihipStream_tbENKUlT_T0_E_clISt17integral_constantIbLb1EESX_IbLb0EEEEDaST_SU_EUlST_E_NS1_11comp_targetILNS1_3genE5ELNS1_11target_archE942ELNS1_3gpuE9ELNS1_3repE0EEENS1_30default_config_static_selectorELNS0_4arch9wavefront6targetE1EEEvT1_,"axG",@progbits,_ZN7rocprim17ROCPRIM_400000_NS6detail17trampoline_kernelINS0_14default_configENS1_20scan_config_selectorIN3c104HalfEEEZZNS1_9scan_implILNS1_25lookback_scan_determinismE0ELb0ELb0ES3_PKS6_PS6_S6_ZZZN2at6native31launch_logcumsumexp_cuda_kernelERKNSD_10TensorBaseESH_lENKUlvE_clEvENKUlvE3_clEvEUlS6_S6_E_S6_EEDaPvRmT3_T4_T5_mT6_P12ihipStream_tbENKUlT_T0_E_clISt17integral_constantIbLb1EESX_IbLb0EEEEDaST_SU_EUlST_E_NS1_11comp_targetILNS1_3genE5ELNS1_11target_archE942ELNS1_3gpuE9ELNS1_3repE0EEENS1_30default_config_static_selectorELNS0_4arch9wavefront6targetE1EEEvT1_,comdat
	.globl	_ZN7rocprim17ROCPRIM_400000_NS6detail17trampoline_kernelINS0_14default_configENS1_20scan_config_selectorIN3c104HalfEEEZZNS1_9scan_implILNS1_25lookback_scan_determinismE0ELb0ELb0ES3_PKS6_PS6_S6_ZZZN2at6native31launch_logcumsumexp_cuda_kernelERKNSD_10TensorBaseESH_lENKUlvE_clEvENKUlvE3_clEvEUlS6_S6_E_S6_EEDaPvRmT3_T4_T5_mT6_P12ihipStream_tbENKUlT_T0_E_clISt17integral_constantIbLb1EESX_IbLb0EEEEDaST_SU_EUlST_E_NS1_11comp_targetILNS1_3genE5ELNS1_11target_archE942ELNS1_3gpuE9ELNS1_3repE0EEENS1_30default_config_static_selectorELNS0_4arch9wavefront6targetE1EEEvT1_ ; -- Begin function _ZN7rocprim17ROCPRIM_400000_NS6detail17trampoline_kernelINS0_14default_configENS1_20scan_config_selectorIN3c104HalfEEEZZNS1_9scan_implILNS1_25lookback_scan_determinismE0ELb0ELb0ES3_PKS6_PS6_S6_ZZZN2at6native31launch_logcumsumexp_cuda_kernelERKNSD_10TensorBaseESH_lENKUlvE_clEvENKUlvE3_clEvEUlS6_S6_E_S6_EEDaPvRmT3_T4_T5_mT6_P12ihipStream_tbENKUlT_T0_E_clISt17integral_constantIbLb1EESX_IbLb0EEEEDaST_SU_EUlST_E_NS1_11comp_targetILNS1_3genE5ELNS1_11target_archE942ELNS1_3gpuE9ELNS1_3repE0EEENS1_30default_config_static_selectorELNS0_4arch9wavefront6targetE1EEEvT1_
	.p2align	8
	.type	_ZN7rocprim17ROCPRIM_400000_NS6detail17trampoline_kernelINS0_14default_configENS1_20scan_config_selectorIN3c104HalfEEEZZNS1_9scan_implILNS1_25lookback_scan_determinismE0ELb0ELb0ES3_PKS6_PS6_S6_ZZZN2at6native31launch_logcumsumexp_cuda_kernelERKNSD_10TensorBaseESH_lENKUlvE_clEvENKUlvE3_clEvEUlS6_S6_E_S6_EEDaPvRmT3_T4_T5_mT6_P12ihipStream_tbENKUlT_T0_E_clISt17integral_constantIbLb1EESX_IbLb0EEEEDaST_SU_EUlST_E_NS1_11comp_targetILNS1_3genE5ELNS1_11target_archE942ELNS1_3gpuE9ELNS1_3repE0EEENS1_30default_config_static_selectorELNS0_4arch9wavefront6targetE1EEEvT1_,@function
_ZN7rocprim17ROCPRIM_400000_NS6detail17trampoline_kernelINS0_14default_configENS1_20scan_config_selectorIN3c104HalfEEEZZNS1_9scan_implILNS1_25lookback_scan_determinismE0ELb0ELb0ES3_PKS6_PS6_S6_ZZZN2at6native31launch_logcumsumexp_cuda_kernelERKNSD_10TensorBaseESH_lENKUlvE_clEvENKUlvE3_clEvEUlS6_S6_E_S6_EEDaPvRmT3_T4_T5_mT6_P12ihipStream_tbENKUlT_T0_E_clISt17integral_constantIbLb1EESX_IbLb0EEEEDaST_SU_EUlST_E_NS1_11comp_targetILNS1_3genE5ELNS1_11target_archE942ELNS1_3gpuE9ELNS1_3repE0EEENS1_30default_config_static_selectorELNS0_4arch9wavefront6targetE1EEEvT1_: ; @_ZN7rocprim17ROCPRIM_400000_NS6detail17trampoline_kernelINS0_14default_configENS1_20scan_config_selectorIN3c104HalfEEEZZNS1_9scan_implILNS1_25lookback_scan_determinismE0ELb0ELb0ES3_PKS6_PS6_S6_ZZZN2at6native31launch_logcumsumexp_cuda_kernelERKNSD_10TensorBaseESH_lENKUlvE_clEvENKUlvE3_clEvEUlS6_S6_E_S6_EEDaPvRmT3_T4_T5_mT6_P12ihipStream_tbENKUlT_T0_E_clISt17integral_constantIbLb1EESX_IbLb0EEEEDaST_SU_EUlST_E_NS1_11comp_targetILNS1_3genE5ELNS1_11target_archE942ELNS1_3gpuE9ELNS1_3repE0EEENS1_30default_config_static_selectorELNS0_4arch9wavefront6targetE1EEEvT1_
; %bb.0:
	.section	.rodata,"a",@progbits
	.p2align	6, 0x0
	.amdhsa_kernel _ZN7rocprim17ROCPRIM_400000_NS6detail17trampoline_kernelINS0_14default_configENS1_20scan_config_selectorIN3c104HalfEEEZZNS1_9scan_implILNS1_25lookback_scan_determinismE0ELb0ELb0ES3_PKS6_PS6_S6_ZZZN2at6native31launch_logcumsumexp_cuda_kernelERKNSD_10TensorBaseESH_lENKUlvE_clEvENKUlvE3_clEvEUlS6_S6_E_S6_EEDaPvRmT3_T4_T5_mT6_P12ihipStream_tbENKUlT_T0_E_clISt17integral_constantIbLb1EESX_IbLb0EEEEDaST_SU_EUlST_E_NS1_11comp_targetILNS1_3genE5ELNS1_11target_archE942ELNS1_3gpuE9ELNS1_3repE0EEENS1_30default_config_static_selectorELNS0_4arch9wavefront6targetE1EEEvT1_
		.amdhsa_group_segment_fixed_size 0
		.amdhsa_private_segment_fixed_size 0
		.amdhsa_kernarg_size 96
		.amdhsa_user_sgpr_count 2
		.amdhsa_user_sgpr_dispatch_ptr 0
		.amdhsa_user_sgpr_queue_ptr 0
		.amdhsa_user_sgpr_kernarg_segment_ptr 1
		.amdhsa_user_sgpr_dispatch_id 0
		.amdhsa_user_sgpr_kernarg_preload_length 0
		.amdhsa_user_sgpr_kernarg_preload_offset 0
		.amdhsa_user_sgpr_private_segment_size 0
		.amdhsa_uses_dynamic_stack 0
		.amdhsa_enable_private_segment 0
		.amdhsa_system_sgpr_workgroup_id_x 1
		.amdhsa_system_sgpr_workgroup_id_y 0
		.amdhsa_system_sgpr_workgroup_id_z 0
		.amdhsa_system_sgpr_workgroup_info 0
		.amdhsa_system_vgpr_workitem_id 0
		.amdhsa_next_free_vgpr 1
		.amdhsa_next_free_sgpr 0
		.amdhsa_accum_offset 4
		.amdhsa_reserve_vcc 0
		.amdhsa_float_round_mode_32 0
		.amdhsa_float_round_mode_16_64 0
		.amdhsa_float_denorm_mode_32 3
		.amdhsa_float_denorm_mode_16_64 3
		.amdhsa_dx10_clamp 1
		.amdhsa_ieee_mode 1
		.amdhsa_fp16_overflow 0
		.amdhsa_tg_split 0
		.amdhsa_exception_fp_ieee_invalid_op 0
		.amdhsa_exception_fp_denorm_src 0
		.amdhsa_exception_fp_ieee_div_zero 0
		.amdhsa_exception_fp_ieee_overflow 0
		.amdhsa_exception_fp_ieee_underflow 0
		.amdhsa_exception_fp_ieee_inexact 0
		.amdhsa_exception_int_div_zero 0
	.end_amdhsa_kernel
	.section	.text._ZN7rocprim17ROCPRIM_400000_NS6detail17trampoline_kernelINS0_14default_configENS1_20scan_config_selectorIN3c104HalfEEEZZNS1_9scan_implILNS1_25lookback_scan_determinismE0ELb0ELb0ES3_PKS6_PS6_S6_ZZZN2at6native31launch_logcumsumexp_cuda_kernelERKNSD_10TensorBaseESH_lENKUlvE_clEvENKUlvE3_clEvEUlS6_S6_E_S6_EEDaPvRmT3_T4_T5_mT6_P12ihipStream_tbENKUlT_T0_E_clISt17integral_constantIbLb1EESX_IbLb0EEEEDaST_SU_EUlST_E_NS1_11comp_targetILNS1_3genE5ELNS1_11target_archE942ELNS1_3gpuE9ELNS1_3repE0EEENS1_30default_config_static_selectorELNS0_4arch9wavefront6targetE1EEEvT1_,"axG",@progbits,_ZN7rocprim17ROCPRIM_400000_NS6detail17trampoline_kernelINS0_14default_configENS1_20scan_config_selectorIN3c104HalfEEEZZNS1_9scan_implILNS1_25lookback_scan_determinismE0ELb0ELb0ES3_PKS6_PS6_S6_ZZZN2at6native31launch_logcumsumexp_cuda_kernelERKNSD_10TensorBaseESH_lENKUlvE_clEvENKUlvE3_clEvEUlS6_S6_E_S6_EEDaPvRmT3_T4_T5_mT6_P12ihipStream_tbENKUlT_T0_E_clISt17integral_constantIbLb1EESX_IbLb0EEEEDaST_SU_EUlST_E_NS1_11comp_targetILNS1_3genE5ELNS1_11target_archE942ELNS1_3gpuE9ELNS1_3repE0EEENS1_30default_config_static_selectorELNS0_4arch9wavefront6targetE1EEEvT1_,comdat
.Lfunc_end398:
	.size	_ZN7rocprim17ROCPRIM_400000_NS6detail17trampoline_kernelINS0_14default_configENS1_20scan_config_selectorIN3c104HalfEEEZZNS1_9scan_implILNS1_25lookback_scan_determinismE0ELb0ELb0ES3_PKS6_PS6_S6_ZZZN2at6native31launch_logcumsumexp_cuda_kernelERKNSD_10TensorBaseESH_lENKUlvE_clEvENKUlvE3_clEvEUlS6_S6_E_S6_EEDaPvRmT3_T4_T5_mT6_P12ihipStream_tbENKUlT_T0_E_clISt17integral_constantIbLb1EESX_IbLb0EEEEDaST_SU_EUlST_E_NS1_11comp_targetILNS1_3genE5ELNS1_11target_archE942ELNS1_3gpuE9ELNS1_3repE0EEENS1_30default_config_static_selectorELNS0_4arch9wavefront6targetE1EEEvT1_, .Lfunc_end398-_ZN7rocprim17ROCPRIM_400000_NS6detail17trampoline_kernelINS0_14default_configENS1_20scan_config_selectorIN3c104HalfEEEZZNS1_9scan_implILNS1_25lookback_scan_determinismE0ELb0ELb0ES3_PKS6_PS6_S6_ZZZN2at6native31launch_logcumsumexp_cuda_kernelERKNSD_10TensorBaseESH_lENKUlvE_clEvENKUlvE3_clEvEUlS6_S6_E_S6_EEDaPvRmT3_T4_T5_mT6_P12ihipStream_tbENKUlT_T0_E_clISt17integral_constantIbLb1EESX_IbLb0EEEEDaST_SU_EUlST_E_NS1_11comp_targetILNS1_3genE5ELNS1_11target_archE942ELNS1_3gpuE9ELNS1_3repE0EEENS1_30default_config_static_selectorELNS0_4arch9wavefront6targetE1EEEvT1_
                                        ; -- End function
	.set _ZN7rocprim17ROCPRIM_400000_NS6detail17trampoline_kernelINS0_14default_configENS1_20scan_config_selectorIN3c104HalfEEEZZNS1_9scan_implILNS1_25lookback_scan_determinismE0ELb0ELb0ES3_PKS6_PS6_S6_ZZZN2at6native31launch_logcumsumexp_cuda_kernelERKNSD_10TensorBaseESH_lENKUlvE_clEvENKUlvE3_clEvEUlS6_S6_E_S6_EEDaPvRmT3_T4_T5_mT6_P12ihipStream_tbENKUlT_T0_E_clISt17integral_constantIbLb1EESX_IbLb0EEEEDaST_SU_EUlST_E_NS1_11comp_targetILNS1_3genE5ELNS1_11target_archE942ELNS1_3gpuE9ELNS1_3repE0EEENS1_30default_config_static_selectorELNS0_4arch9wavefront6targetE1EEEvT1_.num_vgpr, 0
	.set _ZN7rocprim17ROCPRIM_400000_NS6detail17trampoline_kernelINS0_14default_configENS1_20scan_config_selectorIN3c104HalfEEEZZNS1_9scan_implILNS1_25lookback_scan_determinismE0ELb0ELb0ES3_PKS6_PS6_S6_ZZZN2at6native31launch_logcumsumexp_cuda_kernelERKNSD_10TensorBaseESH_lENKUlvE_clEvENKUlvE3_clEvEUlS6_S6_E_S6_EEDaPvRmT3_T4_T5_mT6_P12ihipStream_tbENKUlT_T0_E_clISt17integral_constantIbLb1EESX_IbLb0EEEEDaST_SU_EUlST_E_NS1_11comp_targetILNS1_3genE5ELNS1_11target_archE942ELNS1_3gpuE9ELNS1_3repE0EEENS1_30default_config_static_selectorELNS0_4arch9wavefront6targetE1EEEvT1_.num_agpr, 0
	.set _ZN7rocprim17ROCPRIM_400000_NS6detail17trampoline_kernelINS0_14default_configENS1_20scan_config_selectorIN3c104HalfEEEZZNS1_9scan_implILNS1_25lookback_scan_determinismE0ELb0ELb0ES3_PKS6_PS6_S6_ZZZN2at6native31launch_logcumsumexp_cuda_kernelERKNSD_10TensorBaseESH_lENKUlvE_clEvENKUlvE3_clEvEUlS6_S6_E_S6_EEDaPvRmT3_T4_T5_mT6_P12ihipStream_tbENKUlT_T0_E_clISt17integral_constantIbLb1EESX_IbLb0EEEEDaST_SU_EUlST_E_NS1_11comp_targetILNS1_3genE5ELNS1_11target_archE942ELNS1_3gpuE9ELNS1_3repE0EEENS1_30default_config_static_selectorELNS0_4arch9wavefront6targetE1EEEvT1_.numbered_sgpr, 0
	.set _ZN7rocprim17ROCPRIM_400000_NS6detail17trampoline_kernelINS0_14default_configENS1_20scan_config_selectorIN3c104HalfEEEZZNS1_9scan_implILNS1_25lookback_scan_determinismE0ELb0ELb0ES3_PKS6_PS6_S6_ZZZN2at6native31launch_logcumsumexp_cuda_kernelERKNSD_10TensorBaseESH_lENKUlvE_clEvENKUlvE3_clEvEUlS6_S6_E_S6_EEDaPvRmT3_T4_T5_mT6_P12ihipStream_tbENKUlT_T0_E_clISt17integral_constantIbLb1EESX_IbLb0EEEEDaST_SU_EUlST_E_NS1_11comp_targetILNS1_3genE5ELNS1_11target_archE942ELNS1_3gpuE9ELNS1_3repE0EEENS1_30default_config_static_selectorELNS0_4arch9wavefront6targetE1EEEvT1_.num_named_barrier, 0
	.set _ZN7rocprim17ROCPRIM_400000_NS6detail17trampoline_kernelINS0_14default_configENS1_20scan_config_selectorIN3c104HalfEEEZZNS1_9scan_implILNS1_25lookback_scan_determinismE0ELb0ELb0ES3_PKS6_PS6_S6_ZZZN2at6native31launch_logcumsumexp_cuda_kernelERKNSD_10TensorBaseESH_lENKUlvE_clEvENKUlvE3_clEvEUlS6_S6_E_S6_EEDaPvRmT3_T4_T5_mT6_P12ihipStream_tbENKUlT_T0_E_clISt17integral_constantIbLb1EESX_IbLb0EEEEDaST_SU_EUlST_E_NS1_11comp_targetILNS1_3genE5ELNS1_11target_archE942ELNS1_3gpuE9ELNS1_3repE0EEENS1_30default_config_static_selectorELNS0_4arch9wavefront6targetE1EEEvT1_.private_seg_size, 0
	.set _ZN7rocprim17ROCPRIM_400000_NS6detail17trampoline_kernelINS0_14default_configENS1_20scan_config_selectorIN3c104HalfEEEZZNS1_9scan_implILNS1_25lookback_scan_determinismE0ELb0ELb0ES3_PKS6_PS6_S6_ZZZN2at6native31launch_logcumsumexp_cuda_kernelERKNSD_10TensorBaseESH_lENKUlvE_clEvENKUlvE3_clEvEUlS6_S6_E_S6_EEDaPvRmT3_T4_T5_mT6_P12ihipStream_tbENKUlT_T0_E_clISt17integral_constantIbLb1EESX_IbLb0EEEEDaST_SU_EUlST_E_NS1_11comp_targetILNS1_3genE5ELNS1_11target_archE942ELNS1_3gpuE9ELNS1_3repE0EEENS1_30default_config_static_selectorELNS0_4arch9wavefront6targetE1EEEvT1_.uses_vcc, 0
	.set _ZN7rocprim17ROCPRIM_400000_NS6detail17trampoline_kernelINS0_14default_configENS1_20scan_config_selectorIN3c104HalfEEEZZNS1_9scan_implILNS1_25lookback_scan_determinismE0ELb0ELb0ES3_PKS6_PS6_S6_ZZZN2at6native31launch_logcumsumexp_cuda_kernelERKNSD_10TensorBaseESH_lENKUlvE_clEvENKUlvE3_clEvEUlS6_S6_E_S6_EEDaPvRmT3_T4_T5_mT6_P12ihipStream_tbENKUlT_T0_E_clISt17integral_constantIbLb1EESX_IbLb0EEEEDaST_SU_EUlST_E_NS1_11comp_targetILNS1_3genE5ELNS1_11target_archE942ELNS1_3gpuE9ELNS1_3repE0EEENS1_30default_config_static_selectorELNS0_4arch9wavefront6targetE1EEEvT1_.uses_flat_scratch, 0
	.set _ZN7rocprim17ROCPRIM_400000_NS6detail17trampoline_kernelINS0_14default_configENS1_20scan_config_selectorIN3c104HalfEEEZZNS1_9scan_implILNS1_25lookback_scan_determinismE0ELb0ELb0ES3_PKS6_PS6_S6_ZZZN2at6native31launch_logcumsumexp_cuda_kernelERKNSD_10TensorBaseESH_lENKUlvE_clEvENKUlvE3_clEvEUlS6_S6_E_S6_EEDaPvRmT3_T4_T5_mT6_P12ihipStream_tbENKUlT_T0_E_clISt17integral_constantIbLb1EESX_IbLb0EEEEDaST_SU_EUlST_E_NS1_11comp_targetILNS1_3genE5ELNS1_11target_archE942ELNS1_3gpuE9ELNS1_3repE0EEENS1_30default_config_static_selectorELNS0_4arch9wavefront6targetE1EEEvT1_.has_dyn_sized_stack, 0
	.set _ZN7rocprim17ROCPRIM_400000_NS6detail17trampoline_kernelINS0_14default_configENS1_20scan_config_selectorIN3c104HalfEEEZZNS1_9scan_implILNS1_25lookback_scan_determinismE0ELb0ELb0ES3_PKS6_PS6_S6_ZZZN2at6native31launch_logcumsumexp_cuda_kernelERKNSD_10TensorBaseESH_lENKUlvE_clEvENKUlvE3_clEvEUlS6_S6_E_S6_EEDaPvRmT3_T4_T5_mT6_P12ihipStream_tbENKUlT_T0_E_clISt17integral_constantIbLb1EESX_IbLb0EEEEDaST_SU_EUlST_E_NS1_11comp_targetILNS1_3genE5ELNS1_11target_archE942ELNS1_3gpuE9ELNS1_3repE0EEENS1_30default_config_static_selectorELNS0_4arch9wavefront6targetE1EEEvT1_.has_recursion, 0
	.set _ZN7rocprim17ROCPRIM_400000_NS6detail17trampoline_kernelINS0_14default_configENS1_20scan_config_selectorIN3c104HalfEEEZZNS1_9scan_implILNS1_25lookback_scan_determinismE0ELb0ELb0ES3_PKS6_PS6_S6_ZZZN2at6native31launch_logcumsumexp_cuda_kernelERKNSD_10TensorBaseESH_lENKUlvE_clEvENKUlvE3_clEvEUlS6_S6_E_S6_EEDaPvRmT3_T4_T5_mT6_P12ihipStream_tbENKUlT_T0_E_clISt17integral_constantIbLb1EESX_IbLb0EEEEDaST_SU_EUlST_E_NS1_11comp_targetILNS1_3genE5ELNS1_11target_archE942ELNS1_3gpuE9ELNS1_3repE0EEENS1_30default_config_static_selectorELNS0_4arch9wavefront6targetE1EEEvT1_.has_indirect_call, 0
	.section	.AMDGPU.csdata,"",@progbits
; Kernel info:
; codeLenInByte = 0
; TotalNumSgprs: 6
; NumVgprs: 0
; NumAgprs: 0
; TotalNumVgprs: 0
; ScratchSize: 0
; MemoryBound: 0
; FloatMode: 240
; IeeeMode: 1
; LDSByteSize: 0 bytes/workgroup (compile time only)
; SGPRBlocks: 0
; VGPRBlocks: 0
; NumSGPRsForWavesPerEU: 6
; NumVGPRsForWavesPerEU: 1
; AccumOffset: 4
; Occupancy: 8
; WaveLimiterHint : 0
; COMPUTE_PGM_RSRC2:SCRATCH_EN: 0
; COMPUTE_PGM_RSRC2:USER_SGPR: 2
; COMPUTE_PGM_RSRC2:TRAP_HANDLER: 0
; COMPUTE_PGM_RSRC2:TGID_X_EN: 1
; COMPUTE_PGM_RSRC2:TGID_Y_EN: 0
; COMPUTE_PGM_RSRC2:TGID_Z_EN: 0
; COMPUTE_PGM_RSRC2:TIDIG_COMP_CNT: 0
; COMPUTE_PGM_RSRC3_GFX90A:ACCUM_OFFSET: 0
; COMPUTE_PGM_RSRC3_GFX90A:TG_SPLIT: 0
	.section	.text._ZN7rocprim17ROCPRIM_400000_NS6detail17trampoline_kernelINS0_14default_configENS1_20scan_config_selectorIN3c104HalfEEEZZNS1_9scan_implILNS1_25lookback_scan_determinismE0ELb0ELb0ES3_PKS6_PS6_S6_ZZZN2at6native31launch_logcumsumexp_cuda_kernelERKNSD_10TensorBaseESH_lENKUlvE_clEvENKUlvE3_clEvEUlS6_S6_E_S6_EEDaPvRmT3_T4_T5_mT6_P12ihipStream_tbENKUlT_T0_E_clISt17integral_constantIbLb1EESX_IbLb0EEEEDaST_SU_EUlST_E_NS1_11comp_targetILNS1_3genE4ELNS1_11target_archE910ELNS1_3gpuE8ELNS1_3repE0EEENS1_30default_config_static_selectorELNS0_4arch9wavefront6targetE1EEEvT1_,"axG",@progbits,_ZN7rocprim17ROCPRIM_400000_NS6detail17trampoline_kernelINS0_14default_configENS1_20scan_config_selectorIN3c104HalfEEEZZNS1_9scan_implILNS1_25lookback_scan_determinismE0ELb0ELb0ES3_PKS6_PS6_S6_ZZZN2at6native31launch_logcumsumexp_cuda_kernelERKNSD_10TensorBaseESH_lENKUlvE_clEvENKUlvE3_clEvEUlS6_S6_E_S6_EEDaPvRmT3_T4_T5_mT6_P12ihipStream_tbENKUlT_T0_E_clISt17integral_constantIbLb1EESX_IbLb0EEEEDaST_SU_EUlST_E_NS1_11comp_targetILNS1_3genE4ELNS1_11target_archE910ELNS1_3gpuE8ELNS1_3repE0EEENS1_30default_config_static_selectorELNS0_4arch9wavefront6targetE1EEEvT1_,comdat
	.globl	_ZN7rocprim17ROCPRIM_400000_NS6detail17trampoline_kernelINS0_14default_configENS1_20scan_config_selectorIN3c104HalfEEEZZNS1_9scan_implILNS1_25lookback_scan_determinismE0ELb0ELb0ES3_PKS6_PS6_S6_ZZZN2at6native31launch_logcumsumexp_cuda_kernelERKNSD_10TensorBaseESH_lENKUlvE_clEvENKUlvE3_clEvEUlS6_S6_E_S6_EEDaPvRmT3_T4_T5_mT6_P12ihipStream_tbENKUlT_T0_E_clISt17integral_constantIbLb1EESX_IbLb0EEEEDaST_SU_EUlST_E_NS1_11comp_targetILNS1_3genE4ELNS1_11target_archE910ELNS1_3gpuE8ELNS1_3repE0EEENS1_30default_config_static_selectorELNS0_4arch9wavefront6targetE1EEEvT1_ ; -- Begin function _ZN7rocprim17ROCPRIM_400000_NS6detail17trampoline_kernelINS0_14default_configENS1_20scan_config_selectorIN3c104HalfEEEZZNS1_9scan_implILNS1_25lookback_scan_determinismE0ELb0ELb0ES3_PKS6_PS6_S6_ZZZN2at6native31launch_logcumsumexp_cuda_kernelERKNSD_10TensorBaseESH_lENKUlvE_clEvENKUlvE3_clEvEUlS6_S6_E_S6_EEDaPvRmT3_T4_T5_mT6_P12ihipStream_tbENKUlT_T0_E_clISt17integral_constantIbLb1EESX_IbLb0EEEEDaST_SU_EUlST_E_NS1_11comp_targetILNS1_3genE4ELNS1_11target_archE910ELNS1_3gpuE8ELNS1_3repE0EEENS1_30default_config_static_selectorELNS0_4arch9wavefront6targetE1EEEvT1_
	.p2align	8
	.type	_ZN7rocprim17ROCPRIM_400000_NS6detail17trampoline_kernelINS0_14default_configENS1_20scan_config_selectorIN3c104HalfEEEZZNS1_9scan_implILNS1_25lookback_scan_determinismE0ELb0ELb0ES3_PKS6_PS6_S6_ZZZN2at6native31launch_logcumsumexp_cuda_kernelERKNSD_10TensorBaseESH_lENKUlvE_clEvENKUlvE3_clEvEUlS6_S6_E_S6_EEDaPvRmT3_T4_T5_mT6_P12ihipStream_tbENKUlT_T0_E_clISt17integral_constantIbLb1EESX_IbLb0EEEEDaST_SU_EUlST_E_NS1_11comp_targetILNS1_3genE4ELNS1_11target_archE910ELNS1_3gpuE8ELNS1_3repE0EEENS1_30default_config_static_selectorELNS0_4arch9wavefront6targetE1EEEvT1_,@function
_ZN7rocprim17ROCPRIM_400000_NS6detail17trampoline_kernelINS0_14default_configENS1_20scan_config_selectorIN3c104HalfEEEZZNS1_9scan_implILNS1_25lookback_scan_determinismE0ELb0ELb0ES3_PKS6_PS6_S6_ZZZN2at6native31launch_logcumsumexp_cuda_kernelERKNSD_10TensorBaseESH_lENKUlvE_clEvENKUlvE3_clEvEUlS6_S6_E_S6_EEDaPvRmT3_T4_T5_mT6_P12ihipStream_tbENKUlT_T0_E_clISt17integral_constantIbLb1EESX_IbLb0EEEEDaST_SU_EUlST_E_NS1_11comp_targetILNS1_3genE4ELNS1_11target_archE910ELNS1_3gpuE8ELNS1_3repE0EEENS1_30default_config_static_selectorELNS0_4arch9wavefront6targetE1EEEvT1_: ; @_ZN7rocprim17ROCPRIM_400000_NS6detail17trampoline_kernelINS0_14default_configENS1_20scan_config_selectorIN3c104HalfEEEZZNS1_9scan_implILNS1_25lookback_scan_determinismE0ELb0ELb0ES3_PKS6_PS6_S6_ZZZN2at6native31launch_logcumsumexp_cuda_kernelERKNSD_10TensorBaseESH_lENKUlvE_clEvENKUlvE3_clEvEUlS6_S6_E_S6_EEDaPvRmT3_T4_T5_mT6_P12ihipStream_tbENKUlT_T0_E_clISt17integral_constantIbLb1EESX_IbLb0EEEEDaST_SU_EUlST_E_NS1_11comp_targetILNS1_3genE4ELNS1_11target_archE910ELNS1_3gpuE8ELNS1_3repE0EEENS1_30default_config_static_selectorELNS0_4arch9wavefront6targetE1EEEvT1_
; %bb.0:
	.section	.rodata,"a",@progbits
	.p2align	6, 0x0
	.amdhsa_kernel _ZN7rocprim17ROCPRIM_400000_NS6detail17trampoline_kernelINS0_14default_configENS1_20scan_config_selectorIN3c104HalfEEEZZNS1_9scan_implILNS1_25lookback_scan_determinismE0ELb0ELb0ES3_PKS6_PS6_S6_ZZZN2at6native31launch_logcumsumexp_cuda_kernelERKNSD_10TensorBaseESH_lENKUlvE_clEvENKUlvE3_clEvEUlS6_S6_E_S6_EEDaPvRmT3_T4_T5_mT6_P12ihipStream_tbENKUlT_T0_E_clISt17integral_constantIbLb1EESX_IbLb0EEEEDaST_SU_EUlST_E_NS1_11comp_targetILNS1_3genE4ELNS1_11target_archE910ELNS1_3gpuE8ELNS1_3repE0EEENS1_30default_config_static_selectorELNS0_4arch9wavefront6targetE1EEEvT1_
		.amdhsa_group_segment_fixed_size 0
		.amdhsa_private_segment_fixed_size 0
		.amdhsa_kernarg_size 96
		.amdhsa_user_sgpr_count 2
		.amdhsa_user_sgpr_dispatch_ptr 0
		.amdhsa_user_sgpr_queue_ptr 0
		.amdhsa_user_sgpr_kernarg_segment_ptr 1
		.amdhsa_user_sgpr_dispatch_id 0
		.amdhsa_user_sgpr_kernarg_preload_length 0
		.amdhsa_user_sgpr_kernarg_preload_offset 0
		.amdhsa_user_sgpr_private_segment_size 0
		.amdhsa_uses_dynamic_stack 0
		.amdhsa_enable_private_segment 0
		.amdhsa_system_sgpr_workgroup_id_x 1
		.amdhsa_system_sgpr_workgroup_id_y 0
		.amdhsa_system_sgpr_workgroup_id_z 0
		.amdhsa_system_sgpr_workgroup_info 0
		.amdhsa_system_vgpr_workitem_id 0
		.amdhsa_next_free_vgpr 1
		.amdhsa_next_free_sgpr 0
		.amdhsa_accum_offset 4
		.amdhsa_reserve_vcc 0
		.amdhsa_float_round_mode_32 0
		.amdhsa_float_round_mode_16_64 0
		.amdhsa_float_denorm_mode_32 3
		.amdhsa_float_denorm_mode_16_64 3
		.amdhsa_dx10_clamp 1
		.amdhsa_ieee_mode 1
		.amdhsa_fp16_overflow 0
		.amdhsa_tg_split 0
		.amdhsa_exception_fp_ieee_invalid_op 0
		.amdhsa_exception_fp_denorm_src 0
		.amdhsa_exception_fp_ieee_div_zero 0
		.amdhsa_exception_fp_ieee_overflow 0
		.amdhsa_exception_fp_ieee_underflow 0
		.amdhsa_exception_fp_ieee_inexact 0
		.amdhsa_exception_int_div_zero 0
	.end_amdhsa_kernel
	.section	.text._ZN7rocprim17ROCPRIM_400000_NS6detail17trampoline_kernelINS0_14default_configENS1_20scan_config_selectorIN3c104HalfEEEZZNS1_9scan_implILNS1_25lookback_scan_determinismE0ELb0ELb0ES3_PKS6_PS6_S6_ZZZN2at6native31launch_logcumsumexp_cuda_kernelERKNSD_10TensorBaseESH_lENKUlvE_clEvENKUlvE3_clEvEUlS6_S6_E_S6_EEDaPvRmT3_T4_T5_mT6_P12ihipStream_tbENKUlT_T0_E_clISt17integral_constantIbLb1EESX_IbLb0EEEEDaST_SU_EUlST_E_NS1_11comp_targetILNS1_3genE4ELNS1_11target_archE910ELNS1_3gpuE8ELNS1_3repE0EEENS1_30default_config_static_selectorELNS0_4arch9wavefront6targetE1EEEvT1_,"axG",@progbits,_ZN7rocprim17ROCPRIM_400000_NS6detail17trampoline_kernelINS0_14default_configENS1_20scan_config_selectorIN3c104HalfEEEZZNS1_9scan_implILNS1_25lookback_scan_determinismE0ELb0ELb0ES3_PKS6_PS6_S6_ZZZN2at6native31launch_logcumsumexp_cuda_kernelERKNSD_10TensorBaseESH_lENKUlvE_clEvENKUlvE3_clEvEUlS6_S6_E_S6_EEDaPvRmT3_T4_T5_mT6_P12ihipStream_tbENKUlT_T0_E_clISt17integral_constantIbLb1EESX_IbLb0EEEEDaST_SU_EUlST_E_NS1_11comp_targetILNS1_3genE4ELNS1_11target_archE910ELNS1_3gpuE8ELNS1_3repE0EEENS1_30default_config_static_selectorELNS0_4arch9wavefront6targetE1EEEvT1_,comdat
.Lfunc_end399:
	.size	_ZN7rocprim17ROCPRIM_400000_NS6detail17trampoline_kernelINS0_14default_configENS1_20scan_config_selectorIN3c104HalfEEEZZNS1_9scan_implILNS1_25lookback_scan_determinismE0ELb0ELb0ES3_PKS6_PS6_S6_ZZZN2at6native31launch_logcumsumexp_cuda_kernelERKNSD_10TensorBaseESH_lENKUlvE_clEvENKUlvE3_clEvEUlS6_S6_E_S6_EEDaPvRmT3_T4_T5_mT6_P12ihipStream_tbENKUlT_T0_E_clISt17integral_constantIbLb1EESX_IbLb0EEEEDaST_SU_EUlST_E_NS1_11comp_targetILNS1_3genE4ELNS1_11target_archE910ELNS1_3gpuE8ELNS1_3repE0EEENS1_30default_config_static_selectorELNS0_4arch9wavefront6targetE1EEEvT1_, .Lfunc_end399-_ZN7rocprim17ROCPRIM_400000_NS6detail17trampoline_kernelINS0_14default_configENS1_20scan_config_selectorIN3c104HalfEEEZZNS1_9scan_implILNS1_25lookback_scan_determinismE0ELb0ELb0ES3_PKS6_PS6_S6_ZZZN2at6native31launch_logcumsumexp_cuda_kernelERKNSD_10TensorBaseESH_lENKUlvE_clEvENKUlvE3_clEvEUlS6_S6_E_S6_EEDaPvRmT3_T4_T5_mT6_P12ihipStream_tbENKUlT_T0_E_clISt17integral_constantIbLb1EESX_IbLb0EEEEDaST_SU_EUlST_E_NS1_11comp_targetILNS1_3genE4ELNS1_11target_archE910ELNS1_3gpuE8ELNS1_3repE0EEENS1_30default_config_static_selectorELNS0_4arch9wavefront6targetE1EEEvT1_
                                        ; -- End function
	.set _ZN7rocprim17ROCPRIM_400000_NS6detail17trampoline_kernelINS0_14default_configENS1_20scan_config_selectorIN3c104HalfEEEZZNS1_9scan_implILNS1_25lookback_scan_determinismE0ELb0ELb0ES3_PKS6_PS6_S6_ZZZN2at6native31launch_logcumsumexp_cuda_kernelERKNSD_10TensorBaseESH_lENKUlvE_clEvENKUlvE3_clEvEUlS6_S6_E_S6_EEDaPvRmT3_T4_T5_mT6_P12ihipStream_tbENKUlT_T0_E_clISt17integral_constantIbLb1EESX_IbLb0EEEEDaST_SU_EUlST_E_NS1_11comp_targetILNS1_3genE4ELNS1_11target_archE910ELNS1_3gpuE8ELNS1_3repE0EEENS1_30default_config_static_selectorELNS0_4arch9wavefront6targetE1EEEvT1_.num_vgpr, 0
	.set _ZN7rocprim17ROCPRIM_400000_NS6detail17trampoline_kernelINS0_14default_configENS1_20scan_config_selectorIN3c104HalfEEEZZNS1_9scan_implILNS1_25lookback_scan_determinismE0ELb0ELb0ES3_PKS6_PS6_S6_ZZZN2at6native31launch_logcumsumexp_cuda_kernelERKNSD_10TensorBaseESH_lENKUlvE_clEvENKUlvE3_clEvEUlS6_S6_E_S6_EEDaPvRmT3_T4_T5_mT6_P12ihipStream_tbENKUlT_T0_E_clISt17integral_constantIbLb1EESX_IbLb0EEEEDaST_SU_EUlST_E_NS1_11comp_targetILNS1_3genE4ELNS1_11target_archE910ELNS1_3gpuE8ELNS1_3repE0EEENS1_30default_config_static_selectorELNS0_4arch9wavefront6targetE1EEEvT1_.num_agpr, 0
	.set _ZN7rocprim17ROCPRIM_400000_NS6detail17trampoline_kernelINS0_14default_configENS1_20scan_config_selectorIN3c104HalfEEEZZNS1_9scan_implILNS1_25lookback_scan_determinismE0ELb0ELb0ES3_PKS6_PS6_S6_ZZZN2at6native31launch_logcumsumexp_cuda_kernelERKNSD_10TensorBaseESH_lENKUlvE_clEvENKUlvE3_clEvEUlS6_S6_E_S6_EEDaPvRmT3_T4_T5_mT6_P12ihipStream_tbENKUlT_T0_E_clISt17integral_constantIbLb1EESX_IbLb0EEEEDaST_SU_EUlST_E_NS1_11comp_targetILNS1_3genE4ELNS1_11target_archE910ELNS1_3gpuE8ELNS1_3repE0EEENS1_30default_config_static_selectorELNS0_4arch9wavefront6targetE1EEEvT1_.numbered_sgpr, 0
	.set _ZN7rocprim17ROCPRIM_400000_NS6detail17trampoline_kernelINS0_14default_configENS1_20scan_config_selectorIN3c104HalfEEEZZNS1_9scan_implILNS1_25lookback_scan_determinismE0ELb0ELb0ES3_PKS6_PS6_S6_ZZZN2at6native31launch_logcumsumexp_cuda_kernelERKNSD_10TensorBaseESH_lENKUlvE_clEvENKUlvE3_clEvEUlS6_S6_E_S6_EEDaPvRmT3_T4_T5_mT6_P12ihipStream_tbENKUlT_T0_E_clISt17integral_constantIbLb1EESX_IbLb0EEEEDaST_SU_EUlST_E_NS1_11comp_targetILNS1_3genE4ELNS1_11target_archE910ELNS1_3gpuE8ELNS1_3repE0EEENS1_30default_config_static_selectorELNS0_4arch9wavefront6targetE1EEEvT1_.num_named_barrier, 0
	.set _ZN7rocprim17ROCPRIM_400000_NS6detail17trampoline_kernelINS0_14default_configENS1_20scan_config_selectorIN3c104HalfEEEZZNS1_9scan_implILNS1_25lookback_scan_determinismE0ELb0ELb0ES3_PKS6_PS6_S6_ZZZN2at6native31launch_logcumsumexp_cuda_kernelERKNSD_10TensorBaseESH_lENKUlvE_clEvENKUlvE3_clEvEUlS6_S6_E_S6_EEDaPvRmT3_T4_T5_mT6_P12ihipStream_tbENKUlT_T0_E_clISt17integral_constantIbLb1EESX_IbLb0EEEEDaST_SU_EUlST_E_NS1_11comp_targetILNS1_3genE4ELNS1_11target_archE910ELNS1_3gpuE8ELNS1_3repE0EEENS1_30default_config_static_selectorELNS0_4arch9wavefront6targetE1EEEvT1_.private_seg_size, 0
	.set _ZN7rocprim17ROCPRIM_400000_NS6detail17trampoline_kernelINS0_14default_configENS1_20scan_config_selectorIN3c104HalfEEEZZNS1_9scan_implILNS1_25lookback_scan_determinismE0ELb0ELb0ES3_PKS6_PS6_S6_ZZZN2at6native31launch_logcumsumexp_cuda_kernelERKNSD_10TensorBaseESH_lENKUlvE_clEvENKUlvE3_clEvEUlS6_S6_E_S6_EEDaPvRmT3_T4_T5_mT6_P12ihipStream_tbENKUlT_T0_E_clISt17integral_constantIbLb1EESX_IbLb0EEEEDaST_SU_EUlST_E_NS1_11comp_targetILNS1_3genE4ELNS1_11target_archE910ELNS1_3gpuE8ELNS1_3repE0EEENS1_30default_config_static_selectorELNS0_4arch9wavefront6targetE1EEEvT1_.uses_vcc, 0
	.set _ZN7rocprim17ROCPRIM_400000_NS6detail17trampoline_kernelINS0_14default_configENS1_20scan_config_selectorIN3c104HalfEEEZZNS1_9scan_implILNS1_25lookback_scan_determinismE0ELb0ELb0ES3_PKS6_PS6_S6_ZZZN2at6native31launch_logcumsumexp_cuda_kernelERKNSD_10TensorBaseESH_lENKUlvE_clEvENKUlvE3_clEvEUlS6_S6_E_S6_EEDaPvRmT3_T4_T5_mT6_P12ihipStream_tbENKUlT_T0_E_clISt17integral_constantIbLb1EESX_IbLb0EEEEDaST_SU_EUlST_E_NS1_11comp_targetILNS1_3genE4ELNS1_11target_archE910ELNS1_3gpuE8ELNS1_3repE0EEENS1_30default_config_static_selectorELNS0_4arch9wavefront6targetE1EEEvT1_.uses_flat_scratch, 0
	.set _ZN7rocprim17ROCPRIM_400000_NS6detail17trampoline_kernelINS0_14default_configENS1_20scan_config_selectorIN3c104HalfEEEZZNS1_9scan_implILNS1_25lookback_scan_determinismE0ELb0ELb0ES3_PKS6_PS6_S6_ZZZN2at6native31launch_logcumsumexp_cuda_kernelERKNSD_10TensorBaseESH_lENKUlvE_clEvENKUlvE3_clEvEUlS6_S6_E_S6_EEDaPvRmT3_T4_T5_mT6_P12ihipStream_tbENKUlT_T0_E_clISt17integral_constantIbLb1EESX_IbLb0EEEEDaST_SU_EUlST_E_NS1_11comp_targetILNS1_3genE4ELNS1_11target_archE910ELNS1_3gpuE8ELNS1_3repE0EEENS1_30default_config_static_selectorELNS0_4arch9wavefront6targetE1EEEvT1_.has_dyn_sized_stack, 0
	.set _ZN7rocprim17ROCPRIM_400000_NS6detail17trampoline_kernelINS0_14default_configENS1_20scan_config_selectorIN3c104HalfEEEZZNS1_9scan_implILNS1_25lookback_scan_determinismE0ELb0ELb0ES3_PKS6_PS6_S6_ZZZN2at6native31launch_logcumsumexp_cuda_kernelERKNSD_10TensorBaseESH_lENKUlvE_clEvENKUlvE3_clEvEUlS6_S6_E_S6_EEDaPvRmT3_T4_T5_mT6_P12ihipStream_tbENKUlT_T0_E_clISt17integral_constantIbLb1EESX_IbLb0EEEEDaST_SU_EUlST_E_NS1_11comp_targetILNS1_3genE4ELNS1_11target_archE910ELNS1_3gpuE8ELNS1_3repE0EEENS1_30default_config_static_selectorELNS0_4arch9wavefront6targetE1EEEvT1_.has_recursion, 0
	.set _ZN7rocprim17ROCPRIM_400000_NS6detail17trampoline_kernelINS0_14default_configENS1_20scan_config_selectorIN3c104HalfEEEZZNS1_9scan_implILNS1_25lookback_scan_determinismE0ELb0ELb0ES3_PKS6_PS6_S6_ZZZN2at6native31launch_logcumsumexp_cuda_kernelERKNSD_10TensorBaseESH_lENKUlvE_clEvENKUlvE3_clEvEUlS6_S6_E_S6_EEDaPvRmT3_T4_T5_mT6_P12ihipStream_tbENKUlT_T0_E_clISt17integral_constantIbLb1EESX_IbLb0EEEEDaST_SU_EUlST_E_NS1_11comp_targetILNS1_3genE4ELNS1_11target_archE910ELNS1_3gpuE8ELNS1_3repE0EEENS1_30default_config_static_selectorELNS0_4arch9wavefront6targetE1EEEvT1_.has_indirect_call, 0
	.section	.AMDGPU.csdata,"",@progbits
; Kernel info:
; codeLenInByte = 0
; TotalNumSgprs: 6
; NumVgprs: 0
; NumAgprs: 0
; TotalNumVgprs: 0
; ScratchSize: 0
; MemoryBound: 0
; FloatMode: 240
; IeeeMode: 1
; LDSByteSize: 0 bytes/workgroup (compile time only)
; SGPRBlocks: 0
; VGPRBlocks: 0
; NumSGPRsForWavesPerEU: 6
; NumVGPRsForWavesPerEU: 1
; AccumOffset: 4
; Occupancy: 8
; WaveLimiterHint : 0
; COMPUTE_PGM_RSRC2:SCRATCH_EN: 0
; COMPUTE_PGM_RSRC2:USER_SGPR: 2
; COMPUTE_PGM_RSRC2:TRAP_HANDLER: 0
; COMPUTE_PGM_RSRC2:TGID_X_EN: 1
; COMPUTE_PGM_RSRC2:TGID_Y_EN: 0
; COMPUTE_PGM_RSRC2:TGID_Z_EN: 0
; COMPUTE_PGM_RSRC2:TIDIG_COMP_CNT: 0
; COMPUTE_PGM_RSRC3_GFX90A:ACCUM_OFFSET: 0
; COMPUTE_PGM_RSRC3_GFX90A:TG_SPLIT: 0
	.section	.text._ZN7rocprim17ROCPRIM_400000_NS6detail17trampoline_kernelINS0_14default_configENS1_20scan_config_selectorIN3c104HalfEEEZZNS1_9scan_implILNS1_25lookback_scan_determinismE0ELb0ELb0ES3_PKS6_PS6_S6_ZZZN2at6native31launch_logcumsumexp_cuda_kernelERKNSD_10TensorBaseESH_lENKUlvE_clEvENKUlvE3_clEvEUlS6_S6_E_S6_EEDaPvRmT3_T4_T5_mT6_P12ihipStream_tbENKUlT_T0_E_clISt17integral_constantIbLb1EESX_IbLb0EEEEDaST_SU_EUlST_E_NS1_11comp_targetILNS1_3genE3ELNS1_11target_archE908ELNS1_3gpuE7ELNS1_3repE0EEENS1_30default_config_static_selectorELNS0_4arch9wavefront6targetE1EEEvT1_,"axG",@progbits,_ZN7rocprim17ROCPRIM_400000_NS6detail17trampoline_kernelINS0_14default_configENS1_20scan_config_selectorIN3c104HalfEEEZZNS1_9scan_implILNS1_25lookback_scan_determinismE0ELb0ELb0ES3_PKS6_PS6_S6_ZZZN2at6native31launch_logcumsumexp_cuda_kernelERKNSD_10TensorBaseESH_lENKUlvE_clEvENKUlvE3_clEvEUlS6_S6_E_S6_EEDaPvRmT3_T4_T5_mT6_P12ihipStream_tbENKUlT_T0_E_clISt17integral_constantIbLb1EESX_IbLb0EEEEDaST_SU_EUlST_E_NS1_11comp_targetILNS1_3genE3ELNS1_11target_archE908ELNS1_3gpuE7ELNS1_3repE0EEENS1_30default_config_static_selectorELNS0_4arch9wavefront6targetE1EEEvT1_,comdat
	.globl	_ZN7rocprim17ROCPRIM_400000_NS6detail17trampoline_kernelINS0_14default_configENS1_20scan_config_selectorIN3c104HalfEEEZZNS1_9scan_implILNS1_25lookback_scan_determinismE0ELb0ELb0ES3_PKS6_PS6_S6_ZZZN2at6native31launch_logcumsumexp_cuda_kernelERKNSD_10TensorBaseESH_lENKUlvE_clEvENKUlvE3_clEvEUlS6_S6_E_S6_EEDaPvRmT3_T4_T5_mT6_P12ihipStream_tbENKUlT_T0_E_clISt17integral_constantIbLb1EESX_IbLb0EEEEDaST_SU_EUlST_E_NS1_11comp_targetILNS1_3genE3ELNS1_11target_archE908ELNS1_3gpuE7ELNS1_3repE0EEENS1_30default_config_static_selectorELNS0_4arch9wavefront6targetE1EEEvT1_ ; -- Begin function _ZN7rocprim17ROCPRIM_400000_NS6detail17trampoline_kernelINS0_14default_configENS1_20scan_config_selectorIN3c104HalfEEEZZNS1_9scan_implILNS1_25lookback_scan_determinismE0ELb0ELb0ES3_PKS6_PS6_S6_ZZZN2at6native31launch_logcumsumexp_cuda_kernelERKNSD_10TensorBaseESH_lENKUlvE_clEvENKUlvE3_clEvEUlS6_S6_E_S6_EEDaPvRmT3_T4_T5_mT6_P12ihipStream_tbENKUlT_T0_E_clISt17integral_constantIbLb1EESX_IbLb0EEEEDaST_SU_EUlST_E_NS1_11comp_targetILNS1_3genE3ELNS1_11target_archE908ELNS1_3gpuE7ELNS1_3repE0EEENS1_30default_config_static_selectorELNS0_4arch9wavefront6targetE1EEEvT1_
	.p2align	8
	.type	_ZN7rocprim17ROCPRIM_400000_NS6detail17trampoline_kernelINS0_14default_configENS1_20scan_config_selectorIN3c104HalfEEEZZNS1_9scan_implILNS1_25lookback_scan_determinismE0ELb0ELb0ES3_PKS6_PS6_S6_ZZZN2at6native31launch_logcumsumexp_cuda_kernelERKNSD_10TensorBaseESH_lENKUlvE_clEvENKUlvE3_clEvEUlS6_S6_E_S6_EEDaPvRmT3_T4_T5_mT6_P12ihipStream_tbENKUlT_T0_E_clISt17integral_constantIbLb1EESX_IbLb0EEEEDaST_SU_EUlST_E_NS1_11comp_targetILNS1_3genE3ELNS1_11target_archE908ELNS1_3gpuE7ELNS1_3repE0EEENS1_30default_config_static_selectorELNS0_4arch9wavefront6targetE1EEEvT1_,@function
_ZN7rocprim17ROCPRIM_400000_NS6detail17trampoline_kernelINS0_14default_configENS1_20scan_config_selectorIN3c104HalfEEEZZNS1_9scan_implILNS1_25lookback_scan_determinismE0ELb0ELb0ES3_PKS6_PS6_S6_ZZZN2at6native31launch_logcumsumexp_cuda_kernelERKNSD_10TensorBaseESH_lENKUlvE_clEvENKUlvE3_clEvEUlS6_S6_E_S6_EEDaPvRmT3_T4_T5_mT6_P12ihipStream_tbENKUlT_T0_E_clISt17integral_constantIbLb1EESX_IbLb0EEEEDaST_SU_EUlST_E_NS1_11comp_targetILNS1_3genE3ELNS1_11target_archE908ELNS1_3gpuE7ELNS1_3repE0EEENS1_30default_config_static_selectorELNS0_4arch9wavefront6targetE1EEEvT1_: ; @_ZN7rocprim17ROCPRIM_400000_NS6detail17trampoline_kernelINS0_14default_configENS1_20scan_config_selectorIN3c104HalfEEEZZNS1_9scan_implILNS1_25lookback_scan_determinismE0ELb0ELb0ES3_PKS6_PS6_S6_ZZZN2at6native31launch_logcumsumexp_cuda_kernelERKNSD_10TensorBaseESH_lENKUlvE_clEvENKUlvE3_clEvEUlS6_S6_E_S6_EEDaPvRmT3_T4_T5_mT6_P12ihipStream_tbENKUlT_T0_E_clISt17integral_constantIbLb1EESX_IbLb0EEEEDaST_SU_EUlST_E_NS1_11comp_targetILNS1_3genE3ELNS1_11target_archE908ELNS1_3gpuE7ELNS1_3repE0EEENS1_30default_config_static_selectorELNS0_4arch9wavefront6targetE1EEEvT1_
; %bb.0:
	.section	.rodata,"a",@progbits
	.p2align	6, 0x0
	.amdhsa_kernel _ZN7rocprim17ROCPRIM_400000_NS6detail17trampoline_kernelINS0_14default_configENS1_20scan_config_selectorIN3c104HalfEEEZZNS1_9scan_implILNS1_25lookback_scan_determinismE0ELb0ELb0ES3_PKS6_PS6_S6_ZZZN2at6native31launch_logcumsumexp_cuda_kernelERKNSD_10TensorBaseESH_lENKUlvE_clEvENKUlvE3_clEvEUlS6_S6_E_S6_EEDaPvRmT3_T4_T5_mT6_P12ihipStream_tbENKUlT_T0_E_clISt17integral_constantIbLb1EESX_IbLb0EEEEDaST_SU_EUlST_E_NS1_11comp_targetILNS1_3genE3ELNS1_11target_archE908ELNS1_3gpuE7ELNS1_3repE0EEENS1_30default_config_static_selectorELNS0_4arch9wavefront6targetE1EEEvT1_
		.amdhsa_group_segment_fixed_size 0
		.amdhsa_private_segment_fixed_size 0
		.amdhsa_kernarg_size 96
		.amdhsa_user_sgpr_count 2
		.amdhsa_user_sgpr_dispatch_ptr 0
		.amdhsa_user_sgpr_queue_ptr 0
		.amdhsa_user_sgpr_kernarg_segment_ptr 1
		.amdhsa_user_sgpr_dispatch_id 0
		.amdhsa_user_sgpr_kernarg_preload_length 0
		.amdhsa_user_sgpr_kernarg_preload_offset 0
		.amdhsa_user_sgpr_private_segment_size 0
		.amdhsa_uses_dynamic_stack 0
		.amdhsa_enable_private_segment 0
		.amdhsa_system_sgpr_workgroup_id_x 1
		.amdhsa_system_sgpr_workgroup_id_y 0
		.amdhsa_system_sgpr_workgroup_id_z 0
		.amdhsa_system_sgpr_workgroup_info 0
		.amdhsa_system_vgpr_workitem_id 0
		.amdhsa_next_free_vgpr 1
		.amdhsa_next_free_sgpr 0
		.amdhsa_accum_offset 4
		.amdhsa_reserve_vcc 0
		.amdhsa_float_round_mode_32 0
		.amdhsa_float_round_mode_16_64 0
		.amdhsa_float_denorm_mode_32 3
		.amdhsa_float_denorm_mode_16_64 3
		.amdhsa_dx10_clamp 1
		.amdhsa_ieee_mode 1
		.amdhsa_fp16_overflow 0
		.amdhsa_tg_split 0
		.amdhsa_exception_fp_ieee_invalid_op 0
		.amdhsa_exception_fp_denorm_src 0
		.amdhsa_exception_fp_ieee_div_zero 0
		.amdhsa_exception_fp_ieee_overflow 0
		.amdhsa_exception_fp_ieee_underflow 0
		.amdhsa_exception_fp_ieee_inexact 0
		.amdhsa_exception_int_div_zero 0
	.end_amdhsa_kernel
	.section	.text._ZN7rocprim17ROCPRIM_400000_NS6detail17trampoline_kernelINS0_14default_configENS1_20scan_config_selectorIN3c104HalfEEEZZNS1_9scan_implILNS1_25lookback_scan_determinismE0ELb0ELb0ES3_PKS6_PS6_S6_ZZZN2at6native31launch_logcumsumexp_cuda_kernelERKNSD_10TensorBaseESH_lENKUlvE_clEvENKUlvE3_clEvEUlS6_S6_E_S6_EEDaPvRmT3_T4_T5_mT6_P12ihipStream_tbENKUlT_T0_E_clISt17integral_constantIbLb1EESX_IbLb0EEEEDaST_SU_EUlST_E_NS1_11comp_targetILNS1_3genE3ELNS1_11target_archE908ELNS1_3gpuE7ELNS1_3repE0EEENS1_30default_config_static_selectorELNS0_4arch9wavefront6targetE1EEEvT1_,"axG",@progbits,_ZN7rocprim17ROCPRIM_400000_NS6detail17trampoline_kernelINS0_14default_configENS1_20scan_config_selectorIN3c104HalfEEEZZNS1_9scan_implILNS1_25lookback_scan_determinismE0ELb0ELb0ES3_PKS6_PS6_S6_ZZZN2at6native31launch_logcumsumexp_cuda_kernelERKNSD_10TensorBaseESH_lENKUlvE_clEvENKUlvE3_clEvEUlS6_S6_E_S6_EEDaPvRmT3_T4_T5_mT6_P12ihipStream_tbENKUlT_T0_E_clISt17integral_constantIbLb1EESX_IbLb0EEEEDaST_SU_EUlST_E_NS1_11comp_targetILNS1_3genE3ELNS1_11target_archE908ELNS1_3gpuE7ELNS1_3repE0EEENS1_30default_config_static_selectorELNS0_4arch9wavefront6targetE1EEEvT1_,comdat
.Lfunc_end400:
	.size	_ZN7rocprim17ROCPRIM_400000_NS6detail17trampoline_kernelINS0_14default_configENS1_20scan_config_selectorIN3c104HalfEEEZZNS1_9scan_implILNS1_25lookback_scan_determinismE0ELb0ELb0ES3_PKS6_PS6_S6_ZZZN2at6native31launch_logcumsumexp_cuda_kernelERKNSD_10TensorBaseESH_lENKUlvE_clEvENKUlvE3_clEvEUlS6_S6_E_S6_EEDaPvRmT3_T4_T5_mT6_P12ihipStream_tbENKUlT_T0_E_clISt17integral_constantIbLb1EESX_IbLb0EEEEDaST_SU_EUlST_E_NS1_11comp_targetILNS1_3genE3ELNS1_11target_archE908ELNS1_3gpuE7ELNS1_3repE0EEENS1_30default_config_static_selectorELNS0_4arch9wavefront6targetE1EEEvT1_, .Lfunc_end400-_ZN7rocprim17ROCPRIM_400000_NS6detail17trampoline_kernelINS0_14default_configENS1_20scan_config_selectorIN3c104HalfEEEZZNS1_9scan_implILNS1_25lookback_scan_determinismE0ELb0ELb0ES3_PKS6_PS6_S6_ZZZN2at6native31launch_logcumsumexp_cuda_kernelERKNSD_10TensorBaseESH_lENKUlvE_clEvENKUlvE3_clEvEUlS6_S6_E_S6_EEDaPvRmT3_T4_T5_mT6_P12ihipStream_tbENKUlT_T0_E_clISt17integral_constantIbLb1EESX_IbLb0EEEEDaST_SU_EUlST_E_NS1_11comp_targetILNS1_3genE3ELNS1_11target_archE908ELNS1_3gpuE7ELNS1_3repE0EEENS1_30default_config_static_selectorELNS0_4arch9wavefront6targetE1EEEvT1_
                                        ; -- End function
	.set _ZN7rocprim17ROCPRIM_400000_NS6detail17trampoline_kernelINS0_14default_configENS1_20scan_config_selectorIN3c104HalfEEEZZNS1_9scan_implILNS1_25lookback_scan_determinismE0ELb0ELb0ES3_PKS6_PS6_S6_ZZZN2at6native31launch_logcumsumexp_cuda_kernelERKNSD_10TensorBaseESH_lENKUlvE_clEvENKUlvE3_clEvEUlS6_S6_E_S6_EEDaPvRmT3_T4_T5_mT6_P12ihipStream_tbENKUlT_T0_E_clISt17integral_constantIbLb1EESX_IbLb0EEEEDaST_SU_EUlST_E_NS1_11comp_targetILNS1_3genE3ELNS1_11target_archE908ELNS1_3gpuE7ELNS1_3repE0EEENS1_30default_config_static_selectorELNS0_4arch9wavefront6targetE1EEEvT1_.num_vgpr, 0
	.set _ZN7rocprim17ROCPRIM_400000_NS6detail17trampoline_kernelINS0_14default_configENS1_20scan_config_selectorIN3c104HalfEEEZZNS1_9scan_implILNS1_25lookback_scan_determinismE0ELb0ELb0ES3_PKS6_PS6_S6_ZZZN2at6native31launch_logcumsumexp_cuda_kernelERKNSD_10TensorBaseESH_lENKUlvE_clEvENKUlvE3_clEvEUlS6_S6_E_S6_EEDaPvRmT3_T4_T5_mT6_P12ihipStream_tbENKUlT_T0_E_clISt17integral_constantIbLb1EESX_IbLb0EEEEDaST_SU_EUlST_E_NS1_11comp_targetILNS1_3genE3ELNS1_11target_archE908ELNS1_3gpuE7ELNS1_3repE0EEENS1_30default_config_static_selectorELNS0_4arch9wavefront6targetE1EEEvT1_.num_agpr, 0
	.set _ZN7rocprim17ROCPRIM_400000_NS6detail17trampoline_kernelINS0_14default_configENS1_20scan_config_selectorIN3c104HalfEEEZZNS1_9scan_implILNS1_25lookback_scan_determinismE0ELb0ELb0ES3_PKS6_PS6_S6_ZZZN2at6native31launch_logcumsumexp_cuda_kernelERKNSD_10TensorBaseESH_lENKUlvE_clEvENKUlvE3_clEvEUlS6_S6_E_S6_EEDaPvRmT3_T4_T5_mT6_P12ihipStream_tbENKUlT_T0_E_clISt17integral_constantIbLb1EESX_IbLb0EEEEDaST_SU_EUlST_E_NS1_11comp_targetILNS1_3genE3ELNS1_11target_archE908ELNS1_3gpuE7ELNS1_3repE0EEENS1_30default_config_static_selectorELNS0_4arch9wavefront6targetE1EEEvT1_.numbered_sgpr, 0
	.set _ZN7rocprim17ROCPRIM_400000_NS6detail17trampoline_kernelINS0_14default_configENS1_20scan_config_selectorIN3c104HalfEEEZZNS1_9scan_implILNS1_25lookback_scan_determinismE0ELb0ELb0ES3_PKS6_PS6_S6_ZZZN2at6native31launch_logcumsumexp_cuda_kernelERKNSD_10TensorBaseESH_lENKUlvE_clEvENKUlvE3_clEvEUlS6_S6_E_S6_EEDaPvRmT3_T4_T5_mT6_P12ihipStream_tbENKUlT_T0_E_clISt17integral_constantIbLb1EESX_IbLb0EEEEDaST_SU_EUlST_E_NS1_11comp_targetILNS1_3genE3ELNS1_11target_archE908ELNS1_3gpuE7ELNS1_3repE0EEENS1_30default_config_static_selectorELNS0_4arch9wavefront6targetE1EEEvT1_.num_named_barrier, 0
	.set _ZN7rocprim17ROCPRIM_400000_NS6detail17trampoline_kernelINS0_14default_configENS1_20scan_config_selectorIN3c104HalfEEEZZNS1_9scan_implILNS1_25lookback_scan_determinismE0ELb0ELb0ES3_PKS6_PS6_S6_ZZZN2at6native31launch_logcumsumexp_cuda_kernelERKNSD_10TensorBaseESH_lENKUlvE_clEvENKUlvE3_clEvEUlS6_S6_E_S6_EEDaPvRmT3_T4_T5_mT6_P12ihipStream_tbENKUlT_T0_E_clISt17integral_constantIbLb1EESX_IbLb0EEEEDaST_SU_EUlST_E_NS1_11comp_targetILNS1_3genE3ELNS1_11target_archE908ELNS1_3gpuE7ELNS1_3repE0EEENS1_30default_config_static_selectorELNS0_4arch9wavefront6targetE1EEEvT1_.private_seg_size, 0
	.set _ZN7rocprim17ROCPRIM_400000_NS6detail17trampoline_kernelINS0_14default_configENS1_20scan_config_selectorIN3c104HalfEEEZZNS1_9scan_implILNS1_25lookback_scan_determinismE0ELb0ELb0ES3_PKS6_PS6_S6_ZZZN2at6native31launch_logcumsumexp_cuda_kernelERKNSD_10TensorBaseESH_lENKUlvE_clEvENKUlvE3_clEvEUlS6_S6_E_S6_EEDaPvRmT3_T4_T5_mT6_P12ihipStream_tbENKUlT_T0_E_clISt17integral_constantIbLb1EESX_IbLb0EEEEDaST_SU_EUlST_E_NS1_11comp_targetILNS1_3genE3ELNS1_11target_archE908ELNS1_3gpuE7ELNS1_3repE0EEENS1_30default_config_static_selectorELNS0_4arch9wavefront6targetE1EEEvT1_.uses_vcc, 0
	.set _ZN7rocprim17ROCPRIM_400000_NS6detail17trampoline_kernelINS0_14default_configENS1_20scan_config_selectorIN3c104HalfEEEZZNS1_9scan_implILNS1_25lookback_scan_determinismE0ELb0ELb0ES3_PKS6_PS6_S6_ZZZN2at6native31launch_logcumsumexp_cuda_kernelERKNSD_10TensorBaseESH_lENKUlvE_clEvENKUlvE3_clEvEUlS6_S6_E_S6_EEDaPvRmT3_T4_T5_mT6_P12ihipStream_tbENKUlT_T0_E_clISt17integral_constantIbLb1EESX_IbLb0EEEEDaST_SU_EUlST_E_NS1_11comp_targetILNS1_3genE3ELNS1_11target_archE908ELNS1_3gpuE7ELNS1_3repE0EEENS1_30default_config_static_selectorELNS0_4arch9wavefront6targetE1EEEvT1_.uses_flat_scratch, 0
	.set _ZN7rocprim17ROCPRIM_400000_NS6detail17trampoline_kernelINS0_14default_configENS1_20scan_config_selectorIN3c104HalfEEEZZNS1_9scan_implILNS1_25lookback_scan_determinismE0ELb0ELb0ES3_PKS6_PS6_S6_ZZZN2at6native31launch_logcumsumexp_cuda_kernelERKNSD_10TensorBaseESH_lENKUlvE_clEvENKUlvE3_clEvEUlS6_S6_E_S6_EEDaPvRmT3_T4_T5_mT6_P12ihipStream_tbENKUlT_T0_E_clISt17integral_constantIbLb1EESX_IbLb0EEEEDaST_SU_EUlST_E_NS1_11comp_targetILNS1_3genE3ELNS1_11target_archE908ELNS1_3gpuE7ELNS1_3repE0EEENS1_30default_config_static_selectorELNS0_4arch9wavefront6targetE1EEEvT1_.has_dyn_sized_stack, 0
	.set _ZN7rocprim17ROCPRIM_400000_NS6detail17trampoline_kernelINS0_14default_configENS1_20scan_config_selectorIN3c104HalfEEEZZNS1_9scan_implILNS1_25lookback_scan_determinismE0ELb0ELb0ES3_PKS6_PS6_S6_ZZZN2at6native31launch_logcumsumexp_cuda_kernelERKNSD_10TensorBaseESH_lENKUlvE_clEvENKUlvE3_clEvEUlS6_S6_E_S6_EEDaPvRmT3_T4_T5_mT6_P12ihipStream_tbENKUlT_T0_E_clISt17integral_constantIbLb1EESX_IbLb0EEEEDaST_SU_EUlST_E_NS1_11comp_targetILNS1_3genE3ELNS1_11target_archE908ELNS1_3gpuE7ELNS1_3repE0EEENS1_30default_config_static_selectorELNS0_4arch9wavefront6targetE1EEEvT1_.has_recursion, 0
	.set _ZN7rocprim17ROCPRIM_400000_NS6detail17trampoline_kernelINS0_14default_configENS1_20scan_config_selectorIN3c104HalfEEEZZNS1_9scan_implILNS1_25lookback_scan_determinismE0ELb0ELb0ES3_PKS6_PS6_S6_ZZZN2at6native31launch_logcumsumexp_cuda_kernelERKNSD_10TensorBaseESH_lENKUlvE_clEvENKUlvE3_clEvEUlS6_S6_E_S6_EEDaPvRmT3_T4_T5_mT6_P12ihipStream_tbENKUlT_T0_E_clISt17integral_constantIbLb1EESX_IbLb0EEEEDaST_SU_EUlST_E_NS1_11comp_targetILNS1_3genE3ELNS1_11target_archE908ELNS1_3gpuE7ELNS1_3repE0EEENS1_30default_config_static_selectorELNS0_4arch9wavefront6targetE1EEEvT1_.has_indirect_call, 0
	.section	.AMDGPU.csdata,"",@progbits
; Kernel info:
; codeLenInByte = 0
; TotalNumSgprs: 6
; NumVgprs: 0
; NumAgprs: 0
; TotalNumVgprs: 0
; ScratchSize: 0
; MemoryBound: 0
; FloatMode: 240
; IeeeMode: 1
; LDSByteSize: 0 bytes/workgroup (compile time only)
; SGPRBlocks: 0
; VGPRBlocks: 0
; NumSGPRsForWavesPerEU: 6
; NumVGPRsForWavesPerEU: 1
; AccumOffset: 4
; Occupancy: 8
; WaveLimiterHint : 0
; COMPUTE_PGM_RSRC2:SCRATCH_EN: 0
; COMPUTE_PGM_RSRC2:USER_SGPR: 2
; COMPUTE_PGM_RSRC2:TRAP_HANDLER: 0
; COMPUTE_PGM_RSRC2:TGID_X_EN: 1
; COMPUTE_PGM_RSRC2:TGID_Y_EN: 0
; COMPUTE_PGM_RSRC2:TGID_Z_EN: 0
; COMPUTE_PGM_RSRC2:TIDIG_COMP_CNT: 0
; COMPUTE_PGM_RSRC3_GFX90A:ACCUM_OFFSET: 0
; COMPUTE_PGM_RSRC3_GFX90A:TG_SPLIT: 0
	.section	.text._ZN7rocprim17ROCPRIM_400000_NS6detail17trampoline_kernelINS0_14default_configENS1_20scan_config_selectorIN3c104HalfEEEZZNS1_9scan_implILNS1_25lookback_scan_determinismE0ELb0ELb0ES3_PKS6_PS6_S6_ZZZN2at6native31launch_logcumsumexp_cuda_kernelERKNSD_10TensorBaseESH_lENKUlvE_clEvENKUlvE3_clEvEUlS6_S6_E_S6_EEDaPvRmT3_T4_T5_mT6_P12ihipStream_tbENKUlT_T0_E_clISt17integral_constantIbLb1EESX_IbLb0EEEEDaST_SU_EUlST_E_NS1_11comp_targetILNS1_3genE2ELNS1_11target_archE906ELNS1_3gpuE6ELNS1_3repE0EEENS1_30default_config_static_selectorELNS0_4arch9wavefront6targetE1EEEvT1_,"axG",@progbits,_ZN7rocprim17ROCPRIM_400000_NS6detail17trampoline_kernelINS0_14default_configENS1_20scan_config_selectorIN3c104HalfEEEZZNS1_9scan_implILNS1_25lookback_scan_determinismE0ELb0ELb0ES3_PKS6_PS6_S6_ZZZN2at6native31launch_logcumsumexp_cuda_kernelERKNSD_10TensorBaseESH_lENKUlvE_clEvENKUlvE3_clEvEUlS6_S6_E_S6_EEDaPvRmT3_T4_T5_mT6_P12ihipStream_tbENKUlT_T0_E_clISt17integral_constantIbLb1EESX_IbLb0EEEEDaST_SU_EUlST_E_NS1_11comp_targetILNS1_3genE2ELNS1_11target_archE906ELNS1_3gpuE6ELNS1_3repE0EEENS1_30default_config_static_selectorELNS0_4arch9wavefront6targetE1EEEvT1_,comdat
	.globl	_ZN7rocprim17ROCPRIM_400000_NS6detail17trampoline_kernelINS0_14default_configENS1_20scan_config_selectorIN3c104HalfEEEZZNS1_9scan_implILNS1_25lookback_scan_determinismE0ELb0ELb0ES3_PKS6_PS6_S6_ZZZN2at6native31launch_logcumsumexp_cuda_kernelERKNSD_10TensorBaseESH_lENKUlvE_clEvENKUlvE3_clEvEUlS6_S6_E_S6_EEDaPvRmT3_T4_T5_mT6_P12ihipStream_tbENKUlT_T0_E_clISt17integral_constantIbLb1EESX_IbLb0EEEEDaST_SU_EUlST_E_NS1_11comp_targetILNS1_3genE2ELNS1_11target_archE906ELNS1_3gpuE6ELNS1_3repE0EEENS1_30default_config_static_selectorELNS0_4arch9wavefront6targetE1EEEvT1_ ; -- Begin function _ZN7rocprim17ROCPRIM_400000_NS6detail17trampoline_kernelINS0_14default_configENS1_20scan_config_selectorIN3c104HalfEEEZZNS1_9scan_implILNS1_25lookback_scan_determinismE0ELb0ELb0ES3_PKS6_PS6_S6_ZZZN2at6native31launch_logcumsumexp_cuda_kernelERKNSD_10TensorBaseESH_lENKUlvE_clEvENKUlvE3_clEvEUlS6_S6_E_S6_EEDaPvRmT3_T4_T5_mT6_P12ihipStream_tbENKUlT_T0_E_clISt17integral_constantIbLb1EESX_IbLb0EEEEDaST_SU_EUlST_E_NS1_11comp_targetILNS1_3genE2ELNS1_11target_archE906ELNS1_3gpuE6ELNS1_3repE0EEENS1_30default_config_static_selectorELNS0_4arch9wavefront6targetE1EEEvT1_
	.p2align	8
	.type	_ZN7rocprim17ROCPRIM_400000_NS6detail17trampoline_kernelINS0_14default_configENS1_20scan_config_selectorIN3c104HalfEEEZZNS1_9scan_implILNS1_25lookback_scan_determinismE0ELb0ELb0ES3_PKS6_PS6_S6_ZZZN2at6native31launch_logcumsumexp_cuda_kernelERKNSD_10TensorBaseESH_lENKUlvE_clEvENKUlvE3_clEvEUlS6_S6_E_S6_EEDaPvRmT3_T4_T5_mT6_P12ihipStream_tbENKUlT_T0_E_clISt17integral_constantIbLb1EESX_IbLb0EEEEDaST_SU_EUlST_E_NS1_11comp_targetILNS1_3genE2ELNS1_11target_archE906ELNS1_3gpuE6ELNS1_3repE0EEENS1_30default_config_static_selectorELNS0_4arch9wavefront6targetE1EEEvT1_,@function
_ZN7rocprim17ROCPRIM_400000_NS6detail17trampoline_kernelINS0_14default_configENS1_20scan_config_selectorIN3c104HalfEEEZZNS1_9scan_implILNS1_25lookback_scan_determinismE0ELb0ELb0ES3_PKS6_PS6_S6_ZZZN2at6native31launch_logcumsumexp_cuda_kernelERKNSD_10TensorBaseESH_lENKUlvE_clEvENKUlvE3_clEvEUlS6_S6_E_S6_EEDaPvRmT3_T4_T5_mT6_P12ihipStream_tbENKUlT_T0_E_clISt17integral_constantIbLb1EESX_IbLb0EEEEDaST_SU_EUlST_E_NS1_11comp_targetILNS1_3genE2ELNS1_11target_archE906ELNS1_3gpuE6ELNS1_3repE0EEENS1_30default_config_static_selectorELNS0_4arch9wavefront6targetE1EEEvT1_: ; @_ZN7rocprim17ROCPRIM_400000_NS6detail17trampoline_kernelINS0_14default_configENS1_20scan_config_selectorIN3c104HalfEEEZZNS1_9scan_implILNS1_25lookback_scan_determinismE0ELb0ELb0ES3_PKS6_PS6_S6_ZZZN2at6native31launch_logcumsumexp_cuda_kernelERKNSD_10TensorBaseESH_lENKUlvE_clEvENKUlvE3_clEvEUlS6_S6_E_S6_EEDaPvRmT3_T4_T5_mT6_P12ihipStream_tbENKUlT_T0_E_clISt17integral_constantIbLb1EESX_IbLb0EEEEDaST_SU_EUlST_E_NS1_11comp_targetILNS1_3genE2ELNS1_11target_archE906ELNS1_3gpuE6ELNS1_3repE0EEENS1_30default_config_static_selectorELNS0_4arch9wavefront6targetE1EEEvT1_
; %bb.0:
	.section	.rodata,"a",@progbits
	.p2align	6, 0x0
	.amdhsa_kernel _ZN7rocprim17ROCPRIM_400000_NS6detail17trampoline_kernelINS0_14default_configENS1_20scan_config_selectorIN3c104HalfEEEZZNS1_9scan_implILNS1_25lookback_scan_determinismE0ELb0ELb0ES3_PKS6_PS6_S6_ZZZN2at6native31launch_logcumsumexp_cuda_kernelERKNSD_10TensorBaseESH_lENKUlvE_clEvENKUlvE3_clEvEUlS6_S6_E_S6_EEDaPvRmT3_T4_T5_mT6_P12ihipStream_tbENKUlT_T0_E_clISt17integral_constantIbLb1EESX_IbLb0EEEEDaST_SU_EUlST_E_NS1_11comp_targetILNS1_3genE2ELNS1_11target_archE906ELNS1_3gpuE6ELNS1_3repE0EEENS1_30default_config_static_selectorELNS0_4arch9wavefront6targetE1EEEvT1_
		.amdhsa_group_segment_fixed_size 0
		.amdhsa_private_segment_fixed_size 0
		.amdhsa_kernarg_size 96
		.amdhsa_user_sgpr_count 2
		.amdhsa_user_sgpr_dispatch_ptr 0
		.amdhsa_user_sgpr_queue_ptr 0
		.amdhsa_user_sgpr_kernarg_segment_ptr 1
		.amdhsa_user_sgpr_dispatch_id 0
		.amdhsa_user_sgpr_kernarg_preload_length 0
		.amdhsa_user_sgpr_kernarg_preload_offset 0
		.amdhsa_user_sgpr_private_segment_size 0
		.amdhsa_uses_dynamic_stack 0
		.amdhsa_enable_private_segment 0
		.amdhsa_system_sgpr_workgroup_id_x 1
		.amdhsa_system_sgpr_workgroup_id_y 0
		.amdhsa_system_sgpr_workgroup_id_z 0
		.amdhsa_system_sgpr_workgroup_info 0
		.amdhsa_system_vgpr_workitem_id 0
		.amdhsa_next_free_vgpr 1
		.amdhsa_next_free_sgpr 0
		.amdhsa_accum_offset 4
		.amdhsa_reserve_vcc 0
		.amdhsa_float_round_mode_32 0
		.amdhsa_float_round_mode_16_64 0
		.amdhsa_float_denorm_mode_32 3
		.amdhsa_float_denorm_mode_16_64 3
		.amdhsa_dx10_clamp 1
		.amdhsa_ieee_mode 1
		.amdhsa_fp16_overflow 0
		.amdhsa_tg_split 0
		.amdhsa_exception_fp_ieee_invalid_op 0
		.amdhsa_exception_fp_denorm_src 0
		.amdhsa_exception_fp_ieee_div_zero 0
		.amdhsa_exception_fp_ieee_overflow 0
		.amdhsa_exception_fp_ieee_underflow 0
		.amdhsa_exception_fp_ieee_inexact 0
		.amdhsa_exception_int_div_zero 0
	.end_amdhsa_kernel
	.section	.text._ZN7rocprim17ROCPRIM_400000_NS6detail17trampoline_kernelINS0_14default_configENS1_20scan_config_selectorIN3c104HalfEEEZZNS1_9scan_implILNS1_25lookback_scan_determinismE0ELb0ELb0ES3_PKS6_PS6_S6_ZZZN2at6native31launch_logcumsumexp_cuda_kernelERKNSD_10TensorBaseESH_lENKUlvE_clEvENKUlvE3_clEvEUlS6_S6_E_S6_EEDaPvRmT3_T4_T5_mT6_P12ihipStream_tbENKUlT_T0_E_clISt17integral_constantIbLb1EESX_IbLb0EEEEDaST_SU_EUlST_E_NS1_11comp_targetILNS1_3genE2ELNS1_11target_archE906ELNS1_3gpuE6ELNS1_3repE0EEENS1_30default_config_static_selectorELNS0_4arch9wavefront6targetE1EEEvT1_,"axG",@progbits,_ZN7rocprim17ROCPRIM_400000_NS6detail17trampoline_kernelINS0_14default_configENS1_20scan_config_selectorIN3c104HalfEEEZZNS1_9scan_implILNS1_25lookback_scan_determinismE0ELb0ELb0ES3_PKS6_PS6_S6_ZZZN2at6native31launch_logcumsumexp_cuda_kernelERKNSD_10TensorBaseESH_lENKUlvE_clEvENKUlvE3_clEvEUlS6_S6_E_S6_EEDaPvRmT3_T4_T5_mT6_P12ihipStream_tbENKUlT_T0_E_clISt17integral_constantIbLb1EESX_IbLb0EEEEDaST_SU_EUlST_E_NS1_11comp_targetILNS1_3genE2ELNS1_11target_archE906ELNS1_3gpuE6ELNS1_3repE0EEENS1_30default_config_static_selectorELNS0_4arch9wavefront6targetE1EEEvT1_,comdat
.Lfunc_end401:
	.size	_ZN7rocprim17ROCPRIM_400000_NS6detail17trampoline_kernelINS0_14default_configENS1_20scan_config_selectorIN3c104HalfEEEZZNS1_9scan_implILNS1_25lookback_scan_determinismE0ELb0ELb0ES3_PKS6_PS6_S6_ZZZN2at6native31launch_logcumsumexp_cuda_kernelERKNSD_10TensorBaseESH_lENKUlvE_clEvENKUlvE3_clEvEUlS6_S6_E_S6_EEDaPvRmT3_T4_T5_mT6_P12ihipStream_tbENKUlT_T0_E_clISt17integral_constantIbLb1EESX_IbLb0EEEEDaST_SU_EUlST_E_NS1_11comp_targetILNS1_3genE2ELNS1_11target_archE906ELNS1_3gpuE6ELNS1_3repE0EEENS1_30default_config_static_selectorELNS0_4arch9wavefront6targetE1EEEvT1_, .Lfunc_end401-_ZN7rocprim17ROCPRIM_400000_NS6detail17trampoline_kernelINS0_14default_configENS1_20scan_config_selectorIN3c104HalfEEEZZNS1_9scan_implILNS1_25lookback_scan_determinismE0ELb0ELb0ES3_PKS6_PS6_S6_ZZZN2at6native31launch_logcumsumexp_cuda_kernelERKNSD_10TensorBaseESH_lENKUlvE_clEvENKUlvE3_clEvEUlS6_S6_E_S6_EEDaPvRmT3_T4_T5_mT6_P12ihipStream_tbENKUlT_T0_E_clISt17integral_constantIbLb1EESX_IbLb0EEEEDaST_SU_EUlST_E_NS1_11comp_targetILNS1_3genE2ELNS1_11target_archE906ELNS1_3gpuE6ELNS1_3repE0EEENS1_30default_config_static_selectorELNS0_4arch9wavefront6targetE1EEEvT1_
                                        ; -- End function
	.set _ZN7rocprim17ROCPRIM_400000_NS6detail17trampoline_kernelINS0_14default_configENS1_20scan_config_selectorIN3c104HalfEEEZZNS1_9scan_implILNS1_25lookback_scan_determinismE0ELb0ELb0ES3_PKS6_PS6_S6_ZZZN2at6native31launch_logcumsumexp_cuda_kernelERKNSD_10TensorBaseESH_lENKUlvE_clEvENKUlvE3_clEvEUlS6_S6_E_S6_EEDaPvRmT3_T4_T5_mT6_P12ihipStream_tbENKUlT_T0_E_clISt17integral_constantIbLb1EESX_IbLb0EEEEDaST_SU_EUlST_E_NS1_11comp_targetILNS1_3genE2ELNS1_11target_archE906ELNS1_3gpuE6ELNS1_3repE0EEENS1_30default_config_static_selectorELNS0_4arch9wavefront6targetE1EEEvT1_.num_vgpr, 0
	.set _ZN7rocprim17ROCPRIM_400000_NS6detail17trampoline_kernelINS0_14default_configENS1_20scan_config_selectorIN3c104HalfEEEZZNS1_9scan_implILNS1_25lookback_scan_determinismE0ELb0ELb0ES3_PKS6_PS6_S6_ZZZN2at6native31launch_logcumsumexp_cuda_kernelERKNSD_10TensorBaseESH_lENKUlvE_clEvENKUlvE3_clEvEUlS6_S6_E_S6_EEDaPvRmT3_T4_T5_mT6_P12ihipStream_tbENKUlT_T0_E_clISt17integral_constantIbLb1EESX_IbLb0EEEEDaST_SU_EUlST_E_NS1_11comp_targetILNS1_3genE2ELNS1_11target_archE906ELNS1_3gpuE6ELNS1_3repE0EEENS1_30default_config_static_selectorELNS0_4arch9wavefront6targetE1EEEvT1_.num_agpr, 0
	.set _ZN7rocprim17ROCPRIM_400000_NS6detail17trampoline_kernelINS0_14default_configENS1_20scan_config_selectorIN3c104HalfEEEZZNS1_9scan_implILNS1_25lookback_scan_determinismE0ELb0ELb0ES3_PKS6_PS6_S6_ZZZN2at6native31launch_logcumsumexp_cuda_kernelERKNSD_10TensorBaseESH_lENKUlvE_clEvENKUlvE3_clEvEUlS6_S6_E_S6_EEDaPvRmT3_T4_T5_mT6_P12ihipStream_tbENKUlT_T0_E_clISt17integral_constantIbLb1EESX_IbLb0EEEEDaST_SU_EUlST_E_NS1_11comp_targetILNS1_3genE2ELNS1_11target_archE906ELNS1_3gpuE6ELNS1_3repE0EEENS1_30default_config_static_selectorELNS0_4arch9wavefront6targetE1EEEvT1_.numbered_sgpr, 0
	.set _ZN7rocprim17ROCPRIM_400000_NS6detail17trampoline_kernelINS0_14default_configENS1_20scan_config_selectorIN3c104HalfEEEZZNS1_9scan_implILNS1_25lookback_scan_determinismE0ELb0ELb0ES3_PKS6_PS6_S6_ZZZN2at6native31launch_logcumsumexp_cuda_kernelERKNSD_10TensorBaseESH_lENKUlvE_clEvENKUlvE3_clEvEUlS6_S6_E_S6_EEDaPvRmT3_T4_T5_mT6_P12ihipStream_tbENKUlT_T0_E_clISt17integral_constantIbLb1EESX_IbLb0EEEEDaST_SU_EUlST_E_NS1_11comp_targetILNS1_3genE2ELNS1_11target_archE906ELNS1_3gpuE6ELNS1_3repE0EEENS1_30default_config_static_selectorELNS0_4arch9wavefront6targetE1EEEvT1_.num_named_barrier, 0
	.set _ZN7rocprim17ROCPRIM_400000_NS6detail17trampoline_kernelINS0_14default_configENS1_20scan_config_selectorIN3c104HalfEEEZZNS1_9scan_implILNS1_25lookback_scan_determinismE0ELb0ELb0ES3_PKS6_PS6_S6_ZZZN2at6native31launch_logcumsumexp_cuda_kernelERKNSD_10TensorBaseESH_lENKUlvE_clEvENKUlvE3_clEvEUlS6_S6_E_S6_EEDaPvRmT3_T4_T5_mT6_P12ihipStream_tbENKUlT_T0_E_clISt17integral_constantIbLb1EESX_IbLb0EEEEDaST_SU_EUlST_E_NS1_11comp_targetILNS1_3genE2ELNS1_11target_archE906ELNS1_3gpuE6ELNS1_3repE0EEENS1_30default_config_static_selectorELNS0_4arch9wavefront6targetE1EEEvT1_.private_seg_size, 0
	.set _ZN7rocprim17ROCPRIM_400000_NS6detail17trampoline_kernelINS0_14default_configENS1_20scan_config_selectorIN3c104HalfEEEZZNS1_9scan_implILNS1_25lookback_scan_determinismE0ELb0ELb0ES3_PKS6_PS6_S6_ZZZN2at6native31launch_logcumsumexp_cuda_kernelERKNSD_10TensorBaseESH_lENKUlvE_clEvENKUlvE3_clEvEUlS6_S6_E_S6_EEDaPvRmT3_T4_T5_mT6_P12ihipStream_tbENKUlT_T0_E_clISt17integral_constantIbLb1EESX_IbLb0EEEEDaST_SU_EUlST_E_NS1_11comp_targetILNS1_3genE2ELNS1_11target_archE906ELNS1_3gpuE6ELNS1_3repE0EEENS1_30default_config_static_selectorELNS0_4arch9wavefront6targetE1EEEvT1_.uses_vcc, 0
	.set _ZN7rocprim17ROCPRIM_400000_NS6detail17trampoline_kernelINS0_14default_configENS1_20scan_config_selectorIN3c104HalfEEEZZNS1_9scan_implILNS1_25lookback_scan_determinismE0ELb0ELb0ES3_PKS6_PS6_S6_ZZZN2at6native31launch_logcumsumexp_cuda_kernelERKNSD_10TensorBaseESH_lENKUlvE_clEvENKUlvE3_clEvEUlS6_S6_E_S6_EEDaPvRmT3_T4_T5_mT6_P12ihipStream_tbENKUlT_T0_E_clISt17integral_constantIbLb1EESX_IbLb0EEEEDaST_SU_EUlST_E_NS1_11comp_targetILNS1_3genE2ELNS1_11target_archE906ELNS1_3gpuE6ELNS1_3repE0EEENS1_30default_config_static_selectorELNS0_4arch9wavefront6targetE1EEEvT1_.uses_flat_scratch, 0
	.set _ZN7rocprim17ROCPRIM_400000_NS6detail17trampoline_kernelINS0_14default_configENS1_20scan_config_selectorIN3c104HalfEEEZZNS1_9scan_implILNS1_25lookback_scan_determinismE0ELb0ELb0ES3_PKS6_PS6_S6_ZZZN2at6native31launch_logcumsumexp_cuda_kernelERKNSD_10TensorBaseESH_lENKUlvE_clEvENKUlvE3_clEvEUlS6_S6_E_S6_EEDaPvRmT3_T4_T5_mT6_P12ihipStream_tbENKUlT_T0_E_clISt17integral_constantIbLb1EESX_IbLb0EEEEDaST_SU_EUlST_E_NS1_11comp_targetILNS1_3genE2ELNS1_11target_archE906ELNS1_3gpuE6ELNS1_3repE0EEENS1_30default_config_static_selectorELNS0_4arch9wavefront6targetE1EEEvT1_.has_dyn_sized_stack, 0
	.set _ZN7rocprim17ROCPRIM_400000_NS6detail17trampoline_kernelINS0_14default_configENS1_20scan_config_selectorIN3c104HalfEEEZZNS1_9scan_implILNS1_25lookback_scan_determinismE0ELb0ELb0ES3_PKS6_PS6_S6_ZZZN2at6native31launch_logcumsumexp_cuda_kernelERKNSD_10TensorBaseESH_lENKUlvE_clEvENKUlvE3_clEvEUlS6_S6_E_S6_EEDaPvRmT3_T4_T5_mT6_P12ihipStream_tbENKUlT_T0_E_clISt17integral_constantIbLb1EESX_IbLb0EEEEDaST_SU_EUlST_E_NS1_11comp_targetILNS1_3genE2ELNS1_11target_archE906ELNS1_3gpuE6ELNS1_3repE0EEENS1_30default_config_static_selectorELNS0_4arch9wavefront6targetE1EEEvT1_.has_recursion, 0
	.set _ZN7rocprim17ROCPRIM_400000_NS6detail17trampoline_kernelINS0_14default_configENS1_20scan_config_selectorIN3c104HalfEEEZZNS1_9scan_implILNS1_25lookback_scan_determinismE0ELb0ELb0ES3_PKS6_PS6_S6_ZZZN2at6native31launch_logcumsumexp_cuda_kernelERKNSD_10TensorBaseESH_lENKUlvE_clEvENKUlvE3_clEvEUlS6_S6_E_S6_EEDaPvRmT3_T4_T5_mT6_P12ihipStream_tbENKUlT_T0_E_clISt17integral_constantIbLb1EESX_IbLb0EEEEDaST_SU_EUlST_E_NS1_11comp_targetILNS1_3genE2ELNS1_11target_archE906ELNS1_3gpuE6ELNS1_3repE0EEENS1_30default_config_static_selectorELNS0_4arch9wavefront6targetE1EEEvT1_.has_indirect_call, 0
	.section	.AMDGPU.csdata,"",@progbits
; Kernel info:
; codeLenInByte = 0
; TotalNumSgprs: 6
; NumVgprs: 0
; NumAgprs: 0
; TotalNumVgprs: 0
; ScratchSize: 0
; MemoryBound: 0
; FloatMode: 240
; IeeeMode: 1
; LDSByteSize: 0 bytes/workgroup (compile time only)
; SGPRBlocks: 0
; VGPRBlocks: 0
; NumSGPRsForWavesPerEU: 6
; NumVGPRsForWavesPerEU: 1
; AccumOffset: 4
; Occupancy: 8
; WaveLimiterHint : 0
; COMPUTE_PGM_RSRC2:SCRATCH_EN: 0
; COMPUTE_PGM_RSRC2:USER_SGPR: 2
; COMPUTE_PGM_RSRC2:TRAP_HANDLER: 0
; COMPUTE_PGM_RSRC2:TGID_X_EN: 1
; COMPUTE_PGM_RSRC2:TGID_Y_EN: 0
; COMPUTE_PGM_RSRC2:TGID_Z_EN: 0
; COMPUTE_PGM_RSRC2:TIDIG_COMP_CNT: 0
; COMPUTE_PGM_RSRC3_GFX90A:ACCUM_OFFSET: 0
; COMPUTE_PGM_RSRC3_GFX90A:TG_SPLIT: 0
	.section	.text._ZN7rocprim17ROCPRIM_400000_NS6detail17trampoline_kernelINS0_14default_configENS1_20scan_config_selectorIN3c104HalfEEEZZNS1_9scan_implILNS1_25lookback_scan_determinismE0ELb0ELb0ES3_PKS6_PS6_S6_ZZZN2at6native31launch_logcumsumexp_cuda_kernelERKNSD_10TensorBaseESH_lENKUlvE_clEvENKUlvE3_clEvEUlS6_S6_E_S6_EEDaPvRmT3_T4_T5_mT6_P12ihipStream_tbENKUlT_T0_E_clISt17integral_constantIbLb1EESX_IbLb0EEEEDaST_SU_EUlST_E_NS1_11comp_targetILNS1_3genE10ELNS1_11target_archE1201ELNS1_3gpuE5ELNS1_3repE0EEENS1_30default_config_static_selectorELNS0_4arch9wavefront6targetE1EEEvT1_,"axG",@progbits,_ZN7rocprim17ROCPRIM_400000_NS6detail17trampoline_kernelINS0_14default_configENS1_20scan_config_selectorIN3c104HalfEEEZZNS1_9scan_implILNS1_25lookback_scan_determinismE0ELb0ELb0ES3_PKS6_PS6_S6_ZZZN2at6native31launch_logcumsumexp_cuda_kernelERKNSD_10TensorBaseESH_lENKUlvE_clEvENKUlvE3_clEvEUlS6_S6_E_S6_EEDaPvRmT3_T4_T5_mT6_P12ihipStream_tbENKUlT_T0_E_clISt17integral_constantIbLb1EESX_IbLb0EEEEDaST_SU_EUlST_E_NS1_11comp_targetILNS1_3genE10ELNS1_11target_archE1201ELNS1_3gpuE5ELNS1_3repE0EEENS1_30default_config_static_selectorELNS0_4arch9wavefront6targetE1EEEvT1_,comdat
	.globl	_ZN7rocprim17ROCPRIM_400000_NS6detail17trampoline_kernelINS0_14default_configENS1_20scan_config_selectorIN3c104HalfEEEZZNS1_9scan_implILNS1_25lookback_scan_determinismE0ELb0ELb0ES3_PKS6_PS6_S6_ZZZN2at6native31launch_logcumsumexp_cuda_kernelERKNSD_10TensorBaseESH_lENKUlvE_clEvENKUlvE3_clEvEUlS6_S6_E_S6_EEDaPvRmT3_T4_T5_mT6_P12ihipStream_tbENKUlT_T0_E_clISt17integral_constantIbLb1EESX_IbLb0EEEEDaST_SU_EUlST_E_NS1_11comp_targetILNS1_3genE10ELNS1_11target_archE1201ELNS1_3gpuE5ELNS1_3repE0EEENS1_30default_config_static_selectorELNS0_4arch9wavefront6targetE1EEEvT1_ ; -- Begin function _ZN7rocprim17ROCPRIM_400000_NS6detail17trampoline_kernelINS0_14default_configENS1_20scan_config_selectorIN3c104HalfEEEZZNS1_9scan_implILNS1_25lookback_scan_determinismE0ELb0ELb0ES3_PKS6_PS6_S6_ZZZN2at6native31launch_logcumsumexp_cuda_kernelERKNSD_10TensorBaseESH_lENKUlvE_clEvENKUlvE3_clEvEUlS6_S6_E_S6_EEDaPvRmT3_T4_T5_mT6_P12ihipStream_tbENKUlT_T0_E_clISt17integral_constantIbLb1EESX_IbLb0EEEEDaST_SU_EUlST_E_NS1_11comp_targetILNS1_3genE10ELNS1_11target_archE1201ELNS1_3gpuE5ELNS1_3repE0EEENS1_30default_config_static_selectorELNS0_4arch9wavefront6targetE1EEEvT1_
	.p2align	8
	.type	_ZN7rocprim17ROCPRIM_400000_NS6detail17trampoline_kernelINS0_14default_configENS1_20scan_config_selectorIN3c104HalfEEEZZNS1_9scan_implILNS1_25lookback_scan_determinismE0ELb0ELb0ES3_PKS6_PS6_S6_ZZZN2at6native31launch_logcumsumexp_cuda_kernelERKNSD_10TensorBaseESH_lENKUlvE_clEvENKUlvE3_clEvEUlS6_S6_E_S6_EEDaPvRmT3_T4_T5_mT6_P12ihipStream_tbENKUlT_T0_E_clISt17integral_constantIbLb1EESX_IbLb0EEEEDaST_SU_EUlST_E_NS1_11comp_targetILNS1_3genE10ELNS1_11target_archE1201ELNS1_3gpuE5ELNS1_3repE0EEENS1_30default_config_static_selectorELNS0_4arch9wavefront6targetE1EEEvT1_,@function
_ZN7rocprim17ROCPRIM_400000_NS6detail17trampoline_kernelINS0_14default_configENS1_20scan_config_selectorIN3c104HalfEEEZZNS1_9scan_implILNS1_25lookback_scan_determinismE0ELb0ELb0ES3_PKS6_PS6_S6_ZZZN2at6native31launch_logcumsumexp_cuda_kernelERKNSD_10TensorBaseESH_lENKUlvE_clEvENKUlvE3_clEvEUlS6_S6_E_S6_EEDaPvRmT3_T4_T5_mT6_P12ihipStream_tbENKUlT_T0_E_clISt17integral_constantIbLb1EESX_IbLb0EEEEDaST_SU_EUlST_E_NS1_11comp_targetILNS1_3genE10ELNS1_11target_archE1201ELNS1_3gpuE5ELNS1_3repE0EEENS1_30default_config_static_selectorELNS0_4arch9wavefront6targetE1EEEvT1_: ; @_ZN7rocprim17ROCPRIM_400000_NS6detail17trampoline_kernelINS0_14default_configENS1_20scan_config_selectorIN3c104HalfEEEZZNS1_9scan_implILNS1_25lookback_scan_determinismE0ELb0ELb0ES3_PKS6_PS6_S6_ZZZN2at6native31launch_logcumsumexp_cuda_kernelERKNSD_10TensorBaseESH_lENKUlvE_clEvENKUlvE3_clEvEUlS6_S6_E_S6_EEDaPvRmT3_T4_T5_mT6_P12ihipStream_tbENKUlT_T0_E_clISt17integral_constantIbLb1EESX_IbLb0EEEEDaST_SU_EUlST_E_NS1_11comp_targetILNS1_3genE10ELNS1_11target_archE1201ELNS1_3gpuE5ELNS1_3repE0EEENS1_30default_config_static_selectorELNS0_4arch9wavefront6targetE1EEEvT1_
; %bb.0:
	.section	.rodata,"a",@progbits
	.p2align	6, 0x0
	.amdhsa_kernel _ZN7rocprim17ROCPRIM_400000_NS6detail17trampoline_kernelINS0_14default_configENS1_20scan_config_selectorIN3c104HalfEEEZZNS1_9scan_implILNS1_25lookback_scan_determinismE0ELb0ELb0ES3_PKS6_PS6_S6_ZZZN2at6native31launch_logcumsumexp_cuda_kernelERKNSD_10TensorBaseESH_lENKUlvE_clEvENKUlvE3_clEvEUlS6_S6_E_S6_EEDaPvRmT3_T4_T5_mT6_P12ihipStream_tbENKUlT_T0_E_clISt17integral_constantIbLb1EESX_IbLb0EEEEDaST_SU_EUlST_E_NS1_11comp_targetILNS1_3genE10ELNS1_11target_archE1201ELNS1_3gpuE5ELNS1_3repE0EEENS1_30default_config_static_selectorELNS0_4arch9wavefront6targetE1EEEvT1_
		.amdhsa_group_segment_fixed_size 0
		.amdhsa_private_segment_fixed_size 0
		.amdhsa_kernarg_size 96
		.amdhsa_user_sgpr_count 2
		.amdhsa_user_sgpr_dispatch_ptr 0
		.amdhsa_user_sgpr_queue_ptr 0
		.amdhsa_user_sgpr_kernarg_segment_ptr 1
		.amdhsa_user_sgpr_dispatch_id 0
		.amdhsa_user_sgpr_kernarg_preload_length 0
		.amdhsa_user_sgpr_kernarg_preload_offset 0
		.amdhsa_user_sgpr_private_segment_size 0
		.amdhsa_uses_dynamic_stack 0
		.amdhsa_enable_private_segment 0
		.amdhsa_system_sgpr_workgroup_id_x 1
		.amdhsa_system_sgpr_workgroup_id_y 0
		.amdhsa_system_sgpr_workgroup_id_z 0
		.amdhsa_system_sgpr_workgroup_info 0
		.amdhsa_system_vgpr_workitem_id 0
		.amdhsa_next_free_vgpr 1
		.amdhsa_next_free_sgpr 0
		.amdhsa_accum_offset 4
		.amdhsa_reserve_vcc 0
		.amdhsa_float_round_mode_32 0
		.amdhsa_float_round_mode_16_64 0
		.amdhsa_float_denorm_mode_32 3
		.amdhsa_float_denorm_mode_16_64 3
		.amdhsa_dx10_clamp 1
		.amdhsa_ieee_mode 1
		.amdhsa_fp16_overflow 0
		.amdhsa_tg_split 0
		.amdhsa_exception_fp_ieee_invalid_op 0
		.amdhsa_exception_fp_denorm_src 0
		.amdhsa_exception_fp_ieee_div_zero 0
		.amdhsa_exception_fp_ieee_overflow 0
		.amdhsa_exception_fp_ieee_underflow 0
		.amdhsa_exception_fp_ieee_inexact 0
		.amdhsa_exception_int_div_zero 0
	.end_amdhsa_kernel
	.section	.text._ZN7rocprim17ROCPRIM_400000_NS6detail17trampoline_kernelINS0_14default_configENS1_20scan_config_selectorIN3c104HalfEEEZZNS1_9scan_implILNS1_25lookback_scan_determinismE0ELb0ELb0ES3_PKS6_PS6_S6_ZZZN2at6native31launch_logcumsumexp_cuda_kernelERKNSD_10TensorBaseESH_lENKUlvE_clEvENKUlvE3_clEvEUlS6_S6_E_S6_EEDaPvRmT3_T4_T5_mT6_P12ihipStream_tbENKUlT_T0_E_clISt17integral_constantIbLb1EESX_IbLb0EEEEDaST_SU_EUlST_E_NS1_11comp_targetILNS1_3genE10ELNS1_11target_archE1201ELNS1_3gpuE5ELNS1_3repE0EEENS1_30default_config_static_selectorELNS0_4arch9wavefront6targetE1EEEvT1_,"axG",@progbits,_ZN7rocprim17ROCPRIM_400000_NS6detail17trampoline_kernelINS0_14default_configENS1_20scan_config_selectorIN3c104HalfEEEZZNS1_9scan_implILNS1_25lookback_scan_determinismE0ELb0ELb0ES3_PKS6_PS6_S6_ZZZN2at6native31launch_logcumsumexp_cuda_kernelERKNSD_10TensorBaseESH_lENKUlvE_clEvENKUlvE3_clEvEUlS6_S6_E_S6_EEDaPvRmT3_T4_T5_mT6_P12ihipStream_tbENKUlT_T0_E_clISt17integral_constantIbLb1EESX_IbLb0EEEEDaST_SU_EUlST_E_NS1_11comp_targetILNS1_3genE10ELNS1_11target_archE1201ELNS1_3gpuE5ELNS1_3repE0EEENS1_30default_config_static_selectorELNS0_4arch9wavefront6targetE1EEEvT1_,comdat
.Lfunc_end402:
	.size	_ZN7rocprim17ROCPRIM_400000_NS6detail17trampoline_kernelINS0_14default_configENS1_20scan_config_selectorIN3c104HalfEEEZZNS1_9scan_implILNS1_25lookback_scan_determinismE0ELb0ELb0ES3_PKS6_PS6_S6_ZZZN2at6native31launch_logcumsumexp_cuda_kernelERKNSD_10TensorBaseESH_lENKUlvE_clEvENKUlvE3_clEvEUlS6_S6_E_S6_EEDaPvRmT3_T4_T5_mT6_P12ihipStream_tbENKUlT_T0_E_clISt17integral_constantIbLb1EESX_IbLb0EEEEDaST_SU_EUlST_E_NS1_11comp_targetILNS1_3genE10ELNS1_11target_archE1201ELNS1_3gpuE5ELNS1_3repE0EEENS1_30default_config_static_selectorELNS0_4arch9wavefront6targetE1EEEvT1_, .Lfunc_end402-_ZN7rocprim17ROCPRIM_400000_NS6detail17trampoline_kernelINS0_14default_configENS1_20scan_config_selectorIN3c104HalfEEEZZNS1_9scan_implILNS1_25lookback_scan_determinismE0ELb0ELb0ES3_PKS6_PS6_S6_ZZZN2at6native31launch_logcumsumexp_cuda_kernelERKNSD_10TensorBaseESH_lENKUlvE_clEvENKUlvE3_clEvEUlS6_S6_E_S6_EEDaPvRmT3_T4_T5_mT6_P12ihipStream_tbENKUlT_T0_E_clISt17integral_constantIbLb1EESX_IbLb0EEEEDaST_SU_EUlST_E_NS1_11comp_targetILNS1_3genE10ELNS1_11target_archE1201ELNS1_3gpuE5ELNS1_3repE0EEENS1_30default_config_static_selectorELNS0_4arch9wavefront6targetE1EEEvT1_
                                        ; -- End function
	.set _ZN7rocprim17ROCPRIM_400000_NS6detail17trampoline_kernelINS0_14default_configENS1_20scan_config_selectorIN3c104HalfEEEZZNS1_9scan_implILNS1_25lookback_scan_determinismE0ELb0ELb0ES3_PKS6_PS6_S6_ZZZN2at6native31launch_logcumsumexp_cuda_kernelERKNSD_10TensorBaseESH_lENKUlvE_clEvENKUlvE3_clEvEUlS6_S6_E_S6_EEDaPvRmT3_T4_T5_mT6_P12ihipStream_tbENKUlT_T0_E_clISt17integral_constantIbLb1EESX_IbLb0EEEEDaST_SU_EUlST_E_NS1_11comp_targetILNS1_3genE10ELNS1_11target_archE1201ELNS1_3gpuE5ELNS1_3repE0EEENS1_30default_config_static_selectorELNS0_4arch9wavefront6targetE1EEEvT1_.num_vgpr, 0
	.set _ZN7rocprim17ROCPRIM_400000_NS6detail17trampoline_kernelINS0_14default_configENS1_20scan_config_selectorIN3c104HalfEEEZZNS1_9scan_implILNS1_25lookback_scan_determinismE0ELb0ELb0ES3_PKS6_PS6_S6_ZZZN2at6native31launch_logcumsumexp_cuda_kernelERKNSD_10TensorBaseESH_lENKUlvE_clEvENKUlvE3_clEvEUlS6_S6_E_S6_EEDaPvRmT3_T4_T5_mT6_P12ihipStream_tbENKUlT_T0_E_clISt17integral_constantIbLb1EESX_IbLb0EEEEDaST_SU_EUlST_E_NS1_11comp_targetILNS1_3genE10ELNS1_11target_archE1201ELNS1_3gpuE5ELNS1_3repE0EEENS1_30default_config_static_selectorELNS0_4arch9wavefront6targetE1EEEvT1_.num_agpr, 0
	.set _ZN7rocprim17ROCPRIM_400000_NS6detail17trampoline_kernelINS0_14default_configENS1_20scan_config_selectorIN3c104HalfEEEZZNS1_9scan_implILNS1_25lookback_scan_determinismE0ELb0ELb0ES3_PKS6_PS6_S6_ZZZN2at6native31launch_logcumsumexp_cuda_kernelERKNSD_10TensorBaseESH_lENKUlvE_clEvENKUlvE3_clEvEUlS6_S6_E_S6_EEDaPvRmT3_T4_T5_mT6_P12ihipStream_tbENKUlT_T0_E_clISt17integral_constantIbLb1EESX_IbLb0EEEEDaST_SU_EUlST_E_NS1_11comp_targetILNS1_3genE10ELNS1_11target_archE1201ELNS1_3gpuE5ELNS1_3repE0EEENS1_30default_config_static_selectorELNS0_4arch9wavefront6targetE1EEEvT1_.numbered_sgpr, 0
	.set _ZN7rocprim17ROCPRIM_400000_NS6detail17trampoline_kernelINS0_14default_configENS1_20scan_config_selectorIN3c104HalfEEEZZNS1_9scan_implILNS1_25lookback_scan_determinismE0ELb0ELb0ES3_PKS6_PS6_S6_ZZZN2at6native31launch_logcumsumexp_cuda_kernelERKNSD_10TensorBaseESH_lENKUlvE_clEvENKUlvE3_clEvEUlS6_S6_E_S6_EEDaPvRmT3_T4_T5_mT6_P12ihipStream_tbENKUlT_T0_E_clISt17integral_constantIbLb1EESX_IbLb0EEEEDaST_SU_EUlST_E_NS1_11comp_targetILNS1_3genE10ELNS1_11target_archE1201ELNS1_3gpuE5ELNS1_3repE0EEENS1_30default_config_static_selectorELNS0_4arch9wavefront6targetE1EEEvT1_.num_named_barrier, 0
	.set _ZN7rocprim17ROCPRIM_400000_NS6detail17trampoline_kernelINS0_14default_configENS1_20scan_config_selectorIN3c104HalfEEEZZNS1_9scan_implILNS1_25lookback_scan_determinismE0ELb0ELb0ES3_PKS6_PS6_S6_ZZZN2at6native31launch_logcumsumexp_cuda_kernelERKNSD_10TensorBaseESH_lENKUlvE_clEvENKUlvE3_clEvEUlS6_S6_E_S6_EEDaPvRmT3_T4_T5_mT6_P12ihipStream_tbENKUlT_T0_E_clISt17integral_constantIbLb1EESX_IbLb0EEEEDaST_SU_EUlST_E_NS1_11comp_targetILNS1_3genE10ELNS1_11target_archE1201ELNS1_3gpuE5ELNS1_3repE0EEENS1_30default_config_static_selectorELNS0_4arch9wavefront6targetE1EEEvT1_.private_seg_size, 0
	.set _ZN7rocprim17ROCPRIM_400000_NS6detail17trampoline_kernelINS0_14default_configENS1_20scan_config_selectorIN3c104HalfEEEZZNS1_9scan_implILNS1_25lookback_scan_determinismE0ELb0ELb0ES3_PKS6_PS6_S6_ZZZN2at6native31launch_logcumsumexp_cuda_kernelERKNSD_10TensorBaseESH_lENKUlvE_clEvENKUlvE3_clEvEUlS6_S6_E_S6_EEDaPvRmT3_T4_T5_mT6_P12ihipStream_tbENKUlT_T0_E_clISt17integral_constantIbLb1EESX_IbLb0EEEEDaST_SU_EUlST_E_NS1_11comp_targetILNS1_3genE10ELNS1_11target_archE1201ELNS1_3gpuE5ELNS1_3repE0EEENS1_30default_config_static_selectorELNS0_4arch9wavefront6targetE1EEEvT1_.uses_vcc, 0
	.set _ZN7rocprim17ROCPRIM_400000_NS6detail17trampoline_kernelINS0_14default_configENS1_20scan_config_selectorIN3c104HalfEEEZZNS1_9scan_implILNS1_25lookback_scan_determinismE0ELb0ELb0ES3_PKS6_PS6_S6_ZZZN2at6native31launch_logcumsumexp_cuda_kernelERKNSD_10TensorBaseESH_lENKUlvE_clEvENKUlvE3_clEvEUlS6_S6_E_S6_EEDaPvRmT3_T4_T5_mT6_P12ihipStream_tbENKUlT_T0_E_clISt17integral_constantIbLb1EESX_IbLb0EEEEDaST_SU_EUlST_E_NS1_11comp_targetILNS1_3genE10ELNS1_11target_archE1201ELNS1_3gpuE5ELNS1_3repE0EEENS1_30default_config_static_selectorELNS0_4arch9wavefront6targetE1EEEvT1_.uses_flat_scratch, 0
	.set _ZN7rocprim17ROCPRIM_400000_NS6detail17trampoline_kernelINS0_14default_configENS1_20scan_config_selectorIN3c104HalfEEEZZNS1_9scan_implILNS1_25lookback_scan_determinismE0ELb0ELb0ES3_PKS6_PS6_S6_ZZZN2at6native31launch_logcumsumexp_cuda_kernelERKNSD_10TensorBaseESH_lENKUlvE_clEvENKUlvE3_clEvEUlS6_S6_E_S6_EEDaPvRmT3_T4_T5_mT6_P12ihipStream_tbENKUlT_T0_E_clISt17integral_constantIbLb1EESX_IbLb0EEEEDaST_SU_EUlST_E_NS1_11comp_targetILNS1_3genE10ELNS1_11target_archE1201ELNS1_3gpuE5ELNS1_3repE0EEENS1_30default_config_static_selectorELNS0_4arch9wavefront6targetE1EEEvT1_.has_dyn_sized_stack, 0
	.set _ZN7rocprim17ROCPRIM_400000_NS6detail17trampoline_kernelINS0_14default_configENS1_20scan_config_selectorIN3c104HalfEEEZZNS1_9scan_implILNS1_25lookback_scan_determinismE0ELb0ELb0ES3_PKS6_PS6_S6_ZZZN2at6native31launch_logcumsumexp_cuda_kernelERKNSD_10TensorBaseESH_lENKUlvE_clEvENKUlvE3_clEvEUlS6_S6_E_S6_EEDaPvRmT3_T4_T5_mT6_P12ihipStream_tbENKUlT_T0_E_clISt17integral_constantIbLb1EESX_IbLb0EEEEDaST_SU_EUlST_E_NS1_11comp_targetILNS1_3genE10ELNS1_11target_archE1201ELNS1_3gpuE5ELNS1_3repE0EEENS1_30default_config_static_selectorELNS0_4arch9wavefront6targetE1EEEvT1_.has_recursion, 0
	.set _ZN7rocprim17ROCPRIM_400000_NS6detail17trampoline_kernelINS0_14default_configENS1_20scan_config_selectorIN3c104HalfEEEZZNS1_9scan_implILNS1_25lookback_scan_determinismE0ELb0ELb0ES3_PKS6_PS6_S6_ZZZN2at6native31launch_logcumsumexp_cuda_kernelERKNSD_10TensorBaseESH_lENKUlvE_clEvENKUlvE3_clEvEUlS6_S6_E_S6_EEDaPvRmT3_T4_T5_mT6_P12ihipStream_tbENKUlT_T0_E_clISt17integral_constantIbLb1EESX_IbLb0EEEEDaST_SU_EUlST_E_NS1_11comp_targetILNS1_3genE10ELNS1_11target_archE1201ELNS1_3gpuE5ELNS1_3repE0EEENS1_30default_config_static_selectorELNS0_4arch9wavefront6targetE1EEEvT1_.has_indirect_call, 0
	.section	.AMDGPU.csdata,"",@progbits
; Kernel info:
; codeLenInByte = 0
; TotalNumSgprs: 6
; NumVgprs: 0
; NumAgprs: 0
; TotalNumVgprs: 0
; ScratchSize: 0
; MemoryBound: 0
; FloatMode: 240
; IeeeMode: 1
; LDSByteSize: 0 bytes/workgroup (compile time only)
; SGPRBlocks: 0
; VGPRBlocks: 0
; NumSGPRsForWavesPerEU: 6
; NumVGPRsForWavesPerEU: 1
; AccumOffset: 4
; Occupancy: 8
; WaveLimiterHint : 0
; COMPUTE_PGM_RSRC2:SCRATCH_EN: 0
; COMPUTE_PGM_RSRC2:USER_SGPR: 2
; COMPUTE_PGM_RSRC2:TRAP_HANDLER: 0
; COMPUTE_PGM_RSRC2:TGID_X_EN: 1
; COMPUTE_PGM_RSRC2:TGID_Y_EN: 0
; COMPUTE_PGM_RSRC2:TGID_Z_EN: 0
; COMPUTE_PGM_RSRC2:TIDIG_COMP_CNT: 0
; COMPUTE_PGM_RSRC3_GFX90A:ACCUM_OFFSET: 0
; COMPUTE_PGM_RSRC3_GFX90A:TG_SPLIT: 0
	.section	.text._ZN7rocprim17ROCPRIM_400000_NS6detail17trampoline_kernelINS0_14default_configENS1_20scan_config_selectorIN3c104HalfEEEZZNS1_9scan_implILNS1_25lookback_scan_determinismE0ELb0ELb0ES3_PKS6_PS6_S6_ZZZN2at6native31launch_logcumsumexp_cuda_kernelERKNSD_10TensorBaseESH_lENKUlvE_clEvENKUlvE3_clEvEUlS6_S6_E_S6_EEDaPvRmT3_T4_T5_mT6_P12ihipStream_tbENKUlT_T0_E_clISt17integral_constantIbLb1EESX_IbLb0EEEEDaST_SU_EUlST_E_NS1_11comp_targetILNS1_3genE10ELNS1_11target_archE1200ELNS1_3gpuE4ELNS1_3repE0EEENS1_30default_config_static_selectorELNS0_4arch9wavefront6targetE1EEEvT1_,"axG",@progbits,_ZN7rocprim17ROCPRIM_400000_NS6detail17trampoline_kernelINS0_14default_configENS1_20scan_config_selectorIN3c104HalfEEEZZNS1_9scan_implILNS1_25lookback_scan_determinismE0ELb0ELb0ES3_PKS6_PS6_S6_ZZZN2at6native31launch_logcumsumexp_cuda_kernelERKNSD_10TensorBaseESH_lENKUlvE_clEvENKUlvE3_clEvEUlS6_S6_E_S6_EEDaPvRmT3_T4_T5_mT6_P12ihipStream_tbENKUlT_T0_E_clISt17integral_constantIbLb1EESX_IbLb0EEEEDaST_SU_EUlST_E_NS1_11comp_targetILNS1_3genE10ELNS1_11target_archE1200ELNS1_3gpuE4ELNS1_3repE0EEENS1_30default_config_static_selectorELNS0_4arch9wavefront6targetE1EEEvT1_,comdat
	.globl	_ZN7rocprim17ROCPRIM_400000_NS6detail17trampoline_kernelINS0_14default_configENS1_20scan_config_selectorIN3c104HalfEEEZZNS1_9scan_implILNS1_25lookback_scan_determinismE0ELb0ELb0ES3_PKS6_PS6_S6_ZZZN2at6native31launch_logcumsumexp_cuda_kernelERKNSD_10TensorBaseESH_lENKUlvE_clEvENKUlvE3_clEvEUlS6_S6_E_S6_EEDaPvRmT3_T4_T5_mT6_P12ihipStream_tbENKUlT_T0_E_clISt17integral_constantIbLb1EESX_IbLb0EEEEDaST_SU_EUlST_E_NS1_11comp_targetILNS1_3genE10ELNS1_11target_archE1200ELNS1_3gpuE4ELNS1_3repE0EEENS1_30default_config_static_selectorELNS0_4arch9wavefront6targetE1EEEvT1_ ; -- Begin function _ZN7rocprim17ROCPRIM_400000_NS6detail17trampoline_kernelINS0_14default_configENS1_20scan_config_selectorIN3c104HalfEEEZZNS1_9scan_implILNS1_25lookback_scan_determinismE0ELb0ELb0ES3_PKS6_PS6_S6_ZZZN2at6native31launch_logcumsumexp_cuda_kernelERKNSD_10TensorBaseESH_lENKUlvE_clEvENKUlvE3_clEvEUlS6_S6_E_S6_EEDaPvRmT3_T4_T5_mT6_P12ihipStream_tbENKUlT_T0_E_clISt17integral_constantIbLb1EESX_IbLb0EEEEDaST_SU_EUlST_E_NS1_11comp_targetILNS1_3genE10ELNS1_11target_archE1200ELNS1_3gpuE4ELNS1_3repE0EEENS1_30default_config_static_selectorELNS0_4arch9wavefront6targetE1EEEvT1_
	.p2align	8
	.type	_ZN7rocprim17ROCPRIM_400000_NS6detail17trampoline_kernelINS0_14default_configENS1_20scan_config_selectorIN3c104HalfEEEZZNS1_9scan_implILNS1_25lookback_scan_determinismE0ELb0ELb0ES3_PKS6_PS6_S6_ZZZN2at6native31launch_logcumsumexp_cuda_kernelERKNSD_10TensorBaseESH_lENKUlvE_clEvENKUlvE3_clEvEUlS6_S6_E_S6_EEDaPvRmT3_T4_T5_mT6_P12ihipStream_tbENKUlT_T0_E_clISt17integral_constantIbLb1EESX_IbLb0EEEEDaST_SU_EUlST_E_NS1_11comp_targetILNS1_3genE10ELNS1_11target_archE1200ELNS1_3gpuE4ELNS1_3repE0EEENS1_30default_config_static_selectorELNS0_4arch9wavefront6targetE1EEEvT1_,@function
_ZN7rocprim17ROCPRIM_400000_NS6detail17trampoline_kernelINS0_14default_configENS1_20scan_config_selectorIN3c104HalfEEEZZNS1_9scan_implILNS1_25lookback_scan_determinismE0ELb0ELb0ES3_PKS6_PS6_S6_ZZZN2at6native31launch_logcumsumexp_cuda_kernelERKNSD_10TensorBaseESH_lENKUlvE_clEvENKUlvE3_clEvEUlS6_S6_E_S6_EEDaPvRmT3_T4_T5_mT6_P12ihipStream_tbENKUlT_T0_E_clISt17integral_constantIbLb1EESX_IbLb0EEEEDaST_SU_EUlST_E_NS1_11comp_targetILNS1_3genE10ELNS1_11target_archE1200ELNS1_3gpuE4ELNS1_3repE0EEENS1_30default_config_static_selectorELNS0_4arch9wavefront6targetE1EEEvT1_: ; @_ZN7rocprim17ROCPRIM_400000_NS6detail17trampoline_kernelINS0_14default_configENS1_20scan_config_selectorIN3c104HalfEEEZZNS1_9scan_implILNS1_25lookback_scan_determinismE0ELb0ELb0ES3_PKS6_PS6_S6_ZZZN2at6native31launch_logcumsumexp_cuda_kernelERKNSD_10TensorBaseESH_lENKUlvE_clEvENKUlvE3_clEvEUlS6_S6_E_S6_EEDaPvRmT3_T4_T5_mT6_P12ihipStream_tbENKUlT_T0_E_clISt17integral_constantIbLb1EESX_IbLb0EEEEDaST_SU_EUlST_E_NS1_11comp_targetILNS1_3genE10ELNS1_11target_archE1200ELNS1_3gpuE4ELNS1_3repE0EEENS1_30default_config_static_selectorELNS0_4arch9wavefront6targetE1EEEvT1_
; %bb.0:
	.section	.rodata,"a",@progbits
	.p2align	6, 0x0
	.amdhsa_kernel _ZN7rocprim17ROCPRIM_400000_NS6detail17trampoline_kernelINS0_14default_configENS1_20scan_config_selectorIN3c104HalfEEEZZNS1_9scan_implILNS1_25lookback_scan_determinismE0ELb0ELb0ES3_PKS6_PS6_S6_ZZZN2at6native31launch_logcumsumexp_cuda_kernelERKNSD_10TensorBaseESH_lENKUlvE_clEvENKUlvE3_clEvEUlS6_S6_E_S6_EEDaPvRmT3_T4_T5_mT6_P12ihipStream_tbENKUlT_T0_E_clISt17integral_constantIbLb1EESX_IbLb0EEEEDaST_SU_EUlST_E_NS1_11comp_targetILNS1_3genE10ELNS1_11target_archE1200ELNS1_3gpuE4ELNS1_3repE0EEENS1_30default_config_static_selectorELNS0_4arch9wavefront6targetE1EEEvT1_
		.amdhsa_group_segment_fixed_size 0
		.amdhsa_private_segment_fixed_size 0
		.amdhsa_kernarg_size 96
		.amdhsa_user_sgpr_count 2
		.amdhsa_user_sgpr_dispatch_ptr 0
		.amdhsa_user_sgpr_queue_ptr 0
		.amdhsa_user_sgpr_kernarg_segment_ptr 1
		.amdhsa_user_sgpr_dispatch_id 0
		.amdhsa_user_sgpr_kernarg_preload_length 0
		.amdhsa_user_sgpr_kernarg_preload_offset 0
		.amdhsa_user_sgpr_private_segment_size 0
		.amdhsa_uses_dynamic_stack 0
		.amdhsa_enable_private_segment 0
		.amdhsa_system_sgpr_workgroup_id_x 1
		.amdhsa_system_sgpr_workgroup_id_y 0
		.amdhsa_system_sgpr_workgroup_id_z 0
		.amdhsa_system_sgpr_workgroup_info 0
		.amdhsa_system_vgpr_workitem_id 0
		.amdhsa_next_free_vgpr 1
		.amdhsa_next_free_sgpr 0
		.amdhsa_accum_offset 4
		.amdhsa_reserve_vcc 0
		.amdhsa_float_round_mode_32 0
		.amdhsa_float_round_mode_16_64 0
		.amdhsa_float_denorm_mode_32 3
		.amdhsa_float_denorm_mode_16_64 3
		.amdhsa_dx10_clamp 1
		.amdhsa_ieee_mode 1
		.amdhsa_fp16_overflow 0
		.amdhsa_tg_split 0
		.amdhsa_exception_fp_ieee_invalid_op 0
		.amdhsa_exception_fp_denorm_src 0
		.amdhsa_exception_fp_ieee_div_zero 0
		.amdhsa_exception_fp_ieee_overflow 0
		.amdhsa_exception_fp_ieee_underflow 0
		.amdhsa_exception_fp_ieee_inexact 0
		.amdhsa_exception_int_div_zero 0
	.end_amdhsa_kernel
	.section	.text._ZN7rocprim17ROCPRIM_400000_NS6detail17trampoline_kernelINS0_14default_configENS1_20scan_config_selectorIN3c104HalfEEEZZNS1_9scan_implILNS1_25lookback_scan_determinismE0ELb0ELb0ES3_PKS6_PS6_S6_ZZZN2at6native31launch_logcumsumexp_cuda_kernelERKNSD_10TensorBaseESH_lENKUlvE_clEvENKUlvE3_clEvEUlS6_S6_E_S6_EEDaPvRmT3_T4_T5_mT6_P12ihipStream_tbENKUlT_T0_E_clISt17integral_constantIbLb1EESX_IbLb0EEEEDaST_SU_EUlST_E_NS1_11comp_targetILNS1_3genE10ELNS1_11target_archE1200ELNS1_3gpuE4ELNS1_3repE0EEENS1_30default_config_static_selectorELNS0_4arch9wavefront6targetE1EEEvT1_,"axG",@progbits,_ZN7rocprim17ROCPRIM_400000_NS6detail17trampoline_kernelINS0_14default_configENS1_20scan_config_selectorIN3c104HalfEEEZZNS1_9scan_implILNS1_25lookback_scan_determinismE0ELb0ELb0ES3_PKS6_PS6_S6_ZZZN2at6native31launch_logcumsumexp_cuda_kernelERKNSD_10TensorBaseESH_lENKUlvE_clEvENKUlvE3_clEvEUlS6_S6_E_S6_EEDaPvRmT3_T4_T5_mT6_P12ihipStream_tbENKUlT_T0_E_clISt17integral_constantIbLb1EESX_IbLb0EEEEDaST_SU_EUlST_E_NS1_11comp_targetILNS1_3genE10ELNS1_11target_archE1200ELNS1_3gpuE4ELNS1_3repE0EEENS1_30default_config_static_selectorELNS0_4arch9wavefront6targetE1EEEvT1_,comdat
.Lfunc_end403:
	.size	_ZN7rocprim17ROCPRIM_400000_NS6detail17trampoline_kernelINS0_14default_configENS1_20scan_config_selectorIN3c104HalfEEEZZNS1_9scan_implILNS1_25lookback_scan_determinismE0ELb0ELb0ES3_PKS6_PS6_S6_ZZZN2at6native31launch_logcumsumexp_cuda_kernelERKNSD_10TensorBaseESH_lENKUlvE_clEvENKUlvE3_clEvEUlS6_S6_E_S6_EEDaPvRmT3_T4_T5_mT6_P12ihipStream_tbENKUlT_T0_E_clISt17integral_constantIbLb1EESX_IbLb0EEEEDaST_SU_EUlST_E_NS1_11comp_targetILNS1_3genE10ELNS1_11target_archE1200ELNS1_3gpuE4ELNS1_3repE0EEENS1_30default_config_static_selectorELNS0_4arch9wavefront6targetE1EEEvT1_, .Lfunc_end403-_ZN7rocprim17ROCPRIM_400000_NS6detail17trampoline_kernelINS0_14default_configENS1_20scan_config_selectorIN3c104HalfEEEZZNS1_9scan_implILNS1_25lookback_scan_determinismE0ELb0ELb0ES3_PKS6_PS6_S6_ZZZN2at6native31launch_logcumsumexp_cuda_kernelERKNSD_10TensorBaseESH_lENKUlvE_clEvENKUlvE3_clEvEUlS6_S6_E_S6_EEDaPvRmT3_T4_T5_mT6_P12ihipStream_tbENKUlT_T0_E_clISt17integral_constantIbLb1EESX_IbLb0EEEEDaST_SU_EUlST_E_NS1_11comp_targetILNS1_3genE10ELNS1_11target_archE1200ELNS1_3gpuE4ELNS1_3repE0EEENS1_30default_config_static_selectorELNS0_4arch9wavefront6targetE1EEEvT1_
                                        ; -- End function
	.set _ZN7rocprim17ROCPRIM_400000_NS6detail17trampoline_kernelINS0_14default_configENS1_20scan_config_selectorIN3c104HalfEEEZZNS1_9scan_implILNS1_25lookback_scan_determinismE0ELb0ELb0ES3_PKS6_PS6_S6_ZZZN2at6native31launch_logcumsumexp_cuda_kernelERKNSD_10TensorBaseESH_lENKUlvE_clEvENKUlvE3_clEvEUlS6_S6_E_S6_EEDaPvRmT3_T4_T5_mT6_P12ihipStream_tbENKUlT_T0_E_clISt17integral_constantIbLb1EESX_IbLb0EEEEDaST_SU_EUlST_E_NS1_11comp_targetILNS1_3genE10ELNS1_11target_archE1200ELNS1_3gpuE4ELNS1_3repE0EEENS1_30default_config_static_selectorELNS0_4arch9wavefront6targetE1EEEvT1_.num_vgpr, 0
	.set _ZN7rocprim17ROCPRIM_400000_NS6detail17trampoline_kernelINS0_14default_configENS1_20scan_config_selectorIN3c104HalfEEEZZNS1_9scan_implILNS1_25lookback_scan_determinismE0ELb0ELb0ES3_PKS6_PS6_S6_ZZZN2at6native31launch_logcumsumexp_cuda_kernelERKNSD_10TensorBaseESH_lENKUlvE_clEvENKUlvE3_clEvEUlS6_S6_E_S6_EEDaPvRmT3_T4_T5_mT6_P12ihipStream_tbENKUlT_T0_E_clISt17integral_constantIbLb1EESX_IbLb0EEEEDaST_SU_EUlST_E_NS1_11comp_targetILNS1_3genE10ELNS1_11target_archE1200ELNS1_3gpuE4ELNS1_3repE0EEENS1_30default_config_static_selectorELNS0_4arch9wavefront6targetE1EEEvT1_.num_agpr, 0
	.set _ZN7rocprim17ROCPRIM_400000_NS6detail17trampoline_kernelINS0_14default_configENS1_20scan_config_selectorIN3c104HalfEEEZZNS1_9scan_implILNS1_25lookback_scan_determinismE0ELb0ELb0ES3_PKS6_PS6_S6_ZZZN2at6native31launch_logcumsumexp_cuda_kernelERKNSD_10TensorBaseESH_lENKUlvE_clEvENKUlvE3_clEvEUlS6_S6_E_S6_EEDaPvRmT3_T4_T5_mT6_P12ihipStream_tbENKUlT_T0_E_clISt17integral_constantIbLb1EESX_IbLb0EEEEDaST_SU_EUlST_E_NS1_11comp_targetILNS1_3genE10ELNS1_11target_archE1200ELNS1_3gpuE4ELNS1_3repE0EEENS1_30default_config_static_selectorELNS0_4arch9wavefront6targetE1EEEvT1_.numbered_sgpr, 0
	.set _ZN7rocprim17ROCPRIM_400000_NS6detail17trampoline_kernelINS0_14default_configENS1_20scan_config_selectorIN3c104HalfEEEZZNS1_9scan_implILNS1_25lookback_scan_determinismE0ELb0ELb0ES3_PKS6_PS6_S6_ZZZN2at6native31launch_logcumsumexp_cuda_kernelERKNSD_10TensorBaseESH_lENKUlvE_clEvENKUlvE3_clEvEUlS6_S6_E_S6_EEDaPvRmT3_T4_T5_mT6_P12ihipStream_tbENKUlT_T0_E_clISt17integral_constantIbLb1EESX_IbLb0EEEEDaST_SU_EUlST_E_NS1_11comp_targetILNS1_3genE10ELNS1_11target_archE1200ELNS1_3gpuE4ELNS1_3repE0EEENS1_30default_config_static_selectorELNS0_4arch9wavefront6targetE1EEEvT1_.num_named_barrier, 0
	.set _ZN7rocprim17ROCPRIM_400000_NS6detail17trampoline_kernelINS0_14default_configENS1_20scan_config_selectorIN3c104HalfEEEZZNS1_9scan_implILNS1_25lookback_scan_determinismE0ELb0ELb0ES3_PKS6_PS6_S6_ZZZN2at6native31launch_logcumsumexp_cuda_kernelERKNSD_10TensorBaseESH_lENKUlvE_clEvENKUlvE3_clEvEUlS6_S6_E_S6_EEDaPvRmT3_T4_T5_mT6_P12ihipStream_tbENKUlT_T0_E_clISt17integral_constantIbLb1EESX_IbLb0EEEEDaST_SU_EUlST_E_NS1_11comp_targetILNS1_3genE10ELNS1_11target_archE1200ELNS1_3gpuE4ELNS1_3repE0EEENS1_30default_config_static_selectorELNS0_4arch9wavefront6targetE1EEEvT1_.private_seg_size, 0
	.set _ZN7rocprim17ROCPRIM_400000_NS6detail17trampoline_kernelINS0_14default_configENS1_20scan_config_selectorIN3c104HalfEEEZZNS1_9scan_implILNS1_25lookback_scan_determinismE0ELb0ELb0ES3_PKS6_PS6_S6_ZZZN2at6native31launch_logcumsumexp_cuda_kernelERKNSD_10TensorBaseESH_lENKUlvE_clEvENKUlvE3_clEvEUlS6_S6_E_S6_EEDaPvRmT3_T4_T5_mT6_P12ihipStream_tbENKUlT_T0_E_clISt17integral_constantIbLb1EESX_IbLb0EEEEDaST_SU_EUlST_E_NS1_11comp_targetILNS1_3genE10ELNS1_11target_archE1200ELNS1_3gpuE4ELNS1_3repE0EEENS1_30default_config_static_selectorELNS0_4arch9wavefront6targetE1EEEvT1_.uses_vcc, 0
	.set _ZN7rocprim17ROCPRIM_400000_NS6detail17trampoline_kernelINS0_14default_configENS1_20scan_config_selectorIN3c104HalfEEEZZNS1_9scan_implILNS1_25lookback_scan_determinismE0ELb0ELb0ES3_PKS6_PS6_S6_ZZZN2at6native31launch_logcumsumexp_cuda_kernelERKNSD_10TensorBaseESH_lENKUlvE_clEvENKUlvE3_clEvEUlS6_S6_E_S6_EEDaPvRmT3_T4_T5_mT6_P12ihipStream_tbENKUlT_T0_E_clISt17integral_constantIbLb1EESX_IbLb0EEEEDaST_SU_EUlST_E_NS1_11comp_targetILNS1_3genE10ELNS1_11target_archE1200ELNS1_3gpuE4ELNS1_3repE0EEENS1_30default_config_static_selectorELNS0_4arch9wavefront6targetE1EEEvT1_.uses_flat_scratch, 0
	.set _ZN7rocprim17ROCPRIM_400000_NS6detail17trampoline_kernelINS0_14default_configENS1_20scan_config_selectorIN3c104HalfEEEZZNS1_9scan_implILNS1_25lookback_scan_determinismE0ELb0ELb0ES3_PKS6_PS6_S6_ZZZN2at6native31launch_logcumsumexp_cuda_kernelERKNSD_10TensorBaseESH_lENKUlvE_clEvENKUlvE3_clEvEUlS6_S6_E_S6_EEDaPvRmT3_T4_T5_mT6_P12ihipStream_tbENKUlT_T0_E_clISt17integral_constantIbLb1EESX_IbLb0EEEEDaST_SU_EUlST_E_NS1_11comp_targetILNS1_3genE10ELNS1_11target_archE1200ELNS1_3gpuE4ELNS1_3repE0EEENS1_30default_config_static_selectorELNS0_4arch9wavefront6targetE1EEEvT1_.has_dyn_sized_stack, 0
	.set _ZN7rocprim17ROCPRIM_400000_NS6detail17trampoline_kernelINS0_14default_configENS1_20scan_config_selectorIN3c104HalfEEEZZNS1_9scan_implILNS1_25lookback_scan_determinismE0ELb0ELb0ES3_PKS6_PS6_S6_ZZZN2at6native31launch_logcumsumexp_cuda_kernelERKNSD_10TensorBaseESH_lENKUlvE_clEvENKUlvE3_clEvEUlS6_S6_E_S6_EEDaPvRmT3_T4_T5_mT6_P12ihipStream_tbENKUlT_T0_E_clISt17integral_constantIbLb1EESX_IbLb0EEEEDaST_SU_EUlST_E_NS1_11comp_targetILNS1_3genE10ELNS1_11target_archE1200ELNS1_3gpuE4ELNS1_3repE0EEENS1_30default_config_static_selectorELNS0_4arch9wavefront6targetE1EEEvT1_.has_recursion, 0
	.set _ZN7rocprim17ROCPRIM_400000_NS6detail17trampoline_kernelINS0_14default_configENS1_20scan_config_selectorIN3c104HalfEEEZZNS1_9scan_implILNS1_25lookback_scan_determinismE0ELb0ELb0ES3_PKS6_PS6_S6_ZZZN2at6native31launch_logcumsumexp_cuda_kernelERKNSD_10TensorBaseESH_lENKUlvE_clEvENKUlvE3_clEvEUlS6_S6_E_S6_EEDaPvRmT3_T4_T5_mT6_P12ihipStream_tbENKUlT_T0_E_clISt17integral_constantIbLb1EESX_IbLb0EEEEDaST_SU_EUlST_E_NS1_11comp_targetILNS1_3genE10ELNS1_11target_archE1200ELNS1_3gpuE4ELNS1_3repE0EEENS1_30default_config_static_selectorELNS0_4arch9wavefront6targetE1EEEvT1_.has_indirect_call, 0
	.section	.AMDGPU.csdata,"",@progbits
; Kernel info:
; codeLenInByte = 0
; TotalNumSgprs: 6
; NumVgprs: 0
; NumAgprs: 0
; TotalNumVgprs: 0
; ScratchSize: 0
; MemoryBound: 0
; FloatMode: 240
; IeeeMode: 1
; LDSByteSize: 0 bytes/workgroup (compile time only)
; SGPRBlocks: 0
; VGPRBlocks: 0
; NumSGPRsForWavesPerEU: 6
; NumVGPRsForWavesPerEU: 1
; AccumOffset: 4
; Occupancy: 8
; WaveLimiterHint : 0
; COMPUTE_PGM_RSRC2:SCRATCH_EN: 0
; COMPUTE_PGM_RSRC2:USER_SGPR: 2
; COMPUTE_PGM_RSRC2:TRAP_HANDLER: 0
; COMPUTE_PGM_RSRC2:TGID_X_EN: 1
; COMPUTE_PGM_RSRC2:TGID_Y_EN: 0
; COMPUTE_PGM_RSRC2:TGID_Z_EN: 0
; COMPUTE_PGM_RSRC2:TIDIG_COMP_CNT: 0
; COMPUTE_PGM_RSRC3_GFX90A:ACCUM_OFFSET: 0
; COMPUTE_PGM_RSRC3_GFX90A:TG_SPLIT: 0
	.section	.text._ZN7rocprim17ROCPRIM_400000_NS6detail17trampoline_kernelINS0_14default_configENS1_20scan_config_selectorIN3c104HalfEEEZZNS1_9scan_implILNS1_25lookback_scan_determinismE0ELb0ELb0ES3_PKS6_PS6_S6_ZZZN2at6native31launch_logcumsumexp_cuda_kernelERKNSD_10TensorBaseESH_lENKUlvE_clEvENKUlvE3_clEvEUlS6_S6_E_S6_EEDaPvRmT3_T4_T5_mT6_P12ihipStream_tbENKUlT_T0_E_clISt17integral_constantIbLb1EESX_IbLb0EEEEDaST_SU_EUlST_E_NS1_11comp_targetILNS1_3genE9ELNS1_11target_archE1100ELNS1_3gpuE3ELNS1_3repE0EEENS1_30default_config_static_selectorELNS0_4arch9wavefront6targetE1EEEvT1_,"axG",@progbits,_ZN7rocprim17ROCPRIM_400000_NS6detail17trampoline_kernelINS0_14default_configENS1_20scan_config_selectorIN3c104HalfEEEZZNS1_9scan_implILNS1_25lookback_scan_determinismE0ELb0ELb0ES3_PKS6_PS6_S6_ZZZN2at6native31launch_logcumsumexp_cuda_kernelERKNSD_10TensorBaseESH_lENKUlvE_clEvENKUlvE3_clEvEUlS6_S6_E_S6_EEDaPvRmT3_T4_T5_mT6_P12ihipStream_tbENKUlT_T0_E_clISt17integral_constantIbLb1EESX_IbLb0EEEEDaST_SU_EUlST_E_NS1_11comp_targetILNS1_3genE9ELNS1_11target_archE1100ELNS1_3gpuE3ELNS1_3repE0EEENS1_30default_config_static_selectorELNS0_4arch9wavefront6targetE1EEEvT1_,comdat
	.globl	_ZN7rocprim17ROCPRIM_400000_NS6detail17trampoline_kernelINS0_14default_configENS1_20scan_config_selectorIN3c104HalfEEEZZNS1_9scan_implILNS1_25lookback_scan_determinismE0ELb0ELb0ES3_PKS6_PS6_S6_ZZZN2at6native31launch_logcumsumexp_cuda_kernelERKNSD_10TensorBaseESH_lENKUlvE_clEvENKUlvE3_clEvEUlS6_S6_E_S6_EEDaPvRmT3_T4_T5_mT6_P12ihipStream_tbENKUlT_T0_E_clISt17integral_constantIbLb1EESX_IbLb0EEEEDaST_SU_EUlST_E_NS1_11comp_targetILNS1_3genE9ELNS1_11target_archE1100ELNS1_3gpuE3ELNS1_3repE0EEENS1_30default_config_static_selectorELNS0_4arch9wavefront6targetE1EEEvT1_ ; -- Begin function _ZN7rocprim17ROCPRIM_400000_NS6detail17trampoline_kernelINS0_14default_configENS1_20scan_config_selectorIN3c104HalfEEEZZNS1_9scan_implILNS1_25lookback_scan_determinismE0ELb0ELb0ES3_PKS6_PS6_S6_ZZZN2at6native31launch_logcumsumexp_cuda_kernelERKNSD_10TensorBaseESH_lENKUlvE_clEvENKUlvE3_clEvEUlS6_S6_E_S6_EEDaPvRmT3_T4_T5_mT6_P12ihipStream_tbENKUlT_T0_E_clISt17integral_constantIbLb1EESX_IbLb0EEEEDaST_SU_EUlST_E_NS1_11comp_targetILNS1_3genE9ELNS1_11target_archE1100ELNS1_3gpuE3ELNS1_3repE0EEENS1_30default_config_static_selectorELNS0_4arch9wavefront6targetE1EEEvT1_
	.p2align	8
	.type	_ZN7rocprim17ROCPRIM_400000_NS6detail17trampoline_kernelINS0_14default_configENS1_20scan_config_selectorIN3c104HalfEEEZZNS1_9scan_implILNS1_25lookback_scan_determinismE0ELb0ELb0ES3_PKS6_PS6_S6_ZZZN2at6native31launch_logcumsumexp_cuda_kernelERKNSD_10TensorBaseESH_lENKUlvE_clEvENKUlvE3_clEvEUlS6_S6_E_S6_EEDaPvRmT3_T4_T5_mT6_P12ihipStream_tbENKUlT_T0_E_clISt17integral_constantIbLb1EESX_IbLb0EEEEDaST_SU_EUlST_E_NS1_11comp_targetILNS1_3genE9ELNS1_11target_archE1100ELNS1_3gpuE3ELNS1_3repE0EEENS1_30default_config_static_selectorELNS0_4arch9wavefront6targetE1EEEvT1_,@function
_ZN7rocprim17ROCPRIM_400000_NS6detail17trampoline_kernelINS0_14default_configENS1_20scan_config_selectorIN3c104HalfEEEZZNS1_9scan_implILNS1_25lookback_scan_determinismE0ELb0ELb0ES3_PKS6_PS6_S6_ZZZN2at6native31launch_logcumsumexp_cuda_kernelERKNSD_10TensorBaseESH_lENKUlvE_clEvENKUlvE3_clEvEUlS6_S6_E_S6_EEDaPvRmT3_T4_T5_mT6_P12ihipStream_tbENKUlT_T0_E_clISt17integral_constantIbLb1EESX_IbLb0EEEEDaST_SU_EUlST_E_NS1_11comp_targetILNS1_3genE9ELNS1_11target_archE1100ELNS1_3gpuE3ELNS1_3repE0EEENS1_30default_config_static_selectorELNS0_4arch9wavefront6targetE1EEEvT1_: ; @_ZN7rocprim17ROCPRIM_400000_NS6detail17trampoline_kernelINS0_14default_configENS1_20scan_config_selectorIN3c104HalfEEEZZNS1_9scan_implILNS1_25lookback_scan_determinismE0ELb0ELb0ES3_PKS6_PS6_S6_ZZZN2at6native31launch_logcumsumexp_cuda_kernelERKNSD_10TensorBaseESH_lENKUlvE_clEvENKUlvE3_clEvEUlS6_S6_E_S6_EEDaPvRmT3_T4_T5_mT6_P12ihipStream_tbENKUlT_T0_E_clISt17integral_constantIbLb1EESX_IbLb0EEEEDaST_SU_EUlST_E_NS1_11comp_targetILNS1_3genE9ELNS1_11target_archE1100ELNS1_3gpuE3ELNS1_3repE0EEENS1_30default_config_static_selectorELNS0_4arch9wavefront6targetE1EEEvT1_
; %bb.0:
	.section	.rodata,"a",@progbits
	.p2align	6, 0x0
	.amdhsa_kernel _ZN7rocprim17ROCPRIM_400000_NS6detail17trampoline_kernelINS0_14default_configENS1_20scan_config_selectorIN3c104HalfEEEZZNS1_9scan_implILNS1_25lookback_scan_determinismE0ELb0ELb0ES3_PKS6_PS6_S6_ZZZN2at6native31launch_logcumsumexp_cuda_kernelERKNSD_10TensorBaseESH_lENKUlvE_clEvENKUlvE3_clEvEUlS6_S6_E_S6_EEDaPvRmT3_T4_T5_mT6_P12ihipStream_tbENKUlT_T0_E_clISt17integral_constantIbLb1EESX_IbLb0EEEEDaST_SU_EUlST_E_NS1_11comp_targetILNS1_3genE9ELNS1_11target_archE1100ELNS1_3gpuE3ELNS1_3repE0EEENS1_30default_config_static_selectorELNS0_4arch9wavefront6targetE1EEEvT1_
		.amdhsa_group_segment_fixed_size 0
		.amdhsa_private_segment_fixed_size 0
		.amdhsa_kernarg_size 96
		.amdhsa_user_sgpr_count 2
		.amdhsa_user_sgpr_dispatch_ptr 0
		.amdhsa_user_sgpr_queue_ptr 0
		.amdhsa_user_sgpr_kernarg_segment_ptr 1
		.amdhsa_user_sgpr_dispatch_id 0
		.amdhsa_user_sgpr_kernarg_preload_length 0
		.amdhsa_user_sgpr_kernarg_preload_offset 0
		.amdhsa_user_sgpr_private_segment_size 0
		.amdhsa_uses_dynamic_stack 0
		.amdhsa_enable_private_segment 0
		.amdhsa_system_sgpr_workgroup_id_x 1
		.amdhsa_system_sgpr_workgroup_id_y 0
		.amdhsa_system_sgpr_workgroup_id_z 0
		.amdhsa_system_sgpr_workgroup_info 0
		.amdhsa_system_vgpr_workitem_id 0
		.amdhsa_next_free_vgpr 1
		.amdhsa_next_free_sgpr 0
		.amdhsa_accum_offset 4
		.amdhsa_reserve_vcc 0
		.amdhsa_float_round_mode_32 0
		.amdhsa_float_round_mode_16_64 0
		.amdhsa_float_denorm_mode_32 3
		.amdhsa_float_denorm_mode_16_64 3
		.amdhsa_dx10_clamp 1
		.amdhsa_ieee_mode 1
		.amdhsa_fp16_overflow 0
		.amdhsa_tg_split 0
		.amdhsa_exception_fp_ieee_invalid_op 0
		.amdhsa_exception_fp_denorm_src 0
		.amdhsa_exception_fp_ieee_div_zero 0
		.amdhsa_exception_fp_ieee_overflow 0
		.amdhsa_exception_fp_ieee_underflow 0
		.amdhsa_exception_fp_ieee_inexact 0
		.amdhsa_exception_int_div_zero 0
	.end_amdhsa_kernel
	.section	.text._ZN7rocprim17ROCPRIM_400000_NS6detail17trampoline_kernelINS0_14default_configENS1_20scan_config_selectorIN3c104HalfEEEZZNS1_9scan_implILNS1_25lookback_scan_determinismE0ELb0ELb0ES3_PKS6_PS6_S6_ZZZN2at6native31launch_logcumsumexp_cuda_kernelERKNSD_10TensorBaseESH_lENKUlvE_clEvENKUlvE3_clEvEUlS6_S6_E_S6_EEDaPvRmT3_T4_T5_mT6_P12ihipStream_tbENKUlT_T0_E_clISt17integral_constantIbLb1EESX_IbLb0EEEEDaST_SU_EUlST_E_NS1_11comp_targetILNS1_3genE9ELNS1_11target_archE1100ELNS1_3gpuE3ELNS1_3repE0EEENS1_30default_config_static_selectorELNS0_4arch9wavefront6targetE1EEEvT1_,"axG",@progbits,_ZN7rocprim17ROCPRIM_400000_NS6detail17trampoline_kernelINS0_14default_configENS1_20scan_config_selectorIN3c104HalfEEEZZNS1_9scan_implILNS1_25lookback_scan_determinismE0ELb0ELb0ES3_PKS6_PS6_S6_ZZZN2at6native31launch_logcumsumexp_cuda_kernelERKNSD_10TensorBaseESH_lENKUlvE_clEvENKUlvE3_clEvEUlS6_S6_E_S6_EEDaPvRmT3_T4_T5_mT6_P12ihipStream_tbENKUlT_T0_E_clISt17integral_constantIbLb1EESX_IbLb0EEEEDaST_SU_EUlST_E_NS1_11comp_targetILNS1_3genE9ELNS1_11target_archE1100ELNS1_3gpuE3ELNS1_3repE0EEENS1_30default_config_static_selectorELNS0_4arch9wavefront6targetE1EEEvT1_,comdat
.Lfunc_end404:
	.size	_ZN7rocprim17ROCPRIM_400000_NS6detail17trampoline_kernelINS0_14default_configENS1_20scan_config_selectorIN3c104HalfEEEZZNS1_9scan_implILNS1_25lookback_scan_determinismE0ELb0ELb0ES3_PKS6_PS6_S6_ZZZN2at6native31launch_logcumsumexp_cuda_kernelERKNSD_10TensorBaseESH_lENKUlvE_clEvENKUlvE3_clEvEUlS6_S6_E_S6_EEDaPvRmT3_T4_T5_mT6_P12ihipStream_tbENKUlT_T0_E_clISt17integral_constantIbLb1EESX_IbLb0EEEEDaST_SU_EUlST_E_NS1_11comp_targetILNS1_3genE9ELNS1_11target_archE1100ELNS1_3gpuE3ELNS1_3repE0EEENS1_30default_config_static_selectorELNS0_4arch9wavefront6targetE1EEEvT1_, .Lfunc_end404-_ZN7rocprim17ROCPRIM_400000_NS6detail17trampoline_kernelINS0_14default_configENS1_20scan_config_selectorIN3c104HalfEEEZZNS1_9scan_implILNS1_25lookback_scan_determinismE0ELb0ELb0ES3_PKS6_PS6_S6_ZZZN2at6native31launch_logcumsumexp_cuda_kernelERKNSD_10TensorBaseESH_lENKUlvE_clEvENKUlvE3_clEvEUlS6_S6_E_S6_EEDaPvRmT3_T4_T5_mT6_P12ihipStream_tbENKUlT_T0_E_clISt17integral_constantIbLb1EESX_IbLb0EEEEDaST_SU_EUlST_E_NS1_11comp_targetILNS1_3genE9ELNS1_11target_archE1100ELNS1_3gpuE3ELNS1_3repE0EEENS1_30default_config_static_selectorELNS0_4arch9wavefront6targetE1EEEvT1_
                                        ; -- End function
	.set _ZN7rocprim17ROCPRIM_400000_NS6detail17trampoline_kernelINS0_14default_configENS1_20scan_config_selectorIN3c104HalfEEEZZNS1_9scan_implILNS1_25lookback_scan_determinismE0ELb0ELb0ES3_PKS6_PS6_S6_ZZZN2at6native31launch_logcumsumexp_cuda_kernelERKNSD_10TensorBaseESH_lENKUlvE_clEvENKUlvE3_clEvEUlS6_S6_E_S6_EEDaPvRmT3_T4_T5_mT6_P12ihipStream_tbENKUlT_T0_E_clISt17integral_constantIbLb1EESX_IbLb0EEEEDaST_SU_EUlST_E_NS1_11comp_targetILNS1_3genE9ELNS1_11target_archE1100ELNS1_3gpuE3ELNS1_3repE0EEENS1_30default_config_static_selectorELNS0_4arch9wavefront6targetE1EEEvT1_.num_vgpr, 0
	.set _ZN7rocprim17ROCPRIM_400000_NS6detail17trampoline_kernelINS0_14default_configENS1_20scan_config_selectorIN3c104HalfEEEZZNS1_9scan_implILNS1_25lookback_scan_determinismE0ELb0ELb0ES3_PKS6_PS6_S6_ZZZN2at6native31launch_logcumsumexp_cuda_kernelERKNSD_10TensorBaseESH_lENKUlvE_clEvENKUlvE3_clEvEUlS6_S6_E_S6_EEDaPvRmT3_T4_T5_mT6_P12ihipStream_tbENKUlT_T0_E_clISt17integral_constantIbLb1EESX_IbLb0EEEEDaST_SU_EUlST_E_NS1_11comp_targetILNS1_3genE9ELNS1_11target_archE1100ELNS1_3gpuE3ELNS1_3repE0EEENS1_30default_config_static_selectorELNS0_4arch9wavefront6targetE1EEEvT1_.num_agpr, 0
	.set _ZN7rocprim17ROCPRIM_400000_NS6detail17trampoline_kernelINS0_14default_configENS1_20scan_config_selectorIN3c104HalfEEEZZNS1_9scan_implILNS1_25lookback_scan_determinismE0ELb0ELb0ES3_PKS6_PS6_S6_ZZZN2at6native31launch_logcumsumexp_cuda_kernelERKNSD_10TensorBaseESH_lENKUlvE_clEvENKUlvE3_clEvEUlS6_S6_E_S6_EEDaPvRmT3_T4_T5_mT6_P12ihipStream_tbENKUlT_T0_E_clISt17integral_constantIbLb1EESX_IbLb0EEEEDaST_SU_EUlST_E_NS1_11comp_targetILNS1_3genE9ELNS1_11target_archE1100ELNS1_3gpuE3ELNS1_3repE0EEENS1_30default_config_static_selectorELNS0_4arch9wavefront6targetE1EEEvT1_.numbered_sgpr, 0
	.set _ZN7rocprim17ROCPRIM_400000_NS6detail17trampoline_kernelINS0_14default_configENS1_20scan_config_selectorIN3c104HalfEEEZZNS1_9scan_implILNS1_25lookback_scan_determinismE0ELb0ELb0ES3_PKS6_PS6_S6_ZZZN2at6native31launch_logcumsumexp_cuda_kernelERKNSD_10TensorBaseESH_lENKUlvE_clEvENKUlvE3_clEvEUlS6_S6_E_S6_EEDaPvRmT3_T4_T5_mT6_P12ihipStream_tbENKUlT_T0_E_clISt17integral_constantIbLb1EESX_IbLb0EEEEDaST_SU_EUlST_E_NS1_11comp_targetILNS1_3genE9ELNS1_11target_archE1100ELNS1_3gpuE3ELNS1_3repE0EEENS1_30default_config_static_selectorELNS0_4arch9wavefront6targetE1EEEvT1_.num_named_barrier, 0
	.set _ZN7rocprim17ROCPRIM_400000_NS6detail17trampoline_kernelINS0_14default_configENS1_20scan_config_selectorIN3c104HalfEEEZZNS1_9scan_implILNS1_25lookback_scan_determinismE0ELb0ELb0ES3_PKS6_PS6_S6_ZZZN2at6native31launch_logcumsumexp_cuda_kernelERKNSD_10TensorBaseESH_lENKUlvE_clEvENKUlvE3_clEvEUlS6_S6_E_S6_EEDaPvRmT3_T4_T5_mT6_P12ihipStream_tbENKUlT_T0_E_clISt17integral_constantIbLb1EESX_IbLb0EEEEDaST_SU_EUlST_E_NS1_11comp_targetILNS1_3genE9ELNS1_11target_archE1100ELNS1_3gpuE3ELNS1_3repE0EEENS1_30default_config_static_selectorELNS0_4arch9wavefront6targetE1EEEvT1_.private_seg_size, 0
	.set _ZN7rocprim17ROCPRIM_400000_NS6detail17trampoline_kernelINS0_14default_configENS1_20scan_config_selectorIN3c104HalfEEEZZNS1_9scan_implILNS1_25lookback_scan_determinismE0ELb0ELb0ES3_PKS6_PS6_S6_ZZZN2at6native31launch_logcumsumexp_cuda_kernelERKNSD_10TensorBaseESH_lENKUlvE_clEvENKUlvE3_clEvEUlS6_S6_E_S6_EEDaPvRmT3_T4_T5_mT6_P12ihipStream_tbENKUlT_T0_E_clISt17integral_constantIbLb1EESX_IbLb0EEEEDaST_SU_EUlST_E_NS1_11comp_targetILNS1_3genE9ELNS1_11target_archE1100ELNS1_3gpuE3ELNS1_3repE0EEENS1_30default_config_static_selectorELNS0_4arch9wavefront6targetE1EEEvT1_.uses_vcc, 0
	.set _ZN7rocprim17ROCPRIM_400000_NS6detail17trampoline_kernelINS0_14default_configENS1_20scan_config_selectorIN3c104HalfEEEZZNS1_9scan_implILNS1_25lookback_scan_determinismE0ELb0ELb0ES3_PKS6_PS6_S6_ZZZN2at6native31launch_logcumsumexp_cuda_kernelERKNSD_10TensorBaseESH_lENKUlvE_clEvENKUlvE3_clEvEUlS6_S6_E_S6_EEDaPvRmT3_T4_T5_mT6_P12ihipStream_tbENKUlT_T0_E_clISt17integral_constantIbLb1EESX_IbLb0EEEEDaST_SU_EUlST_E_NS1_11comp_targetILNS1_3genE9ELNS1_11target_archE1100ELNS1_3gpuE3ELNS1_3repE0EEENS1_30default_config_static_selectorELNS0_4arch9wavefront6targetE1EEEvT1_.uses_flat_scratch, 0
	.set _ZN7rocprim17ROCPRIM_400000_NS6detail17trampoline_kernelINS0_14default_configENS1_20scan_config_selectorIN3c104HalfEEEZZNS1_9scan_implILNS1_25lookback_scan_determinismE0ELb0ELb0ES3_PKS6_PS6_S6_ZZZN2at6native31launch_logcumsumexp_cuda_kernelERKNSD_10TensorBaseESH_lENKUlvE_clEvENKUlvE3_clEvEUlS6_S6_E_S6_EEDaPvRmT3_T4_T5_mT6_P12ihipStream_tbENKUlT_T0_E_clISt17integral_constantIbLb1EESX_IbLb0EEEEDaST_SU_EUlST_E_NS1_11comp_targetILNS1_3genE9ELNS1_11target_archE1100ELNS1_3gpuE3ELNS1_3repE0EEENS1_30default_config_static_selectorELNS0_4arch9wavefront6targetE1EEEvT1_.has_dyn_sized_stack, 0
	.set _ZN7rocprim17ROCPRIM_400000_NS6detail17trampoline_kernelINS0_14default_configENS1_20scan_config_selectorIN3c104HalfEEEZZNS1_9scan_implILNS1_25lookback_scan_determinismE0ELb0ELb0ES3_PKS6_PS6_S6_ZZZN2at6native31launch_logcumsumexp_cuda_kernelERKNSD_10TensorBaseESH_lENKUlvE_clEvENKUlvE3_clEvEUlS6_S6_E_S6_EEDaPvRmT3_T4_T5_mT6_P12ihipStream_tbENKUlT_T0_E_clISt17integral_constantIbLb1EESX_IbLb0EEEEDaST_SU_EUlST_E_NS1_11comp_targetILNS1_3genE9ELNS1_11target_archE1100ELNS1_3gpuE3ELNS1_3repE0EEENS1_30default_config_static_selectorELNS0_4arch9wavefront6targetE1EEEvT1_.has_recursion, 0
	.set _ZN7rocprim17ROCPRIM_400000_NS6detail17trampoline_kernelINS0_14default_configENS1_20scan_config_selectorIN3c104HalfEEEZZNS1_9scan_implILNS1_25lookback_scan_determinismE0ELb0ELb0ES3_PKS6_PS6_S6_ZZZN2at6native31launch_logcumsumexp_cuda_kernelERKNSD_10TensorBaseESH_lENKUlvE_clEvENKUlvE3_clEvEUlS6_S6_E_S6_EEDaPvRmT3_T4_T5_mT6_P12ihipStream_tbENKUlT_T0_E_clISt17integral_constantIbLb1EESX_IbLb0EEEEDaST_SU_EUlST_E_NS1_11comp_targetILNS1_3genE9ELNS1_11target_archE1100ELNS1_3gpuE3ELNS1_3repE0EEENS1_30default_config_static_selectorELNS0_4arch9wavefront6targetE1EEEvT1_.has_indirect_call, 0
	.section	.AMDGPU.csdata,"",@progbits
; Kernel info:
; codeLenInByte = 0
; TotalNumSgprs: 6
; NumVgprs: 0
; NumAgprs: 0
; TotalNumVgprs: 0
; ScratchSize: 0
; MemoryBound: 0
; FloatMode: 240
; IeeeMode: 1
; LDSByteSize: 0 bytes/workgroup (compile time only)
; SGPRBlocks: 0
; VGPRBlocks: 0
; NumSGPRsForWavesPerEU: 6
; NumVGPRsForWavesPerEU: 1
; AccumOffset: 4
; Occupancy: 8
; WaveLimiterHint : 0
; COMPUTE_PGM_RSRC2:SCRATCH_EN: 0
; COMPUTE_PGM_RSRC2:USER_SGPR: 2
; COMPUTE_PGM_RSRC2:TRAP_HANDLER: 0
; COMPUTE_PGM_RSRC2:TGID_X_EN: 1
; COMPUTE_PGM_RSRC2:TGID_Y_EN: 0
; COMPUTE_PGM_RSRC2:TGID_Z_EN: 0
; COMPUTE_PGM_RSRC2:TIDIG_COMP_CNT: 0
; COMPUTE_PGM_RSRC3_GFX90A:ACCUM_OFFSET: 0
; COMPUTE_PGM_RSRC3_GFX90A:TG_SPLIT: 0
	.section	.text._ZN7rocprim17ROCPRIM_400000_NS6detail17trampoline_kernelINS0_14default_configENS1_20scan_config_selectorIN3c104HalfEEEZZNS1_9scan_implILNS1_25lookback_scan_determinismE0ELb0ELb0ES3_PKS6_PS6_S6_ZZZN2at6native31launch_logcumsumexp_cuda_kernelERKNSD_10TensorBaseESH_lENKUlvE_clEvENKUlvE3_clEvEUlS6_S6_E_S6_EEDaPvRmT3_T4_T5_mT6_P12ihipStream_tbENKUlT_T0_E_clISt17integral_constantIbLb1EESX_IbLb0EEEEDaST_SU_EUlST_E_NS1_11comp_targetILNS1_3genE8ELNS1_11target_archE1030ELNS1_3gpuE2ELNS1_3repE0EEENS1_30default_config_static_selectorELNS0_4arch9wavefront6targetE1EEEvT1_,"axG",@progbits,_ZN7rocprim17ROCPRIM_400000_NS6detail17trampoline_kernelINS0_14default_configENS1_20scan_config_selectorIN3c104HalfEEEZZNS1_9scan_implILNS1_25lookback_scan_determinismE0ELb0ELb0ES3_PKS6_PS6_S6_ZZZN2at6native31launch_logcumsumexp_cuda_kernelERKNSD_10TensorBaseESH_lENKUlvE_clEvENKUlvE3_clEvEUlS6_S6_E_S6_EEDaPvRmT3_T4_T5_mT6_P12ihipStream_tbENKUlT_T0_E_clISt17integral_constantIbLb1EESX_IbLb0EEEEDaST_SU_EUlST_E_NS1_11comp_targetILNS1_3genE8ELNS1_11target_archE1030ELNS1_3gpuE2ELNS1_3repE0EEENS1_30default_config_static_selectorELNS0_4arch9wavefront6targetE1EEEvT1_,comdat
	.globl	_ZN7rocprim17ROCPRIM_400000_NS6detail17trampoline_kernelINS0_14default_configENS1_20scan_config_selectorIN3c104HalfEEEZZNS1_9scan_implILNS1_25lookback_scan_determinismE0ELb0ELb0ES3_PKS6_PS6_S6_ZZZN2at6native31launch_logcumsumexp_cuda_kernelERKNSD_10TensorBaseESH_lENKUlvE_clEvENKUlvE3_clEvEUlS6_S6_E_S6_EEDaPvRmT3_T4_T5_mT6_P12ihipStream_tbENKUlT_T0_E_clISt17integral_constantIbLb1EESX_IbLb0EEEEDaST_SU_EUlST_E_NS1_11comp_targetILNS1_3genE8ELNS1_11target_archE1030ELNS1_3gpuE2ELNS1_3repE0EEENS1_30default_config_static_selectorELNS0_4arch9wavefront6targetE1EEEvT1_ ; -- Begin function _ZN7rocprim17ROCPRIM_400000_NS6detail17trampoline_kernelINS0_14default_configENS1_20scan_config_selectorIN3c104HalfEEEZZNS1_9scan_implILNS1_25lookback_scan_determinismE0ELb0ELb0ES3_PKS6_PS6_S6_ZZZN2at6native31launch_logcumsumexp_cuda_kernelERKNSD_10TensorBaseESH_lENKUlvE_clEvENKUlvE3_clEvEUlS6_S6_E_S6_EEDaPvRmT3_T4_T5_mT6_P12ihipStream_tbENKUlT_T0_E_clISt17integral_constantIbLb1EESX_IbLb0EEEEDaST_SU_EUlST_E_NS1_11comp_targetILNS1_3genE8ELNS1_11target_archE1030ELNS1_3gpuE2ELNS1_3repE0EEENS1_30default_config_static_selectorELNS0_4arch9wavefront6targetE1EEEvT1_
	.p2align	8
	.type	_ZN7rocprim17ROCPRIM_400000_NS6detail17trampoline_kernelINS0_14default_configENS1_20scan_config_selectorIN3c104HalfEEEZZNS1_9scan_implILNS1_25lookback_scan_determinismE0ELb0ELb0ES3_PKS6_PS6_S6_ZZZN2at6native31launch_logcumsumexp_cuda_kernelERKNSD_10TensorBaseESH_lENKUlvE_clEvENKUlvE3_clEvEUlS6_S6_E_S6_EEDaPvRmT3_T4_T5_mT6_P12ihipStream_tbENKUlT_T0_E_clISt17integral_constantIbLb1EESX_IbLb0EEEEDaST_SU_EUlST_E_NS1_11comp_targetILNS1_3genE8ELNS1_11target_archE1030ELNS1_3gpuE2ELNS1_3repE0EEENS1_30default_config_static_selectorELNS0_4arch9wavefront6targetE1EEEvT1_,@function
_ZN7rocprim17ROCPRIM_400000_NS6detail17trampoline_kernelINS0_14default_configENS1_20scan_config_selectorIN3c104HalfEEEZZNS1_9scan_implILNS1_25lookback_scan_determinismE0ELb0ELb0ES3_PKS6_PS6_S6_ZZZN2at6native31launch_logcumsumexp_cuda_kernelERKNSD_10TensorBaseESH_lENKUlvE_clEvENKUlvE3_clEvEUlS6_S6_E_S6_EEDaPvRmT3_T4_T5_mT6_P12ihipStream_tbENKUlT_T0_E_clISt17integral_constantIbLb1EESX_IbLb0EEEEDaST_SU_EUlST_E_NS1_11comp_targetILNS1_3genE8ELNS1_11target_archE1030ELNS1_3gpuE2ELNS1_3repE0EEENS1_30default_config_static_selectorELNS0_4arch9wavefront6targetE1EEEvT1_: ; @_ZN7rocprim17ROCPRIM_400000_NS6detail17trampoline_kernelINS0_14default_configENS1_20scan_config_selectorIN3c104HalfEEEZZNS1_9scan_implILNS1_25lookback_scan_determinismE0ELb0ELb0ES3_PKS6_PS6_S6_ZZZN2at6native31launch_logcumsumexp_cuda_kernelERKNSD_10TensorBaseESH_lENKUlvE_clEvENKUlvE3_clEvEUlS6_S6_E_S6_EEDaPvRmT3_T4_T5_mT6_P12ihipStream_tbENKUlT_T0_E_clISt17integral_constantIbLb1EESX_IbLb0EEEEDaST_SU_EUlST_E_NS1_11comp_targetILNS1_3genE8ELNS1_11target_archE1030ELNS1_3gpuE2ELNS1_3repE0EEENS1_30default_config_static_selectorELNS0_4arch9wavefront6targetE1EEEvT1_
; %bb.0:
	.section	.rodata,"a",@progbits
	.p2align	6, 0x0
	.amdhsa_kernel _ZN7rocprim17ROCPRIM_400000_NS6detail17trampoline_kernelINS0_14default_configENS1_20scan_config_selectorIN3c104HalfEEEZZNS1_9scan_implILNS1_25lookback_scan_determinismE0ELb0ELb0ES3_PKS6_PS6_S6_ZZZN2at6native31launch_logcumsumexp_cuda_kernelERKNSD_10TensorBaseESH_lENKUlvE_clEvENKUlvE3_clEvEUlS6_S6_E_S6_EEDaPvRmT3_T4_T5_mT6_P12ihipStream_tbENKUlT_T0_E_clISt17integral_constantIbLb1EESX_IbLb0EEEEDaST_SU_EUlST_E_NS1_11comp_targetILNS1_3genE8ELNS1_11target_archE1030ELNS1_3gpuE2ELNS1_3repE0EEENS1_30default_config_static_selectorELNS0_4arch9wavefront6targetE1EEEvT1_
		.amdhsa_group_segment_fixed_size 0
		.amdhsa_private_segment_fixed_size 0
		.amdhsa_kernarg_size 96
		.amdhsa_user_sgpr_count 2
		.amdhsa_user_sgpr_dispatch_ptr 0
		.amdhsa_user_sgpr_queue_ptr 0
		.amdhsa_user_sgpr_kernarg_segment_ptr 1
		.amdhsa_user_sgpr_dispatch_id 0
		.amdhsa_user_sgpr_kernarg_preload_length 0
		.amdhsa_user_sgpr_kernarg_preload_offset 0
		.amdhsa_user_sgpr_private_segment_size 0
		.amdhsa_uses_dynamic_stack 0
		.amdhsa_enable_private_segment 0
		.amdhsa_system_sgpr_workgroup_id_x 1
		.amdhsa_system_sgpr_workgroup_id_y 0
		.amdhsa_system_sgpr_workgroup_id_z 0
		.amdhsa_system_sgpr_workgroup_info 0
		.amdhsa_system_vgpr_workitem_id 0
		.amdhsa_next_free_vgpr 1
		.amdhsa_next_free_sgpr 0
		.amdhsa_accum_offset 4
		.amdhsa_reserve_vcc 0
		.amdhsa_float_round_mode_32 0
		.amdhsa_float_round_mode_16_64 0
		.amdhsa_float_denorm_mode_32 3
		.amdhsa_float_denorm_mode_16_64 3
		.amdhsa_dx10_clamp 1
		.amdhsa_ieee_mode 1
		.amdhsa_fp16_overflow 0
		.amdhsa_tg_split 0
		.amdhsa_exception_fp_ieee_invalid_op 0
		.amdhsa_exception_fp_denorm_src 0
		.amdhsa_exception_fp_ieee_div_zero 0
		.amdhsa_exception_fp_ieee_overflow 0
		.amdhsa_exception_fp_ieee_underflow 0
		.amdhsa_exception_fp_ieee_inexact 0
		.amdhsa_exception_int_div_zero 0
	.end_amdhsa_kernel
	.section	.text._ZN7rocprim17ROCPRIM_400000_NS6detail17trampoline_kernelINS0_14default_configENS1_20scan_config_selectorIN3c104HalfEEEZZNS1_9scan_implILNS1_25lookback_scan_determinismE0ELb0ELb0ES3_PKS6_PS6_S6_ZZZN2at6native31launch_logcumsumexp_cuda_kernelERKNSD_10TensorBaseESH_lENKUlvE_clEvENKUlvE3_clEvEUlS6_S6_E_S6_EEDaPvRmT3_T4_T5_mT6_P12ihipStream_tbENKUlT_T0_E_clISt17integral_constantIbLb1EESX_IbLb0EEEEDaST_SU_EUlST_E_NS1_11comp_targetILNS1_3genE8ELNS1_11target_archE1030ELNS1_3gpuE2ELNS1_3repE0EEENS1_30default_config_static_selectorELNS0_4arch9wavefront6targetE1EEEvT1_,"axG",@progbits,_ZN7rocprim17ROCPRIM_400000_NS6detail17trampoline_kernelINS0_14default_configENS1_20scan_config_selectorIN3c104HalfEEEZZNS1_9scan_implILNS1_25lookback_scan_determinismE0ELb0ELb0ES3_PKS6_PS6_S6_ZZZN2at6native31launch_logcumsumexp_cuda_kernelERKNSD_10TensorBaseESH_lENKUlvE_clEvENKUlvE3_clEvEUlS6_S6_E_S6_EEDaPvRmT3_T4_T5_mT6_P12ihipStream_tbENKUlT_T0_E_clISt17integral_constantIbLb1EESX_IbLb0EEEEDaST_SU_EUlST_E_NS1_11comp_targetILNS1_3genE8ELNS1_11target_archE1030ELNS1_3gpuE2ELNS1_3repE0EEENS1_30default_config_static_selectorELNS0_4arch9wavefront6targetE1EEEvT1_,comdat
.Lfunc_end405:
	.size	_ZN7rocprim17ROCPRIM_400000_NS6detail17trampoline_kernelINS0_14default_configENS1_20scan_config_selectorIN3c104HalfEEEZZNS1_9scan_implILNS1_25lookback_scan_determinismE0ELb0ELb0ES3_PKS6_PS6_S6_ZZZN2at6native31launch_logcumsumexp_cuda_kernelERKNSD_10TensorBaseESH_lENKUlvE_clEvENKUlvE3_clEvEUlS6_S6_E_S6_EEDaPvRmT3_T4_T5_mT6_P12ihipStream_tbENKUlT_T0_E_clISt17integral_constantIbLb1EESX_IbLb0EEEEDaST_SU_EUlST_E_NS1_11comp_targetILNS1_3genE8ELNS1_11target_archE1030ELNS1_3gpuE2ELNS1_3repE0EEENS1_30default_config_static_selectorELNS0_4arch9wavefront6targetE1EEEvT1_, .Lfunc_end405-_ZN7rocprim17ROCPRIM_400000_NS6detail17trampoline_kernelINS0_14default_configENS1_20scan_config_selectorIN3c104HalfEEEZZNS1_9scan_implILNS1_25lookback_scan_determinismE0ELb0ELb0ES3_PKS6_PS6_S6_ZZZN2at6native31launch_logcumsumexp_cuda_kernelERKNSD_10TensorBaseESH_lENKUlvE_clEvENKUlvE3_clEvEUlS6_S6_E_S6_EEDaPvRmT3_T4_T5_mT6_P12ihipStream_tbENKUlT_T0_E_clISt17integral_constantIbLb1EESX_IbLb0EEEEDaST_SU_EUlST_E_NS1_11comp_targetILNS1_3genE8ELNS1_11target_archE1030ELNS1_3gpuE2ELNS1_3repE0EEENS1_30default_config_static_selectorELNS0_4arch9wavefront6targetE1EEEvT1_
                                        ; -- End function
	.set _ZN7rocprim17ROCPRIM_400000_NS6detail17trampoline_kernelINS0_14default_configENS1_20scan_config_selectorIN3c104HalfEEEZZNS1_9scan_implILNS1_25lookback_scan_determinismE0ELb0ELb0ES3_PKS6_PS6_S6_ZZZN2at6native31launch_logcumsumexp_cuda_kernelERKNSD_10TensorBaseESH_lENKUlvE_clEvENKUlvE3_clEvEUlS6_S6_E_S6_EEDaPvRmT3_T4_T5_mT6_P12ihipStream_tbENKUlT_T0_E_clISt17integral_constantIbLb1EESX_IbLb0EEEEDaST_SU_EUlST_E_NS1_11comp_targetILNS1_3genE8ELNS1_11target_archE1030ELNS1_3gpuE2ELNS1_3repE0EEENS1_30default_config_static_selectorELNS0_4arch9wavefront6targetE1EEEvT1_.num_vgpr, 0
	.set _ZN7rocprim17ROCPRIM_400000_NS6detail17trampoline_kernelINS0_14default_configENS1_20scan_config_selectorIN3c104HalfEEEZZNS1_9scan_implILNS1_25lookback_scan_determinismE0ELb0ELb0ES3_PKS6_PS6_S6_ZZZN2at6native31launch_logcumsumexp_cuda_kernelERKNSD_10TensorBaseESH_lENKUlvE_clEvENKUlvE3_clEvEUlS6_S6_E_S6_EEDaPvRmT3_T4_T5_mT6_P12ihipStream_tbENKUlT_T0_E_clISt17integral_constantIbLb1EESX_IbLb0EEEEDaST_SU_EUlST_E_NS1_11comp_targetILNS1_3genE8ELNS1_11target_archE1030ELNS1_3gpuE2ELNS1_3repE0EEENS1_30default_config_static_selectorELNS0_4arch9wavefront6targetE1EEEvT1_.num_agpr, 0
	.set _ZN7rocprim17ROCPRIM_400000_NS6detail17trampoline_kernelINS0_14default_configENS1_20scan_config_selectorIN3c104HalfEEEZZNS1_9scan_implILNS1_25lookback_scan_determinismE0ELb0ELb0ES3_PKS6_PS6_S6_ZZZN2at6native31launch_logcumsumexp_cuda_kernelERKNSD_10TensorBaseESH_lENKUlvE_clEvENKUlvE3_clEvEUlS6_S6_E_S6_EEDaPvRmT3_T4_T5_mT6_P12ihipStream_tbENKUlT_T0_E_clISt17integral_constantIbLb1EESX_IbLb0EEEEDaST_SU_EUlST_E_NS1_11comp_targetILNS1_3genE8ELNS1_11target_archE1030ELNS1_3gpuE2ELNS1_3repE0EEENS1_30default_config_static_selectorELNS0_4arch9wavefront6targetE1EEEvT1_.numbered_sgpr, 0
	.set _ZN7rocprim17ROCPRIM_400000_NS6detail17trampoline_kernelINS0_14default_configENS1_20scan_config_selectorIN3c104HalfEEEZZNS1_9scan_implILNS1_25lookback_scan_determinismE0ELb0ELb0ES3_PKS6_PS6_S6_ZZZN2at6native31launch_logcumsumexp_cuda_kernelERKNSD_10TensorBaseESH_lENKUlvE_clEvENKUlvE3_clEvEUlS6_S6_E_S6_EEDaPvRmT3_T4_T5_mT6_P12ihipStream_tbENKUlT_T0_E_clISt17integral_constantIbLb1EESX_IbLb0EEEEDaST_SU_EUlST_E_NS1_11comp_targetILNS1_3genE8ELNS1_11target_archE1030ELNS1_3gpuE2ELNS1_3repE0EEENS1_30default_config_static_selectorELNS0_4arch9wavefront6targetE1EEEvT1_.num_named_barrier, 0
	.set _ZN7rocprim17ROCPRIM_400000_NS6detail17trampoline_kernelINS0_14default_configENS1_20scan_config_selectorIN3c104HalfEEEZZNS1_9scan_implILNS1_25lookback_scan_determinismE0ELb0ELb0ES3_PKS6_PS6_S6_ZZZN2at6native31launch_logcumsumexp_cuda_kernelERKNSD_10TensorBaseESH_lENKUlvE_clEvENKUlvE3_clEvEUlS6_S6_E_S6_EEDaPvRmT3_T4_T5_mT6_P12ihipStream_tbENKUlT_T0_E_clISt17integral_constantIbLb1EESX_IbLb0EEEEDaST_SU_EUlST_E_NS1_11comp_targetILNS1_3genE8ELNS1_11target_archE1030ELNS1_3gpuE2ELNS1_3repE0EEENS1_30default_config_static_selectorELNS0_4arch9wavefront6targetE1EEEvT1_.private_seg_size, 0
	.set _ZN7rocprim17ROCPRIM_400000_NS6detail17trampoline_kernelINS0_14default_configENS1_20scan_config_selectorIN3c104HalfEEEZZNS1_9scan_implILNS1_25lookback_scan_determinismE0ELb0ELb0ES3_PKS6_PS6_S6_ZZZN2at6native31launch_logcumsumexp_cuda_kernelERKNSD_10TensorBaseESH_lENKUlvE_clEvENKUlvE3_clEvEUlS6_S6_E_S6_EEDaPvRmT3_T4_T5_mT6_P12ihipStream_tbENKUlT_T0_E_clISt17integral_constantIbLb1EESX_IbLb0EEEEDaST_SU_EUlST_E_NS1_11comp_targetILNS1_3genE8ELNS1_11target_archE1030ELNS1_3gpuE2ELNS1_3repE0EEENS1_30default_config_static_selectorELNS0_4arch9wavefront6targetE1EEEvT1_.uses_vcc, 0
	.set _ZN7rocprim17ROCPRIM_400000_NS6detail17trampoline_kernelINS0_14default_configENS1_20scan_config_selectorIN3c104HalfEEEZZNS1_9scan_implILNS1_25lookback_scan_determinismE0ELb0ELb0ES3_PKS6_PS6_S6_ZZZN2at6native31launch_logcumsumexp_cuda_kernelERKNSD_10TensorBaseESH_lENKUlvE_clEvENKUlvE3_clEvEUlS6_S6_E_S6_EEDaPvRmT3_T4_T5_mT6_P12ihipStream_tbENKUlT_T0_E_clISt17integral_constantIbLb1EESX_IbLb0EEEEDaST_SU_EUlST_E_NS1_11comp_targetILNS1_3genE8ELNS1_11target_archE1030ELNS1_3gpuE2ELNS1_3repE0EEENS1_30default_config_static_selectorELNS0_4arch9wavefront6targetE1EEEvT1_.uses_flat_scratch, 0
	.set _ZN7rocprim17ROCPRIM_400000_NS6detail17trampoline_kernelINS0_14default_configENS1_20scan_config_selectorIN3c104HalfEEEZZNS1_9scan_implILNS1_25lookback_scan_determinismE0ELb0ELb0ES3_PKS6_PS6_S6_ZZZN2at6native31launch_logcumsumexp_cuda_kernelERKNSD_10TensorBaseESH_lENKUlvE_clEvENKUlvE3_clEvEUlS6_S6_E_S6_EEDaPvRmT3_T4_T5_mT6_P12ihipStream_tbENKUlT_T0_E_clISt17integral_constantIbLb1EESX_IbLb0EEEEDaST_SU_EUlST_E_NS1_11comp_targetILNS1_3genE8ELNS1_11target_archE1030ELNS1_3gpuE2ELNS1_3repE0EEENS1_30default_config_static_selectorELNS0_4arch9wavefront6targetE1EEEvT1_.has_dyn_sized_stack, 0
	.set _ZN7rocprim17ROCPRIM_400000_NS6detail17trampoline_kernelINS0_14default_configENS1_20scan_config_selectorIN3c104HalfEEEZZNS1_9scan_implILNS1_25lookback_scan_determinismE0ELb0ELb0ES3_PKS6_PS6_S6_ZZZN2at6native31launch_logcumsumexp_cuda_kernelERKNSD_10TensorBaseESH_lENKUlvE_clEvENKUlvE3_clEvEUlS6_S6_E_S6_EEDaPvRmT3_T4_T5_mT6_P12ihipStream_tbENKUlT_T0_E_clISt17integral_constantIbLb1EESX_IbLb0EEEEDaST_SU_EUlST_E_NS1_11comp_targetILNS1_3genE8ELNS1_11target_archE1030ELNS1_3gpuE2ELNS1_3repE0EEENS1_30default_config_static_selectorELNS0_4arch9wavefront6targetE1EEEvT1_.has_recursion, 0
	.set _ZN7rocprim17ROCPRIM_400000_NS6detail17trampoline_kernelINS0_14default_configENS1_20scan_config_selectorIN3c104HalfEEEZZNS1_9scan_implILNS1_25lookback_scan_determinismE0ELb0ELb0ES3_PKS6_PS6_S6_ZZZN2at6native31launch_logcumsumexp_cuda_kernelERKNSD_10TensorBaseESH_lENKUlvE_clEvENKUlvE3_clEvEUlS6_S6_E_S6_EEDaPvRmT3_T4_T5_mT6_P12ihipStream_tbENKUlT_T0_E_clISt17integral_constantIbLb1EESX_IbLb0EEEEDaST_SU_EUlST_E_NS1_11comp_targetILNS1_3genE8ELNS1_11target_archE1030ELNS1_3gpuE2ELNS1_3repE0EEENS1_30default_config_static_selectorELNS0_4arch9wavefront6targetE1EEEvT1_.has_indirect_call, 0
	.section	.AMDGPU.csdata,"",@progbits
; Kernel info:
; codeLenInByte = 0
; TotalNumSgprs: 6
; NumVgprs: 0
; NumAgprs: 0
; TotalNumVgprs: 0
; ScratchSize: 0
; MemoryBound: 0
; FloatMode: 240
; IeeeMode: 1
; LDSByteSize: 0 bytes/workgroup (compile time only)
; SGPRBlocks: 0
; VGPRBlocks: 0
; NumSGPRsForWavesPerEU: 6
; NumVGPRsForWavesPerEU: 1
; AccumOffset: 4
; Occupancy: 8
; WaveLimiterHint : 0
; COMPUTE_PGM_RSRC2:SCRATCH_EN: 0
; COMPUTE_PGM_RSRC2:USER_SGPR: 2
; COMPUTE_PGM_RSRC2:TRAP_HANDLER: 0
; COMPUTE_PGM_RSRC2:TGID_X_EN: 1
; COMPUTE_PGM_RSRC2:TGID_Y_EN: 0
; COMPUTE_PGM_RSRC2:TGID_Z_EN: 0
; COMPUTE_PGM_RSRC2:TIDIG_COMP_CNT: 0
; COMPUTE_PGM_RSRC3_GFX90A:ACCUM_OFFSET: 0
; COMPUTE_PGM_RSRC3_GFX90A:TG_SPLIT: 0
	.section	.text._ZN7rocprim17ROCPRIM_400000_NS6detail17trampoline_kernelINS0_14default_configENS1_20scan_config_selectorIN3c104HalfEEEZZNS1_9scan_implILNS1_25lookback_scan_determinismE0ELb0ELb0ES3_PKS6_PS6_S6_ZZZN2at6native31launch_logcumsumexp_cuda_kernelERKNSD_10TensorBaseESH_lENKUlvE_clEvENKUlvE3_clEvEUlS6_S6_E_S6_EEDaPvRmT3_T4_T5_mT6_P12ihipStream_tbENKUlT_T0_E_clISt17integral_constantIbLb1EESX_IbLb0EEEEDaST_SU_EUlST_E0_NS1_11comp_targetILNS1_3genE0ELNS1_11target_archE4294967295ELNS1_3gpuE0ELNS1_3repE0EEENS1_30default_config_static_selectorELNS0_4arch9wavefront6targetE1EEEvT1_,"axG",@progbits,_ZN7rocprim17ROCPRIM_400000_NS6detail17trampoline_kernelINS0_14default_configENS1_20scan_config_selectorIN3c104HalfEEEZZNS1_9scan_implILNS1_25lookback_scan_determinismE0ELb0ELb0ES3_PKS6_PS6_S6_ZZZN2at6native31launch_logcumsumexp_cuda_kernelERKNSD_10TensorBaseESH_lENKUlvE_clEvENKUlvE3_clEvEUlS6_S6_E_S6_EEDaPvRmT3_T4_T5_mT6_P12ihipStream_tbENKUlT_T0_E_clISt17integral_constantIbLb1EESX_IbLb0EEEEDaST_SU_EUlST_E0_NS1_11comp_targetILNS1_3genE0ELNS1_11target_archE4294967295ELNS1_3gpuE0ELNS1_3repE0EEENS1_30default_config_static_selectorELNS0_4arch9wavefront6targetE1EEEvT1_,comdat
	.globl	_ZN7rocprim17ROCPRIM_400000_NS6detail17trampoline_kernelINS0_14default_configENS1_20scan_config_selectorIN3c104HalfEEEZZNS1_9scan_implILNS1_25lookback_scan_determinismE0ELb0ELb0ES3_PKS6_PS6_S6_ZZZN2at6native31launch_logcumsumexp_cuda_kernelERKNSD_10TensorBaseESH_lENKUlvE_clEvENKUlvE3_clEvEUlS6_S6_E_S6_EEDaPvRmT3_T4_T5_mT6_P12ihipStream_tbENKUlT_T0_E_clISt17integral_constantIbLb1EESX_IbLb0EEEEDaST_SU_EUlST_E0_NS1_11comp_targetILNS1_3genE0ELNS1_11target_archE4294967295ELNS1_3gpuE0ELNS1_3repE0EEENS1_30default_config_static_selectorELNS0_4arch9wavefront6targetE1EEEvT1_ ; -- Begin function _ZN7rocprim17ROCPRIM_400000_NS6detail17trampoline_kernelINS0_14default_configENS1_20scan_config_selectorIN3c104HalfEEEZZNS1_9scan_implILNS1_25lookback_scan_determinismE0ELb0ELb0ES3_PKS6_PS6_S6_ZZZN2at6native31launch_logcumsumexp_cuda_kernelERKNSD_10TensorBaseESH_lENKUlvE_clEvENKUlvE3_clEvEUlS6_S6_E_S6_EEDaPvRmT3_T4_T5_mT6_P12ihipStream_tbENKUlT_T0_E_clISt17integral_constantIbLb1EESX_IbLb0EEEEDaST_SU_EUlST_E0_NS1_11comp_targetILNS1_3genE0ELNS1_11target_archE4294967295ELNS1_3gpuE0ELNS1_3repE0EEENS1_30default_config_static_selectorELNS0_4arch9wavefront6targetE1EEEvT1_
	.p2align	8
	.type	_ZN7rocprim17ROCPRIM_400000_NS6detail17trampoline_kernelINS0_14default_configENS1_20scan_config_selectorIN3c104HalfEEEZZNS1_9scan_implILNS1_25lookback_scan_determinismE0ELb0ELb0ES3_PKS6_PS6_S6_ZZZN2at6native31launch_logcumsumexp_cuda_kernelERKNSD_10TensorBaseESH_lENKUlvE_clEvENKUlvE3_clEvEUlS6_S6_E_S6_EEDaPvRmT3_T4_T5_mT6_P12ihipStream_tbENKUlT_T0_E_clISt17integral_constantIbLb1EESX_IbLb0EEEEDaST_SU_EUlST_E0_NS1_11comp_targetILNS1_3genE0ELNS1_11target_archE4294967295ELNS1_3gpuE0ELNS1_3repE0EEENS1_30default_config_static_selectorELNS0_4arch9wavefront6targetE1EEEvT1_,@function
_ZN7rocprim17ROCPRIM_400000_NS6detail17trampoline_kernelINS0_14default_configENS1_20scan_config_selectorIN3c104HalfEEEZZNS1_9scan_implILNS1_25lookback_scan_determinismE0ELb0ELb0ES3_PKS6_PS6_S6_ZZZN2at6native31launch_logcumsumexp_cuda_kernelERKNSD_10TensorBaseESH_lENKUlvE_clEvENKUlvE3_clEvEUlS6_S6_E_S6_EEDaPvRmT3_T4_T5_mT6_P12ihipStream_tbENKUlT_T0_E_clISt17integral_constantIbLb1EESX_IbLb0EEEEDaST_SU_EUlST_E0_NS1_11comp_targetILNS1_3genE0ELNS1_11target_archE4294967295ELNS1_3gpuE0ELNS1_3repE0EEENS1_30default_config_static_selectorELNS0_4arch9wavefront6targetE1EEEvT1_: ; @_ZN7rocprim17ROCPRIM_400000_NS6detail17trampoline_kernelINS0_14default_configENS1_20scan_config_selectorIN3c104HalfEEEZZNS1_9scan_implILNS1_25lookback_scan_determinismE0ELb0ELb0ES3_PKS6_PS6_S6_ZZZN2at6native31launch_logcumsumexp_cuda_kernelERKNSD_10TensorBaseESH_lENKUlvE_clEvENKUlvE3_clEvEUlS6_S6_E_S6_EEDaPvRmT3_T4_T5_mT6_P12ihipStream_tbENKUlT_T0_E_clISt17integral_constantIbLb1EESX_IbLb0EEEEDaST_SU_EUlST_E0_NS1_11comp_targetILNS1_3genE0ELNS1_11target_archE4294967295ELNS1_3gpuE0ELNS1_3repE0EEENS1_30default_config_static_selectorELNS0_4arch9wavefront6targetE1EEEvT1_
; %bb.0:
	s_load_dwordx4 s[28:31], s[0:1], 0x0
	v_mov_b32_e32 v1, 0
	v_lshlrev_b32_e32 v8, 1, v0
	s_waitcnt lgkmcnt(0)
	global_load_ushort v1, v1, s[28:29]
	v_cmp_gt_u32_e32 vcc, s30, v0
	s_waitcnt vmcnt(0)
	v_mov_b32_e32 v2, v1
	s_and_saveexec_b64 s[2:3], vcc
	s_cbranch_execz .LBB406_2
; %bb.1:
	global_load_ushort v2, v8, s[28:29]
.LBB406_2:
	s_or_b64 exec, exec, s[2:3]
	v_or_b32_e32 v3, 0x80, v0
	v_cmp_gt_u32_e64 s[56:57], s30, v3
	v_mov_b32_e32 v3, v1
	s_and_saveexec_b64 s[2:3], s[56:57]
	s_cbranch_execz .LBB406_4
; %bb.3:
	global_load_ushort v3, v8, s[28:29] offset:256
.LBB406_4:
	s_or_b64 exec, exec, s[2:3]
	v_or_b32_e32 v4, 0x100, v0
	v_cmp_gt_u32_e64 s[2:3], s30, v4
	v_mov_b32_e32 v4, v1
	s_and_saveexec_b64 s[4:5], s[2:3]
	s_cbranch_execz .LBB406_6
; %bb.5:
	global_load_ushort v4, v8, s[28:29] offset:512
.LBB406_6:
	;; [unrolled: 9-line block ×12, first 2 shown]
	s_or_b64 exec, exec, s[24:25]
	v_or_b32_e32 v16, 0x680, v0
	v_cmp_gt_u32_e64 s[24:25], s30, v16
	v_cmp_le_u32_e64 s[26:27], s30, v16
	s_and_saveexec_b64 s[30:31], s[26:27]
	s_xor_b64 s[26:27], exec, s[30:31]
	s_andn2_saveexec_b64 s[26:27], s[26:27]
	s_cbranch_execz .LBB406_28
; %bb.27:
	v_lshlrev_b32_e32 v1, 1, v0
	global_load_ushort v1, v1, s[28:29] offset:3328
.LBB406_28:
	s_or_b64 exec, exec, s[26:27]
	s_waitcnt vmcnt(0)
	ds_write_b16 v8, v2
	ds_write_b16 v8, v3 offset:256
	ds_write_b16 v8, v4 offset:512
	;; [unrolled: 1-line block ×13, first 2 shown]
	v_mad_u32_u24 v1, v0, 26, v8
	s_waitcnt lgkmcnt(0)
	s_barrier
	ds_read2_b32 v[2:3], v1 offset1:1
	ds_read2_b32 v[6:7], v1 offset0:2 offset1:3
	ds_read2_b32 v[4:5], v1 offset0:4 offset1:5
	ds_read_b32 v19, v1 offset:24
	s_movk_i32 s33, 0x1f8
	s_waitcnt lgkmcnt(3)
	v_cvt_f32_f16_e32 v1, v2
	v_cvt_f32_f16_sdwa v9, v2 dst_sel:DWORD dst_unused:UNUSED_PAD src0_sel:WORD_1
	v_cmp_u_f16_e64 s[54:55], v2, v2
	v_cmp_u_f16_sdwa s[26:27], v2, v2 src0_sel:WORD_1 src1_sel:WORD_1
	v_mov_b32_e32 v22, v1
	v_min_f32_e32 v17, v1, v9
	v_cndmask_b32_e64 v10, v17, v1, s[54:55]
	v_max_f32_e32 v18, v1, v9
	v_cndmask_b32_e64 v11, v10, v9, s[26:27]
	v_cndmask_b32_e64 v10, v18, v1, s[54:55]
	;; [unrolled: 1-line block ×3, first 2 shown]
	v_cmp_neq_f32_e64 s[28:29], v11, v10
	v_cmp_class_f32_e64 s[30:31], v11, s33
	s_or_b64 s[28:29], s[28:29], s[30:31]
	v_mov_b32_e32 v20, v2
	v_mov_b32_e32 v21, v2
	s_waitcnt lgkmcnt(0)
	s_barrier
	s_and_saveexec_b64 s[30:31], s[28:29]
	s_cbranch_execz .LBB406_30
; %bb.29:
	v_sub_f32_e32 v11, v11, v10
	s_mov_b32 s28, 0x3fb8aa3b
	v_mul_f32_e32 v12, 0x3fb8aa3b, v11
	v_fma_f32 v13, v11, s28, -v12
	v_rndne_f32_e32 v14, v12
	v_fmamk_f32 v13, v11, 0x32a5705f, v13
	v_sub_f32_e32 v12, v12, v14
	v_add_f32_e32 v12, v12, v13
	v_exp_f32_e32 v12, v12
	v_cvt_i32_f32_e32 v13, v14
	s_mov_b32 s28, 0xc2ce8ed0
	v_cmp_ngt_f32_e64 s[28:29], s28, v11
	v_mov_b32_e32 v16, 0x7f800000
	v_ldexp_f32 v12, v12, v13
	v_cndmask_b32_e64 v12, 0, v12, s[28:29]
	s_mov_b32 s28, 0x42b17218
	v_cmp_nlt_f32_e64 s[28:29], s28, v11
	s_mov_b32 s34, 0x7f800000
	s_nop 0
	v_cndmask_b32_e64 v11, v16, v12, s[28:29]
	v_add_f32_e32 v14, 1.0, v11
	v_add_f32_e32 v12, -1.0, v14
	v_sub_f32_e32 v13, v12, v14
	v_add_f32_e32 v13, 1.0, v13
	v_sub_f32_e32 v12, v11, v12
	v_add_f32_e32 v15, v12, v13
	v_frexp_mant_f32_e32 v20, v14
	s_mov_b32 s28, 0x3f2aaaab
	v_cvt_f64_f32_e32 v[12:13], v14
	v_frexp_exp_i32_f64_e32 v12, v[12:13]
	v_cmp_gt_f32_e64 s[28:29], s28, v20
	s_nop 1
	v_subbrev_co_u32_e64 v24, s[28:29], 0, v12, s[28:29]
	v_sub_u32_e32 v12, 0, v24
	v_ldexp_f32 v13, v14, v12
	v_add_f32_e32 v14, -1.0, v13
	v_add_f32_e32 v20, 1.0, v13
	v_ldexp_f32 v12, v15, v12
	v_add_f32_e32 v15, 1.0, v14
	v_add_f32_e32 v21, -1.0, v20
	v_sub_f32_e32 v15, v13, v15
	v_sub_f32_e32 v13, v13, v21
	v_add_f32_e32 v15, v12, v15
	v_add_f32_e32 v12, v12, v13
	v_add_f32_e32 v25, v20, v12
	v_rcp_f32_e32 v27, v25
	v_sub_f32_e32 v13, v20, v25
	v_add_f32_e32 v26, v12, v13
	v_add_f32_e32 v13, v14, v15
	v_mul_f32_e32 v29, v13, v27
	v_sub_f32_e32 v12, v14, v13
	v_mul_f32_e32 v14, v25, v29
	v_fma_f32 v20, v29, v25, -v14
	v_fmac_f32_e32 v20, v29, v26
	v_add_f32_e32 v28, v15, v12
	v_add_f32_e32 v12, v14, v20
	v_sub_f32_e32 v15, v13, v12
	v_pk_add_f32 v[22:23], v[12:13], v[14:15] neg_lo:[0,1] neg_hi:[0,1]
	v_mov_b32_e32 v21, v12
	v_pk_add_f32 v[12:13], v[22:23], v[20:21] neg_lo:[0,1] neg_hi:[0,1]
	s_mov_b32 s28, 0x3f317218
	v_add_f32_e32 v13, v28, v13
	v_add_f32_e32 v12, v12, v13
	v_add_f32_e32 v13, v15, v12
	v_mul_f32_e32 v28, v27, v13
	v_mul_f32_e32 v14, v25, v28
	v_fma_f32 v20, v28, v25, -v14
	v_fmac_f32_e32 v20, v28, v26
	v_sub_f32_e32 v15, v15, v13
	v_add_f32_e32 v25, v12, v15
	v_add_f32_e32 v12, v14, v20
	v_sub_f32_e32 v15, v13, v12
	v_pk_add_f32 v[22:23], v[12:13], v[14:15] neg_lo:[0,1] neg_hi:[0,1]
	v_mov_b32_e32 v21, v12
	v_pk_add_f32 v[12:13], v[22:23], v[20:21] neg_lo:[0,1] neg_hi:[0,1]
	v_cvt_f32_i32_e32 v14, v24
	v_add_f32_e32 v13, v25, v13
	v_add_f32_e32 v12, v12, v13
	v_add_f32_e32 v12, v15, v12
	v_add_f32_e32 v15, v29, v28
	v_sub_f32_e32 v13, v15, v29
	v_mul_f32_e32 v12, v27, v12
	v_sub_f32_e32 v13, v28, v13
	v_add_f32_e32 v12, v13, v12
	v_add_f32_e32 v20, v15, v12
	v_mul_f32_e32 v22, v20, v20
	v_mov_b32_e32 v13, 0x3ecc95a3
	v_sub_f32_e32 v15, v20, v15
	v_fmac_f32_e32 v13, 0x3e9b6dac, v22
	v_sub_f32_e32 v12, v12, v15
	v_fmaak_f32 v13, v22, v13, 0x3f2aaada
	v_ldexp_f32 v23, v12, 1
	v_mul_f32_e32 v15, v20, v22
	v_mov_b32_e32 v12, 0x3f317218
	v_pk_mul_f32 v[12:13], v[14:15], v[12:13]
	v_ldexp_f32 v21, v20, 1
	v_fma_f32 v15, v14, s28, -v12
	v_fmamk_f32 v20, v14, 0xb102e308, v15
	v_pk_add_f32 v[14:15], v[12:13], v[20:21]
	v_mov_b32_e32 v22, v12
	v_sub_f32_e32 v21, v15, v21
	v_sub_f32_e32 v21, v13, v21
	v_add_f32_e32 v23, v23, v21
	v_pk_add_f32 v[12:13], v[14:15], v[12:13] neg_lo:[0,1] neg_hi:[0,1]
	v_pk_add_f32 v[24:25], v[14:15], v[22:23]
	v_mov_b32_e32 v21, v14
	v_mov_b32_e32 v13, v25
	v_pk_add_f32 v[26:27], v[20:21], v[12:13] neg_lo:[0,1] neg_hi:[0,1]
	v_pk_add_f32 v[12:13], v[20:21], v[12:13]
	v_mov_b32_e32 v22, v23
	v_pk_add_f32 v[20:21], v[12:13], v[14:15] op_sel:[1,0] op_sel_hi:[0,1] neg_lo:[0,1] neg_hi:[0,1]
	v_pk_add_f32 v[28:29], v[24:25], v[20:21] op_sel_hi:[1,0] neg_lo:[0,1] neg_hi:[0,1]
	v_mov_b32_e32 v24, v25
	v_mov_b32_e32 v25, v13
	v_pk_mov_b32 v[20:21], v[14:15], v[20:21] op_sel:[1,0]
	v_mov_b32_e32 v23, v14
	v_pk_add_f32 v[20:21], v[24:25], v[20:21] neg_lo:[0,1] neg_hi:[0,1]
	v_mov_b32_e32 v28, v26
	v_pk_add_f32 v[14:15], v[22:23], v[20:21] neg_lo:[0,1] neg_hi:[0,1]
	v_mov_b32_e32 v27, v13
	v_pk_add_f32 v[20:21], v[28:29], v[14:15]
	v_cmp_neq_f32_e64 s[28:29], s34, v11
	v_pk_add_f32 v[22:23], v[20:21], v[20:21] op_sel:[0,1] op_sel_hi:[1,0]
	s_nop 0
	v_pk_add_f32 v[12:13], v[12:13], v[22:23] op_sel:[1,0] op_sel_hi:[0,1]
	v_mov_b32_e32 v21, v12
	v_pk_add_f32 v[24:25], v[20:21], v[26:27] neg_lo:[0,1] neg_hi:[0,1]
	v_mov_b32_e32 v15, v22
	v_sub_f32_e32 v13, v20, v24
	v_pk_add_f32 v[14:15], v[14:15], v[24:25] neg_lo:[0,1] neg_hi:[0,1]
	v_sub_f32_e32 v13, v26, v13
	v_add_f32_e32 v13, v14, v13
	v_add_f32_e32 v13, v13, v15
	;; [unrolled: 1-line block ×3, first 2 shown]
	v_cndmask_b32_e64 v12, v16, v12, s[28:29]
	s_mov_b32 s28, 0x33800000
	v_cmp_lt_f32_e64 s[28:29], |v11|, s28
	s_nop 1
	v_cndmask_b32_e64 v11, v12, v11, s[28:29]
	v_add_f32_e32 v10, v10, v11
	v_cvt_f16_f32_e32 v20, v10
	v_cvt_f32_f16_e32 v22, v20
	v_mov_b32_e32 v21, v20
.LBB406_30:
	s_or_b64 exec, exec, s[30:31]
	v_cvt_f32_f16_e32 v10, v3
	v_max_f32_e32 v11, v22, v22
	v_cmp_u_f16_e64 s[30:31], v20, v20
	v_cmp_u_f16_e64 s[28:29], v3, v3
	v_min_f32_e32 v12, v11, v10
	v_max_f32_e32 v11, v11, v10
	v_cndmask_b32_e64 v12, v12, v22, s[30:31]
	v_cndmask_b32_e64 v11, v11, v22, s[30:31]
	v_cndmask_b32_e64 v12, v12, v10, s[28:29]
	v_cndmask_b32_e64 v11, v11, v10, s[28:29]
	v_cmp_neq_f32_e64 s[30:31], v12, v11
	v_cmp_class_f32_e64 s[34:35], v12, s33
	s_or_b64 s[30:31], s[30:31], s[34:35]
	s_and_saveexec_b64 s[34:35], s[30:31]
	s_cbranch_execz .LBB406_32
; %bb.31:
	v_sub_f32_e32 v12, v12, v11
	s_mov_b32 s30, 0x3fb8aa3b
	v_mul_f32_e32 v13, 0x3fb8aa3b, v12
	v_fma_f32 v14, v12, s30, -v13
	v_rndne_f32_e32 v15, v13
	v_fmamk_f32 v14, v12, 0x32a5705f, v14
	v_sub_f32_e32 v13, v13, v15
	v_add_f32_e32 v13, v13, v14
	v_exp_f32_e32 v13, v13
	v_cvt_i32_f32_e32 v14, v15
	s_mov_b32 s30, 0xc2ce8ed0
	v_cmp_ngt_f32_e64 s[30:31], s30, v12
	v_mov_b32_e32 v16, 0x7f800000
	v_ldexp_f32 v13, v13, v14
	v_cndmask_b32_e64 v13, 0, v13, s[30:31]
	s_mov_b32 s30, 0x42b17218
	v_cmp_nlt_f32_e64 s[30:31], s30, v12
	s_mov_b32 s33, 0x7f800000
	s_nop 0
	v_cndmask_b32_e64 v30, v16, v13, s[30:31]
	v_add_f32_e32 v14, 1.0, v30
	v_add_f32_e32 v12, -1.0, v14
	v_sub_f32_e32 v13, v12, v14
	v_add_f32_e32 v13, 1.0, v13
	v_sub_f32_e32 v12, v30, v12
	v_add_f32_e32 v15, v12, v13
	v_frexp_mant_f32_e32 v20, v14
	s_mov_b32 s30, 0x3f2aaaab
	v_cvt_f64_f32_e32 v[12:13], v14
	v_frexp_exp_i32_f64_e32 v12, v[12:13]
	v_cmp_gt_f32_e64 s[30:31], s30, v20
	s_nop 1
	v_subbrev_co_u32_e64 v24, s[30:31], 0, v12, s[30:31]
	v_sub_u32_e32 v12, 0, v24
	v_ldexp_f32 v13, v14, v12
	v_add_f32_e32 v14, -1.0, v13
	v_add_f32_e32 v20, 1.0, v13
	v_ldexp_f32 v12, v15, v12
	v_add_f32_e32 v15, 1.0, v14
	v_add_f32_e32 v21, -1.0, v20
	v_sub_f32_e32 v15, v13, v15
	v_sub_f32_e32 v13, v13, v21
	v_add_f32_e32 v15, v12, v15
	v_add_f32_e32 v12, v12, v13
	;; [unrolled: 1-line block ×3, first 2 shown]
	v_rcp_f32_e32 v27, v25
	v_sub_f32_e32 v13, v20, v25
	v_add_f32_e32 v26, v12, v13
	v_add_f32_e32 v13, v14, v15
	v_mul_f32_e32 v29, v13, v27
	v_sub_f32_e32 v12, v14, v13
	v_mul_f32_e32 v14, v25, v29
	v_fma_f32 v20, v29, v25, -v14
	v_fmac_f32_e32 v20, v29, v26
	v_add_f32_e32 v28, v15, v12
	v_add_f32_e32 v12, v14, v20
	v_sub_f32_e32 v15, v13, v12
	v_pk_add_f32 v[22:23], v[12:13], v[14:15] neg_lo:[0,1] neg_hi:[0,1]
	v_mov_b32_e32 v21, v12
	v_pk_add_f32 v[12:13], v[22:23], v[20:21] neg_lo:[0,1] neg_hi:[0,1]
	s_mov_b32 s30, 0x3f317218
	v_add_f32_e32 v13, v28, v13
	v_add_f32_e32 v12, v12, v13
	;; [unrolled: 1-line block ×3, first 2 shown]
	v_mul_f32_e32 v28, v27, v13
	v_mul_f32_e32 v14, v25, v28
	v_fma_f32 v20, v28, v25, -v14
	v_fmac_f32_e32 v20, v28, v26
	v_sub_f32_e32 v15, v15, v13
	v_add_f32_e32 v25, v12, v15
	v_add_f32_e32 v12, v14, v20
	v_sub_f32_e32 v15, v13, v12
	v_pk_add_f32 v[22:23], v[12:13], v[14:15] neg_lo:[0,1] neg_hi:[0,1]
	v_mov_b32_e32 v21, v12
	v_pk_add_f32 v[12:13], v[22:23], v[20:21] neg_lo:[0,1] neg_hi:[0,1]
	v_cvt_f32_i32_e32 v14, v24
	v_add_f32_e32 v13, v25, v13
	v_add_f32_e32 v12, v12, v13
	;; [unrolled: 1-line block ×4, first 2 shown]
	v_sub_f32_e32 v13, v15, v29
	v_mul_f32_e32 v12, v27, v12
	v_sub_f32_e32 v13, v28, v13
	v_add_f32_e32 v12, v13, v12
	v_add_f32_e32 v20, v15, v12
	v_mul_f32_e32 v22, v20, v20
	v_mov_b32_e32 v13, 0x3ecc95a3
	v_sub_f32_e32 v15, v20, v15
	v_fmac_f32_e32 v13, 0x3e9b6dac, v22
	v_sub_f32_e32 v12, v12, v15
	v_fmaak_f32 v13, v22, v13, 0x3f2aaada
	v_ldexp_f32 v23, v12, 1
	v_mul_f32_e32 v15, v20, v22
	v_mov_b32_e32 v12, 0x3f317218
	v_pk_mul_f32 v[12:13], v[14:15], v[12:13]
	v_ldexp_f32 v21, v20, 1
	v_fma_f32 v15, v14, s30, -v12
	v_fmamk_f32 v20, v14, 0xb102e308, v15
	v_pk_add_f32 v[14:15], v[12:13], v[20:21]
	v_mov_b32_e32 v22, v12
	v_sub_f32_e32 v21, v15, v21
	v_sub_f32_e32 v21, v13, v21
	v_add_f32_e32 v23, v23, v21
	v_pk_add_f32 v[12:13], v[14:15], v[12:13] neg_lo:[0,1] neg_hi:[0,1]
	v_pk_add_f32 v[24:25], v[14:15], v[22:23]
	v_mov_b32_e32 v21, v14
	v_mov_b32_e32 v13, v25
	v_pk_add_f32 v[26:27], v[20:21], v[12:13] neg_lo:[0,1] neg_hi:[0,1]
	v_pk_add_f32 v[12:13], v[20:21], v[12:13]
	v_mov_b32_e32 v22, v23
	v_pk_add_f32 v[20:21], v[12:13], v[14:15] op_sel:[1,0] op_sel_hi:[0,1] neg_lo:[0,1] neg_hi:[0,1]
	v_pk_add_f32 v[28:29], v[24:25], v[20:21] op_sel_hi:[1,0] neg_lo:[0,1] neg_hi:[0,1]
	v_mov_b32_e32 v24, v25
	v_mov_b32_e32 v25, v13
	v_pk_mov_b32 v[20:21], v[14:15], v[20:21] op_sel:[1,0]
	v_mov_b32_e32 v23, v14
	v_pk_add_f32 v[20:21], v[24:25], v[20:21] neg_lo:[0,1] neg_hi:[0,1]
	v_mov_b32_e32 v28, v26
	v_pk_add_f32 v[14:15], v[22:23], v[20:21] neg_lo:[0,1] neg_hi:[0,1]
	v_mov_b32_e32 v27, v13
	v_pk_add_f32 v[20:21], v[28:29], v[14:15]
	v_cmp_neq_f32_e64 s[30:31], s33, v30
	v_pk_add_f32 v[22:23], v[20:21], v[20:21] op_sel:[0,1] op_sel_hi:[1,0]
	s_nop 0
	v_pk_add_f32 v[12:13], v[12:13], v[22:23] op_sel:[1,0] op_sel_hi:[0,1]
	v_mov_b32_e32 v21, v12
	v_pk_add_f32 v[24:25], v[20:21], v[26:27] neg_lo:[0,1] neg_hi:[0,1]
	v_mov_b32_e32 v15, v22
	v_sub_f32_e32 v13, v20, v24
	v_pk_add_f32 v[14:15], v[14:15], v[24:25] neg_lo:[0,1] neg_hi:[0,1]
	v_sub_f32_e32 v13, v26, v13
	v_add_f32_e32 v13, v14, v13
	v_add_f32_e32 v13, v13, v15
	;; [unrolled: 1-line block ×3, first 2 shown]
	v_cndmask_b32_e64 v12, v16, v12, s[30:31]
	s_mov_b32 s30, 0x33800000
	v_cmp_lt_f32_e64 s[30:31], |v30|, s30
	s_nop 1
	v_cndmask_b32_e64 v12, v12, v30, s[30:31]
	v_add_f32_e32 v11, v11, v12
	v_cvt_f16_f32_e32 v20, v11
	v_cvt_f32_f16_e32 v22, v20
	v_mov_b32_e32 v21, v20
.LBB406_32:
	s_or_b64 exec, exec, s[34:35]
	v_cvt_f32_f16_sdwa v11, v3 dst_sel:DWORD dst_unused:UNUSED_PAD src0_sel:WORD_1
	v_max_f32_e32 v13, v22, v22
	v_cmp_u_f16_e64 s[34:35], v20, v20
	v_cmp_u_f16_sdwa s[30:31], v3, v3 src0_sel:WORD_1 src1_sel:WORD_1
	v_min_f32_e32 v12, v13, v11
	v_max_f32_e32 v3, v13, v11
	v_cndmask_b32_e64 v12, v12, v22, s[34:35]
	v_cndmask_b32_e64 v3, v3, v22, s[34:35]
	;; [unrolled: 1-line block ×4, first 2 shown]
	s_movk_i32 s33, 0x1f8
	v_cmp_neq_f32_e64 s[34:35], v12, v3
	v_cmp_class_f32_e64 s[36:37], v12, s33
	s_or_b64 s[34:35], s[34:35], s[36:37]
	s_and_saveexec_b64 s[36:37], s[34:35]
	s_cbranch_execz .LBB406_34
; %bb.33:
	v_sub_f32_e32 v12, v12, v3
	s_mov_b32 s34, 0x3fb8aa3b
	v_mul_f32_e32 v13, 0x3fb8aa3b, v12
	v_fma_f32 v14, v12, s34, -v13
	v_rndne_f32_e32 v15, v13
	v_fmamk_f32 v14, v12, 0x32a5705f, v14
	v_sub_f32_e32 v13, v13, v15
	v_add_f32_e32 v13, v13, v14
	v_exp_f32_e32 v13, v13
	v_cvt_i32_f32_e32 v14, v15
	s_mov_b32 s34, 0xc2ce8ed0
	v_cmp_ngt_f32_e64 s[34:35], s34, v12
	v_mov_b32_e32 v16, 0x7f800000
	v_ldexp_f32 v13, v13, v14
	v_cndmask_b32_e64 v13, 0, v13, s[34:35]
	s_mov_b32 s34, 0x42b17218
	v_cmp_nlt_f32_e64 s[34:35], s34, v12
	s_mov_b32 s38, 0x7f800000
	s_nop 0
	v_cndmask_b32_e64 v30, v16, v13, s[34:35]
	v_add_f32_e32 v14, 1.0, v30
	v_add_f32_e32 v12, -1.0, v14
	v_sub_f32_e32 v13, v12, v14
	v_add_f32_e32 v13, 1.0, v13
	v_sub_f32_e32 v12, v30, v12
	v_add_f32_e32 v15, v12, v13
	v_frexp_mant_f32_e32 v20, v14
	s_mov_b32 s34, 0x3f2aaaab
	v_cvt_f64_f32_e32 v[12:13], v14
	v_frexp_exp_i32_f64_e32 v12, v[12:13]
	v_cmp_gt_f32_e64 s[34:35], s34, v20
	s_nop 1
	v_subbrev_co_u32_e64 v24, s[34:35], 0, v12, s[34:35]
	v_sub_u32_e32 v12, 0, v24
	v_ldexp_f32 v13, v14, v12
	v_add_f32_e32 v14, -1.0, v13
	v_add_f32_e32 v20, 1.0, v13
	v_ldexp_f32 v12, v15, v12
	v_add_f32_e32 v15, 1.0, v14
	v_add_f32_e32 v21, -1.0, v20
	v_sub_f32_e32 v15, v13, v15
	v_sub_f32_e32 v13, v13, v21
	v_add_f32_e32 v15, v12, v15
	v_add_f32_e32 v12, v12, v13
	;; [unrolled: 1-line block ×3, first 2 shown]
	v_rcp_f32_e32 v27, v25
	v_sub_f32_e32 v13, v20, v25
	v_add_f32_e32 v26, v12, v13
	v_add_f32_e32 v13, v14, v15
	v_mul_f32_e32 v29, v13, v27
	v_sub_f32_e32 v12, v14, v13
	v_mul_f32_e32 v14, v25, v29
	v_fma_f32 v20, v29, v25, -v14
	v_fmac_f32_e32 v20, v29, v26
	v_add_f32_e32 v28, v15, v12
	v_add_f32_e32 v12, v14, v20
	v_sub_f32_e32 v15, v13, v12
	v_pk_add_f32 v[22:23], v[12:13], v[14:15] neg_lo:[0,1] neg_hi:[0,1]
	v_mov_b32_e32 v21, v12
	v_pk_add_f32 v[12:13], v[22:23], v[20:21] neg_lo:[0,1] neg_hi:[0,1]
	s_mov_b32 s34, 0x3f317218
	v_add_f32_e32 v13, v28, v13
	v_add_f32_e32 v12, v12, v13
	;; [unrolled: 1-line block ×3, first 2 shown]
	v_mul_f32_e32 v28, v27, v13
	v_mul_f32_e32 v14, v25, v28
	v_fma_f32 v20, v28, v25, -v14
	v_fmac_f32_e32 v20, v28, v26
	v_sub_f32_e32 v15, v15, v13
	v_add_f32_e32 v25, v12, v15
	v_add_f32_e32 v12, v14, v20
	v_sub_f32_e32 v15, v13, v12
	v_pk_add_f32 v[22:23], v[12:13], v[14:15] neg_lo:[0,1] neg_hi:[0,1]
	v_mov_b32_e32 v21, v12
	v_pk_add_f32 v[12:13], v[22:23], v[20:21] neg_lo:[0,1] neg_hi:[0,1]
	v_cvt_f32_i32_e32 v14, v24
	v_add_f32_e32 v13, v25, v13
	v_add_f32_e32 v12, v12, v13
	v_add_f32_e32 v12, v15, v12
	v_add_f32_e32 v15, v29, v28
	v_sub_f32_e32 v13, v15, v29
	v_mul_f32_e32 v12, v27, v12
	v_sub_f32_e32 v13, v28, v13
	v_add_f32_e32 v12, v13, v12
	v_add_f32_e32 v20, v15, v12
	v_mul_f32_e32 v22, v20, v20
	v_mov_b32_e32 v13, 0x3ecc95a3
	v_sub_f32_e32 v15, v20, v15
	v_fmac_f32_e32 v13, 0x3e9b6dac, v22
	v_sub_f32_e32 v12, v12, v15
	v_fmaak_f32 v13, v22, v13, 0x3f2aaada
	v_ldexp_f32 v23, v12, 1
	v_mul_f32_e32 v15, v20, v22
	v_mov_b32_e32 v12, 0x3f317218
	v_pk_mul_f32 v[12:13], v[14:15], v[12:13]
	v_ldexp_f32 v21, v20, 1
	v_fma_f32 v15, v14, s34, -v12
	v_fmamk_f32 v20, v14, 0xb102e308, v15
	v_pk_add_f32 v[14:15], v[12:13], v[20:21]
	v_mov_b32_e32 v22, v12
	v_sub_f32_e32 v21, v15, v21
	v_sub_f32_e32 v21, v13, v21
	v_add_f32_e32 v23, v23, v21
	v_pk_add_f32 v[12:13], v[14:15], v[12:13] neg_lo:[0,1] neg_hi:[0,1]
	v_pk_add_f32 v[24:25], v[14:15], v[22:23]
	v_mov_b32_e32 v21, v14
	v_mov_b32_e32 v13, v25
	v_pk_add_f32 v[26:27], v[20:21], v[12:13] neg_lo:[0,1] neg_hi:[0,1]
	v_pk_add_f32 v[12:13], v[20:21], v[12:13]
	v_mov_b32_e32 v22, v23
	v_pk_add_f32 v[20:21], v[12:13], v[14:15] op_sel:[1,0] op_sel_hi:[0,1] neg_lo:[0,1] neg_hi:[0,1]
	v_pk_add_f32 v[28:29], v[24:25], v[20:21] op_sel_hi:[1,0] neg_lo:[0,1] neg_hi:[0,1]
	v_mov_b32_e32 v24, v25
	v_mov_b32_e32 v25, v13
	v_pk_mov_b32 v[20:21], v[14:15], v[20:21] op_sel:[1,0]
	v_mov_b32_e32 v23, v14
	v_pk_add_f32 v[20:21], v[24:25], v[20:21] neg_lo:[0,1] neg_hi:[0,1]
	v_mov_b32_e32 v28, v26
	v_pk_add_f32 v[14:15], v[22:23], v[20:21] neg_lo:[0,1] neg_hi:[0,1]
	v_mov_b32_e32 v27, v13
	v_pk_add_f32 v[20:21], v[28:29], v[14:15]
	v_cmp_neq_f32_e64 s[34:35], s38, v30
	v_pk_add_f32 v[22:23], v[20:21], v[20:21] op_sel:[0,1] op_sel_hi:[1,0]
	s_nop 0
	v_pk_add_f32 v[12:13], v[12:13], v[22:23] op_sel:[1,0] op_sel_hi:[0,1]
	v_mov_b32_e32 v21, v12
	v_pk_add_f32 v[24:25], v[20:21], v[26:27] neg_lo:[0,1] neg_hi:[0,1]
	v_mov_b32_e32 v15, v22
	v_sub_f32_e32 v13, v20, v24
	v_pk_add_f32 v[14:15], v[14:15], v[24:25] neg_lo:[0,1] neg_hi:[0,1]
	v_sub_f32_e32 v13, v26, v13
	v_add_f32_e32 v13, v14, v13
	v_add_f32_e32 v13, v13, v15
	;; [unrolled: 1-line block ×3, first 2 shown]
	v_cndmask_b32_e64 v12, v16, v12, s[34:35]
	s_mov_b32 s34, 0x33800000
	v_cmp_lt_f32_e64 s[34:35], |v30|, s34
	s_nop 1
	v_cndmask_b32_e64 v12, v12, v30, s[34:35]
	v_add_f32_e32 v3, v3, v12
	v_cvt_f16_f32_e32 v20, v3
	v_cvt_f32_f16_e32 v22, v20
	v_mov_b32_e32 v21, v20
.LBB406_34:
	s_or_b64 exec, exec, s[36:37]
	v_cvt_f32_f16_e32 v3, v6
	v_max_f32_e32 v12, v22, v22
	v_cmp_u_f16_e64 s[36:37], v20, v20
	v_cmp_u_f16_e64 s[34:35], v6, v6
	v_min_f32_e32 v13, v12, v3
	v_max_f32_e32 v12, v12, v3
	v_cndmask_b32_e64 v13, v13, v22, s[36:37]
	v_cndmask_b32_e64 v12, v12, v22, s[36:37]
	;; [unrolled: 1-line block ×4, first 2 shown]
	v_cmp_neq_f32_e64 s[36:37], v13, v12
	v_cmp_class_f32_e64 s[38:39], v13, s33
	s_or_b64 s[36:37], s[36:37], s[38:39]
	s_and_saveexec_b64 s[38:39], s[36:37]
	s_cbranch_execz .LBB406_36
; %bb.35:
	v_sub_f32_e32 v13, v13, v12
	s_mov_b32 s33, 0x3fb8aa3b
	v_mul_f32_e32 v14, 0x3fb8aa3b, v13
	v_fma_f32 v15, v13, s33, -v14
	v_rndne_f32_e32 v16, v14
	v_fmamk_f32 v15, v13, 0x32a5705f, v15
	v_sub_f32_e32 v14, v14, v16
	v_add_f32_e32 v14, v14, v15
	v_exp_f32_e32 v14, v14
	v_cvt_i32_f32_e32 v15, v16
	s_mov_b32 s33, 0xc2ce8ed0
	v_cmp_ngt_f32_e64 s[36:37], s33, v13
	s_mov_b32 s33, 0x42b17218
	v_ldexp_f32 v14, v14, v15
	v_cndmask_b32_e64 v14, 0, v14, s[36:37]
	v_mov_b32_e32 v16, 0x7f800000
	v_cmp_nlt_f32_e64 s[36:37], s33, v13
	s_mov_b32 s33, 0x3f2aaaab
	s_mov_b32 s40, 0x7f800000
	v_cndmask_b32_e64 v13, v16, v14, s[36:37]
	v_add_f32_e32 v20, 1.0, v13
	v_add_f32_e32 v14, -1.0, v20
	v_sub_f32_e32 v15, v14, v20
	v_add_f32_e32 v15, 1.0, v15
	v_sub_f32_e32 v14, v13, v14
	v_add_f32_e32 v21, v14, v15
	v_frexp_mant_f32_e32 v22, v20
	v_cvt_f64_f32_e32 v[14:15], v20
	v_frexp_exp_i32_f64_e32 v14, v[14:15]
	v_cmp_gt_f32_e64 s[36:37], s33, v22
	s_mov_b32 s33, 0x3f317218
	s_nop 0
	v_subbrev_co_u32_e64 v26, s[36:37], 0, v14, s[36:37]
	v_sub_u32_e32 v14, 0, v26
	v_ldexp_f32 v15, v20, v14
	v_add_f32_e32 v20, -1.0, v15
	v_add_f32_e32 v22, 1.0, v15
	v_ldexp_f32 v14, v21, v14
	v_add_f32_e32 v21, 1.0, v20
	v_add_f32_e32 v23, -1.0, v22
	v_sub_f32_e32 v21, v15, v21
	v_sub_f32_e32 v15, v15, v23
	v_add_f32_e32 v21, v14, v21
	v_add_f32_e32 v14, v14, v15
	;; [unrolled: 1-line block ×3, first 2 shown]
	v_rcp_f32_e32 v29, v27
	v_sub_f32_e32 v15, v22, v27
	v_add_f32_e32 v28, v14, v15
	v_add_f32_e32 v15, v20, v21
	v_mul_f32_e32 v31, v15, v29
	v_sub_f32_e32 v14, v20, v15
	v_mul_f32_e32 v20, v27, v31
	v_fma_f32 v22, v31, v27, -v20
	v_fmac_f32_e32 v22, v31, v28
	v_add_f32_e32 v30, v21, v14
	v_add_f32_e32 v14, v20, v22
	v_sub_f32_e32 v21, v15, v14
	v_pk_add_f32 v[24:25], v[14:15], v[20:21] neg_lo:[0,1] neg_hi:[0,1]
	v_mov_b32_e32 v23, v14
	v_pk_add_f32 v[14:15], v[24:25], v[22:23] neg_lo:[0,1] neg_hi:[0,1]
	v_cmp_neq_f32_e64 s[36:37], s40, v13
	v_add_f32_e32 v15, v30, v15
	v_add_f32_e32 v14, v14, v15
	;; [unrolled: 1-line block ×3, first 2 shown]
	v_mul_f32_e32 v30, v29, v15
	v_mul_f32_e32 v20, v27, v30
	v_fma_f32 v22, v30, v27, -v20
	v_fmac_f32_e32 v22, v30, v28
	v_sub_f32_e32 v21, v21, v15
	v_add_f32_e32 v27, v14, v21
	v_add_f32_e32 v14, v20, v22
	v_sub_f32_e32 v21, v15, v14
	v_pk_add_f32 v[24:25], v[14:15], v[20:21] neg_lo:[0,1] neg_hi:[0,1]
	v_mov_b32_e32 v23, v14
	v_pk_add_f32 v[14:15], v[24:25], v[22:23] neg_lo:[0,1] neg_hi:[0,1]
	v_cvt_f32_i32_e32 v20, v26
	v_add_f32_e32 v15, v27, v15
	v_add_f32_e32 v14, v14, v15
	;; [unrolled: 1-line block ×4, first 2 shown]
	v_sub_f32_e32 v15, v21, v31
	v_mul_f32_e32 v14, v29, v14
	v_sub_f32_e32 v15, v30, v15
	v_add_f32_e32 v14, v15, v14
	v_add_f32_e32 v22, v21, v14
	v_mul_f32_e32 v24, v22, v22
	v_mov_b32_e32 v15, 0x3ecc95a3
	v_sub_f32_e32 v21, v22, v21
	v_fmac_f32_e32 v15, 0x3e9b6dac, v24
	v_sub_f32_e32 v14, v14, v21
	v_fmaak_f32 v15, v24, v15, 0x3f2aaada
	v_ldexp_f32 v25, v14, 1
	v_mul_f32_e32 v21, v22, v24
	v_mov_b32_e32 v14, 0x3f317218
	v_pk_mul_f32 v[14:15], v[20:21], v[14:15]
	v_ldexp_f32 v23, v22, 1
	v_fma_f32 v21, v20, s33, -v14
	v_fmamk_f32 v22, v20, 0xb102e308, v21
	v_pk_add_f32 v[20:21], v[14:15], v[22:23]
	v_mov_b32_e32 v24, v14
	v_sub_f32_e32 v23, v21, v23
	v_sub_f32_e32 v23, v15, v23
	v_add_f32_e32 v25, v25, v23
	v_pk_add_f32 v[14:15], v[20:21], v[14:15] neg_lo:[0,1] neg_hi:[0,1]
	v_pk_add_f32 v[26:27], v[20:21], v[24:25]
	v_mov_b32_e32 v23, v20
	v_mov_b32_e32 v15, v27
	v_pk_add_f32 v[28:29], v[22:23], v[14:15] neg_lo:[0,1] neg_hi:[0,1]
	v_pk_add_f32 v[14:15], v[22:23], v[14:15]
	v_mov_b32_e32 v24, v25
	v_pk_add_f32 v[22:23], v[14:15], v[20:21] op_sel:[1,0] op_sel_hi:[0,1] neg_lo:[0,1] neg_hi:[0,1]
	v_pk_add_f32 v[30:31], v[26:27], v[22:23] op_sel_hi:[1,0] neg_lo:[0,1] neg_hi:[0,1]
	v_mov_b32_e32 v26, v27
	v_mov_b32_e32 v27, v15
	v_pk_mov_b32 v[22:23], v[20:21], v[22:23] op_sel:[1,0]
	v_mov_b32_e32 v25, v20
	v_pk_add_f32 v[22:23], v[26:27], v[22:23] neg_lo:[0,1] neg_hi:[0,1]
	v_mov_b32_e32 v30, v28
	v_pk_add_f32 v[20:21], v[24:25], v[22:23] neg_lo:[0,1] neg_hi:[0,1]
	v_mov_b32_e32 v29, v15
	v_pk_add_f32 v[22:23], v[30:31], v[20:21]
	s_mov_b32 s33, 0x33800000
	v_pk_add_f32 v[24:25], v[22:23], v[22:23] op_sel:[0,1] op_sel_hi:[1,0]
	s_nop 0
	v_pk_add_f32 v[14:15], v[14:15], v[24:25] op_sel:[1,0] op_sel_hi:[0,1]
	v_mov_b32_e32 v23, v14
	v_pk_add_f32 v[26:27], v[22:23], v[28:29] neg_lo:[0,1] neg_hi:[0,1]
	v_mov_b32_e32 v21, v24
	v_sub_f32_e32 v15, v22, v26
	v_pk_add_f32 v[20:21], v[20:21], v[26:27] neg_lo:[0,1] neg_hi:[0,1]
	v_sub_f32_e32 v15, v28, v15
	v_add_f32_e32 v15, v20, v15
	v_add_f32_e32 v15, v15, v21
	;; [unrolled: 1-line block ×3, first 2 shown]
	v_cndmask_b32_e64 v14, v16, v14, s[36:37]
	v_cmp_lt_f32_e64 s[36:37], |v13|, s33
	s_nop 1
	v_cndmask_b32_e64 v13, v14, v13, s[36:37]
	v_add_f32_e32 v12, v12, v13
	v_cvt_f16_f32_e32 v20, v12
	v_cvt_f32_f16_e32 v22, v20
	v_mov_b32_e32 v21, v20
.LBB406_36:
	s_or_b64 exec, exec, s[38:39]
	v_cvt_f32_f16_sdwa v12, v6 dst_sel:DWORD dst_unused:UNUSED_PAD src0_sel:WORD_1
	v_max_f32_e32 v14, v22, v22
	v_cmp_u_f16_e64 s[38:39], v20, v20
	v_cmp_u_f16_sdwa s[36:37], v6, v6 src0_sel:WORD_1 src1_sel:WORD_1
	v_min_f32_e32 v13, v14, v12
	v_max_f32_e32 v6, v14, v12
	v_cndmask_b32_e64 v13, v13, v22, s[38:39]
	v_cndmask_b32_e64 v6, v6, v22, s[38:39]
	;; [unrolled: 1-line block ×4, first 2 shown]
	s_movk_i32 s33, 0x1f8
	v_cmp_neq_f32_e64 s[38:39], v13, v6
	v_cmp_class_f32_e64 s[40:41], v13, s33
	s_or_b64 s[38:39], s[38:39], s[40:41]
	s_and_saveexec_b64 s[40:41], s[38:39]
	s_cbranch_execz .LBB406_38
; %bb.37:
	v_sub_f32_e32 v13, v13, v6
	s_mov_b32 s38, 0x3fb8aa3b
	v_mul_f32_e32 v14, 0x3fb8aa3b, v13
	v_fma_f32 v15, v13, s38, -v14
	v_rndne_f32_e32 v16, v14
	v_fmamk_f32 v15, v13, 0x32a5705f, v15
	v_sub_f32_e32 v14, v14, v16
	v_add_f32_e32 v14, v14, v15
	v_exp_f32_e32 v14, v14
	v_cvt_i32_f32_e32 v15, v16
	s_mov_b32 s38, 0xc2ce8ed0
	v_cmp_ngt_f32_e64 s[38:39], s38, v13
	v_mov_b32_e32 v16, 0x7f800000
	v_ldexp_f32 v14, v14, v15
	v_cndmask_b32_e64 v14, 0, v14, s[38:39]
	s_mov_b32 s38, 0x42b17218
	v_cmp_nlt_f32_e64 s[38:39], s38, v13
	s_mov_b32 s42, 0x7f800000
	s_nop 0
	v_cndmask_b32_e64 v13, v16, v14, s[38:39]
	v_add_f32_e32 v20, 1.0, v13
	v_add_f32_e32 v14, -1.0, v20
	v_sub_f32_e32 v15, v14, v20
	v_add_f32_e32 v15, 1.0, v15
	v_sub_f32_e32 v14, v13, v14
	v_add_f32_e32 v21, v14, v15
	v_frexp_mant_f32_e32 v22, v20
	s_mov_b32 s38, 0x3f2aaaab
	v_cvt_f64_f32_e32 v[14:15], v20
	v_frexp_exp_i32_f64_e32 v14, v[14:15]
	v_cmp_gt_f32_e64 s[38:39], s38, v22
	s_nop 1
	v_subbrev_co_u32_e64 v26, s[38:39], 0, v14, s[38:39]
	v_sub_u32_e32 v14, 0, v26
	v_ldexp_f32 v15, v20, v14
	v_add_f32_e32 v20, -1.0, v15
	v_add_f32_e32 v22, 1.0, v15
	v_ldexp_f32 v14, v21, v14
	v_add_f32_e32 v21, 1.0, v20
	v_add_f32_e32 v23, -1.0, v22
	v_sub_f32_e32 v21, v15, v21
	v_sub_f32_e32 v15, v15, v23
	v_add_f32_e32 v21, v14, v21
	v_add_f32_e32 v14, v14, v15
	;; [unrolled: 1-line block ×3, first 2 shown]
	v_rcp_f32_e32 v29, v27
	v_sub_f32_e32 v15, v22, v27
	v_add_f32_e32 v28, v14, v15
	v_add_f32_e32 v15, v20, v21
	v_mul_f32_e32 v31, v15, v29
	v_sub_f32_e32 v14, v20, v15
	v_mul_f32_e32 v20, v27, v31
	v_fma_f32 v22, v31, v27, -v20
	v_fmac_f32_e32 v22, v31, v28
	v_add_f32_e32 v30, v21, v14
	v_add_f32_e32 v14, v20, v22
	v_sub_f32_e32 v21, v15, v14
	v_pk_add_f32 v[24:25], v[14:15], v[20:21] neg_lo:[0,1] neg_hi:[0,1]
	v_mov_b32_e32 v23, v14
	v_pk_add_f32 v[14:15], v[24:25], v[22:23] neg_lo:[0,1] neg_hi:[0,1]
	s_mov_b32 s38, 0x3f317218
	v_add_f32_e32 v15, v30, v15
	v_add_f32_e32 v14, v14, v15
	;; [unrolled: 1-line block ×3, first 2 shown]
	v_mul_f32_e32 v30, v29, v15
	v_mul_f32_e32 v20, v27, v30
	v_fma_f32 v22, v30, v27, -v20
	v_fmac_f32_e32 v22, v30, v28
	v_sub_f32_e32 v21, v21, v15
	v_add_f32_e32 v27, v14, v21
	v_add_f32_e32 v14, v20, v22
	v_sub_f32_e32 v21, v15, v14
	v_pk_add_f32 v[24:25], v[14:15], v[20:21] neg_lo:[0,1] neg_hi:[0,1]
	v_mov_b32_e32 v23, v14
	v_pk_add_f32 v[14:15], v[24:25], v[22:23] neg_lo:[0,1] neg_hi:[0,1]
	v_cvt_f32_i32_e32 v20, v26
	v_add_f32_e32 v15, v27, v15
	v_add_f32_e32 v14, v14, v15
	;; [unrolled: 1-line block ×4, first 2 shown]
	v_sub_f32_e32 v15, v21, v31
	v_mul_f32_e32 v14, v29, v14
	v_sub_f32_e32 v15, v30, v15
	v_add_f32_e32 v14, v15, v14
	v_add_f32_e32 v22, v21, v14
	v_mul_f32_e32 v24, v22, v22
	v_mov_b32_e32 v15, 0x3ecc95a3
	v_sub_f32_e32 v21, v22, v21
	v_fmac_f32_e32 v15, 0x3e9b6dac, v24
	v_sub_f32_e32 v14, v14, v21
	v_fmaak_f32 v15, v24, v15, 0x3f2aaada
	v_ldexp_f32 v25, v14, 1
	v_mul_f32_e32 v21, v22, v24
	v_mov_b32_e32 v14, 0x3f317218
	v_pk_mul_f32 v[14:15], v[20:21], v[14:15]
	v_ldexp_f32 v23, v22, 1
	v_fma_f32 v21, v20, s38, -v14
	v_fmamk_f32 v22, v20, 0xb102e308, v21
	v_pk_add_f32 v[20:21], v[14:15], v[22:23]
	v_mov_b32_e32 v24, v14
	v_sub_f32_e32 v23, v21, v23
	v_sub_f32_e32 v23, v15, v23
	v_add_f32_e32 v25, v25, v23
	v_pk_add_f32 v[14:15], v[20:21], v[14:15] neg_lo:[0,1] neg_hi:[0,1]
	v_pk_add_f32 v[26:27], v[20:21], v[24:25]
	v_mov_b32_e32 v23, v20
	v_mov_b32_e32 v15, v27
	v_pk_add_f32 v[28:29], v[22:23], v[14:15] neg_lo:[0,1] neg_hi:[0,1]
	v_pk_add_f32 v[14:15], v[22:23], v[14:15]
	v_mov_b32_e32 v24, v25
	v_pk_add_f32 v[22:23], v[14:15], v[20:21] op_sel:[1,0] op_sel_hi:[0,1] neg_lo:[0,1] neg_hi:[0,1]
	v_pk_add_f32 v[30:31], v[26:27], v[22:23] op_sel_hi:[1,0] neg_lo:[0,1] neg_hi:[0,1]
	v_mov_b32_e32 v26, v27
	v_mov_b32_e32 v27, v15
	v_pk_mov_b32 v[22:23], v[20:21], v[22:23] op_sel:[1,0]
	v_mov_b32_e32 v25, v20
	v_pk_add_f32 v[22:23], v[26:27], v[22:23] neg_lo:[0,1] neg_hi:[0,1]
	v_mov_b32_e32 v30, v28
	v_pk_add_f32 v[20:21], v[24:25], v[22:23] neg_lo:[0,1] neg_hi:[0,1]
	v_mov_b32_e32 v29, v15
	v_pk_add_f32 v[22:23], v[30:31], v[20:21]
	v_cmp_neq_f32_e64 s[38:39], s42, v13
	v_pk_add_f32 v[24:25], v[22:23], v[22:23] op_sel:[0,1] op_sel_hi:[1,0]
	s_nop 0
	v_pk_add_f32 v[14:15], v[14:15], v[24:25] op_sel:[1,0] op_sel_hi:[0,1]
	v_mov_b32_e32 v23, v14
	v_pk_add_f32 v[26:27], v[22:23], v[28:29] neg_lo:[0,1] neg_hi:[0,1]
	v_mov_b32_e32 v21, v24
	v_sub_f32_e32 v15, v22, v26
	v_pk_add_f32 v[20:21], v[20:21], v[26:27] neg_lo:[0,1] neg_hi:[0,1]
	v_sub_f32_e32 v15, v28, v15
	v_add_f32_e32 v15, v20, v15
	v_add_f32_e32 v15, v15, v21
	;; [unrolled: 1-line block ×3, first 2 shown]
	v_cndmask_b32_e64 v14, v16, v14, s[38:39]
	s_mov_b32 s38, 0x33800000
	v_cmp_lt_f32_e64 s[38:39], |v13|, s38
	s_nop 1
	v_cndmask_b32_e64 v13, v14, v13, s[38:39]
	v_add_f32_e32 v6, v6, v13
	v_cvt_f16_f32_e32 v20, v6
	v_cvt_f32_f16_e32 v22, v20
	v_mov_b32_e32 v21, v20
.LBB406_38:
	s_or_b64 exec, exec, s[40:41]
	v_cvt_f32_f16_e32 v6, v7
	v_max_f32_e32 v13, v22, v22
	v_cmp_u_f16_e64 s[40:41], v20, v20
	v_cmp_u_f16_e64 s[38:39], v7, v7
	v_min_f32_e32 v14, v13, v6
	v_max_f32_e32 v13, v13, v6
	v_cndmask_b32_e64 v14, v14, v22, s[40:41]
	v_cndmask_b32_e64 v13, v13, v22, s[40:41]
	;; [unrolled: 1-line block ×4, first 2 shown]
	v_cmp_neq_f32_e64 s[40:41], v14, v13
	v_cmp_class_f32_e64 s[42:43], v14, s33
	s_or_b64 s[40:41], s[40:41], s[42:43]
	s_and_saveexec_b64 s[42:43], s[40:41]
	s_cbranch_execz .LBB406_40
; %bb.39:
	v_sub_f32_e32 v14, v14, v13
	s_mov_b32 s33, 0x3fb8aa3b
	v_mul_f32_e32 v15, 0x3fb8aa3b, v14
	v_fma_f32 v16, v14, s33, -v15
	v_rndne_f32_e32 v20, v15
	v_fmamk_f32 v16, v14, 0x32a5705f, v16
	v_sub_f32_e32 v15, v15, v20
	v_add_f32_e32 v15, v15, v16
	v_exp_f32_e32 v15, v15
	v_cvt_i32_f32_e32 v16, v20
	s_mov_b32 s33, 0xc2ce8ed0
	v_cmp_ngt_f32_e64 s[40:41], s33, v14
	s_mov_b32 s33, 0x42b17218
	v_ldexp_f32 v15, v15, v16
	v_cndmask_b32_e64 v15, 0, v15, s[40:41]
	v_mov_b32_e32 v16, 0x7f800000
	v_cmp_nlt_f32_e64 s[40:41], s33, v14
	s_mov_b32 s33, 0x3f2aaaab
	s_mov_b32 s44, 0x7f800000
	v_cndmask_b32_e64 v32, v16, v15, s[40:41]
	v_add_f32_e32 v20, 1.0, v32
	v_add_f32_e32 v14, -1.0, v20
	v_sub_f32_e32 v15, v14, v20
	v_add_f32_e32 v15, 1.0, v15
	v_sub_f32_e32 v14, v32, v14
	v_add_f32_e32 v21, v14, v15
	v_frexp_mant_f32_e32 v22, v20
	v_cvt_f64_f32_e32 v[14:15], v20
	v_frexp_exp_i32_f64_e32 v14, v[14:15]
	v_cmp_gt_f32_e64 s[40:41], s33, v22
	s_mov_b32 s33, 0x3f317218
	s_nop 0
	v_subbrev_co_u32_e64 v26, s[40:41], 0, v14, s[40:41]
	v_sub_u32_e32 v14, 0, v26
	v_ldexp_f32 v15, v20, v14
	v_add_f32_e32 v20, -1.0, v15
	v_add_f32_e32 v22, 1.0, v15
	v_ldexp_f32 v14, v21, v14
	v_add_f32_e32 v21, 1.0, v20
	v_add_f32_e32 v23, -1.0, v22
	v_sub_f32_e32 v21, v15, v21
	v_sub_f32_e32 v15, v15, v23
	v_add_f32_e32 v21, v14, v21
	v_add_f32_e32 v14, v14, v15
	;; [unrolled: 1-line block ×3, first 2 shown]
	v_rcp_f32_e32 v29, v27
	v_sub_f32_e32 v15, v22, v27
	v_add_f32_e32 v28, v14, v15
	v_add_f32_e32 v15, v20, v21
	v_mul_f32_e32 v31, v15, v29
	v_sub_f32_e32 v14, v20, v15
	v_mul_f32_e32 v20, v27, v31
	v_fma_f32 v22, v31, v27, -v20
	v_fmac_f32_e32 v22, v31, v28
	v_add_f32_e32 v30, v21, v14
	v_add_f32_e32 v14, v20, v22
	v_sub_f32_e32 v21, v15, v14
	v_pk_add_f32 v[24:25], v[14:15], v[20:21] neg_lo:[0,1] neg_hi:[0,1]
	v_mov_b32_e32 v23, v14
	v_pk_add_f32 v[14:15], v[24:25], v[22:23] neg_lo:[0,1] neg_hi:[0,1]
	v_cmp_neq_f32_e64 s[40:41], s44, v32
	v_add_f32_e32 v15, v30, v15
	v_add_f32_e32 v14, v14, v15
	;; [unrolled: 1-line block ×3, first 2 shown]
	v_mul_f32_e32 v30, v29, v15
	v_mul_f32_e32 v20, v27, v30
	v_fma_f32 v22, v30, v27, -v20
	v_fmac_f32_e32 v22, v30, v28
	v_sub_f32_e32 v21, v21, v15
	v_add_f32_e32 v27, v14, v21
	v_add_f32_e32 v14, v20, v22
	v_sub_f32_e32 v21, v15, v14
	v_pk_add_f32 v[24:25], v[14:15], v[20:21] neg_lo:[0,1] neg_hi:[0,1]
	v_mov_b32_e32 v23, v14
	v_pk_add_f32 v[14:15], v[24:25], v[22:23] neg_lo:[0,1] neg_hi:[0,1]
	v_cvt_f32_i32_e32 v20, v26
	v_add_f32_e32 v15, v27, v15
	v_add_f32_e32 v14, v14, v15
	;; [unrolled: 1-line block ×4, first 2 shown]
	v_sub_f32_e32 v15, v21, v31
	v_mul_f32_e32 v14, v29, v14
	v_sub_f32_e32 v15, v30, v15
	v_add_f32_e32 v14, v15, v14
	v_add_f32_e32 v22, v21, v14
	v_mul_f32_e32 v24, v22, v22
	v_mov_b32_e32 v15, 0x3ecc95a3
	v_sub_f32_e32 v21, v22, v21
	v_fmac_f32_e32 v15, 0x3e9b6dac, v24
	v_sub_f32_e32 v14, v14, v21
	v_fmaak_f32 v15, v24, v15, 0x3f2aaada
	v_ldexp_f32 v25, v14, 1
	v_mul_f32_e32 v21, v22, v24
	v_mov_b32_e32 v14, 0x3f317218
	v_pk_mul_f32 v[14:15], v[20:21], v[14:15]
	v_ldexp_f32 v23, v22, 1
	v_fma_f32 v21, v20, s33, -v14
	v_fmamk_f32 v22, v20, 0xb102e308, v21
	v_pk_add_f32 v[20:21], v[14:15], v[22:23]
	v_mov_b32_e32 v24, v14
	v_sub_f32_e32 v23, v21, v23
	v_sub_f32_e32 v23, v15, v23
	v_add_f32_e32 v25, v25, v23
	v_pk_add_f32 v[14:15], v[20:21], v[14:15] neg_lo:[0,1] neg_hi:[0,1]
	v_pk_add_f32 v[26:27], v[20:21], v[24:25]
	v_mov_b32_e32 v23, v20
	v_mov_b32_e32 v15, v27
	v_pk_add_f32 v[28:29], v[22:23], v[14:15] neg_lo:[0,1] neg_hi:[0,1]
	v_pk_add_f32 v[14:15], v[22:23], v[14:15]
	v_mov_b32_e32 v24, v25
	v_pk_add_f32 v[22:23], v[14:15], v[20:21] op_sel:[1,0] op_sel_hi:[0,1] neg_lo:[0,1] neg_hi:[0,1]
	v_pk_add_f32 v[30:31], v[26:27], v[22:23] op_sel_hi:[1,0] neg_lo:[0,1] neg_hi:[0,1]
	v_mov_b32_e32 v26, v27
	v_mov_b32_e32 v27, v15
	v_pk_mov_b32 v[22:23], v[20:21], v[22:23] op_sel:[1,0]
	v_mov_b32_e32 v25, v20
	v_pk_add_f32 v[22:23], v[26:27], v[22:23] neg_lo:[0,1] neg_hi:[0,1]
	v_mov_b32_e32 v30, v28
	v_pk_add_f32 v[20:21], v[24:25], v[22:23] neg_lo:[0,1] neg_hi:[0,1]
	v_mov_b32_e32 v29, v15
	v_pk_add_f32 v[22:23], v[30:31], v[20:21]
	s_mov_b32 s33, 0x33800000
	v_pk_add_f32 v[24:25], v[22:23], v[22:23] op_sel:[0,1] op_sel_hi:[1,0]
	s_nop 0
	v_pk_add_f32 v[14:15], v[14:15], v[24:25] op_sel:[1,0] op_sel_hi:[0,1]
	v_mov_b32_e32 v23, v14
	v_pk_add_f32 v[26:27], v[22:23], v[28:29] neg_lo:[0,1] neg_hi:[0,1]
	v_mov_b32_e32 v21, v24
	v_sub_f32_e32 v15, v22, v26
	v_pk_add_f32 v[20:21], v[20:21], v[26:27] neg_lo:[0,1] neg_hi:[0,1]
	v_sub_f32_e32 v15, v28, v15
	v_add_f32_e32 v15, v20, v15
	v_add_f32_e32 v15, v15, v21
	v_add_f32_e32 v14, v14, v15
	v_cndmask_b32_e64 v14, v16, v14, s[40:41]
	v_cmp_lt_f32_e64 s[40:41], |v32|, s33
	s_nop 1
	v_cndmask_b32_e64 v14, v14, v32, s[40:41]
	v_add_f32_e32 v13, v13, v14
	v_cvt_f16_f32_e32 v20, v13
	v_cvt_f32_f16_e32 v22, v20
	v_mov_b32_e32 v21, v20
.LBB406_40:
	s_or_b64 exec, exec, s[42:43]
	v_cvt_f32_f16_sdwa v13, v7 dst_sel:DWORD dst_unused:UNUSED_PAD src0_sel:WORD_1
	v_max_f32_e32 v15, v22, v22
	v_cmp_u_f16_e64 s[42:43], v20, v20
	v_cmp_u_f16_sdwa s[40:41], v7, v7 src0_sel:WORD_1 src1_sel:WORD_1
	v_min_f32_e32 v14, v15, v13
	v_max_f32_e32 v7, v15, v13
	v_cndmask_b32_e64 v14, v14, v22, s[42:43]
	v_cndmask_b32_e64 v7, v7, v22, s[42:43]
	;; [unrolled: 1-line block ×4, first 2 shown]
	s_movk_i32 s33, 0x1f8
	v_cmp_neq_f32_e64 s[42:43], v14, v7
	v_cmp_class_f32_e64 s[44:45], v14, s33
	s_or_b64 s[42:43], s[42:43], s[44:45]
	s_and_saveexec_b64 s[44:45], s[42:43]
	s_cbranch_execz .LBB406_42
; %bb.41:
	v_sub_f32_e32 v14, v14, v7
	s_mov_b32 s42, 0x3fb8aa3b
	v_mul_f32_e32 v15, 0x3fb8aa3b, v14
	v_fma_f32 v16, v14, s42, -v15
	v_rndne_f32_e32 v20, v15
	v_fmamk_f32 v16, v14, 0x32a5705f, v16
	v_sub_f32_e32 v15, v15, v20
	v_add_f32_e32 v15, v15, v16
	v_exp_f32_e32 v15, v15
	v_cvt_i32_f32_e32 v16, v20
	s_mov_b32 s42, 0xc2ce8ed0
	v_cmp_ngt_f32_e64 s[42:43], s42, v14
	s_mov_b32 s46, 0x7f800000
	v_ldexp_f32 v15, v15, v16
	v_cndmask_b32_e64 v15, 0, v15, s[42:43]
	s_mov_b32 s42, 0x42b17218
	v_mov_b32_e32 v16, 0x7f800000
	v_cmp_nlt_f32_e64 s[42:43], s42, v14
	s_nop 1
	v_cndmask_b32_e64 v32, v16, v15, s[42:43]
	v_add_f32_e32 v20, 1.0, v32
	v_add_f32_e32 v14, -1.0, v20
	v_sub_f32_e32 v15, v14, v20
	v_add_f32_e32 v15, 1.0, v15
	v_sub_f32_e32 v14, v32, v14
	v_add_f32_e32 v21, v14, v15
	v_frexp_mant_f32_e32 v22, v20
	s_mov_b32 s42, 0x3f2aaaab
	v_cvt_f64_f32_e32 v[14:15], v20
	v_frexp_exp_i32_f64_e32 v14, v[14:15]
	v_cmp_gt_f32_e64 s[42:43], s42, v22
	s_nop 1
	v_subbrev_co_u32_e64 v26, s[42:43], 0, v14, s[42:43]
	v_sub_u32_e32 v14, 0, v26
	v_ldexp_f32 v15, v20, v14
	v_add_f32_e32 v20, -1.0, v15
	v_add_f32_e32 v22, 1.0, v15
	v_ldexp_f32 v14, v21, v14
	v_add_f32_e32 v21, 1.0, v20
	v_add_f32_e32 v23, -1.0, v22
	v_sub_f32_e32 v21, v15, v21
	v_sub_f32_e32 v15, v15, v23
	v_add_f32_e32 v21, v14, v21
	v_add_f32_e32 v14, v14, v15
	;; [unrolled: 1-line block ×3, first 2 shown]
	v_rcp_f32_e32 v29, v27
	v_sub_f32_e32 v15, v22, v27
	v_add_f32_e32 v28, v14, v15
	v_add_f32_e32 v15, v20, v21
	v_mul_f32_e32 v31, v15, v29
	v_sub_f32_e32 v14, v20, v15
	v_mul_f32_e32 v20, v27, v31
	v_fma_f32 v22, v31, v27, -v20
	v_fmac_f32_e32 v22, v31, v28
	v_add_f32_e32 v30, v21, v14
	v_add_f32_e32 v14, v20, v22
	v_sub_f32_e32 v21, v15, v14
	v_pk_add_f32 v[24:25], v[14:15], v[20:21] neg_lo:[0,1] neg_hi:[0,1]
	v_mov_b32_e32 v23, v14
	v_pk_add_f32 v[14:15], v[24:25], v[22:23] neg_lo:[0,1] neg_hi:[0,1]
	s_mov_b32 s42, 0x3f317218
	v_add_f32_e32 v15, v30, v15
	v_add_f32_e32 v14, v14, v15
	;; [unrolled: 1-line block ×3, first 2 shown]
	v_mul_f32_e32 v30, v29, v15
	v_mul_f32_e32 v20, v27, v30
	v_fma_f32 v22, v30, v27, -v20
	v_fmac_f32_e32 v22, v30, v28
	v_sub_f32_e32 v21, v21, v15
	v_add_f32_e32 v27, v14, v21
	v_add_f32_e32 v14, v20, v22
	v_sub_f32_e32 v21, v15, v14
	v_pk_add_f32 v[24:25], v[14:15], v[20:21] neg_lo:[0,1] neg_hi:[0,1]
	v_mov_b32_e32 v23, v14
	v_pk_add_f32 v[14:15], v[24:25], v[22:23] neg_lo:[0,1] neg_hi:[0,1]
	v_cvt_f32_i32_e32 v20, v26
	v_add_f32_e32 v15, v27, v15
	v_add_f32_e32 v14, v14, v15
	v_add_f32_e32 v14, v21, v14
	v_add_f32_e32 v21, v31, v30
	v_sub_f32_e32 v15, v21, v31
	v_mul_f32_e32 v14, v29, v14
	v_sub_f32_e32 v15, v30, v15
	v_add_f32_e32 v14, v15, v14
	v_add_f32_e32 v22, v21, v14
	v_mul_f32_e32 v24, v22, v22
	v_mov_b32_e32 v15, 0x3ecc95a3
	v_sub_f32_e32 v21, v22, v21
	v_fmac_f32_e32 v15, 0x3e9b6dac, v24
	v_sub_f32_e32 v14, v14, v21
	v_fmaak_f32 v15, v24, v15, 0x3f2aaada
	v_ldexp_f32 v25, v14, 1
	v_mul_f32_e32 v21, v22, v24
	v_mov_b32_e32 v14, 0x3f317218
	v_pk_mul_f32 v[14:15], v[20:21], v[14:15]
	v_ldexp_f32 v23, v22, 1
	v_fma_f32 v21, v20, s42, -v14
	v_fmamk_f32 v22, v20, 0xb102e308, v21
	v_pk_add_f32 v[20:21], v[14:15], v[22:23]
	v_mov_b32_e32 v24, v14
	v_sub_f32_e32 v23, v21, v23
	v_sub_f32_e32 v23, v15, v23
	v_add_f32_e32 v25, v25, v23
	v_pk_add_f32 v[14:15], v[20:21], v[14:15] neg_lo:[0,1] neg_hi:[0,1]
	v_pk_add_f32 v[26:27], v[20:21], v[24:25]
	v_mov_b32_e32 v23, v20
	v_mov_b32_e32 v15, v27
	v_pk_add_f32 v[28:29], v[22:23], v[14:15] neg_lo:[0,1] neg_hi:[0,1]
	v_pk_add_f32 v[14:15], v[22:23], v[14:15]
	v_mov_b32_e32 v24, v25
	v_pk_add_f32 v[22:23], v[14:15], v[20:21] op_sel:[1,0] op_sel_hi:[0,1] neg_lo:[0,1] neg_hi:[0,1]
	v_pk_add_f32 v[30:31], v[26:27], v[22:23] op_sel_hi:[1,0] neg_lo:[0,1] neg_hi:[0,1]
	v_mov_b32_e32 v26, v27
	v_mov_b32_e32 v27, v15
	v_pk_mov_b32 v[22:23], v[20:21], v[22:23] op_sel:[1,0]
	v_mov_b32_e32 v25, v20
	v_pk_add_f32 v[22:23], v[26:27], v[22:23] neg_lo:[0,1] neg_hi:[0,1]
	v_mov_b32_e32 v30, v28
	v_pk_add_f32 v[20:21], v[24:25], v[22:23] neg_lo:[0,1] neg_hi:[0,1]
	v_mov_b32_e32 v29, v15
	v_pk_add_f32 v[22:23], v[30:31], v[20:21]
	v_cmp_neq_f32_e64 s[42:43], s46, v32
	v_pk_add_f32 v[24:25], v[22:23], v[22:23] op_sel:[0,1] op_sel_hi:[1,0]
	s_nop 0
	v_pk_add_f32 v[14:15], v[14:15], v[24:25] op_sel:[1,0] op_sel_hi:[0,1]
	v_mov_b32_e32 v23, v14
	v_pk_add_f32 v[26:27], v[22:23], v[28:29] neg_lo:[0,1] neg_hi:[0,1]
	v_mov_b32_e32 v21, v24
	v_sub_f32_e32 v15, v22, v26
	v_pk_add_f32 v[20:21], v[20:21], v[26:27] neg_lo:[0,1] neg_hi:[0,1]
	v_sub_f32_e32 v15, v28, v15
	v_add_f32_e32 v15, v20, v15
	v_add_f32_e32 v15, v15, v21
	;; [unrolled: 1-line block ×3, first 2 shown]
	v_cndmask_b32_e64 v14, v16, v14, s[42:43]
	s_mov_b32 s42, 0x33800000
	v_cmp_lt_f32_e64 s[42:43], |v32|, s42
	s_nop 1
	v_cndmask_b32_e64 v14, v14, v32, s[42:43]
	v_add_f32_e32 v7, v7, v14
	v_cvt_f16_f32_e32 v20, v7
	v_cvt_f32_f16_e32 v22, v20
	v_mov_b32_e32 v21, v20
.LBB406_42:
	s_or_b64 exec, exec, s[44:45]
	v_cvt_f32_f16_e32 v7, v4
	v_max_f32_e32 v14, v22, v22
	v_cmp_u_f16_e64 s[44:45], v20, v20
	v_cmp_u_f16_e64 s[42:43], v4, v4
	v_min_f32_e32 v15, v14, v7
	v_max_f32_e32 v14, v14, v7
	v_cndmask_b32_e64 v15, v15, v22, s[44:45]
	v_cndmask_b32_e64 v14, v14, v22, s[44:45]
	;; [unrolled: 1-line block ×4, first 2 shown]
	v_cmp_neq_f32_e64 s[44:45], v15, v14
	v_cmp_class_f32_e64 s[46:47], v15, s33
	s_or_b64 s[44:45], s[44:45], s[46:47]
	s_and_saveexec_b64 s[46:47], s[44:45]
	s_cbranch_execz .LBB406_44
; %bb.43:
	v_sub_f32_e32 v15, v15, v14
	s_mov_b32 s33, 0x3fb8aa3b
	v_mul_f32_e32 v16, 0x3fb8aa3b, v15
	v_fma_f32 v20, v15, s33, -v16
	v_rndne_f32_e32 v21, v16
	v_fmamk_f32 v20, v15, 0x32a5705f, v20
	v_sub_f32_e32 v16, v16, v21
	v_add_f32_e32 v16, v16, v20
	v_exp_f32_e32 v16, v16
	v_cvt_i32_f32_e32 v20, v21
	s_mov_b32 s33, 0xc2ce8ed0
	v_cmp_ngt_f32_e64 s[44:45], s33, v15
	s_mov_b32 s33, 0x42b17218
	v_ldexp_f32 v16, v16, v20
	v_cndmask_b32_e64 v16, 0, v16, s[44:45]
	v_mov_b32_e32 v34, 0x7f800000
	v_cmp_nlt_f32_e64 s[44:45], s33, v15
	s_mov_b32 s33, 0x3f2aaaab
	s_mov_b32 s48, 0x7f800000
	v_cndmask_b32_e64 v15, v34, v16, s[44:45]
	v_add_f32_e32 v16, 1.0, v15
	v_add_f32_e32 v20, -1.0, v16
	v_sub_f32_e32 v21, v20, v16
	v_add_f32_e32 v21, 1.0, v21
	v_sub_f32_e32 v20, v15, v20
	v_add_f32_e32 v22, v20, v21
	v_frexp_mant_f32_e32 v23, v16
	v_cvt_f64_f32_e32 v[20:21], v16
	v_frexp_exp_i32_f64_e32 v20, v[20:21]
	v_cmp_gt_f32_e64 s[44:45], s33, v23
	s_mov_b32 s33, 0x3f317218
	s_nop 0
	v_subbrev_co_u32_e64 v28, s[44:45], 0, v20, s[44:45]
	v_sub_u32_e32 v20, 0, v28
	v_ldexp_f32 v16, v16, v20
	v_ldexp_f32 v20, v22, v20
	v_add_f32_e32 v22, -1.0, v16
	v_add_f32_e32 v21, 1.0, v22
	v_sub_f32_e32 v21, v16, v21
	v_add_f32_e32 v23, v20, v21
	v_add_f32_e32 v21, 1.0, v16
	v_add_f32_e32 v24, -1.0, v21
	v_sub_f32_e32 v16, v16, v24
	v_add_f32_e32 v16, v20, v16
	v_add_f32_e32 v29, v21, v16
	v_rcp_f32_e32 v30, v29
	v_sub_f32_e32 v20, v21, v29
	v_add_f32_e32 v21, v22, v23
	v_add_f32_e32 v16, v16, v20
	v_mul_f32_e32 v32, v21, v30
	v_sub_f32_e32 v20, v22, v21
	v_mul_f32_e32 v22, v29, v32
	v_fma_f32 v24, v32, v29, -v22
	v_fmac_f32_e32 v24, v32, v16
	v_add_f32_e32 v31, v23, v20
	v_add_f32_e32 v20, v22, v24
	v_sub_f32_e32 v23, v21, v20
	v_pk_add_f32 v[26:27], v[20:21], v[22:23] neg_lo:[0,1] neg_hi:[0,1]
	v_mov_b32_e32 v25, v20
	v_pk_add_f32 v[20:21], v[26:27], v[24:25] neg_lo:[0,1] neg_hi:[0,1]
	v_cmp_neq_f32_e64 s[44:45], s48, v15
	v_add_f32_e32 v21, v31, v21
	v_add_f32_e32 v20, v20, v21
	;; [unrolled: 1-line block ×3, first 2 shown]
	v_mul_f32_e32 v31, v30, v21
	v_mul_f32_e32 v22, v29, v31
	v_fma_f32 v24, v31, v29, -v22
	v_fmac_f32_e32 v24, v31, v16
	v_sub_f32_e32 v16, v23, v21
	v_add_f32_e32 v16, v20, v16
	v_add_f32_e32 v20, v22, v24
	v_sub_f32_e32 v23, v21, v20
	v_pk_add_f32 v[26:27], v[20:21], v[22:23] neg_lo:[0,1] neg_hi:[0,1]
	v_mov_b32_e32 v25, v20
	v_pk_add_f32 v[20:21], v[26:27], v[24:25] neg_lo:[0,1] neg_hi:[0,1]
	v_cvt_f32_i32_e32 v22, v28
	v_add_f32_e32 v16, v16, v21
	v_add_f32_e32 v16, v20, v16
	;; [unrolled: 1-line block ×4, first 2 shown]
	v_sub_f32_e32 v21, v20, v32
	v_mul_f32_e32 v16, v30, v16
	v_sub_f32_e32 v21, v31, v21
	v_add_f32_e32 v16, v21, v16
	v_add_f32_e32 v23, v20, v16
	v_mul_f32_e32 v24, v23, v23
	v_mov_b32_e32 v21, 0x3ecc95a3
	v_fmac_f32_e32 v21, 0x3e9b6dac, v24
	v_sub_f32_e32 v20, v23, v20
	v_fmaak_f32 v21, v24, v21, 0x3f2aaada
	v_sub_f32_e32 v16, v16, v20
	v_ldexp_f32 v25, v23, 1
	v_mul_f32_e32 v23, v23, v24
	v_mov_b32_e32 v20, 0x3f317218
	v_pk_mul_f32 v[20:21], v[22:23], v[20:21]
	v_ldexp_f32 v16, v16, 1
	v_fma_f32 v23, v22, s33, -v20
	v_fmamk_f32 v24, v22, 0xb102e308, v23
	v_pk_add_f32 v[22:23], v[20:21], v[24:25]
	v_mov_b32_e32 v26, v20
	v_sub_f32_e32 v25, v23, v25
	v_sub_f32_e32 v25, v21, v25
	v_add_f32_e32 v27, v16, v25
	v_pk_add_f32 v[20:21], v[22:23], v[20:21] neg_lo:[0,1] neg_hi:[0,1]
	v_pk_add_f32 v[28:29], v[22:23], v[26:27]
	v_mov_b32_e32 v25, v22
	v_mov_b32_e32 v21, v29
	v_pk_add_f32 v[30:31], v[24:25], v[20:21] neg_lo:[0,1] neg_hi:[0,1]
	v_pk_add_f32 v[20:21], v[24:25], v[20:21]
	v_mov_b32_e32 v26, v27
	v_pk_add_f32 v[24:25], v[20:21], v[22:23] op_sel:[1,0] op_sel_hi:[0,1] neg_lo:[0,1] neg_hi:[0,1]
	v_pk_add_f32 v[32:33], v[28:29], v[24:25] op_sel_hi:[1,0] neg_lo:[0,1] neg_hi:[0,1]
	v_mov_b32_e32 v28, v29
	v_mov_b32_e32 v29, v21
	v_pk_mov_b32 v[24:25], v[22:23], v[24:25] op_sel:[1,0]
	v_mov_b32_e32 v27, v22
	v_pk_add_f32 v[24:25], v[28:29], v[24:25] neg_lo:[0,1] neg_hi:[0,1]
	v_mov_b32_e32 v32, v30
	v_pk_add_f32 v[22:23], v[26:27], v[24:25] neg_lo:[0,1] neg_hi:[0,1]
	v_mov_b32_e32 v31, v21
	v_pk_add_f32 v[24:25], v[32:33], v[22:23]
	s_mov_b32 s33, 0x33800000
	v_pk_add_f32 v[26:27], v[24:25], v[24:25] op_sel:[0,1] op_sel_hi:[1,0]
	s_nop 0
	v_pk_add_f32 v[20:21], v[20:21], v[26:27] op_sel:[1,0] op_sel_hi:[0,1]
	v_mov_b32_e32 v25, v20
	v_pk_add_f32 v[28:29], v[24:25], v[30:31] neg_lo:[0,1] neg_hi:[0,1]
	v_mov_b32_e32 v23, v26
	v_sub_f32_e32 v16, v24, v28
	v_pk_add_f32 v[22:23], v[22:23], v[28:29] neg_lo:[0,1] neg_hi:[0,1]
	v_sub_f32_e32 v16, v30, v16
	v_add_f32_e32 v16, v22, v16
	v_add_f32_e32 v16, v16, v23
	;; [unrolled: 1-line block ×3, first 2 shown]
	v_cndmask_b32_e64 v16, v34, v16, s[44:45]
	v_cmp_lt_f32_e64 s[44:45], |v15|, s33
	s_nop 1
	v_cndmask_b32_e64 v15, v16, v15, s[44:45]
	v_add_f32_e32 v14, v14, v15
	v_cvt_f16_f32_e32 v20, v14
	v_cvt_f32_f16_e32 v22, v20
	v_mov_b32_e32 v21, v20
.LBB406_44:
	s_or_b64 exec, exec, s[46:47]
	v_cvt_f32_f16_sdwa v14, v4 dst_sel:DWORD dst_unused:UNUSED_PAD src0_sel:WORD_1
	v_max_f32_e32 v16, v22, v22
	v_cmp_u_f16_e64 s[46:47], v20, v20
	v_cmp_u_f16_sdwa s[44:45], v4, v4 src0_sel:WORD_1 src1_sel:WORD_1
	v_min_f32_e32 v15, v16, v14
	v_max_f32_e32 v4, v16, v14
	v_cndmask_b32_e64 v15, v15, v22, s[46:47]
	v_cndmask_b32_e64 v4, v4, v22, s[46:47]
	;; [unrolled: 1-line block ×4, first 2 shown]
	s_movk_i32 s33, 0x1f8
	v_cmp_neq_f32_e64 s[46:47], v15, v4
	v_cmp_class_f32_e64 s[48:49], v15, s33
	s_or_b64 s[46:47], s[46:47], s[48:49]
	s_and_saveexec_b64 s[48:49], s[46:47]
	s_cbranch_execz .LBB406_46
; %bb.45:
	v_sub_f32_e32 v15, v15, v4
	s_mov_b32 s46, 0x3fb8aa3b
	v_mul_f32_e32 v16, 0x3fb8aa3b, v15
	v_fma_f32 v20, v15, s46, -v16
	v_rndne_f32_e32 v21, v16
	v_fmamk_f32 v20, v15, 0x32a5705f, v20
	v_sub_f32_e32 v16, v16, v21
	v_add_f32_e32 v16, v16, v20
	v_exp_f32_e32 v16, v16
	v_cvt_i32_f32_e32 v20, v21
	s_mov_b32 s46, 0xc2ce8ed0
	v_cmp_ngt_f32_e64 s[46:47], s46, v15
	v_mov_b32_e32 v34, 0x7f800000
	v_ldexp_f32 v16, v16, v20
	v_cndmask_b32_e64 v16, 0, v16, s[46:47]
	s_mov_b32 s46, 0x42b17218
	v_cmp_nlt_f32_e64 s[46:47], s46, v15
	s_mov_b32 s50, 0x7f800000
	s_nop 0
	v_cndmask_b32_e64 v15, v34, v16, s[46:47]
	v_add_f32_e32 v16, 1.0, v15
	v_add_f32_e32 v20, -1.0, v16
	v_sub_f32_e32 v21, v20, v16
	v_add_f32_e32 v21, 1.0, v21
	v_sub_f32_e32 v20, v15, v20
	v_add_f32_e32 v22, v20, v21
	v_frexp_mant_f32_e32 v23, v16
	s_mov_b32 s46, 0x3f2aaaab
	v_cvt_f64_f32_e32 v[20:21], v16
	v_frexp_exp_i32_f64_e32 v20, v[20:21]
	v_cmp_gt_f32_e64 s[46:47], s46, v23
	s_nop 1
	v_subbrev_co_u32_e64 v28, s[46:47], 0, v20, s[46:47]
	v_sub_u32_e32 v20, 0, v28
	v_ldexp_f32 v16, v16, v20
	v_ldexp_f32 v20, v22, v20
	v_add_f32_e32 v22, -1.0, v16
	v_add_f32_e32 v21, 1.0, v22
	v_sub_f32_e32 v21, v16, v21
	v_add_f32_e32 v23, v20, v21
	v_add_f32_e32 v21, 1.0, v16
	v_add_f32_e32 v24, -1.0, v21
	v_sub_f32_e32 v16, v16, v24
	v_add_f32_e32 v16, v20, v16
	v_add_f32_e32 v29, v21, v16
	v_rcp_f32_e32 v30, v29
	v_sub_f32_e32 v20, v21, v29
	v_add_f32_e32 v21, v22, v23
	v_add_f32_e32 v16, v16, v20
	v_mul_f32_e32 v32, v21, v30
	v_sub_f32_e32 v20, v22, v21
	v_mul_f32_e32 v22, v29, v32
	v_fma_f32 v24, v32, v29, -v22
	v_fmac_f32_e32 v24, v32, v16
	v_add_f32_e32 v31, v23, v20
	v_add_f32_e32 v20, v22, v24
	v_sub_f32_e32 v23, v21, v20
	v_pk_add_f32 v[26:27], v[20:21], v[22:23] neg_lo:[0,1] neg_hi:[0,1]
	v_mov_b32_e32 v25, v20
	v_pk_add_f32 v[20:21], v[26:27], v[24:25] neg_lo:[0,1] neg_hi:[0,1]
	s_mov_b32 s46, 0x3f317218
	v_add_f32_e32 v21, v31, v21
	v_add_f32_e32 v20, v20, v21
	;; [unrolled: 1-line block ×3, first 2 shown]
	v_mul_f32_e32 v31, v30, v21
	v_mul_f32_e32 v22, v29, v31
	v_fma_f32 v24, v31, v29, -v22
	v_fmac_f32_e32 v24, v31, v16
	v_sub_f32_e32 v16, v23, v21
	v_add_f32_e32 v16, v20, v16
	v_add_f32_e32 v20, v22, v24
	v_sub_f32_e32 v23, v21, v20
	v_pk_add_f32 v[26:27], v[20:21], v[22:23] neg_lo:[0,1] neg_hi:[0,1]
	v_mov_b32_e32 v25, v20
	v_pk_add_f32 v[20:21], v[26:27], v[24:25] neg_lo:[0,1] neg_hi:[0,1]
	v_cvt_f32_i32_e32 v22, v28
	v_add_f32_e32 v16, v16, v21
	v_add_f32_e32 v16, v20, v16
	;; [unrolled: 1-line block ×4, first 2 shown]
	v_sub_f32_e32 v21, v20, v32
	v_mul_f32_e32 v16, v30, v16
	v_sub_f32_e32 v21, v31, v21
	v_add_f32_e32 v16, v21, v16
	v_add_f32_e32 v23, v20, v16
	v_mul_f32_e32 v24, v23, v23
	v_mov_b32_e32 v21, 0x3ecc95a3
	v_fmac_f32_e32 v21, 0x3e9b6dac, v24
	v_sub_f32_e32 v20, v23, v20
	v_fmaak_f32 v21, v24, v21, 0x3f2aaada
	v_sub_f32_e32 v16, v16, v20
	v_ldexp_f32 v25, v23, 1
	v_mul_f32_e32 v23, v23, v24
	v_mov_b32_e32 v20, 0x3f317218
	v_pk_mul_f32 v[20:21], v[22:23], v[20:21]
	v_ldexp_f32 v16, v16, 1
	v_fma_f32 v23, v22, s46, -v20
	v_fmamk_f32 v24, v22, 0xb102e308, v23
	v_pk_add_f32 v[22:23], v[20:21], v[24:25]
	v_mov_b32_e32 v26, v20
	v_sub_f32_e32 v25, v23, v25
	v_sub_f32_e32 v25, v21, v25
	v_add_f32_e32 v27, v16, v25
	v_pk_add_f32 v[20:21], v[22:23], v[20:21] neg_lo:[0,1] neg_hi:[0,1]
	v_pk_add_f32 v[28:29], v[22:23], v[26:27]
	v_mov_b32_e32 v25, v22
	v_mov_b32_e32 v21, v29
	v_pk_add_f32 v[30:31], v[24:25], v[20:21] neg_lo:[0,1] neg_hi:[0,1]
	v_pk_add_f32 v[20:21], v[24:25], v[20:21]
	v_mov_b32_e32 v26, v27
	v_pk_add_f32 v[24:25], v[20:21], v[22:23] op_sel:[1,0] op_sel_hi:[0,1] neg_lo:[0,1] neg_hi:[0,1]
	v_pk_add_f32 v[32:33], v[28:29], v[24:25] op_sel_hi:[1,0] neg_lo:[0,1] neg_hi:[0,1]
	v_mov_b32_e32 v28, v29
	v_mov_b32_e32 v29, v21
	v_pk_mov_b32 v[24:25], v[22:23], v[24:25] op_sel:[1,0]
	v_mov_b32_e32 v27, v22
	v_pk_add_f32 v[24:25], v[28:29], v[24:25] neg_lo:[0,1] neg_hi:[0,1]
	v_mov_b32_e32 v32, v30
	v_pk_add_f32 v[22:23], v[26:27], v[24:25] neg_lo:[0,1] neg_hi:[0,1]
	v_mov_b32_e32 v31, v21
	v_pk_add_f32 v[24:25], v[32:33], v[22:23]
	v_cmp_neq_f32_e64 s[46:47], s50, v15
	v_pk_add_f32 v[26:27], v[24:25], v[24:25] op_sel:[0,1] op_sel_hi:[1,0]
	s_nop 0
	v_pk_add_f32 v[20:21], v[20:21], v[26:27] op_sel:[1,0] op_sel_hi:[0,1]
	v_mov_b32_e32 v25, v20
	v_pk_add_f32 v[28:29], v[24:25], v[30:31] neg_lo:[0,1] neg_hi:[0,1]
	v_mov_b32_e32 v23, v26
	v_sub_f32_e32 v16, v24, v28
	v_pk_add_f32 v[22:23], v[22:23], v[28:29] neg_lo:[0,1] neg_hi:[0,1]
	v_sub_f32_e32 v16, v30, v16
	v_add_f32_e32 v16, v22, v16
	v_add_f32_e32 v16, v16, v23
	;; [unrolled: 1-line block ×3, first 2 shown]
	v_cndmask_b32_e64 v16, v34, v16, s[46:47]
	s_mov_b32 s46, 0x33800000
	v_cmp_lt_f32_e64 s[46:47], |v15|, s46
	s_nop 1
	v_cndmask_b32_e64 v15, v16, v15, s[46:47]
	v_add_f32_e32 v4, v4, v15
	v_cvt_f16_f32_e32 v20, v4
	v_cvt_f32_f16_e32 v22, v20
	v_mov_b32_e32 v21, v20
.LBB406_46:
	s_or_b64 exec, exec, s[48:49]
	v_cvt_f32_f16_e32 v4, v5
	v_max_f32_e32 v15, v22, v22
	v_cmp_u_f16_e64 s[48:49], v20, v20
	v_cmp_u_f16_e64 s[46:47], v5, v5
	v_min_f32_e32 v16, v15, v4
	v_max_f32_e32 v15, v15, v4
	v_cndmask_b32_e64 v16, v16, v22, s[48:49]
	v_cndmask_b32_e64 v15, v15, v22, s[48:49]
	;; [unrolled: 1-line block ×4, first 2 shown]
	v_cmp_neq_f32_e64 s[48:49], v16, v15
	v_cmp_class_f32_e64 s[50:51], v16, s33
	s_or_b64 s[48:49], s[48:49], s[50:51]
	s_and_saveexec_b64 s[50:51], s[48:49]
	s_cbranch_execz .LBB406_48
; %bb.47:
	v_sub_f32_e32 v16, v16, v15
	s_mov_b32 s33, 0x3fb8aa3b
	v_mul_f32_e32 v20, 0x3fb8aa3b, v16
	v_fma_f32 v21, v16, s33, -v20
	v_rndne_f32_e32 v22, v20
	v_fmamk_f32 v21, v16, 0x32a5705f, v21
	v_sub_f32_e32 v20, v20, v22
	v_add_f32_e32 v20, v20, v21
	v_exp_f32_e32 v20, v20
	v_cvt_i32_f32_e32 v21, v22
	s_mov_b32 s33, 0xc2ce8ed0
	v_cmp_ngt_f32_e64 s[48:49], s33, v16
	s_mov_b32 s33, 0x42b17218
	v_ldexp_f32 v20, v20, v21
	v_cndmask_b32_e64 v20, 0, v20, s[48:49]
	v_mov_b32_e32 v34, 0x7f800000
	v_cmp_nlt_f32_e64 s[48:49], s33, v16
	s_mov_b32 s33, 0x3f2aaaab
	s_mov_b32 s52, 0x7f800000
	v_cndmask_b32_e64 v16, v34, v20, s[48:49]
	v_add_f32_e32 v22, 1.0, v16
	v_add_f32_e32 v20, -1.0, v22
	v_sub_f32_e32 v21, v20, v22
	v_add_f32_e32 v21, 1.0, v21
	v_sub_f32_e32 v20, v16, v20
	v_add_f32_e32 v23, v20, v21
	v_frexp_mant_f32_e32 v24, v22
	v_cvt_f64_f32_e32 v[20:21], v22
	v_frexp_exp_i32_f64_e32 v20, v[20:21]
	v_cmp_gt_f32_e64 s[48:49], s33, v24
	s_mov_b32 s33, 0x3f317218
	s_nop 0
	v_subbrev_co_u32_e64 v28, s[48:49], 0, v20, s[48:49]
	v_sub_u32_e32 v20, 0, v28
	v_ldexp_f32 v21, v22, v20
	v_add_f32_e32 v22, -1.0, v21
	v_add_f32_e32 v24, 1.0, v21
	v_ldexp_f32 v20, v23, v20
	v_add_f32_e32 v23, 1.0, v22
	v_add_f32_e32 v25, -1.0, v24
	v_sub_f32_e32 v23, v21, v23
	v_sub_f32_e32 v21, v21, v25
	v_add_f32_e32 v23, v20, v23
	v_add_f32_e32 v20, v20, v21
	;; [unrolled: 1-line block ×3, first 2 shown]
	v_rcp_f32_e32 v31, v29
	v_sub_f32_e32 v21, v24, v29
	v_add_f32_e32 v30, v20, v21
	v_add_f32_e32 v21, v22, v23
	v_mul_f32_e32 v33, v21, v31
	v_sub_f32_e32 v20, v22, v21
	v_mul_f32_e32 v22, v29, v33
	v_fma_f32 v24, v33, v29, -v22
	v_fmac_f32_e32 v24, v33, v30
	v_add_f32_e32 v32, v23, v20
	v_add_f32_e32 v20, v22, v24
	v_sub_f32_e32 v23, v21, v20
	v_pk_add_f32 v[26:27], v[20:21], v[22:23] neg_lo:[0,1] neg_hi:[0,1]
	v_mov_b32_e32 v25, v20
	v_pk_add_f32 v[20:21], v[26:27], v[24:25] neg_lo:[0,1] neg_hi:[0,1]
	v_cmp_neq_f32_e64 s[48:49], s52, v16
	v_add_f32_e32 v21, v32, v21
	v_add_f32_e32 v20, v20, v21
	;; [unrolled: 1-line block ×3, first 2 shown]
	v_mul_f32_e32 v32, v31, v21
	v_mul_f32_e32 v22, v29, v32
	v_fma_f32 v24, v32, v29, -v22
	v_fmac_f32_e32 v24, v32, v30
	v_sub_f32_e32 v23, v23, v21
	v_add_f32_e32 v29, v20, v23
	v_add_f32_e32 v20, v22, v24
	v_sub_f32_e32 v23, v21, v20
	v_pk_add_f32 v[26:27], v[20:21], v[22:23] neg_lo:[0,1] neg_hi:[0,1]
	v_mov_b32_e32 v25, v20
	v_pk_add_f32 v[20:21], v[26:27], v[24:25] neg_lo:[0,1] neg_hi:[0,1]
	v_cvt_f32_i32_e32 v22, v28
	v_add_f32_e32 v21, v29, v21
	v_add_f32_e32 v20, v20, v21
	;; [unrolled: 1-line block ×4, first 2 shown]
	v_sub_f32_e32 v21, v23, v33
	v_mul_f32_e32 v20, v31, v20
	v_sub_f32_e32 v21, v32, v21
	v_add_f32_e32 v20, v21, v20
	v_add_f32_e32 v24, v23, v20
	v_mul_f32_e32 v26, v24, v24
	v_mov_b32_e32 v21, 0x3ecc95a3
	v_sub_f32_e32 v23, v24, v23
	v_fmac_f32_e32 v21, 0x3e9b6dac, v26
	v_sub_f32_e32 v20, v20, v23
	v_fmaak_f32 v21, v26, v21, 0x3f2aaada
	v_ldexp_f32 v27, v20, 1
	v_mul_f32_e32 v23, v24, v26
	v_mov_b32_e32 v20, 0x3f317218
	v_pk_mul_f32 v[20:21], v[22:23], v[20:21]
	v_ldexp_f32 v25, v24, 1
	v_fma_f32 v23, v22, s33, -v20
	v_fmamk_f32 v24, v22, 0xb102e308, v23
	v_pk_add_f32 v[22:23], v[20:21], v[24:25]
	v_mov_b32_e32 v26, v20
	v_sub_f32_e32 v25, v23, v25
	v_sub_f32_e32 v25, v21, v25
	v_add_f32_e32 v27, v27, v25
	v_pk_add_f32 v[20:21], v[22:23], v[20:21] neg_lo:[0,1] neg_hi:[0,1]
	v_pk_add_f32 v[28:29], v[22:23], v[26:27]
	v_mov_b32_e32 v25, v22
	v_mov_b32_e32 v21, v29
	v_pk_add_f32 v[30:31], v[24:25], v[20:21] neg_lo:[0,1] neg_hi:[0,1]
	v_pk_add_f32 v[20:21], v[24:25], v[20:21]
	v_mov_b32_e32 v26, v27
	v_pk_add_f32 v[24:25], v[20:21], v[22:23] op_sel:[1,0] op_sel_hi:[0,1] neg_lo:[0,1] neg_hi:[0,1]
	v_pk_add_f32 v[32:33], v[28:29], v[24:25] op_sel_hi:[1,0] neg_lo:[0,1] neg_hi:[0,1]
	v_mov_b32_e32 v28, v29
	v_mov_b32_e32 v29, v21
	v_pk_mov_b32 v[24:25], v[22:23], v[24:25] op_sel:[1,0]
	v_mov_b32_e32 v27, v22
	v_pk_add_f32 v[24:25], v[28:29], v[24:25] neg_lo:[0,1] neg_hi:[0,1]
	v_mov_b32_e32 v32, v30
	v_pk_add_f32 v[22:23], v[26:27], v[24:25] neg_lo:[0,1] neg_hi:[0,1]
	v_mov_b32_e32 v31, v21
	v_pk_add_f32 v[24:25], v[32:33], v[22:23]
	s_mov_b32 s33, 0x33800000
	v_pk_add_f32 v[26:27], v[24:25], v[24:25] op_sel:[0,1] op_sel_hi:[1,0]
	s_nop 0
	v_pk_add_f32 v[20:21], v[20:21], v[26:27] op_sel:[1,0] op_sel_hi:[0,1]
	v_mov_b32_e32 v25, v20
	v_pk_add_f32 v[28:29], v[24:25], v[30:31] neg_lo:[0,1] neg_hi:[0,1]
	v_mov_b32_e32 v23, v26
	v_sub_f32_e32 v21, v24, v28
	v_pk_add_f32 v[22:23], v[22:23], v[28:29] neg_lo:[0,1] neg_hi:[0,1]
	v_sub_f32_e32 v21, v30, v21
	v_add_f32_e32 v21, v22, v21
	v_add_f32_e32 v21, v21, v23
	;; [unrolled: 1-line block ×3, first 2 shown]
	v_cndmask_b32_e64 v20, v34, v20, s[48:49]
	v_cmp_lt_f32_e64 s[48:49], |v16|, s33
	s_nop 1
	v_cndmask_b32_e64 v16, v20, v16, s[48:49]
	v_add_f32_e32 v15, v15, v16
	v_cvt_f16_f32_e32 v20, v15
	v_cvt_f32_f16_e32 v22, v20
	v_mov_b32_e32 v21, v20
.LBB406_48:
	s_or_b64 exec, exec, s[50:51]
	v_cvt_f32_f16_sdwa v15, v5 dst_sel:DWORD dst_unused:UNUSED_PAD src0_sel:WORD_1
	v_max_f32_e32 v23, v22, v22
	v_cmp_u_f16_e64 s[50:51], v20, v20
	v_cmp_u_f16_sdwa s[48:49], v5, v5 src0_sel:WORD_1 src1_sel:WORD_1
	v_min_f32_e32 v16, v23, v15
	v_max_f32_e32 v5, v23, v15
	v_cndmask_b32_e64 v16, v16, v22, s[50:51]
	v_cndmask_b32_e64 v5, v5, v22, s[50:51]
	;; [unrolled: 1-line block ×4, first 2 shown]
	s_movk_i32 s33, 0x1f8
	v_cmp_neq_f32_e64 s[50:51], v16, v5
	v_cmp_class_f32_e64 s[52:53], v16, s33
	s_or_b64 s[50:51], s[50:51], s[52:53]
	s_and_saveexec_b64 s[52:53], s[50:51]
	s_cbranch_execz .LBB406_50
; %bb.49:
	v_sub_f32_e32 v16, v16, v5
	s_mov_b32 s50, 0x3fb8aa3b
	v_mul_f32_e32 v20, 0x3fb8aa3b, v16
	v_fma_f32 v21, v16, s50, -v20
	v_rndne_f32_e32 v22, v20
	v_fmamk_f32 v21, v16, 0x32a5705f, v21
	v_sub_f32_e32 v20, v20, v22
	v_add_f32_e32 v20, v20, v21
	v_exp_f32_e32 v20, v20
	v_cvt_i32_f32_e32 v21, v22
	s_mov_b32 s50, 0xc2ce8ed0
	v_cmp_ngt_f32_e64 s[50:51], s50, v16
	v_mov_b32_e32 v34, 0x7f800000
	v_ldexp_f32 v20, v20, v21
	v_cndmask_b32_e64 v20, 0, v20, s[50:51]
	s_mov_b32 s50, 0x42b17218
	v_cmp_nlt_f32_e64 s[50:51], s50, v16
	s_mov_b32 s58, 0x7f800000
	s_nop 0
	v_cndmask_b32_e64 v16, v34, v20, s[50:51]
	v_add_f32_e32 v22, 1.0, v16
	v_add_f32_e32 v20, -1.0, v22
	v_sub_f32_e32 v21, v20, v22
	v_add_f32_e32 v21, 1.0, v21
	v_sub_f32_e32 v20, v16, v20
	v_add_f32_e32 v23, v20, v21
	v_frexp_mant_f32_e32 v24, v22
	s_mov_b32 s50, 0x3f2aaaab
	v_cvt_f64_f32_e32 v[20:21], v22
	v_frexp_exp_i32_f64_e32 v20, v[20:21]
	v_cmp_gt_f32_e64 s[50:51], s50, v24
	s_nop 1
	v_subbrev_co_u32_e64 v28, s[50:51], 0, v20, s[50:51]
	v_sub_u32_e32 v20, 0, v28
	v_ldexp_f32 v21, v22, v20
	v_add_f32_e32 v22, -1.0, v21
	v_add_f32_e32 v24, 1.0, v21
	v_ldexp_f32 v20, v23, v20
	v_add_f32_e32 v23, 1.0, v22
	v_add_f32_e32 v25, -1.0, v24
	v_sub_f32_e32 v23, v21, v23
	v_sub_f32_e32 v21, v21, v25
	v_add_f32_e32 v23, v20, v23
	v_add_f32_e32 v20, v20, v21
	;; [unrolled: 1-line block ×3, first 2 shown]
	v_rcp_f32_e32 v31, v29
	v_sub_f32_e32 v21, v24, v29
	v_add_f32_e32 v30, v20, v21
	v_add_f32_e32 v21, v22, v23
	v_mul_f32_e32 v33, v21, v31
	v_sub_f32_e32 v20, v22, v21
	v_mul_f32_e32 v22, v29, v33
	v_fma_f32 v24, v33, v29, -v22
	v_fmac_f32_e32 v24, v33, v30
	v_add_f32_e32 v32, v23, v20
	v_add_f32_e32 v20, v22, v24
	v_sub_f32_e32 v23, v21, v20
	v_pk_add_f32 v[26:27], v[20:21], v[22:23] neg_lo:[0,1] neg_hi:[0,1]
	v_mov_b32_e32 v25, v20
	v_pk_add_f32 v[20:21], v[26:27], v[24:25] neg_lo:[0,1] neg_hi:[0,1]
	s_mov_b32 s50, 0x3f317218
	v_add_f32_e32 v21, v32, v21
	v_add_f32_e32 v20, v20, v21
	;; [unrolled: 1-line block ×3, first 2 shown]
	v_mul_f32_e32 v32, v31, v21
	v_mul_f32_e32 v22, v29, v32
	v_fma_f32 v24, v32, v29, -v22
	v_fmac_f32_e32 v24, v32, v30
	v_sub_f32_e32 v23, v23, v21
	v_add_f32_e32 v29, v20, v23
	v_add_f32_e32 v20, v22, v24
	v_sub_f32_e32 v23, v21, v20
	v_pk_add_f32 v[26:27], v[20:21], v[22:23] neg_lo:[0,1] neg_hi:[0,1]
	v_mov_b32_e32 v25, v20
	v_pk_add_f32 v[20:21], v[26:27], v[24:25] neg_lo:[0,1] neg_hi:[0,1]
	v_cvt_f32_i32_e32 v22, v28
	v_add_f32_e32 v21, v29, v21
	v_add_f32_e32 v20, v20, v21
	;; [unrolled: 1-line block ×4, first 2 shown]
	v_sub_f32_e32 v21, v23, v33
	v_mul_f32_e32 v20, v31, v20
	v_sub_f32_e32 v21, v32, v21
	v_add_f32_e32 v20, v21, v20
	v_add_f32_e32 v24, v23, v20
	v_mul_f32_e32 v26, v24, v24
	v_mov_b32_e32 v21, 0x3ecc95a3
	v_sub_f32_e32 v23, v24, v23
	v_fmac_f32_e32 v21, 0x3e9b6dac, v26
	v_sub_f32_e32 v20, v20, v23
	v_fmaak_f32 v21, v26, v21, 0x3f2aaada
	v_ldexp_f32 v27, v20, 1
	v_mul_f32_e32 v23, v24, v26
	v_mov_b32_e32 v20, 0x3f317218
	v_pk_mul_f32 v[20:21], v[22:23], v[20:21]
	v_ldexp_f32 v25, v24, 1
	v_fma_f32 v23, v22, s50, -v20
	v_fmamk_f32 v24, v22, 0xb102e308, v23
	v_pk_add_f32 v[22:23], v[20:21], v[24:25]
	v_mov_b32_e32 v26, v20
	v_sub_f32_e32 v25, v23, v25
	v_sub_f32_e32 v25, v21, v25
	v_add_f32_e32 v27, v27, v25
	v_pk_add_f32 v[20:21], v[22:23], v[20:21] neg_lo:[0,1] neg_hi:[0,1]
	v_pk_add_f32 v[28:29], v[22:23], v[26:27]
	v_mov_b32_e32 v25, v22
	v_mov_b32_e32 v21, v29
	v_pk_add_f32 v[30:31], v[24:25], v[20:21] neg_lo:[0,1] neg_hi:[0,1]
	v_pk_add_f32 v[20:21], v[24:25], v[20:21]
	v_mov_b32_e32 v26, v27
	v_pk_add_f32 v[24:25], v[20:21], v[22:23] op_sel:[1,0] op_sel_hi:[0,1] neg_lo:[0,1] neg_hi:[0,1]
	v_pk_add_f32 v[32:33], v[28:29], v[24:25] op_sel_hi:[1,0] neg_lo:[0,1] neg_hi:[0,1]
	v_mov_b32_e32 v28, v29
	v_mov_b32_e32 v29, v21
	v_pk_mov_b32 v[24:25], v[22:23], v[24:25] op_sel:[1,0]
	v_mov_b32_e32 v27, v22
	v_pk_add_f32 v[24:25], v[28:29], v[24:25] neg_lo:[0,1] neg_hi:[0,1]
	v_mov_b32_e32 v32, v30
	v_pk_add_f32 v[22:23], v[26:27], v[24:25] neg_lo:[0,1] neg_hi:[0,1]
	v_mov_b32_e32 v31, v21
	v_pk_add_f32 v[24:25], v[32:33], v[22:23]
	v_cmp_neq_f32_e64 s[50:51], s58, v16
	v_pk_add_f32 v[26:27], v[24:25], v[24:25] op_sel:[0,1] op_sel_hi:[1,0]
	s_nop 0
	v_pk_add_f32 v[20:21], v[20:21], v[26:27] op_sel:[1,0] op_sel_hi:[0,1]
	v_mov_b32_e32 v25, v20
	v_pk_add_f32 v[28:29], v[24:25], v[30:31] neg_lo:[0,1] neg_hi:[0,1]
	v_mov_b32_e32 v23, v26
	v_sub_f32_e32 v21, v24, v28
	v_pk_add_f32 v[22:23], v[22:23], v[28:29] neg_lo:[0,1] neg_hi:[0,1]
	v_sub_f32_e32 v21, v30, v21
	v_add_f32_e32 v21, v22, v21
	v_add_f32_e32 v21, v21, v23
	;; [unrolled: 1-line block ×3, first 2 shown]
	v_cndmask_b32_e64 v20, v34, v20, s[50:51]
	s_mov_b32 s50, 0x33800000
	v_cmp_lt_f32_e64 s[50:51], |v16|, s50
	s_nop 1
	v_cndmask_b32_e64 v16, v20, v16, s[50:51]
	v_add_f32_e32 v5, v5, v16
	v_cvt_f16_f32_e32 v20, v5
	v_cvt_f32_f16_e32 v22, v20
	v_mov_b32_e32 v21, v20
.LBB406_50:
	s_or_b64 exec, exec, s[52:53]
	v_cvt_f32_f16_e32 v5, v19
	v_max_f32_e32 v16, v22, v22
	v_cmp_u_f16_e64 s[52:53], v20, v20
	v_cmp_u_f16_e64 s[50:51], v19, v19
	v_min_f32_e32 v23, v16, v5
	v_max_f32_e32 v16, v16, v5
	v_cndmask_b32_e64 v23, v23, v22, s[52:53]
	v_cndmask_b32_e64 v16, v16, v22, s[52:53]
	v_cndmask_b32_e64 v23, v23, v5, s[50:51]
	v_cndmask_b32_e64 v16, v16, v5, s[50:51]
	v_cmp_neq_f32_e64 s[52:53], v23, v16
	v_cmp_class_f32_e64 s[58:59], v23, s33
	s_or_b64 s[52:53], s[52:53], s[58:59]
	s_and_saveexec_b64 s[58:59], s[52:53]
	s_cbranch_execz .LBB406_52
; %bb.51:
	v_sub_f32_e32 v20, v23, v16
	s_mov_b32 s33, 0x3fb8aa3b
	v_mul_f32_e32 v21, 0x3fb8aa3b, v20
	v_fma_f32 v22, v20, s33, -v21
	v_rndne_f32_e32 v23, v21
	v_fmamk_f32 v22, v20, 0x32a5705f, v22
	v_sub_f32_e32 v21, v21, v23
	v_add_f32_e32 v21, v21, v22
	v_exp_f32_e32 v21, v21
	v_cvt_i32_f32_e32 v22, v23
	s_mov_b32 s33, 0xc2ce8ed0
	v_cmp_ngt_f32_e64 s[52:53], s33, v20
	s_mov_b32 s33, 0x42b17218
	v_ldexp_f32 v21, v21, v22
	v_cndmask_b32_e64 v21, 0, v21, s[52:53]
	v_mov_b32_e32 v34, 0x7f800000
	v_cmp_nlt_f32_e64 s[52:53], s33, v20
	s_mov_b32 s33, 0x3f2aaaab
	s_mov_b32 s60, 0x7f800000
	v_cndmask_b32_e64 v35, v34, v21, s[52:53]
	v_add_f32_e32 v22, 1.0, v35
	v_add_f32_e32 v20, -1.0, v22
	v_sub_f32_e32 v21, v20, v22
	v_add_f32_e32 v21, 1.0, v21
	v_sub_f32_e32 v20, v35, v20
	v_add_f32_e32 v23, v20, v21
	v_frexp_mant_f32_e32 v24, v22
	v_cvt_f64_f32_e32 v[20:21], v22
	v_frexp_exp_i32_f64_e32 v20, v[20:21]
	v_cmp_gt_f32_e64 s[52:53], s33, v24
	s_mov_b32 s33, 0x3f317218
	s_nop 0
	v_subbrev_co_u32_e64 v28, s[52:53], 0, v20, s[52:53]
	v_sub_u32_e32 v20, 0, v28
	v_ldexp_f32 v21, v22, v20
	v_add_f32_e32 v22, -1.0, v21
	v_add_f32_e32 v24, 1.0, v21
	v_ldexp_f32 v20, v23, v20
	v_add_f32_e32 v23, 1.0, v22
	v_add_f32_e32 v25, -1.0, v24
	v_sub_f32_e32 v23, v21, v23
	v_sub_f32_e32 v21, v21, v25
	v_add_f32_e32 v23, v20, v23
	v_add_f32_e32 v20, v20, v21
	;; [unrolled: 1-line block ×3, first 2 shown]
	v_rcp_f32_e32 v31, v29
	v_sub_f32_e32 v21, v24, v29
	v_add_f32_e32 v30, v20, v21
	v_add_f32_e32 v21, v22, v23
	v_mul_f32_e32 v33, v21, v31
	v_sub_f32_e32 v20, v22, v21
	v_mul_f32_e32 v22, v29, v33
	v_fma_f32 v24, v33, v29, -v22
	v_fmac_f32_e32 v24, v33, v30
	v_add_f32_e32 v32, v23, v20
	v_add_f32_e32 v20, v22, v24
	v_sub_f32_e32 v23, v21, v20
	v_pk_add_f32 v[26:27], v[20:21], v[22:23] neg_lo:[0,1] neg_hi:[0,1]
	v_mov_b32_e32 v25, v20
	v_pk_add_f32 v[20:21], v[26:27], v[24:25] neg_lo:[0,1] neg_hi:[0,1]
	v_cmp_neq_f32_e64 s[52:53], s60, v35
	v_add_f32_e32 v21, v32, v21
	v_add_f32_e32 v20, v20, v21
	;; [unrolled: 1-line block ×3, first 2 shown]
	v_mul_f32_e32 v32, v31, v21
	v_mul_f32_e32 v22, v29, v32
	v_fma_f32 v24, v32, v29, -v22
	v_fmac_f32_e32 v24, v32, v30
	v_sub_f32_e32 v23, v23, v21
	v_add_f32_e32 v29, v20, v23
	v_add_f32_e32 v20, v22, v24
	v_sub_f32_e32 v23, v21, v20
	v_pk_add_f32 v[26:27], v[20:21], v[22:23] neg_lo:[0,1] neg_hi:[0,1]
	v_mov_b32_e32 v25, v20
	v_pk_add_f32 v[20:21], v[26:27], v[24:25] neg_lo:[0,1] neg_hi:[0,1]
	v_cvt_f32_i32_e32 v22, v28
	v_add_f32_e32 v21, v29, v21
	v_add_f32_e32 v20, v20, v21
	v_add_f32_e32 v20, v23, v20
	v_add_f32_e32 v23, v33, v32
	v_sub_f32_e32 v21, v23, v33
	v_mul_f32_e32 v20, v31, v20
	v_sub_f32_e32 v21, v32, v21
	v_add_f32_e32 v20, v21, v20
	v_add_f32_e32 v24, v23, v20
	v_mul_f32_e32 v26, v24, v24
	v_mov_b32_e32 v21, 0x3ecc95a3
	v_sub_f32_e32 v23, v24, v23
	v_fmac_f32_e32 v21, 0x3e9b6dac, v26
	v_sub_f32_e32 v20, v20, v23
	v_fmaak_f32 v21, v26, v21, 0x3f2aaada
	v_ldexp_f32 v27, v20, 1
	v_mul_f32_e32 v23, v24, v26
	v_mov_b32_e32 v20, 0x3f317218
	v_pk_mul_f32 v[20:21], v[22:23], v[20:21]
	v_ldexp_f32 v25, v24, 1
	v_fma_f32 v23, v22, s33, -v20
	v_fmamk_f32 v24, v22, 0xb102e308, v23
	v_pk_add_f32 v[22:23], v[20:21], v[24:25]
	v_mov_b32_e32 v26, v20
	v_sub_f32_e32 v25, v23, v25
	v_sub_f32_e32 v25, v21, v25
	v_add_f32_e32 v27, v27, v25
	v_pk_add_f32 v[20:21], v[22:23], v[20:21] neg_lo:[0,1] neg_hi:[0,1]
	v_pk_add_f32 v[28:29], v[22:23], v[26:27]
	v_mov_b32_e32 v25, v22
	v_mov_b32_e32 v21, v29
	v_pk_add_f32 v[30:31], v[24:25], v[20:21] neg_lo:[0,1] neg_hi:[0,1]
	v_pk_add_f32 v[20:21], v[24:25], v[20:21]
	v_mov_b32_e32 v26, v27
	v_pk_add_f32 v[24:25], v[20:21], v[22:23] op_sel:[1,0] op_sel_hi:[0,1] neg_lo:[0,1] neg_hi:[0,1]
	v_pk_add_f32 v[32:33], v[28:29], v[24:25] op_sel_hi:[1,0] neg_lo:[0,1] neg_hi:[0,1]
	v_mov_b32_e32 v28, v29
	v_mov_b32_e32 v29, v21
	v_pk_mov_b32 v[24:25], v[22:23], v[24:25] op_sel:[1,0]
	v_mov_b32_e32 v27, v22
	v_pk_add_f32 v[24:25], v[28:29], v[24:25] neg_lo:[0,1] neg_hi:[0,1]
	v_mov_b32_e32 v32, v30
	v_pk_add_f32 v[22:23], v[26:27], v[24:25] neg_lo:[0,1] neg_hi:[0,1]
	v_mov_b32_e32 v31, v21
	v_pk_add_f32 v[24:25], v[32:33], v[22:23]
	s_mov_b32 s33, 0x33800000
	v_pk_add_f32 v[26:27], v[24:25], v[24:25] op_sel:[0,1] op_sel_hi:[1,0]
	s_nop 0
	v_pk_add_f32 v[20:21], v[20:21], v[26:27] op_sel:[1,0] op_sel_hi:[0,1]
	v_mov_b32_e32 v25, v20
	v_pk_add_f32 v[28:29], v[24:25], v[30:31] neg_lo:[0,1] neg_hi:[0,1]
	v_mov_b32_e32 v23, v26
	v_sub_f32_e32 v21, v24, v28
	v_pk_add_f32 v[22:23], v[22:23], v[28:29] neg_lo:[0,1] neg_hi:[0,1]
	v_sub_f32_e32 v21, v30, v21
	v_add_f32_e32 v21, v22, v21
	v_add_f32_e32 v21, v21, v23
	;; [unrolled: 1-line block ×3, first 2 shown]
	v_cndmask_b32_e64 v20, v34, v20, s[52:53]
	v_cmp_lt_f32_e64 s[52:53], |v35|, s33
	s_nop 1
	v_cndmask_b32_e64 v20, v20, v35, s[52:53]
	v_add_f32_e32 v16, v16, v20
	v_cvt_f16_f32_e32 v20, v16
	v_cvt_f32_f16_e32 v22, v20
	v_mov_b32_e32 v21, v20
.LBB406_52:
	s_or_b64 exec, exec, s[58:59]
	v_cvt_f32_f16_sdwa v16, v19 dst_sel:DWORD dst_unused:UNUSED_PAD src0_sel:WORD_1
	v_max_f32_e32 v23, v22, v22
	v_cmp_u_f16_e64 s[58:59], v20, v20
	v_cmp_u_f16_sdwa s[52:53], v19, v19 src0_sel:WORD_1 src1_sel:WORD_1
	v_min_f32_e32 v24, v23, v16
	v_max_f32_e32 v19, v23, v16
	v_cndmask_b32_e64 v20, v24, v22, s[58:59]
	v_cndmask_b32_e64 v19, v19, v22, s[58:59]
	;; [unrolled: 1-line block ×4, first 2 shown]
	s_movk_i32 s33, 0x1f8
	v_cmp_neq_f32_e64 s[58:59], v20, v19
	v_cmp_class_f32_e64 s[60:61], v20, s33
	s_or_b64 s[58:59], s[58:59], s[60:61]
	s_and_saveexec_b64 s[60:61], s[58:59]
	s_cbranch_execz .LBB406_54
; %bb.53:
	v_sub_f32_e32 v20, v20, v19
	s_mov_b32 s33, 0x3fb8aa3b
	v_mul_f32_e32 v21, 0x3fb8aa3b, v20
	v_fma_f32 v22, v20, s33, -v21
	v_rndne_f32_e32 v23, v21
	v_fmamk_f32 v22, v20, 0x32a5705f, v22
	v_sub_f32_e32 v21, v21, v23
	v_add_f32_e32 v21, v21, v22
	v_exp_f32_e32 v21, v21
	v_cvt_i32_f32_e32 v22, v23
	s_mov_b32 s33, 0xc2ce8ed0
	v_cmp_ngt_f32_e64 s[58:59], s33, v20
	s_mov_b32 s33, 0x42b17218
	v_ldexp_f32 v21, v21, v22
	v_cndmask_b32_e64 v21, 0, v21, s[58:59]
	v_mov_b32_e32 v34, 0x7f800000
	v_cmp_nlt_f32_e64 s[58:59], s33, v20
	s_mov_b32 s33, 0x3f2aaaab
	s_mov_b32 s62, 0x7f800000
	v_cndmask_b32_e64 v35, v34, v21, s[58:59]
	v_add_f32_e32 v22, 1.0, v35
	v_add_f32_e32 v20, -1.0, v22
	v_sub_f32_e32 v21, v20, v22
	v_add_f32_e32 v21, 1.0, v21
	v_sub_f32_e32 v20, v35, v20
	v_add_f32_e32 v23, v20, v21
	v_frexp_mant_f32_e32 v24, v22
	v_cvt_f64_f32_e32 v[20:21], v22
	v_frexp_exp_i32_f64_e32 v20, v[20:21]
	v_cmp_gt_f32_e64 s[58:59], s33, v24
	s_mov_b32 s33, 0x3f317218
	s_nop 0
	v_subbrev_co_u32_e64 v28, s[58:59], 0, v20, s[58:59]
	v_sub_u32_e32 v20, 0, v28
	v_ldexp_f32 v21, v22, v20
	v_add_f32_e32 v22, -1.0, v21
	v_add_f32_e32 v24, 1.0, v21
	v_ldexp_f32 v20, v23, v20
	v_add_f32_e32 v23, 1.0, v22
	v_add_f32_e32 v25, -1.0, v24
	v_sub_f32_e32 v23, v21, v23
	v_sub_f32_e32 v21, v21, v25
	v_add_f32_e32 v23, v20, v23
	v_add_f32_e32 v20, v20, v21
	;; [unrolled: 1-line block ×3, first 2 shown]
	v_rcp_f32_e32 v31, v29
	v_sub_f32_e32 v21, v24, v29
	v_add_f32_e32 v30, v20, v21
	v_add_f32_e32 v21, v22, v23
	v_mul_f32_e32 v33, v21, v31
	v_sub_f32_e32 v20, v22, v21
	v_mul_f32_e32 v22, v29, v33
	v_fma_f32 v24, v33, v29, -v22
	v_fmac_f32_e32 v24, v33, v30
	v_add_f32_e32 v32, v23, v20
	v_add_f32_e32 v20, v22, v24
	v_sub_f32_e32 v23, v21, v20
	v_pk_add_f32 v[26:27], v[20:21], v[22:23] neg_lo:[0,1] neg_hi:[0,1]
	v_mov_b32_e32 v25, v20
	v_pk_add_f32 v[20:21], v[26:27], v[24:25] neg_lo:[0,1] neg_hi:[0,1]
	v_cmp_neq_f32_e64 s[58:59], s62, v35
	v_add_f32_e32 v21, v32, v21
	v_add_f32_e32 v20, v20, v21
	;; [unrolled: 1-line block ×3, first 2 shown]
	v_mul_f32_e32 v32, v31, v21
	v_mul_f32_e32 v22, v29, v32
	v_fma_f32 v24, v32, v29, -v22
	v_fmac_f32_e32 v24, v32, v30
	v_sub_f32_e32 v23, v23, v21
	v_add_f32_e32 v29, v20, v23
	v_add_f32_e32 v20, v22, v24
	v_sub_f32_e32 v23, v21, v20
	v_pk_add_f32 v[26:27], v[20:21], v[22:23] neg_lo:[0,1] neg_hi:[0,1]
	v_mov_b32_e32 v25, v20
	v_pk_add_f32 v[20:21], v[26:27], v[24:25] neg_lo:[0,1] neg_hi:[0,1]
	v_cvt_f32_i32_e32 v22, v28
	v_add_f32_e32 v21, v29, v21
	v_add_f32_e32 v20, v20, v21
	;; [unrolled: 1-line block ×4, first 2 shown]
	v_sub_f32_e32 v21, v23, v33
	v_mul_f32_e32 v20, v31, v20
	v_sub_f32_e32 v21, v32, v21
	v_add_f32_e32 v20, v21, v20
	v_add_f32_e32 v24, v23, v20
	v_mul_f32_e32 v26, v24, v24
	v_mov_b32_e32 v21, 0x3ecc95a3
	v_sub_f32_e32 v23, v24, v23
	v_fmac_f32_e32 v21, 0x3e9b6dac, v26
	v_sub_f32_e32 v20, v20, v23
	v_fmaak_f32 v21, v26, v21, 0x3f2aaada
	v_ldexp_f32 v27, v20, 1
	v_mul_f32_e32 v23, v24, v26
	v_mov_b32_e32 v20, 0x3f317218
	v_pk_mul_f32 v[20:21], v[22:23], v[20:21]
	v_ldexp_f32 v25, v24, 1
	v_fma_f32 v23, v22, s33, -v20
	v_fmamk_f32 v24, v22, 0xb102e308, v23
	v_pk_add_f32 v[22:23], v[20:21], v[24:25]
	v_mov_b32_e32 v26, v20
	v_sub_f32_e32 v25, v23, v25
	v_sub_f32_e32 v25, v21, v25
	v_add_f32_e32 v27, v27, v25
	v_pk_add_f32 v[20:21], v[22:23], v[20:21] neg_lo:[0,1] neg_hi:[0,1]
	v_pk_add_f32 v[28:29], v[22:23], v[26:27]
	v_mov_b32_e32 v25, v22
	v_mov_b32_e32 v21, v29
	v_pk_add_f32 v[30:31], v[24:25], v[20:21] neg_lo:[0,1] neg_hi:[0,1]
	v_pk_add_f32 v[20:21], v[24:25], v[20:21]
	v_mov_b32_e32 v26, v27
	v_pk_add_f32 v[24:25], v[20:21], v[22:23] op_sel:[1,0] op_sel_hi:[0,1] neg_lo:[0,1] neg_hi:[0,1]
	v_pk_add_f32 v[32:33], v[28:29], v[24:25] op_sel_hi:[1,0] neg_lo:[0,1] neg_hi:[0,1]
	v_mov_b32_e32 v28, v29
	v_mov_b32_e32 v29, v21
	v_pk_mov_b32 v[24:25], v[22:23], v[24:25] op_sel:[1,0]
	v_mov_b32_e32 v27, v22
	v_pk_add_f32 v[24:25], v[28:29], v[24:25] neg_lo:[0,1] neg_hi:[0,1]
	v_mov_b32_e32 v32, v30
	v_pk_add_f32 v[22:23], v[26:27], v[24:25] neg_lo:[0,1] neg_hi:[0,1]
	v_mov_b32_e32 v31, v21
	v_pk_add_f32 v[24:25], v[32:33], v[22:23]
	s_mov_b32 s33, 0x33800000
	v_pk_add_f32 v[26:27], v[24:25], v[24:25] op_sel:[0,1] op_sel_hi:[1,0]
	s_nop 0
	v_pk_add_f32 v[20:21], v[20:21], v[26:27] op_sel:[1,0] op_sel_hi:[0,1]
	v_mov_b32_e32 v25, v20
	v_pk_add_f32 v[28:29], v[24:25], v[30:31] neg_lo:[0,1] neg_hi:[0,1]
	v_mov_b32_e32 v23, v26
	v_sub_f32_e32 v21, v24, v28
	v_pk_add_f32 v[22:23], v[22:23], v[28:29] neg_lo:[0,1] neg_hi:[0,1]
	v_sub_f32_e32 v21, v30, v21
	v_add_f32_e32 v21, v22, v21
	v_add_f32_e32 v21, v21, v23
	;; [unrolled: 1-line block ×3, first 2 shown]
	v_cndmask_b32_e64 v20, v34, v20, s[58:59]
	v_cmp_lt_f32_e64 s[58:59], |v35|, s33
	s_nop 1
	v_cndmask_b32_e64 v20, v20, v35, s[58:59]
	v_add_f32_e32 v19, v19, v20
	v_cvt_f16_f32_e32 v21, v19
.LBB406_54:
	s_or_b64 exec, exec, s[60:61]
	v_mbcnt_lo_u32_b32 v19, -1, 0
	v_mbcnt_hi_u32_b32 v20, -1, v19
	v_and_b32_e32 v22, 15, v20
	v_and_b32_e32 v23, 0xffff, v21
	v_cmp_ne_u32_e64 s[58:59], 0, v22
	s_nop 0
	v_mov_b32_dpp v24, v23 row_shr:1 row_mask:0xf bank_mask:0xf
	s_and_saveexec_b64 s[62:63], s[58:59]
	s_cbranch_execz .LBB406_58
; %bb.55:
	v_cvt_f32_f16_e32 v19, v24
	v_cvt_f32_f16_e32 v23, v21
	v_cmp_u_f16_e64 s[58:59], v24, v24
	v_cmp_u_f16_e64 s[60:61], v21, v21
	s_movk_i32 s33, 0x1f8
	v_min_f32_e32 v25, v19, v23
	v_cndmask_b32_e64 v25, v25, v19, s[58:59]
	v_cndmask_b32_e64 v21, v25, v23, s[60:61]
	v_max_f32_e32 v25, v19, v23
	v_cndmask_b32_e64 v19, v25, v19, s[58:59]
	v_cndmask_b32_e64 v19, v19, v23, s[60:61]
	v_cmp_neq_f32_e64 s[58:59], v21, v19
	v_cmp_class_f32_e64 s[60:61], v21, s33
	s_or_b64 s[58:59], s[58:59], s[60:61]
	s_and_saveexec_b64 s[60:61], s[58:59]
	s_cbranch_execz .LBB406_57
; %bb.56:
	v_sub_f32_e32 v21, v21, v19
	s_mov_b32 s33, 0x3fb8aa3b
	v_mul_f32_e32 v23, 0x3fb8aa3b, v21
	v_fma_f32 v24, v21, s33, -v23
	v_rndne_f32_e32 v25, v23
	v_fmamk_f32 v24, v21, 0x32a5705f, v24
	v_sub_f32_e32 v23, v23, v25
	v_add_f32_e32 v23, v23, v24
	v_exp_f32_e32 v23, v23
	v_cvt_i32_f32_e32 v24, v25
	s_mov_b32 s33, 0xc2ce8ed0
	v_cmp_ngt_f32_e64 s[58:59], s33, v21
	s_mov_b32 s33, 0x42b17218
	v_ldexp_f32 v23, v23, v24
	v_cndmask_b32_e64 v23, 0, v23, s[58:59]
	v_mov_b32_e32 v38, 0x7f800000
	v_cmp_nlt_f32_e64 s[58:59], s33, v21
	s_mov_b32 s33, 0x3f2aaaab
	s_mov_b32 s64, 0x7f800000
	v_cndmask_b32_e64 v21, v38, v23, s[58:59]
	v_add_f32_e32 v23, 1.0, v21
	v_add_f32_e32 v24, -1.0, v23
	v_sub_f32_e32 v25, v24, v23
	v_add_f32_e32 v25, 1.0, v25
	v_sub_f32_e32 v24, v21, v24
	v_add_f32_e32 v26, v24, v25
	v_frexp_mant_f32_e32 v27, v23
	v_cvt_f64_f32_e32 v[24:25], v23
	v_frexp_exp_i32_f64_e32 v24, v[24:25]
	v_cmp_gt_f32_e64 s[58:59], s33, v27
	s_mov_b32 s33, 0x3f317218
	s_nop 0
	v_subbrev_co_u32_e64 v32, s[58:59], 0, v24, s[58:59]
	v_sub_u32_e32 v24, 0, v32
	v_ldexp_f32 v23, v23, v24
	v_ldexp_f32 v24, v26, v24
	v_add_f32_e32 v26, -1.0, v23
	v_add_f32_e32 v25, 1.0, v26
	v_sub_f32_e32 v25, v23, v25
	v_add_f32_e32 v27, v24, v25
	v_add_f32_e32 v25, 1.0, v23
	v_add_f32_e32 v28, -1.0, v25
	v_sub_f32_e32 v23, v23, v28
	v_add_f32_e32 v23, v24, v23
	v_add_f32_e32 v33, v25, v23
	v_rcp_f32_e32 v34, v33
	v_sub_f32_e32 v24, v25, v33
	v_add_f32_e32 v25, v26, v27
	v_add_f32_e32 v23, v23, v24
	v_mul_f32_e32 v36, v25, v34
	v_sub_f32_e32 v24, v26, v25
	v_mul_f32_e32 v26, v33, v36
	v_fma_f32 v28, v36, v33, -v26
	v_fmac_f32_e32 v28, v36, v23
	v_add_f32_e32 v35, v27, v24
	v_add_f32_e32 v24, v26, v28
	v_sub_f32_e32 v27, v25, v24
	v_pk_add_f32 v[30:31], v[24:25], v[26:27] neg_lo:[0,1] neg_hi:[0,1]
	v_mov_b32_e32 v29, v24
	v_pk_add_f32 v[24:25], v[30:31], v[28:29] neg_lo:[0,1] neg_hi:[0,1]
	v_cmp_neq_f32_e64 s[58:59], s64, v21
	v_add_f32_e32 v25, v35, v25
	v_add_f32_e32 v24, v24, v25
	;; [unrolled: 1-line block ×3, first 2 shown]
	v_mul_f32_e32 v35, v34, v25
	v_mul_f32_e32 v26, v33, v35
	v_fma_f32 v28, v35, v33, -v26
	v_fmac_f32_e32 v28, v35, v23
	v_sub_f32_e32 v23, v27, v25
	v_add_f32_e32 v23, v24, v23
	v_add_f32_e32 v24, v26, v28
	v_sub_f32_e32 v27, v25, v24
	v_pk_add_f32 v[30:31], v[24:25], v[26:27] neg_lo:[0,1] neg_hi:[0,1]
	v_mov_b32_e32 v29, v24
	v_pk_add_f32 v[24:25], v[30:31], v[28:29] neg_lo:[0,1] neg_hi:[0,1]
	v_cvt_f32_i32_e32 v26, v32
	v_add_f32_e32 v23, v23, v25
	v_add_f32_e32 v23, v24, v23
	;; [unrolled: 1-line block ×4, first 2 shown]
	v_sub_f32_e32 v25, v24, v36
	v_mul_f32_e32 v23, v34, v23
	v_sub_f32_e32 v25, v35, v25
	v_add_f32_e32 v23, v25, v23
	v_add_f32_e32 v27, v24, v23
	v_mul_f32_e32 v28, v27, v27
	v_mov_b32_e32 v25, 0x3ecc95a3
	v_fmac_f32_e32 v25, 0x3e9b6dac, v28
	v_sub_f32_e32 v24, v27, v24
	v_fmaak_f32 v25, v28, v25, 0x3f2aaada
	v_sub_f32_e32 v23, v23, v24
	v_ldexp_f32 v29, v27, 1
	v_mul_f32_e32 v27, v27, v28
	v_mov_b32_e32 v24, 0x3f317218
	v_pk_mul_f32 v[24:25], v[26:27], v[24:25]
	v_ldexp_f32 v23, v23, 1
	v_fma_f32 v27, v26, s33, -v24
	v_fmamk_f32 v28, v26, 0xb102e308, v27
	v_pk_add_f32 v[26:27], v[24:25], v[28:29]
	v_mov_b32_e32 v30, v24
	v_sub_f32_e32 v29, v27, v29
	v_sub_f32_e32 v29, v25, v29
	v_add_f32_e32 v31, v23, v29
	v_pk_add_f32 v[24:25], v[26:27], v[24:25] neg_lo:[0,1] neg_hi:[0,1]
	v_pk_add_f32 v[32:33], v[26:27], v[30:31]
	v_mov_b32_e32 v29, v26
	v_mov_b32_e32 v25, v33
	v_pk_add_f32 v[34:35], v[28:29], v[24:25] neg_lo:[0,1] neg_hi:[0,1]
	v_pk_add_f32 v[24:25], v[28:29], v[24:25]
	v_mov_b32_e32 v30, v31
	v_pk_add_f32 v[28:29], v[24:25], v[26:27] op_sel:[1,0] op_sel_hi:[0,1] neg_lo:[0,1] neg_hi:[0,1]
	v_pk_add_f32 v[36:37], v[32:33], v[28:29] op_sel_hi:[1,0] neg_lo:[0,1] neg_hi:[0,1]
	v_mov_b32_e32 v32, v33
	v_mov_b32_e32 v33, v25
	v_pk_mov_b32 v[28:29], v[26:27], v[28:29] op_sel:[1,0]
	v_mov_b32_e32 v31, v26
	v_pk_add_f32 v[28:29], v[32:33], v[28:29] neg_lo:[0,1] neg_hi:[0,1]
	v_mov_b32_e32 v36, v34
	v_pk_add_f32 v[26:27], v[30:31], v[28:29] neg_lo:[0,1] neg_hi:[0,1]
	v_mov_b32_e32 v35, v25
	v_pk_add_f32 v[28:29], v[36:37], v[26:27]
	s_mov_b32 s33, 0x33800000
	v_pk_add_f32 v[30:31], v[28:29], v[28:29] op_sel:[0,1] op_sel_hi:[1,0]
	s_nop 0
	v_pk_add_f32 v[24:25], v[24:25], v[30:31] op_sel:[1,0] op_sel_hi:[0,1]
	v_mov_b32_e32 v29, v24
	v_pk_add_f32 v[32:33], v[28:29], v[34:35] neg_lo:[0,1] neg_hi:[0,1]
	v_mov_b32_e32 v27, v30
	v_sub_f32_e32 v23, v28, v32
	v_pk_add_f32 v[26:27], v[26:27], v[32:33] neg_lo:[0,1] neg_hi:[0,1]
	v_sub_f32_e32 v23, v34, v23
	v_add_f32_e32 v23, v26, v23
	v_add_f32_e32 v23, v23, v27
	;; [unrolled: 1-line block ×3, first 2 shown]
	v_cndmask_b32_e64 v23, v38, v23, s[58:59]
	v_cmp_lt_f32_e64 s[58:59], |v21|, s33
	s_nop 1
	v_cndmask_b32_e64 v21, v23, v21, s[58:59]
	v_add_f32_e32 v19, v19, v21
	v_cvt_f16_f32_e32 v24, v19
.LBB406_57:
	s_or_b64 exec, exec, s[60:61]
	v_and_b32_e32 v23, 0xffff, v24
	v_mov_b32_e32 v21, v24
.LBB406_58:
	s_or_b64 exec, exec, s[62:63]
	s_load_dwordx2 s[60:61], s[0:1], 0x18
	v_mul_u32_u24_e32 v19, 26, v0
	v_mov_b32_dpp v24, v23 row_shr:2 row_mask:0xf bank_mask:0xf
	v_cmp_lt_u32_e64 s[0:1], 1, v22
	s_and_saveexec_b64 s[62:63], s[0:1]
	s_cbranch_execz .LBB406_62
; %bb.59:
	v_cvt_f32_f16_e32 v25, v24
	v_cvt_f32_f16_e32 v26, v21
	v_cmp_u_f16_e64 s[0:1], v24, v24
	v_cmp_u_f16_e64 s[58:59], v21, v21
	s_movk_i32 s33, 0x1f8
	v_min_f32_e32 v23, v25, v26
	v_max_f32_e32 v21, v25, v26
	v_cndmask_b32_e64 v23, v23, v25, s[0:1]
	v_cndmask_b32_e64 v21, v21, v25, s[0:1]
	;; [unrolled: 1-line block ×4, first 2 shown]
	v_cmp_neq_f32_e64 s[0:1], v23, v21
	v_cmp_class_f32_e64 s[58:59], v23, s33
	s_or_b64 s[0:1], s[0:1], s[58:59]
	s_and_saveexec_b64 s[58:59], s[0:1]
	s_cbranch_execz .LBB406_61
; %bb.60:
	v_sub_f32_e32 v23, v23, v21
	s_mov_b32 s0, 0x3fb8aa3b
	v_mul_f32_e32 v24, 0x3fb8aa3b, v23
	v_fma_f32 v25, v23, s0, -v24
	v_rndne_f32_e32 v26, v24
	v_fmamk_f32 v25, v23, 0x32a5705f, v25
	v_sub_f32_e32 v24, v24, v26
	v_add_f32_e32 v24, v24, v25
	v_exp_f32_e32 v24, v24
	v_cvt_i32_f32_e32 v25, v26
	s_mov_b32 s0, 0xc2ce8ed0
	v_cmp_ngt_f32_e64 s[0:1], s0, v23
	v_mov_b32_e32 v38, 0x7f800000
	v_ldexp_f32 v24, v24, v25
	v_cndmask_b32_e64 v24, 0, v24, s[0:1]
	s_mov_b32 s0, 0x42b17218
	v_cmp_nlt_f32_e64 s[0:1], s0, v23
	s_mov_b32 s33, 0x7f800000
	s_nop 0
	v_cndmask_b32_e64 v23, v38, v24, s[0:1]
	v_add_f32_e32 v26, 1.0, v23
	v_add_f32_e32 v24, -1.0, v26
	v_sub_f32_e32 v25, v24, v26
	v_add_f32_e32 v25, 1.0, v25
	v_sub_f32_e32 v24, v23, v24
	v_add_f32_e32 v27, v24, v25
	v_frexp_mant_f32_e32 v28, v26
	s_mov_b32 s0, 0x3f2aaaab
	v_cvt_f64_f32_e32 v[24:25], v26
	v_frexp_exp_i32_f64_e32 v24, v[24:25]
	v_cmp_gt_f32_e64 s[0:1], s0, v28
	s_nop 1
	v_subbrev_co_u32_e64 v32, s[0:1], 0, v24, s[0:1]
	v_sub_u32_e32 v24, 0, v32
	v_ldexp_f32 v25, v26, v24
	v_add_f32_e32 v26, -1.0, v25
	v_add_f32_e32 v28, 1.0, v25
	v_ldexp_f32 v24, v27, v24
	v_add_f32_e32 v27, 1.0, v26
	v_add_f32_e32 v29, -1.0, v28
	v_sub_f32_e32 v27, v25, v27
	v_sub_f32_e32 v25, v25, v29
	v_add_f32_e32 v27, v24, v27
	v_add_f32_e32 v24, v24, v25
	;; [unrolled: 1-line block ×3, first 2 shown]
	v_rcp_f32_e32 v35, v33
	v_sub_f32_e32 v25, v28, v33
	v_add_f32_e32 v34, v24, v25
	v_add_f32_e32 v25, v26, v27
	v_mul_f32_e32 v37, v25, v35
	v_sub_f32_e32 v24, v26, v25
	v_mul_f32_e32 v26, v33, v37
	v_fma_f32 v28, v37, v33, -v26
	v_fmac_f32_e32 v28, v37, v34
	v_add_f32_e32 v36, v27, v24
	v_add_f32_e32 v24, v26, v28
	v_sub_f32_e32 v27, v25, v24
	v_pk_add_f32 v[30:31], v[24:25], v[26:27] neg_lo:[0,1] neg_hi:[0,1]
	v_mov_b32_e32 v29, v24
	v_pk_add_f32 v[24:25], v[30:31], v[28:29] neg_lo:[0,1] neg_hi:[0,1]
	s_mov_b32 s0, 0x3f317218
	v_add_f32_e32 v25, v36, v25
	v_add_f32_e32 v24, v24, v25
	;; [unrolled: 1-line block ×3, first 2 shown]
	v_mul_f32_e32 v36, v35, v25
	v_mul_f32_e32 v26, v33, v36
	v_fma_f32 v28, v36, v33, -v26
	v_fmac_f32_e32 v28, v36, v34
	v_sub_f32_e32 v27, v27, v25
	v_add_f32_e32 v33, v24, v27
	v_add_f32_e32 v24, v26, v28
	v_sub_f32_e32 v27, v25, v24
	v_pk_add_f32 v[30:31], v[24:25], v[26:27] neg_lo:[0,1] neg_hi:[0,1]
	v_mov_b32_e32 v29, v24
	v_pk_add_f32 v[24:25], v[30:31], v[28:29] neg_lo:[0,1] neg_hi:[0,1]
	v_cvt_f32_i32_e32 v26, v32
	v_add_f32_e32 v25, v33, v25
	v_add_f32_e32 v24, v24, v25
	;; [unrolled: 1-line block ×4, first 2 shown]
	v_sub_f32_e32 v25, v27, v37
	v_mul_f32_e32 v24, v35, v24
	v_sub_f32_e32 v25, v36, v25
	v_add_f32_e32 v24, v25, v24
	v_add_f32_e32 v28, v27, v24
	v_mul_f32_e32 v30, v28, v28
	v_mov_b32_e32 v25, 0x3ecc95a3
	v_sub_f32_e32 v27, v28, v27
	v_fmac_f32_e32 v25, 0x3e9b6dac, v30
	v_sub_f32_e32 v24, v24, v27
	v_fmaak_f32 v25, v30, v25, 0x3f2aaada
	v_ldexp_f32 v31, v24, 1
	v_mul_f32_e32 v27, v28, v30
	v_mov_b32_e32 v24, 0x3f317218
	v_pk_mul_f32 v[24:25], v[26:27], v[24:25]
	v_ldexp_f32 v29, v28, 1
	v_fma_f32 v27, v26, s0, -v24
	v_fmamk_f32 v28, v26, 0xb102e308, v27
	v_pk_add_f32 v[26:27], v[24:25], v[28:29]
	v_mov_b32_e32 v30, v24
	v_sub_f32_e32 v29, v27, v29
	v_sub_f32_e32 v29, v25, v29
	v_add_f32_e32 v31, v31, v29
	v_pk_add_f32 v[24:25], v[26:27], v[24:25] neg_lo:[0,1] neg_hi:[0,1]
	v_pk_add_f32 v[32:33], v[26:27], v[30:31]
	v_mov_b32_e32 v29, v26
	v_mov_b32_e32 v25, v33
	v_pk_add_f32 v[34:35], v[28:29], v[24:25] neg_lo:[0,1] neg_hi:[0,1]
	v_pk_add_f32 v[24:25], v[28:29], v[24:25]
	v_mov_b32_e32 v30, v31
	v_pk_add_f32 v[28:29], v[24:25], v[26:27] op_sel:[1,0] op_sel_hi:[0,1] neg_lo:[0,1] neg_hi:[0,1]
	v_pk_add_f32 v[36:37], v[32:33], v[28:29] op_sel_hi:[1,0] neg_lo:[0,1] neg_hi:[0,1]
	v_mov_b32_e32 v32, v33
	v_mov_b32_e32 v33, v25
	v_pk_mov_b32 v[28:29], v[26:27], v[28:29] op_sel:[1,0]
	v_mov_b32_e32 v31, v26
	v_pk_add_f32 v[28:29], v[32:33], v[28:29] neg_lo:[0,1] neg_hi:[0,1]
	v_mov_b32_e32 v36, v34
	v_pk_add_f32 v[26:27], v[30:31], v[28:29] neg_lo:[0,1] neg_hi:[0,1]
	v_mov_b32_e32 v35, v25
	v_pk_add_f32 v[28:29], v[36:37], v[26:27]
	v_cmp_neq_f32_e64 s[0:1], s33, v23
	v_pk_add_f32 v[30:31], v[28:29], v[28:29] op_sel:[0,1] op_sel_hi:[1,0]
	s_nop 0
	v_pk_add_f32 v[24:25], v[24:25], v[30:31] op_sel:[1,0] op_sel_hi:[0,1]
	v_mov_b32_e32 v29, v24
	v_pk_add_f32 v[32:33], v[28:29], v[34:35] neg_lo:[0,1] neg_hi:[0,1]
	v_mov_b32_e32 v27, v30
	v_sub_f32_e32 v25, v28, v32
	v_pk_add_f32 v[26:27], v[26:27], v[32:33] neg_lo:[0,1] neg_hi:[0,1]
	v_sub_f32_e32 v25, v34, v25
	v_add_f32_e32 v25, v26, v25
	v_add_f32_e32 v25, v25, v27
	;; [unrolled: 1-line block ×3, first 2 shown]
	v_cndmask_b32_e64 v24, v38, v24, s[0:1]
	s_mov_b32 s0, 0x33800000
	v_cmp_lt_f32_e64 s[0:1], |v23|, s0
	s_nop 1
	v_cndmask_b32_e64 v23, v24, v23, s[0:1]
	v_add_f32_e32 v21, v21, v23
	v_cvt_f16_f32_e32 v24, v21
.LBB406_61:
	s_or_b64 exec, exec, s[58:59]
	v_and_b32_e32 v23, 0xffff, v24
	v_mov_b32_e32 v21, v24
.LBB406_62:
	s_or_b64 exec, exec, s[62:63]
	v_mov_b32_dpp v24, v23 row_shr:4 row_mask:0xf bank_mask:0xf
	v_cmp_lt_u32_e64 s[0:1], 3, v22
	s_and_saveexec_b64 s[62:63], s[0:1]
	s_cbranch_execz .LBB406_66
; %bb.63:
	v_cvt_f32_f16_e32 v25, v24
	v_cvt_f32_f16_e32 v26, v21
	v_cmp_u_f16_e64 s[0:1], v24, v24
	v_cmp_u_f16_e64 s[58:59], v21, v21
	s_movk_i32 s33, 0x1f8
	v_min_f32_e32 v23, v25, v26
	v_max_f32_e32 v21, v25, v26
	v_cndmask_b32_e64 v23, v23, v25, s[0:1]
	v_cndmask_b32_e64 v21, v21, v25, s[0:1]
	;; [unrolled: 1-line block ×4, first 2 shown]
	v_cmp_neq_f32_e64 s[0:1], v23, v21
	v_cmp_class_f32_e64 s[58:59], v23, s33
	s_or_b64 s[0:1], s[0:1], s[58:59]
	s_and_saveexec_b64 s[58:59], s[0:1]
	s_cbranch_execz .LBB406_65
; %bb.64:
	v_sub_f32_e32 v23, v23, v21
	s_mov_b32 s0, 0x3fb8aa3b
	v_mul_f32_e32 v24, 0x3fb8aa3b, v23
	v_fma_f32 v25, v23, s0, -v24
	v_rndne_f32_e32 v26, v24
	v_fmamk_f32 v25, v23, 0x32a5705f, v25
	v_sub_f32_e32 v24, v24, v26
	v_add_f32_e32 v24, v24, v25
	v_exp_f32_e32 v24, v24
	v_cvt_i32_f32_e32 v25, v26
	s_mov_b32 s0, 0xc2ce8ed0
	v_cmp_ngt_f32_e64 s[0:1], s0, v23
	v_mov_b32_e32 v38, 0x7f800000
	v_ldexp_f32 v24, v24, v25
	v_cndmask_b32_e64 v24, 0, v24, s[0:1]
	s_mov_b32 s0, 0x42b17218
	v_cmp_nlt_f32_e64 s[0:1], s0, v23
	s_mov_b32 s33, 0x7f800000
	s_nop 0
	v_cndmask_b32_e64 v23, v38, v24, s[0:1]
	v_add_f32_e32 v26, 1.0, v23
	v_add_f32_e32 v24, -1.0, v26
	v_sub_f32_e32 v25, v24, v26
	v_add_f32_e32 v25, 1.0, v25
	v_sub_f32_e32 v24, v23, v24
	v_add_f32_e32 v27, v24, v25
	v_frexp_mant_f32_e32 v28, v26
	s_mov_b32 s0, 0x3f2aaaab
	v_cvt_f64_f32_e32 v[24:25], v26
	v_frexp_exp_i32_f64_e32 v24, v[24:25]
	v_cmp_gt_f32_e64 s[0:1], s0, v28
	s_nop 1
	v_subbrev_co_u32_e64 v32, s[0:1], 0, v24, s[0:1]
	v_sub_u32_e32 v24, 0, v32
	v_ldexp_f32 v25, v26, v24
	v_add_f32_e32 v26, -1.0, v25
	v_add_f32_e32 v28, 1.0, v25
	v_ldexp_f32 v24, v27, v24
	v_add_f32_e32 v27, 1.0, v26
	v_add_f32_e32 v29, -1.0, v28
	v_sub_f32_e32 v27, v25, v27
	v_sub_f32_e32 v25, v25, v29
	v_add_f32_e32 v27, v24, v27
	v_add_f32_e32 v24, v24, v25
	;; [unrolled: 1-line block ×3, first 2 shown]
	v_rcp_f32_e32 v35, v33
	v_sub_f32_e32 v25, v28, v33
	v_add_f32_e32 v34, v24, v25
	v_add_f32_e32 v25, v26, v27
	v_mul_f32_e32 v37, v25, v35
	v_sub_f32_e32 v24, v26, v25
	v_mul_f32_e32 v26, v33, v37
	v_fma_f32 v28, v37, v33, -v26
	v_fmac_f32_e32 v28, v37, v34
	v_add_f32_e32 v36, v27, v24
	v_add_f32_e32 v24, v26, v28
	v_sub_f32_e32 v27, v25, v24
	v_pk_add_f32 v[30:31], v[24:25], v[26:27] neg_lo:[0,1] neg_hi:[0,1]
	v_mov_b32_e32 v29, v24
	v_pk_add_f32 v[24:25], v[30:31], v[28:29] neg_lo:[0,1] neg_hi:[0,1]
	s_mov_b32 s0, 0x3f317218
	v_add_f32_e32 v25, v36, v25
	v_add_f32_e32 v24, v24, v25
	;; [unrolled: 1-line block ×3, first 2 shown]
	v_mul_f32_e32 v36, v35, v25
	v_mul_f32_e32 v26, v33, v36
	v_fma_f32 v28, v36, v33, -v26
	v_fmac_f32_e32 v28, v36, v34
	v_sub_f32_e32 v27, v27, v25
	v_add_f32_e32 v33, v24, v27
	v_add_f32_e32 v24, v26, v28
	v_sub_f32_e32 v27, v25, v24
	v_pk_add_f32 v[30:31], v[24:25], v[26:27] neg_lo:[0,1] neg_hi:[0,1]
	v_mov_b32_e32 v29, v24
	v_pk_add_f32 v[24:25], v[30:31], v[28:29] neg_lo:[0,1] neg_hi:[0,1]
	v_cvt_f32_i32_e32 v26, v32
	v_add_f32_e32 v25, v33, v25
	v_add_f32_e32 v24, v24, v25
	;; [unrolled: 1-line block ×4, first 2 shown]
	v_sub_f32_e32 v25, v27, v37
	v_mul_f32_e32 v24, v35, v24
	v_sub_f32_e32 v25, v36, v25
	v_add_f32_e32 v24, v25, v24
	v_add_f32_e32 v28, v27, v24
	v_mul_f32_e32 v30, v28, v28
	v_mov_b32_e32 v25, 0x3ecc95a3
	v_sub_f32_e32 v27, v28, v27
	v_fmac_f32_e32 v25, 0x3e9b6dac, v30
	v_sub_f32_e32 v24, v24, v27
	v_fmaak_f32 v25, v30, v25, 0x3f2aaada
	v_ldexp_f32 v31, v24, 1
	v_mul_f32_e32 v27, v28, v30
	v_mov_b32_e32 v24, 0x3f317218
	v_pk_mul_f32 v[24:25], v[26:27], v[24:25]
	v_ldexp_f32 v29, v28, 1
	v_fma_f32 v27, v26, s0, -v24
	v_fmamk_f32 v28, v26, 0xb102e308, v27
	v_pk_add_f32 v[26:27], v[24:25], v[28:29]
	v_mov_b32_e32 v30, v24
	v_sub_f32_e32 v29, v27, v29
	v_sub_f32_e32 v29, v25, v29
	v_add_f32_e32 v31, v31, v29
	v_pk_add_f32 v[24:25], v[26:27], v[24:25] neg_lo:[0,1] neg_hi:[0,1]
	v_pk_add_f32 v[32:33], v[26:27], v[30:31]
	v_mov_b32_e32 v29, v26
	v_mov_b32_e32 v25, v33
	v_pk_add_f32 v[34:35], v[28:29], v[24:25] neg_lo:[0,1] neg_hi:[0,1]
	v_pk_add_f32 v[24:25], v[28:29], v[24:25]
	v_mov_b32_e32 v30, v31
	v_pk_add_f32 v[28:29], v[24:25], v[26:27] op_sel:[1,0] op_sel_hi:[0,1] neg_lo:[0,1] neg_hi:[0,1]
	v_pk_add_f32 v[36:37], v[32:33], v[28:29] op_sel_hi:[1,0] neg_lo:[0,1] neg_hi:[0,1]
	v_mov_b32_e32 v32, v33
	v_mov_b32_e32 v33, v25
	v_pk_mov_b32 v[28:29], v[26:27], v[28:29] op_sel:[1,0]
	v_mov_b32_e32 v31, v26
	v_pk_add_f32 v[28:29], v[32:33], v[28:29] neg_lo:[0,1] neg_hi:[0,1]
	v_mov_b32_e32 v36, v34
	v_pk_add_f32 v[26:27], v[30:31], v[28:29] neg_lo:[0,1] neg_hi:[0,1]
	v_mov_b32_e32 v35, v25
	v_pk_add_f32 v[28:29], v[36:37], v[26:27]
	v_cmp_neq_f32_e64 s[0:1], s33, v23
	v_pk_add_f32 v[30:31], v[28:29], v[28:29] op_sel:[0,1] op_sel_hi:[1,0]
	s_nop 0
	v_pk_add_f32 v[24:25], v[24:25], v[30:31] op_sel:[1,0] op_sel_hi:[0,1]
	v_mov_b32_e32 v29, v24
	v_pk_add_f32 v[32:33], v[28:29], v[34:35] neg_lo:[0,1] neg_hi:[0,1]
	v_mov_b32_e32 v27, v30
	v_sub_f32_e32 v25, v28, v32
	v_pk_add_f32 v[26:27], v[26:27], v[32:33] neg_lo:[0,1] neg_hi:[0,1]
	v_sub_f32_e32 v25, v34, v25
	v_add_f32_e32 v25, v26, v25
	v_add_f32_e32 v25, v25, v27
	;; [unrolled: 1-line block ×3, first 2 shown]
	v_cndmask_b32_e64 v24, v38, v24, s[0:1]
	s_mov_b32 s0, 0x33800000
	v_cmp_lt_f32_e64 s[0:1], |v23|, s0
	s_nop 1
	v_cndmask_b32_e64 v23, v24, v23, s[0:1]
	v_add_f32_e32 v21, v21, v23
	v_cvt_f16_f32_e32 v24, v21
.LBB406_65:
	s_or_b64 exec, exec, s[58:59]
	v_and_b32_e32 v23, 0xffff, v24
	v_mov_b32_e32 v21, v24
.LBB406_66:
	s_or_b64 exec, exec, s[62:63]
	v_mov_b32_dpp v24, v23 row_shr:8 row_mask:0xf bank_mask:0xf
	v_cmp_lt_u32_e64 s[0:1], 7, v22
	s_and_saveexec_b64 s[62:63], s[0:1]
	s_cbranch_execz .LBB406_70
; %bb.67:
	v_cvt_f32_f16_e32 v23, v24
	v_cvt_f32_f16_e32 v25, v21
	v_cmp_u_f16_e64 s[0:1], v24, v24
	v_cmp_u_f16_e64 s[58:59], v21, v21
	s_movk_i32 s33, 0x1f8
	v_min_f32_e32 v22, v23, v25
	v_max_f32_e32 v21, v23, v25
	v_cndmask_b32_e64 v22, v22, v23, s[0:1]
	v_cndmask_b32_e64 v21, v21, v23, s[0:1]
	;; [unrolled: 1-line block ×4, first 2 shown]
	v_cmp_neq_f32_e64 s[0:1], v22, v21
	v_cmp_class_f32_e64 s[58:59], v22, s33
	s_or_b64 s[0:1], s[0:1], s[58:59]
	s_and_saveexec_b64 s[58:59], s[0:1]
	s_cbranch_execz .LBB406_69
; %bb.68:
	v_sub_f32_e32 v22, v22, v21
	s_mov_b32 s0, 0x3fb8aa3b
	v_mul_f32_e32 v23, 0x3fb8aa3b, v22
	v_fma_f32 v24, v22, s0, -v23
	v_rndne_f32_e32 v25, v23
	v_fmamk_f32 v24, v22, 0x32a5705f, v24
	v_sub_f32_e32 v23, v23, v25
	v_add_f32_e32 v23, v23, v24
	v_exp_f32_e32 v23, v23
	v_cvt_i32_f32_e32 v24, v25
	s_mov_b32 s0, 0xc2ce8ed0
	v_cmp_ngt_f32_e64 s[0:1], s0, v22
	v_mov_b32_e32 v36, 0x7f800000
	v_ldexp_f32 v23, v23, v24
	v_cndmask_b32_e64 v23, 0, v23, s[0:1]
	s_mov_b32 s0, 0x42b17218
	v_cmp_nlt_f32_e64 s[0:1], s0, v22
	s_mov_b32 s33, 0x7f800000
	s_nop 0
	v_cndmask_b32_e64 v37, v36, v23, s[0:1]
	v_add_f32_e32 v24, 1.0, v37
	v_add_f32_e32 v22, -1.0, v24
	v_sub_f32_e32 v23, v22, v24
	v_add_f32_e32 v23, 1.0, v23
	v_sub_f32_e32 v22, v37, v22
	v_add_f32_e32 v25, v22, v23
	v_frexp_mant_f32_e32 v26, v24
	s_mov_b32 s0, 0x3f2aaaab
	v_cvt_f64_f32_e32 v[22:23], v24
	v_frexp_exp_i32_f64_e32 v22, v[22:23]
	v_cmp_gt_f32_e64 s[0:1], s0, v26
	s_nop 1
	v_subbrev_co_u32_e64 v30, s[0:1], 0, v22, s[0:1]
	v_sub_u32_e32 v22, 0, v30
	v_ldexp_f32 v23, v24, v22
	v_add_f32_e32 v24, -1.0, v23
	v_add_f32_e32 v26, 1.0, v23
	v_ldexp_f32 v22, v25, v22
	v_add_f32_e32 v25, 1.0, v24
	v_add_f32_e32 v27, -1.0, v26
	v_sub_f32_e32 v25, v23, v25
	v_sub_f32_e32 v23, v23, v27
	v_add_f32_e32 v25, v22, v25
	v_add_f32_e32 v22, v22, v23
	;; [unrolled: 1-line block ×3, first 2 shown]
	v_rcp_f32_e32 v33, v31
	v_sub_f32_e32 v23, v26, v31
	v_add_f32_e32 v32, v22, v23
	v_add_f32_e32 v23, v24, v25
	v_mul_f32_e32 v35, v23, v33
	v_sub_f32_e32 v22, v24, v23
	v_mul_f32_e32 v24, v31, v35
	v_fma_f32 v26, v35, v31, -v24
	v_fmac_f32_e32 v26, v35, v32
	v_add_f32_e32 v34, v25, v22
	v_add_f32_e32 v22, v24, v26
	v_sub_f32_e32 v25, v23, v22
	v_pk_add_f32 v[28:29], v[22:23], v[24:25] neg_lo:[0,1] neg_hi:[0,1]
	v_mov_b32_e32 v27, v22
	v_pk_add_f32 v[22:23], v[28:29], v[26:27] neg_lo:[0,1] neg_hi:[0,1]
	s_mov_b32 s0, 0x3f317218
	v_add_f32_e32 v23, v34, v23
	v_add_f32_e32 v22, v22, v23
	;; [unrolled: 1-line block ×3, first 2 shown]
	v_mul_f32_e32 v34, v33, v23
	v_mul_f32_e32 v24, v31, v34
	v_fma_f32 v26, v34, v31, -v24
	v_fmac_f32_e32 v26, v34, v32
	v_sub_f32_e32 v25, v25, v23
	v_add_f32_e32 v31, v22, v25
	v_add_f32_e32 v22, v24, v26
	v_sub_f32_e32 v25, v23, v22
	v_pk_add_f32 v[28:29], v[22:23], v[24:25] neg_lo:[0,1] neg_hi:[0,1]
	v_mov_b32_e32 v27, v22
	v_pk_add_f32 v[22:23], v[28:29], v[26:27] neg_lo:[0,1] neg_hi:[0,1]
	v_cvt_f32_i32_e32 v24, v30
	v_add_f32_e32 v23, v31, v23
	v_add_f32_e32 v22, v22, v23
	;; [unrolled: 1-line block ×4, first 2 shown]
	v_sub_f32_e32 v23, v25, v35
	v_mul_f32_e32 v22, v33, v22
	v_sub_f32_e32 v23, v34, v23
	v_add_f32_e32 v22, v23, v22
	v_add_f32_e32 v26, v25, v22
	v_mul_f32_e32 v28, v26, v26
	v_mov_b32_e32 v23, 0x3ecc95a3
	v_sub_f32_e32 v25, v26, v25
	v_fmac_f32_e32 v23, 0x3e9b6dac, v28
	v_sub_f32_e32 v22, v22, v25
	v_fmaak_f32 v23, v28, v23, 0x3f2aaada
	v_ldexp_f32 v29, v22, 1
	v_mul_f32_e32 v25, v26, v28
	v_mov_b32_e32 v22, 0x3f317218
	v_pk_mul_f32 v[22:23], v[24:25], v[22:23]
	v_ldexp_f32 v27, v26, 1
	v_fma_f32 v25, v24, s0, -v22
	v_fmamk_f32 v26, v24, 0xb102e308, v25
	v_pk_add_f32 v[24:25], v[22:23], v[26:27]
	v_mov_b32_e32 v28, v22
	v_sub_f32_e32 v27, v25, v27
	v_sub_f32_e32 v27, v23, v27
	v_add_f32_e32 v29, v29, v27
	v_pk_add_f32 v[22:23], v[24:25], v[22:23] neg_lo:[0,1] neg_hi:[0,1]
	v_pk_add_f32 v[30:31], v[24:25], v[28:29]
	v_mov_b32_e32 v27, v24
	v_mov_b32_e32 v23, v31
	v_pk_add_f32 v[32:33], v[26:27], v[22:23] neg_lo:[0,1] neg_hi:[0,1]
	v_pk_add_f32 v[22:23], v[26:27], v[22:23]
	v_mov_b32_e32 v28, v29
	v_pk_add_f32 v[26:27], v[22:23], v[24:25] op_sel:[1,0] op_sel_hi:[0,1] neg_lo:[0,1] neg_hi:[0,1]
	v_pk_add_f32 v[34:35], v[30:31], v[26:27] op_sel_hi:[1,0] neg_lo:[0,1] neg_hi:[0,1]
	v_mov_b32_e32 v30, v31
	v_mov_b32_e32 v31, v23
	v_pk_mov_b32 v[26:27], v[24:25], v[26:27] op_sel:[1,0]
	v_mov_b32_e32 v29, v24
	v_pk_add_f32 v[26:27], v[30:31], v[26:27] neg_lo:[0,1] neg_hi:[0,1]
	v_mov_b32_e32 v34, v32
	v_pk_add_f32 v[24:25], v[28:29], v[26:27] neg_lo:[0,1] neg_hi:[0,1]
	v_mov_b32_e32 v33, v23
	v_pk_add_f32 v[26:27], v[34:35], v[24:25]
	v_cmp_neq_f32_e64 s[0:1], s33, v37
	v_pk_add_f32 v[28:29], v[26:27], v[26:27] op_sel:[0,1] op_sel_hi:[1,0]
	s_nop 0
	v_pk_add_f32 v[22:23], v[22:23], v[28:29] op_sel:[1,0] op_sel_hi:[0,1]
	v_mov_b32_e32 v27, v22
	v_pk_add_f32 v[30:31], v[26:27], v[32:33] neg_lo:[0,1] neg_hi:[0,1]
	v_mov_b32_e32 v25, v28
	v_sub_f32_e32 v23, v26, v30
	v_pk_add_f32 v[24:25], v[24:25], v[30:31] neg_lo:[0,1] neg_hi:[0,1]
	v_sub_f32_e32 v23, v32, v23
	v_add_f32_e32 v23, v24, v23
	v_add_f32_e32 v23, v23, v25
	;; [unrolled: 1-line block ×3, first 2 shown]
	v_cndmask_b32_e64 v22, v36, v22, s[0:1]
	s_mov_b32 s0, 0x33800000
	v_cmp_lt_f32_e64 s[0:1], |v37|, s0
	s_nop 1
	v_cndmask_b32_e64 v22, v22, v37, s[0:1]
	v_add_f32_e32 v21, v21, v22
	v_cvt_f16_f32_e32 v24, v21
.LBB406_69:
	s_or_b64 exec, exec, s[58:59]
	v_and_b32_e32 v23, 0xffff, v24
	v_mov_b32_e32 v21, v24
.LBB406_70:
	s_or_b64 exec, exec, s[62:63]
	v_and_b32_e32 v24, 16, v20
	v_mov_b32_dpp v22, v23 row_bcast:15 row_mask:0xf bank_mask:0xf
	v_cmp_ne_u32_e64 s[0:1], 0, v24
	s_and_saveexec_b64 s[62:63], s[0:1]
	s_cbranch_execz .LBB406_74
; %bb.71:
	v_cvt_f32_f16_e32 v24, v22
	v_cvt_f32_f16_e32 v25, v21
	v_cmp_u_f16_e64 s[0:1], v22, v22
	v_cmp_u_f16_e64 s[58:59], v21, v21
	s_movk_i32 s33, 0x1f8
	v_min_f32_e32 v23, v24, v25
	v_max_f32_e32 v21, v24, v25
	v_cndmask_b32_e64 v23, v23, v24, s[0:1]
	v_cndmask_b32_e64 v21, v21, v24, s[0:1]
	;; [unrolled: 1-line block ×4, first 2 shown]
	v_cmp_neq_f32_e64 s[0:1], v23, v21
	v_cmp_class_f32_e64 s[58:59], v23, s33
	s_or_b64 s[0:1], s[0:1], s[58:59]
	s_and_saveexec_b64 s[58:59], s[0:1]
	s_cbranch_execz .LBB406_73
; %bb.72:
	v_sub_f32_e32 v22, v23, v21
	s_mov_b32 s0, 0x3fb8aa3b
	v_mul_f32_e32 v23, 0x3fb8aa3b, v22
	v_fma_f32 v24, v22, s0, -v23
	v_rndne_f32_e32 v25, v23
	v_fmamk_f32 v24, v22, 0x32a5705f, v24
	v_sub_f32_e32 v23, v23, v25
	v_add_f32_e32 v23, v23, v24
	v_exp_f32_e32 v23, v23
	v_cvt_i32_f32_e32 v24, v25
	s_mov_b32 s0, 0xc2ce8ed0
	v_cmp_ngt_f32_e64 s[0:1], s0, v22
	v_mov_b32_e32 v36, 0x7f800000
	v_ldexp_f32 v23, v23, v24
	v_cndmask_b32_e64 v23, 0, v23, s[0:1]
	s_mov_b32 s0, 0x42b17218
	v_cmp_nlt_f32_e64 s[0:1], s0, v22
	s_mov_b32 s33, 0x7f800000
	s_nop 0
	v_cndmask_b32_e64 v37, v36, v23, s[0:1]
	v_add_f32_e32 v24, 1.0, v37
	v_add_f32_e32 v22, -1.0, v24
	v_sub_f32_e32 v23, v22, v24
	v_add_f32_e32 v23, 1.0, v23
	v_sub_f32_e32 v22, v37, v22
	v_add_f32_e32 v25, v22, v23
	v_frexp_mant_f32_e32 v26, v24
	s_mov_b32 s0, 0x3f2aaaab
	v_cvt_f64_f32_e32 v[22:23], v24
	v_frexp_exp_i32_f64_e32 v22, v[22:23]
	v_cmp_gt_f32_e64 s[0:1], s0, v26
	s_nop 1
	v_subbrev_co_u32_e64 v30, s[0:1], 0, v22, s[0:1]
	v_sub_u32_e32 v22, 0, v30
	v_ldexp_f32 v23, v24, v22
	v_add_f32_e32 v24, -1.0, v23
	v_add_f32_e32 v26, 1.0, v23
	v_ldexp_f32 v22, v25, v22
	v_add_f32_e32 v25, 1.0, v24
	v_add_f32_e32 v27, -1.0, v26
	v_sub_f32_e32 v25, v23, v25
	v_sub_f32_e32 v23, v23, v27
	v_add_f32_e32 v25, v22, v25
	v_add_f32_e32 v22, v22, v23
	;; [unrolled: 1-line block ×3, first 2 shown]
	v_rcp_f32_e32 v33, v31
	v_sub_f32_e32 v23, v26, v31
	v_add_f32_e32 v32, v22, v23
	v_add_f32_e32 v23, v24, v25
	v_mul_f32_e32 v35, v23, v33
	v_sub_f32_e32 v22, v24, v23
	v_mul_f32_e32 v24, v31, v35
	v_fma_f32 v26, v35, v31, -v24
	v_fmac_f32_e32 v26, v35, v32
	v_add_f32_e32 v34, v25, v22
	v_add_f32_e32 v22, v24, v26
	v_sub_f32_e32 v25, v23, v22
	v_pk_add_f32 v[28:29], v[22:23], v[24:25] neg_lo:[0,1] neg_hi:[0,1]
	v_mov_b32_e32 v27, v22
	v_pk_add_f32 v[22:23], v[28:29], v[26:27] neg_lo:[0,1] neg_hi:[0,1]
	s_mov_b32 s0, 0x3f317218
	v_add_f32_e32 v23, v34, v23
	v_add_f32_e32 v22, v22, v23
	;; [unrolled: 1-line block ×3, first 2 shown]
	v_mul_f32_e32 v34, v33, v23
	v_mul_f32_e32 v24, v31, v34
	v_fma_f32 v26, v34, v31, -v24
	v_fmac_f32_e32 v26, v34, v32
	v_sub_f32_e32 v25, v25, v23
	v_add_f32_e32 v31, v22, v25
	v_add_f32_e32 v22, v24, v26
	v_sub_f32_e32 v25, v23, v22
	v_pk_add_f32 v[28:29], v[22:23], v[24:25] neg_lo:[0,1] neg_hi:[0,1]
	v_mov_b32_e32 v27, v22
	v_pk_add_f32 v[22:23], v[28:29], v[26:27] neg_lo:[0,1] neg_hi:[0,1]
	v_cvt_f32_i32_e32 v24, v30
	v_add_f32_e32 v23, v31, v23
	v_add_f32_e32 v22, v22, v23
	;; [unrolled: 1-line block ×4, first 2 shown]
	v_sub_f32_e32 v23, v25, v35
	v_mul_f32_e32 v22, v33, v22
	v_sub_f32_e32 v23, v34, v23
	v_add_f32_e32 v22, v23, v22
	v_add_f32_e32 v26, v25, v22
	v_mul_f32_e32 v28, v26, v26
	v_mov_b32_e32 v23, 0x3ecc95a3
	v_sub_f32_e32 v25, v26, v25
	v_fmac_f32_e32 v23, 0x3e9b6dac, v28
	v_sub_f32_e32 v22, v22, v25
	v_fmaak_f32 v23, v28, v23, 0x3f2aaada
	v_ldexp_f32 v29, v22, 1
	v_mul_f32_e32 v25, v26, v28
	v_mov_b32_e32 v22, 0x3f317218
	v_pk_mul_f32 v[22:23], v[24:25], v[22:23]
	v_ldexp_f32 v27, v26, 1
	v_fma_f32 v25, v24, s0, -v22
	v_fmamk_f32 v26, v24, 0xb102e308, v25
	v_pk_add_f32 v[24:25], v[22:23], v[26:27]
	v_mov_b32_e32 v28, v22
	v_sub_f32_e32 v27, v25, v27
	v_sub_f32_e32 v27, v23, v27
	v_add_f32_e32 v29, v29, v27
	v_pk_add_f32 v[22:23], v[24:25], v[22:23] neg_lo:[0,1] neg_hi:[0,1]
	v_pk_add_f32 v[30:31], v[24:25], v[28:29]
	v_mov_b32_e32 v27, v24
	v_mov_b32_e32 v23, v31
	v_pk_add_f32 v[32:33], v[26:27], v[22:23] neg_lo:[0,1] neg_hi:[0,1]
	v_pk_add_f32 v[22:23], v[26:27], v[22:23]
	v_mov_b32_e32 v28, v29
	v_pk_add_f32 v[26:27], v[22:23], v[24:25] op_sel:[1,0] op_sel_hi:[0,1] neg_lo:[0,1] neg_hi:[0,1]
	v_pk_add_f32 v[34:35], v[30:31], v[26:27] op_sel_hi:[1,0] neg_lo:[0,1] neg_hi:[0,1]
	v_mov_b32_e32 v30, v31
	v_mov_b32_e32 v31, v23
	v_pk_mov_b32 v[26:27], v[24:25], v[26:27] op_sel:[1,0]
	v_mov_b32_e32 v29, v24
	v_pk_add_f32 v[26:27], v[30:31], v[26:27] neg_lo:[0,1] neg_hi:[0,1]
	v_mov_b32_e32 v34, v32
	v_pk_add_f32 v[24:25], v[28:29], v[26:27] neg_lo:[0,1] neg_hi:[0,1]
	v_mov_b32_e32 v33, v23
	v_pk_add_f32 v[26:27], v[34:35], v[24:25]
	v_cmp_neq_f32_e64 s[0:1], s33, v37
	v_pk_add_f32 v[28:29], v[26:27], v[26:27] op_sel:[0,1] op_sel_hi:[1,0]
	s_nop 0
	v_pk_add_f32 v[22:23], v[22:23], v[28:29] op_sel:[1,0] op_sel_hi:[0,1]
	v_mov_b32_e32 v27, v22
	v_pk_add_f32 v[30:31], v[26:27], v[32:33] neg_lo:[0,1] neg_hi:[0,1]
	v_mov_b32_e32 v25, v28
	v_sub_f32_e32 v23, v26, v30
	v_pk_add_f32 v[24:25], v[24:25], v[30:31] neg_lo:[0,1] neg_hi:[0,1]
	v_sub_f32_e32 v23, v32, v23
	v_add_f32_e32 v23, v24, v23
	v_add_f32_e32 v23, v23, v25
	;; [unrolled: 1-line block ×3, first 2 shown]
	v_cndmask_b32_e64 v22, v36, v22, s[0:1]
	s_mov_b32 s0, 0x33800000
	v_cmp_lt_f32_e64 s[0:1], |v37|, s0
	s_nop 1
	v_cndmask_b32_e64 v22, v22, v37, s[0:1]
	v_add_f32_e32 v21, v21, v22
	v_cvt_f16_f32_e32 v22, v21
.LBB406_73:
	s_or_b64 exec, exec, s[58:59]
	v_and_b32_e32 v23, 0xffff, v22
	v_mov_b32_e32 v21, v22
.LBB406_74:
	s_or_b64 exec, exec, s[62:63]
	v_mov_b32_dpp v22, v23 row_bcast:31 row_mask:0xf bank_mask:0xf
	v_cmp_lt_u32_e64 s[0:1], 31, v20
	s_and_saveexec_b64 s[62:63], s[0:1]
	s_cbranch_execz .LBB406_78
; %bb.75:
	v_cvt_f32_f16_e32 v24, v22
	v_cvt_f32_f16_e32 v25, v21
	v_cmp_u_f16_e64 s[0:1], v22, v22
	v_cmp_u_f16_e64 s[58:59], v21, v21
	s_movk_i32 s33, 0x1f8
	v_min_f32_e32 v23, v24, v25
	v_max_f32_e32 v21, v24, v25
	v_cndmask_b32_e64 v23, v23, v24, s[0:1]
	v_cndmask_b32_e64 v21, v21, v24, s[0:1]
	;; [unrolled: 1-line block ×4, first 2 shown]
	v_cmp_neq_f32_e64 s[0:1], v23, v21
	v_cmp_class_f32_e64 s[58:59], v23, s33
	s_or_b64 s[0:1], s[0:1], s[58:59]
	s_and_saveexec_b64 s[58:59], s[0:1]
	s_cbranch_execz .LBB406_77
; %bb.76:
	v_sub_f32_e32 v22, v23, v21
	s_mov_b32 s0, 0x3fb8aa3b
	v_mul_f32_e32 v23, 0x3fb8aa3b, v22
	v_fma_f32 v24, v22, s0, -v23
	v_rndne_f32_e32 v25, v23
	v_fmamk_f32 v24, v22, 0x32a5705f, v24
	v_sub_f32_e32 v23, v23, v25
	v_add_f32_e32 v23, v23, v24
	v_exp_f32_e32 v23, v23
	v_cvt_i32_f32_e32 v24, v25
	s_mov_b32 s0, 0xc2ce8ed0
	v_cmp_ngt_f32_e64 s[0:1], s0, v22
	v_mov_b32_e32 v36, 0x7f800000
	v_ldexp_f32 v23, v23, v24
	v_cndmask_b32_e64 v23, 0, v23, s[0:1]
	s_mov_b32 s0, 0x42b17218
	v_cmp_nlt_f32_e64 s[0:1], s0, v22
	s_mov_b32 s33, 0x7f800000
	s_nop 0
	v_cndmask_b32_e64 v37, v36, v23, s[0:1]
	v_add_f32_e32 v24, 1.0, v37
	v_add_f32_e32 v22, -1.0, v24
	v_sub_f32_e32 v23, v22, v24
	v_add_f32_e32 v23, 1.0, v23
	v_sub_f32_e32 v22, v37, v22
	v_add_f32_e32 v25, v22, v23
	v_frexp_mant_f32_e32 v26, v24
	s_mov_b32 s0, 0x3f2aaaab
	v_cvt_f64_f32_e32 v[22:23], v24
	v_frexp_exp_i32_f64_e32 v22, v[22:23]
	v_cmp_gt_f32_e64 s[0:1], s0, v26
	s_nop 1
	v_subbrev_co_u32_e64 v30, s[0:1], 0, v22, s[0:1]
	v_sub_u32_e32 v22, 0, v30
	v_ldexp_f32 v23, v24, v22
	v_add_f32_e32 v24, -1.0, v23
	v_add_f32_e32 v26, 1.0, v23
	v_ldexp_f32 v22, v25, v22
	v_add_f32_e32 v25, 1.0, v24
	v_add_f32_e32 v27, -1.0, v26
	v_sub_f32_e32 v25, v23, v25
	v_sub_f32_e32 v23, v23, v27
	v_add_f32_e32 v25, v22, v25
	v_add_f32_e32 v22, v22, v23
	;; [unrolled: 1-line block ×3, first 2 shown]
	v_rcp_f32_e32 v33, v31
	v_sub_f32_e32 v23, v26, v31
	v_add_f32_e32 v32, v22, v23
	v_add_f32_e32 v23, v24, v25
	v_mul_f32_e32 v35, v23, v33
	v_sub_f32_e32 v22, v24, v23
	v_mul_f32_e32 v24, v31, v35
	v_fma_f32 v26, v35, v31, -v24
	v_fmac_f32_e32 v26, v35, v32
	v_add_f32_e32 v34, v25, v22
	v_add_f32_e32 v22, v24, v26
	v_sub_f32_e32 v25, v23, v22
	v_pk_add_f32 v[28:29], v[22:23], v[24:25] neg_lo:[0,1] neg_hi:[0,1]
	v_mov_b32_e32 v27, v22
	v_pk_add_f32 v[22:23], v[28:29], v[26:27] neg_lo:[0,1] neg_hi:[0,1]
	s_mov_b32 s0, 0x3f317218
	v_add_f32_e32 v23, v34, v23
	v_add_f32_e32 v22, v22, v23
	;; [unrolled: 1-line block ×3, first 2 shown]
	v_mul_f32_e32 v34, v33, v23
	v_mul_f32_e32 v24, v31, v34
	v_fma_f32 v26, v34, v31, -v24
	v_fmac_f32_e32 v26, v34, v32
	v_sub_f32_e32 v25, v25, v23
	v_add_f32_e32 v31, v22, v25
	v_add_f32_e32 v22, v24, v26
	v_sub_f32_e32 v25, v23, v22
	v_pk_add_f32 v[28:29], v[22:23], v[24:25] neg_lo:[0,1] neg_hi:[0,1]
	v_mov_b32_e32 v27, v22
	v_pk_add_f32 v[22:23], v[28:29], v[26:27] neg_lo:[0,1] neg_hi:[0,1]
	v_cvt_f32_i32_e32 v24, v30
	v_add_f32_e32 v23, v31, v23
	v_add_f32_e32 v22, v22, v23
	;; [unrolled: 1-line block ×4, first 2 shown]
	v_sub_f32_e32 v23, v25, v35
	v_mul_f32_e32 v22, v33, v22
	v_sub_f32_e32 v23, v34, v23
	v_add_f32_e32 v22, v23, v22
	v_add_f32_e32 v26, v25, v22
	v_mul_f32_e32 v28, v26, v26
	v_mov_b32_e32 v23, 0x3ecc95a3
	v_sub_f32_e32 v25, v26, v25
	v_fmac_f32_e32 v23, 0x3e9b6dac, v28
	v_sub_f32_e32 v22, v22, v25
	v_fmaak_f32 v23, v28, v23, 0x3f2aaada
	v_ldexp_f32 v29, v22, 1
	v_mul_f32_e32 v25, v26, v28
	v_mov_b32_e32 v22, 0x3f317218
	v_pk_mul_f32 v[22:23], v[24:25], v[22:23]
	v_ldexp_f32 v27, v26, 1
	v_fma_f32 v25, v24, s0, -v22
	v_fmamk_f32 v26, v24, 0xb102e308, v25
	v_pk_add_f32 v[24:25], v[22:23], v[26:27]
	v_mov_b32_e32 v28, v22
	v_sub_f32_e32 v27, v25, v27
	v_sub_f32_e32 v27, v23, v27
	v_add_f32_e32 v29, v29, v27
	v_pk_add_f32 v[22:23], v[24:25], v[22:23] neg_lo:[0,1] neg_hi:[0,1]
	v_pk_add_f32 v[30:31], v[24:25], v[28:29]
	v_mov_b32_e32 v27, v24
	v_mov_b32_e32 v23, v31
	v_pk_add_f32 v[32:33], v[26:27], v[22:23] neg_lo:[0,1] neg_hi:[0,1]
	v_pk_add_f32 v[22:23], v[26:27], v[22:23]
	v_mov_b32_e32 v28, v29
	v_pk_add_f32 v[26:27], v[22:23], v[24:25] op_sel:[1,0] op_sel_hi:[0,1] neg_lo:[0,1] neg_hi:[0,1]
	v_pk_add_f32 v[34:35], v[30:31], v[26:27] op_sel_hi:[1,0] neg_lo:[0,1] neg_hi:[0,1]
	v_mov_b32_e32 v30, v31
	v_mov_b32_e32 v31, v23
	v_pk_mov_b32 v[26:27], v[24:25], v[26:27] op_sel:[1,0]
	v_mov_b32_e32 v29, v24
	v_pk_add_f32 v[26:27], v[30:31], v[26:27] neg_lo:[0,1] neg_hi:[0,1]
	v_mov_b32_e32 v34, v32
	v_pk_add_f32 v[24:25], v[28:29], v[26:27] neg_lo:[0,1] neg_hi:[0,1]
	v_mov_b32_e32 v33, v23
	v_pk_add_f32 v[26:27], v[34:35], v[24:25]
	v_cmp_neq_f32_e64 s[0:1], s33, v37
	v_pk_add_f32 v[28:29], v[26:27], v[26:27] op_sel:[0,1] op_sel_hi:[1,0]
	s_nop 0
	v_pk_add_f32 v[22:23], v[22:23], v[28:29] op_sel:[1,0] op_sel_hi:[0,1]
	v_mov_b32_e32 v27, v22
	v_pk_add_f32 v[30:31], v[26:27], v[32:33] neg_lo:[0,1] neg_hi:[0,1]
	v_mov_b32_e32 v25, v28
	v_sub_f32_e32 v23, v26, v30
	v_pk_add_f32 v[24:25], v[24:25], v[30:31] neg_lo:[0,1] neg_hi:[0,1]
	v_sub_f32_e32 v23, v32, v23
	v_add_f32_e32 v23, v24, v23
	v_add_f32_e32 v23, v23, v25
	;; [unrolled: 1-line block ×3, first 2 shown]
	v_cndmask_b32_e64 v22, v36, v22, s[0:1]
	s_mov_b32 s0, 0x33800000
	v_cmp_lt_f32_e64 s[0:1], |v37|, s0
	s_nop 1
	v_cndmask_b32_e64 v22, v22, v37, s[0:1]
	v_add_f32_e32 v21, v21, v22
	v_cvt_f16_f32_e32 v22, v21
.LBB406_77:
	s_or_b64 exec, exec, s[58:59]
	v_mov_b32_e32 v21, v22
.LBB406_78:
	s_or_b64 exec, exec, s[62:63]
	v_or_b32_e32 v23, 63, v0
	v_lshrrev_b32_e32 v22, 6, v0
	v_cmp_eq_u32_e64 s[0:1], v0, v23
	s_and_saveexec_b64 s[58:59], s[0:1]
; %bb.79:
	v_lshlrev_b32_e32 v23, 1, v22
	ds_write_b16 v23, v21
; %bb.80:
	s_or_b64 exec, exec, s[58:59]
	v_cmp_gt_u32_e64 s[0:1], 2, v0
	s_waitcnt lgkmcnt(0)
	s_barrier
	s_and_saveexec_b64 s[62:63], s[0:1]
	s_cbranch_execz .LBB406_86
; %bb.81:
	ds_read_u16 v23, v8
	v_and_b32_e32 v25, 1, v20
	v_cmp_eq_u32_e64 s[0:1], 1, v25
	s_waitcnt lgkmcnt(0)
	v_and_b32_e32 v24, 0xffff, v23
	s_nop 1
	v_mov_b32_dpp v24, v24 row_shr:1 row_mask:0xf bank_mask:0xf
	s_and_saveexec_b64 s[64:65], s[0:1]
	s_cbranch_execz .LBB406_85
; %bb.82:
	v_cvt_f32_f16_e32 v26, v24
	v_cvt_f32_f16_e32 v27, v23
	v_cmp_u_f16_e64 s[0:1], v24, v24
	v_cmp_u_f16_e64 s[58:59], v23, v23
	s_movk_i32 s33, 0x1f8
	v_min_f32_e32 v25, v26, v27
	v_max_f32_e32 v23, v26, v27
	v_cndmask_b32_e64 v25, v25, v26, s[0:1]
	v_cndmask_b32_e64 v23, v23, v26, s[0:1]
	;; [unrolled: 1-line block ×4, first 2 shown]
	v_cmp_neq_f32_e64 s[0:1], v25, v23
	v_cmp_class_f32_e64 s[58:59], v25, s33
	s_or_b64 s[0:1], s[0:1], s[58:59]
	s_and_saveexec_b64 s[58:59], s[0:1]
	s_cbranch_execz .LBB406_84
; %bb.83:
	v_sub_f32_e32 v24, v25, v23
	s_mov_b32 s0, 0x3fb8aa3b
	v_mul_f32_e32 v25, 0x3fb8aa3b, v24
	v_fma_f32 v26, v24, s0, -v25
	v_rndne_f32_e32 v27, v25
	v_fmamk_f32 v26, v24, 0x32a5705f, v26
	v_sub_f32_e32 v25, v25, v27
	v_add_f32_e32 v25, v25, v26
	v_exp_f32_e32 v25, v25
	v_cvt_i32_f32_e32 v26, v27
	s_mov_b32 s0, 0xc2ce8ed0
	v_cmp_ngt_f32_e64 s[0:1], s0, v24
	v_mov_b32_e32 v38, 0x7f800000
	v_ldexp_f32 v25, v25, v26
	v_cndmask_b32_e64 v25, 0, v25, s[0:1]
	s_mov_b32 s0, 0x42b17218
	v_cmp_nlt_f32_e64 s[0:1], s0, v24
	s_mov_b32 s33, 0x7f800000
	s_nop 0
	v_cndmask_b32_e64 v39, v38, v25, s[0:1]
	v_add_f32_e32 v26, 1.0, v39
	v_add_f32_e32 v24, -1.0, v26
	v_sub_f32_e32 v25, v24, v26
	v_add_f32_e32 v25, 1.0, v25
	v_sub_f32_e32 v24, v39, v24
	v_add_f32_e32 v27, v24, v25
	v_frexp_mant_f32_e32 v28, v26
	s_mov_b32 s0, 0x3f2aaaab
	v_cvt_f64_f32_e32 v[24:25], v26
	v_frexp_exp_i32_f64_e32 v24, v[24:25]
	v_cmp_gt_f32_e64 s[0:1], s0, v28
	s_nop 1
	v_subbrev_co_u32_e64 v32, s[0:1], 0, v24, s[0:1]
	v_sub_u32_e32 v24, 0, v32
	v_ldexp_f32 v25, v26, v24
	v_add_f32_e32 v26, -1.0, v25
	v_add_f32_e32 v28, 1.0, v25
	v_ldexp_f32 v24, v27, v24
	v_add_f32_e32 v27, 1.0, v26
	v_add_f32_e32 v29, -1.0, v28
	v_sub_f32_e32 v27, v25, v27
	v_sub_f32_e32 v25, v25, v29
	v_add_f32_e32 v27, v24, v27
	v_add_f32_e32 v24, v24, v25
	;; [unrolled: 1-line block ×3, first 2 shown]
	v_rcp_f32_e32 v35, v33
	v_sub_f32_e32 v25, v28, v33
	v_add_f32_e32 v34, v24, v25
	v_add_f32_e32 v25, v26, v27
	v_mul_f32_e32 v37, v25, v35
	v_sub_f32_e32 v24, v26, v25
	v_mul_f32_e32 v26, v33, v37
	v_fma_f32 v28, v37, v33, -v26
	v_fmac_f32_e32 v28, v37, v34
	v_add_f32_e32 v36, v27, v24
	v_add_f32_e32 v24, v26, v28
	v_sub_f32_e32 v27, v25, v24
	v_pk_add_f32 v[30:31], v[24:25], v[26:27] neg_lo:[0,1] neg_hi:[0,1]
	v_mov_b32_e32 v29, v24
	v_pk_add_f32 v[24:25], v[30:31], v[28:29] neg_lo:[0,1] neg_hi:[0,1]
	s_mov_b32 s0, 0x3f317218
	v_add_f32_e32 v25, v36, v25
	v_add_f32_e32 v24, v24, v25
	;; [unrolled: 1-line block ×3, first 2 shown]
	v_mul_f32_e32 v36, v35, v25
	v_mul_f32_e32 v26, v33, v36
	v_fma_f32 v28, v36, v33, -v26
	v_fmac_f32_e32 v28, v36, v34
	v_sub_f32_e32 v27, v27, v25
	v_add_f32_e32 v33, v24, v27
	v_add_f32_e32 v24, v26, v28
	v_sub_f32_e32 v27, v25, v24
	v_pk_add_f32 v[30:31], v[24:25], v[26:27] neg_lo:[0,1] neg_hi:[0,1]
	v_mov_b32_e32 v29, v24
	v_pk_add_f32 v[24:25], v[30:31], v[28:29] neg_lo:[0,1] neg_hi:[0,1]
	v_cvt_f32_i32_e32 v26, v32
	v_add_f32_e32 v25, v33, v25
	v_add_f32_e32 v24, v24, v25
	;; [unrolled: 1-line block ×4, first 2 shown]
	v_sub_f32_e32 v25, v27, v37
	v_mul_f32_e32 v24, v35, v24
	v_sub_f32_e32 v25, v36, v25
	v_add_f32_e32 v24, v25, v24
	v_add_f32_e32 v28, v27, v24
	v_mul_f32_e32 v30, v28, v28
	v_mov_b32_e32 v25, 0x3ecc95a3
	v_sub_f32_e32 v27, v28, v27
	v_fmac_f32_e32 v25, 0x3e9b6dac, v30
	v_sub_f32_e32 v24, v24, v27
	v_fmaak_f32 v25, v30, v25, 0x3f2aaada
	v_ldexp_f32 v31, v24, 1
	v_mul_f32_e32 v27, v28, v30
	v_mov_b32_e32 v24, 0x3f317218
	v_pk_mul_f32 v[24:25], v[26:27], v[24:25]
	v_ldexp_f32 v29, v28, 1
	v_fma_f32 v27, v26, s0, -v24
	v_fmamk_f32 v28, v26, 0xb102e308, v27
	v_pk_add_f32 v[26:27], v[24:25], v[28:29]
	v_mov_b32_e32 v30, v24
	v_sub_f32_e32 v29, v27, v29
	v_sub_f32_e32 v29, v25, v29
	v_add_f32_e32 v31, v31, v29
	v_pk_add_f32 v[24:25], v[26:27], v[24:25] neg_lo:[0,1] neg_hi:[0,1]
	v_pk_add_f32 v[32:33], v[26:27], v[30:31]
	v_mov_b32_e32 v29, v26
	v_mov_b32_e32 v25, v33
	v_pk_add_f32 v[34:35], v[28:29], v[24:25] neg_lo:[0,1] neg_hi:[0,1]
	v_pk_add_f32 v[24:25], v[28:29], v[24:25]
	v_mov_b32_e32 v30, v31
	v_pk_add_f32 v[28:29], v[24:25], v[26:27] op_sel:[1,0] op_sel_hi:[0,1] neg_lo:[0,1] neg_hi:[0,1]
	v_pk_add_f32 v[36:37], v[32:33], v[28:29] op_sel_hi:[1,0] neg_lo:[0,1] neg_hi:[0,1]
	v_mov_b32_e32 v32, v33
	v_mov_b32_e32 v33, v25
	v_pk_mov_b32 v[28:29], v[26:27], v[28:29] op_sel:[1,0]
	v_mov_b32_e32 v31, v26
	v_pk_add_f32 v[28:29], v[32:33], v[28:29] neg_lo:[0,1] neg_hi:[0,1]
	v_mov_b32_e32 v36, v34
	v_pk_add_f32 v[26:27], v[30:31], v[28:29] neg_lo:[0,1] neg_hi:[0,1]
	v_mov_b32_e32 v35, v25
	v_pk_add_f32 v[28:29], v[36:37], v[26:27]
	v_cmp_neq_f32_e64 s[0:1], s33, v39
	v_pk_add_f32 v[30:31], v[28:29], v[28:29] op_sel:[0,1] op_sel_hi:[1,0]
	s_nop 0
	v_pk_add_f32 v[24:25], v[24:25], v[30:31] op_sel:[1,0] op_sel_hi:[0,1]
	v_mov_b32_e32 v29, v24
	v_pk_add_f32 v[32:33], v[28:29], v[34:35] neg_lo:[0,1] neg_hi:[0,1]
	v_mov_b32_e32 v27, v30
	v_sub_f32_e32 v25, v28, v32
	v_pk_add_f32 v[26:27], v[26:27], v[32:33] neg_lo:[0,1] neg_hi:[0,1]
	v_sub_f32_e32 v25, v34, v25
	v_add_f32_e32 v25, v26, v25
	v_add_f32_e32 v25, v25, v27
	;; [unrolled: 1-line block ×3, first 2 shown]
	v_cndmask_b32_e64 v24, v38, v24, s[0:1]
	s_mov_b32 s0, 0x33800000
	v_cmp_lt_f32_e64 s[0:1], |v39|, s0
	s_nop 1
	v_cndmask_b32_e64 v24, v24, v39, s[0:1]
	v_add_f32_e32 v23, v23, v24
	v_cvt_f16_f32_e32 v24, v23
.LBB406_84:
	s_or_b64 exec, exec, s[58:59]
	v_mov_b32_e32 v23, v24
.LBB406_85:
	s_or_b64 exec, exec, s[64:65]
	ds_write_b16 v8, v23
.LBB406_86:
	s_or_b64 exec, exec, s[62:63]
	v_cmp_lt_u32_e64 s[0:1], 63, v0
	s_waitcnt lgkmcnt(0)
	s_barrier
                                        ; implicit-def: $vgpr23
	s_and_saveexec_b64 s[58:59], s[0:1]
	s_cbranch_execz .LBB406_90
; %bb.87:
	v_lshl_add_u32 v22, v22, 1, -2
	ds_read_u16 v23, v22
	v_cvt_f32_f16_e32 v22, v21
	s_movk_i32 s33, 0x1f8
	s_waitcnt lgkmcnt(0)
	v_cvt_f32_f16_e32 v24, v23
	v_cmp_u_f16_e64 s[0:1], v23, v23
	v_min_f32_e32 v25, v24, v22
	v_max_f32_e32 v26, v24, v22
	v_cndmask_b32_e64 v25, v25, v24, s[0:1]
	v_cndmask_b32_e64 v26, v26, v24, s[0:1]
	v_cmp_u_f16_e64 s[0:1], v21, v21
	v_mov_b32_e32 v21, v23
	s_nop 0
	v_cndmask_b32_e64 v24, v25, v22, s[0:1]
	v_cndmask_b32_e64 v22, v26, v22, s[0:1]
	v_cmp_neq_f32_e64 s[0:1], v24, v22
	v_cmp_class_f32_e64 s[62:63], v24, s33
	s_or_b64 s[0:1], s[0:1], s[62:63]
	s_and_saveexec_b64 s[62:63], s[0:1]
	s_cbranch_execz .LBB406_89
; %bb.88:
	v_sub_f32_e32 v21, v24, v22
	s_mov_b32 s0, 0x3fb8aa3b
	v_mul_f32_e32 v24, 0x3fb8aa3b, v21
	v_fma_f32 v25, v21, s0, -v24
	v_rndne_f32_e32 v26, v24
	v_fmamk_f32 v25, v21, 0x32a5705f, v25
	v_sub_f32_e32 v24, v24, v26
	v_add_f32_e32 v24, v24, v25
	v_exp_f32_e32 v24, v24
	v_cvt_i32_f32_e32 v25, v26
	s_mov_b32 s0, 0xc2ce8ed0
	v_cmp_ngt_f32_e64 s[0:1], s0, v21
	v_mov_b32_e32 v38, 0x7f800000
	v_ldexp_f32 v24, v24, v25
	v_cndmask_b32_e64 v24, 0, v24, s[0:1]
	s_mov_b32 s0, 0x42b17218
	v_cmp_nlt_f32_e64 s[0:1], s0, v21
	s_mov_b32 s33, 0x7f800000
	s_nop 0
	v_cndmask_b32_e64 v21, v38, v24, s[0:1]
	v_add_f32_e32 v26, 1.0, v21
	v_add_f32_e32 v24, -1.0, v26
	v_sub_f32_e32 v25, v24, v26
	v_add_f32_e32 v25, 1.0, v25
	v_sub_f32_e32 v24, v21, v24
	v_add_f32_e32 v27, v24, v25
	v_frexp_mant_f32_e32 v28, v26
	s_mov_b32 s0, 0x3f2aaaab
	v_cvt_f64_f32_e32 v[24:25], v26
	v_frexp_exp_i32_f64_e32 v24, v[24:25]
	v_cmp_gt_f32_e64 s[0:1], s0, v28
	s_nop 1
	v_subbrev_co_u32_e64 v32, s[0:1], 0, v24, s[0:1]
	v_sub_u32_e32 v24, 0, v32
	v_ldexp_f32 v25, v26, v24
	v_add_f32_e32 v26, -1.0, v25
	v_add_f32_e32 v28, 1.0, v25
	v_ldexp_f32 v24, v27, v24
	v_add_f32_e32 v27, 1.0, v26
	v_add_f32_e32 v29, -1.0, v28
	v_sub_f32_e32 v27, v25, v27
	v_sub_f32_e32 v25, v25, v29
	v_add_f32_e32 v27, v24, v27
	v_add_f32_e32 v24, v24, v25
	;; [unrolled: 1-line block ×3, first 2 shown]
	v_rcp_f32_e32 v35, v33
	v_sub_f32_e32 v25, v28, v33
	v_add_f32_e32 v34, v24, v25
	v_add_f32_e32 v25, v26, v27
	v_mul_f32_e32 v37, v25, v35
	v_sub_f32_e32 v24, v26, v25
	v_mul_f32_e32 v26, v33, v37
	v_fma_f32 v28, v37, v33, -v26
	v_fmac_f32_e32 v28, v37, v34
	v_add_f32_e32 v36, v27, v24
	v_add_f32_e32 v24, v26, v28
	v_sub_f32_e32 v27, v25, v24
	v_pk_add_f32 v[30:31], v[24:25], v[26:27] neg_lo:[0,1] neg_hi:[0,1]
	v_mov_b32_e32 v29, v24
	v_pk_add_f32 v[24:25], v[30:31], v[28:29] neg_lo:[0,1] neg_hi:[0,1]
	s_mov_b32 s0, 0x3f317218
	v_add_f32_e32 v25, v36, v25
	v_add_f32_e32 v24, v24, v25
	;; [unrolled: 1-line block ×3, first 2 shown]
	v_mul_f32_e32 v36, v35, v25
	v_mul_f32_e32 v26, v33, v36
	v_fma_f32 v28, v36, v33, -v26
	v_fmac_f32_e32 v28, v36, v34
	v_sub_f32_e32 v27, v27, v25
	v_add_f32_e32 v33, v24, v27
	v_add_f32_e32 v24, v26, v28
	v_sub_f32_e32 v27, v25, v24
	v_pk_add_f32 v[30:31], v[24:25], v[26:27] neg_lo:[0,1] neg_hi:[0,1]
	v_mov_b32_e32 v29, v24
	v_pk_add_f32 v[24:25], v[30:31], v[28:29] neg_lo:[0,1] neg_hi:[0,1]
	v_cvt_f32_i32_e32 v26, v32
	v_add_f32_e32 v25, v33, v25
	v_add_f32_e32 v24, v24, v25
	;; [unrolled: 1-line block ×4, first 2 shown]
	v_sub_f32_e32 v25, v27, v37
	v_mul_f32_e32 v24, v35, v24
	v_sub_f32_e32 v25, v36, v25
	v_add_f32_e32 v24, v25, v24
	v_add_f32_e32 v28, v27, v24
	v_mul_f32_e32 v30, v28, v28
	v_mov_b32_e32 v25, 0x3ecc95a3
	v_sub_f32_e32 v27, v28, v27
	v_fmac_f32_e32 v25, 0x3e9b6dac, v30
	v_sub_f32_e32 v24, v24, v27
	v_fmaak_f32 v25, v30, v25, 0x3f2aaada
	v_ldexp_f32 v31, v24, 1
	v_mul_f32_e32 v27, v28, v30
	v_mov_b32_e32 v24, 0x3f317218
	v_pk_mul_f32 v[24:25], v[26:27], v[24:25]
	v_ldexp_f32 v29, v28, 1
	v_fma_f32 v27, v26, s0, -v24
	v_fmamk_f32 v28, v26, 0xb102e308, v27
	v_pk_add_f32 v[26:27], v[24:25], v[28:29]
	v_mov_b32_e32 v30, v24
	v_sub_f32_e32 v29, v27, v29
	v_sub_f32_e32 v29, v25, v29
	v_add_f32_e32 v31, v31, v29
	v_pk_add_f32 v[24:25], v[26:27], v[24:25] neg_lo:[0,1] neg_hi:[0,1]
	v_pk_add_f32 v[32:33], v[26:27], v[30:31]
	v_mov_b32_e32 v29, v26
	v_mov_b32_e32 v25, v33
	v_pk_add_f32 v[34:35], v[28:29], v[24:25] neg_lo:[0,1] neg_hi:[0,1]
	v_pk_add_f32 v[24:25], v[28:29], v[24:25]
	v_mov_b32_e32 v30, v31
	v_pk_add_f32 v[28:29], v[24:25], v[26:27] op_sel:[1,0] op_sel_hi:[0,1] neg_lo:[0,1] neg_hi:[0,1]
	v_pk_add_f32 v[36:37], v[32:33], v[28:29] op_sel_hi:[1,0] neg_lo:[0,1] neg_hi:[0,1]
	v_mov_b32_e32 v32, v33
	v_mov_b32_e32 v33, v25
	v_pk_mov_b32 v[28:29], v[26:27], v[28:29] op_sel:[1,0]
	v_mov_b32_e32 v31, v26
	v_pk_add_f32 v[28:29], v[32:33], v[28:29] neg_lo:[0,1] neg_hi:[0,1]
	v_mov_b32_e32 v36, v34
	v_pk_add_f32 v[26:27], v[30:31], v[28:29] neg_lo:[0,1] neg_hi:[0,1]
	v_mov_b32_e32 v35, v25
	v_pk_add_f32 v[28:29], v[36:37], v[26:27]
	v_cmp_neq_f32_e64 s[0:1], s33, v21
	v_pk_add_f32 v[30:31], v[28:29], v[28:29] op_sel:[0,1] op_sel_hi:[1,0]
	s_nop 0
	v_pk_add_f32 v[24:25], v[24:25], v[30:31] op_sel:[1,0] op_sel_hi:[0,1]
	v_mov_b32_e32 v29, v24
	v_pk_add_f32 v[32:33], v[28:29], v[34:35] neg_lo:[0,1] neg_hi:[0,1]
	v_mov_b32_e32 v27, v30
	v_sub_f32_e32 v25, v28, v32
	v_pk_add_f32 v[26:27], v[26:27], v[32:33] neg_lo:[0,1] neg_hi:[0,1]
	v_sub_f32_e32 v25, v34, v25
	v_add_f32_e32 v25, v26, v25
	v_add_f32_e32 v25, v25, v27
	;; [unrolled: 1-line block ×3, first 2 shown]
	v_cndmask_b32_e64 v24, v38, v24, s[0:1]
	s_mov_b32 s0, 0x33800000
	v_cmp_lt_f32_e64 s[0:1], |v21|, s0
	s_nop 1
	v_cndmask_b32_e64 v21, v24, v21, s[0:1]
	v_add_f32_e32 v21, v22, v21
	v_cvt_f16_f32_e32 v21, v21
.LBB406_89:
	s_or_b64 exec, exec, s[62:63]
.LBB406_90:
	s_or_b64 exec, exec, s[58:59]
	v_add_u32_e32 v22, -1, v20
	v_and_b32_e32 v24, 64, v20
	v_cmp_lt_i32_e64 s[0:1], v22, v24
	v_and_b32_e32 v21, 0xffff, v21
	s_nop 0
	v_cndmask_b32_e64 v22, v22, v20, s[0:1]
	v_lshlrev_b32_e32 v22, 2, v22
	ds_bpermute_b32 v22, v22, v21
	v_cmp_ne_u32_e64 s[0:1], 0, v0
	v_mov_b32_e32 v21, v2
	s_and_saveexec_b64 s[58:59], s[0:1]
	s_cbranch_execz .LBB406_94
; %bb.91:
	v_cmp_eq_u32_e64 s[0:1], 0, v20
	v_max_f32_e32 v18, v1, v1
	s_movk_i32 s33, 0x1f8
	s_waitcnt lgkmcnt(0)
	v_cndmask_b32_e64 v2, v22, v23, s[0:1]
	v_cvt_f32_f16_e32 v20, v2
	v_cmp_u_f16_e64 s[0:1], v2, v2
	v_min_f32_e32 v17, v20, v18
	v_max_f32_e32 v18, v20, v18
	v_cndmask_b32_e64 v17, v17, v20, s[0:1]
	v_cndmask_b32_e64 v18, v18, v20, s[0:1]
	;; [unrolled: 1-line block ×4, first 2 shown]
	v_cmp_neq_f32_e64 s[0:1], v17, v1
	v_cmp_class_f32_e64 s[54:55], v17, s33
	s_or_b64 s[0:1], s[0:1], s[54:55]
	s_and_saveexec_b64 s[54:55], s[0:1]
	s_cbranch_execz .LBB406_93
; %bb.92:
	v_sub_f32_e32 v2, v17, v1
	s_mov_b32 s0, 0x3fb8aa3b
	v_mul_f32_e32 v17, 0x3fb8aa3b, v2
	v_fma_f32 v18, v2, s0, -v17
	v_rndne_f32_e32 v20, v17
	v_fmamk_f32 v18, v2, 0x32a5705f, v18
	v_sub_f32_e32 v17, v17, v20
	v_add_f32_e32 v17, v17, v18
	v_exp_f32_e32 v17, v17
	v_cvt_i32_f32_e32 v18, v20
	s_mov_b32 s0, 0xc2ce8ed0
	v_cmp_ngt_f32_e64 s[0:1], s0, v2
	s_mov_b32 s33, 0x7f800000
	v_ldexp_f32 v17, v17, v18
	v_cndmask_b32_e64 v17, 0, v17, s[0:1]
	s_mov_b32 s0, 0x42b17218
	v_mov_b32_e32 v18, 0x7f800000
	v_cmp_nlt_f32_e64 s[0:1], s0, v2
	s_nop 1
	v_cndmask_b32_e64 v2, v18, v17, s[0:1]
	v_add_f32_e32 v17, 1.0, v2
	v_add_f32_e32 v20, -1.0, v17
	v_sub_f32_e32 v21, v20, v17
	v_add_f32_e32 v21, 1.0, v21
	v_sub_f32_e32 v20, v2, v20
	v_add_f32_e32 v22, v20, v21
	v_frexp_mant_f32_e32 v23, v17
	s_mov_b32 s0, 0x3f2aaaab
	v_cvt_f64_f32_e32 v[20:21], v17
	v_frexp_exp_i32_f64_e32 v20, v[20:21]
	v_cmp_gt_f32_e64 s[0:1], s0, v23
	s_nop 1
	v_subbrev_co_u32_e64 v28, s[0:1], 0, v20, s[0:1]
	v_sub_u32_e32 v20, 0, v28
	v_ldexp_f32 v17, v17, v20
	v_ldexp_f32 v20, v22, v20
	v_add_f32_e32 v22, -1.0, v17
	v_add_f32_e32 v21, 1.0, v22
	v_sub_f32_e32 v21, v17, v21
	v_add_f32_e32 v23, v20, v21
	v_add_f32_e32 v21, 1.0, v17
	v_add_f32_e32 v24, -1.0, v21
	v_sub_f32_e32 v17, v17, v24
	v_add_f32_e32 v17, v20, v17
	v_add_f32_e32 v29, v21, v17
	v_rcp_f32_e32 v30, v29
	v_sub_f32_e32 v20, v21, v29
	v_add_f32_e32 v21, v22, v23
	v_add_f32_e32 v17, v17, v20
	v_mul_f32_e32 v32, v21, v30
	v_sub_f32_e32 v20, v22, v21
	v_mul_f32_e32 v22, v29, v32
	v_fma_f32 v24, v32, v29, -v22
	v_fmac_f32_e32 v24, v32, v17
	v_add_f32_e32 v31, v23, v20
	v_add_f32_e32 v20, v22, v24
	v_sub_f32_e32 v23, v21, v20
	v_pk_add_f32 v[26:27], v[20:21], v[22:23] neg_lo:[0,1] neg_hi:[0,1]
	v_mov_b32_e32 v25, v20
	v_pk_add_f32 v[20:21], v[26:27], v[24:25] neg_lo:[0,1] neg_hi:[0,1]
	s_mov_b32 s0, 0x3f317218
	v_add_f32_e32 v21, v31, v21
	v_add_f32_e32 v20, v20, v21
	;; [unrolled: 1-line block ×3, first 2 shown]
	v_mul_f32_e32 v31, v30, v21
	v_mul_f32_e32 v22, v29, v31
	v_fma_f32 v24, v31, v29, -v22
	v_fmac_f32_e32 v24, v31, v17
	v_sub_f32_e32 v17, v23, v21
	v_add_f32_e32 v17, v20, v17
	v_add_f32_e32 v20, v22, v24
	v_sub_f32_e32 v23, v21, v20
	v_pk_add_f32 v[26:27], v[20:21], v[22:23] neg_lo:[0,1] neg_hi:[0,1]
	v_mov_b32_e32 v25, v20
	v_pk_add_f32 v[20:21], v[26:27], v[24:25] neg_lo:[0,1] neg_hi:[0,1]
	v_cvt_f32_i32_e32 v22, v28
	v_add_f32_e32 v17, v17, v21
	v_add_f32_e32 v17, v20, v17
	;; [unrolled: 1-line block ×4, first 2 shown]
	v_sub_f32_e32 v21, v20, v32
	v_mul_f32_e32 v17, v30, v17
	v_sub_f32_e32 v21, v31, v21
	v_add_f32_e32 v17, v21, v17
	v_add_f32_e32 v23, v20, v17
	v_mul_f32_e32 v24, v23, v23
	v_mov_b32_e32 v21, 0x3ecc95a3
	v_fmac_f32_e32 v21, 0x3e9b6dac, v24
	v_sub_f32_e32 v20, v23, v20
	v_fmaak_f32 v21, v24, v21, 0x3f2aaada
	v_sub_f32_e32 v17, v17, v20
	v_ldexp_f32 v25, v23, 1
	v_mul_f32_e32 v23, v23, v24
	v_mov_b32_e32 v20, 0x3f317218
	v_pk_mul_f32 v[20:21], v[22:23], v[20:21]
	v_ldexp_f32 v17, v17, 1
	v_fma_f32 v23, v22, s0, -v20
	v_fmamk_f32 v24, v22, 0xb102e308, v23
	v_pk_add_f32 v[22:23], v[20:21], v[24:25]
	v_mov_b32_e32 v26, v20
	v_sub_f32_e32 v25, v23, v25
	v_sub_f32_e32 v25, v21, v25
	v_add_f32_e32 v27, v17, v25
	v_pk_add_f32 v[20:21], v[22:23], v[20:21] neg_lo:[0,1] neg_hi:[0,1]
	v_pk_add_f32 v[28:29], v[22:23], v[26:27]
	v_mov_b32_e32 v25, v22
	v_mov_b32_e32 v21, v29
	v_pk_add_f32 v[30:31], v[24:25], v[20:21] neg_lo:[0,1] neg_hi:[0,1]
	v_pk_add_f32 v[20:21], v[24:25], v[20:21]
	v_mov_b32_e32 v26, v27
	v_pk_add_f32 v[24:25], v[20:21], v[22:23] op_sel:[1,0] op_sel_hi:[0,1] neg_lo:[0,1] neg_hi:[0,1]
	v_pk_add_f32 v[32:33], v[28:29], v[24:25] op_sel_hi:[1,0] neg_lo:[0,1] neg_hi:[0,1]
	v_mov_b32_e32 v28, v29
	v_mov_b32_e32 v29, v21
	v_pk_mov_b32 v[24:25], v[22:23], v[24:25] op_sel:[1,0]
	v_mov_b32_e32 v27, v22
	v_pk_add_f32 v[24:25], v[28:29], v[24:25] neg_lo:[0,1] neg_hi:[0,1]
	v_mov_b32_e32 v32, v30
	v_pk_add_f32 v[22:23], v[26:27], v[24:25] neg_lo:[0,1] neg_hi:[0,1]
	v_mov_b32_e32 v31, v21
	v_pk_add_f32 v[24:25], v[32:33], v[22:23]
	v_cmp_neq_f32_e64 s[0:1], s33, v2
	v_pk_add_f32 v[26:27], v[24:25], v[24:25] op_sel:[0,1] op_sel_hi:[1,0]
	s_nop 0
	v_pk_add_f32 v[20:21], v[20:21], v[26:27] op_sel:[1,0] op_sel_hi:[0,1]
	v_mov_b32_e32 v25, v20
	v_pk_add_f32 v[28:29], v[24:25], v[30:31] neg_lo:[0,1] neg_hi:[0,1]
	v_mov_b32_e32 v23, v26
	v_sub_f32_e32 v17, v24, v28
	v_pk_add_f32 v[22:23], v[22:23], v[28:29] neg_lo:[0,1] neg_hi:[0,1]
	v_sub_f32_e32 v17, v30, v17
	v_add_f32_e32 v17, v22, v17
	v_add_f32_e32 v17, v17, v23
	;; [unrolled: 1-line block ×3, first 2 shown]
	v_cndmask_b32_e64 v17, v18, v17, s[0:1]
	s_mov_b32 s0, 0x33800000
	v_cmp_lt_f32_e64 s[0:1], |v2|, s0
	s_nop 1
	v_cndmask_b32_e64 v2, v17, v2, s[0:1]
	v_add_f32_e32 v1, v1, v2
	v_cvt_f16_f32_e32 v2, v1
	v_cvt_f32_f16_e32 v20, v2
.LBB406_93:
	s_or_b64 exec, exec, s[54:55]
	v_max_f32_e32 v1, v9, v9
	v_max_f32_e32 v18, v20, v20
	v_min_f32_e32 v17, v18, v1
	v_max_f32_e32 v18, v18, v1
	v_mov_b32_e32 v21, v2
	v_mov_b32_e32 v1, v20
	;;#ASMSTART
	;;#ASMEND
.LBB406_94:
	s_or_b64 exec, exec, s[58:59]
	v_cmp_u_f16_e64 s[0:1], v21, v21
	s_movk_i32 s33, 0x1f8
	s_nop 0
	v_cndmask_b32_e64 v17, v17, v1, s[0:1]
	v_cndmask_b32_e64 v20, v17, v9, s[26:27]
	;; [unrolled: 1-line block ×4, first 2 shown]
	v_cmp_neq_f32_e64 s[0:1], v20, v17
	v_cmp_class_f32_e64 s[26:27], v20, s33
	s_or_b64 s[0:1], s[0:1], s[26:27]
	v_mov_b32_e32 v9, v2
	s_and_saveexec_b64 s[26:27], s[0:1]
	s_cbranch_execz .LBB406_96
; %bb.95:
	v_sub_f32_e32 v1, v20, v17
	s_mov_b32 s0, 0x3fb8aa3b
	v_mul_f32_e32 v9, 0x3fb8aa3b, v1
	v_fma_f32 v18, v1, s0, -v9
	v_rndne_f32_e32 v20, v9
	v_fmamk_f32 v18, v1, 0x32a5705f, v18
	v_sub_f32_e32 v9, v9, v20
	v_add_f32_e32 v9, v9, v18
	v_exp_f32_e32 v9, v9
	v_cvt_i32_f32_e32 v18, v20
	s_mov_b32 s0, 0xc2ce8ed0
	v_cmp_ngt_f32_e64 s[0:1], s0, v1
	s_mov_b32 s54, 0x7f800000
	v_ldexp_f32 v9, v9, v18
	v_cndmask_b32_e64 v9, 0, v9, s[0:1]
	s_mov_b32 s0, 0x42b17218
	v_mov_b32_e32 v18, 0x7f800000
	v_cmp_nlt_f32_e64 s[0:1], s0, v1
	s_nop 1
	v_cndmask_b32_e64 v1, v18, v9, s[0:1]
	v_add_f32_e32 v9, 1.0, v1
	v_add_f32_e32 v20, -1.0, v9
	v_sub_f32_e32 v21, v20, v9
	v_add_f32_e32 v21, 1.0, v21
	v_sub_f32_e32 v20, v1, v20
	s_waitcnt lgkmcnt(0)
	v_add_f32_e32 v22, v20, v21
	v_frexp_mant_f32_e32 v23, v9
	s_mov_b32 s0, 0x3f2aaaab
	v_cvt_f64_f32_e32 v[20:21], v9
	v_frexp_exp_i32_f64_e32 v20, v[20:21]
	v_cmp_gt_f32_e64 s[0:1], s0, v23
	s_nop 1
	v_subbrev_co_u32_e64 v28, s[0:1], 0, v20, s[0:1]
	v_sub_u32_e32 v20, 0, v28
	v_ldexp_f32 v9, v9, v20
	v_ldexp_f32 v20, v22, v20
	v_add_f32_e32 v22, -1.0, v9
	v_add_f32_e32 v21, 1.0, v22
	v_sub_f32_e32 v21, v9, v21
	v_add_f32_e32 v23, v20, v21
	v_add_f32_e32 v21, 1.0, v9
	v_add_f32_e32 v24, -1.0, v21
	v_sub_f32_e32 v9, v9, v24
	v_add_f32_e32 v9, v20, v9
	v_add_f32_e32 v29, v21, v9
	v_rcp_f32_e32 v30, v29
	v_sub_f32_e32 v20, v21, v29
	v_add_f32_e32 v21, v22, v23
	v_add_f32_e32 v9, v9, v20
	v_mul_f32_e32 v32, v21, v30
	v_sub_f32_e32 v20, v22, v21
	v_mul_f32_e32 v22, v29, v32
	v_fma_f32 v24, v32, v29, -v22
	v_fmac_f32_e32 v24, v32, v9
	v_add_f32_e32 v31, v23, v20
	v_add_f32_e32 v20, v22, v24
	v_sub_f32_e32 v23, v21, v20
	v_pk_add_f32 v[26:27], v[20:21], v[22:23] neg_lo:[0,1] neg_hi:[0,1]
	v_mov_b32_e32 v25, v20
	v_pk_add_f32 v[20:21], v[26:27], v[24:25] neg_lo:[0,1] neg_hi:[0,1]
	s_mov_b32 s0, 0x3f317218
	v_add_f32_e32 v21, v31, v21
	v_add_f32_e32 v20, v20, v21
	;; [unrolled: 1-line block ×3, first 2 shown]
	v_mul_f32_e32 v31, v30, v21
	v_mul_f32_e32 v22, v29, v31
	v_fma_f32 v24, v31, v29, -v22
	v_fmac_f32_e32 v24, v31, v9
	v_sub_f32_e32 v9, v23, v21
	v_add_f32_e32 v9, v20, v9
	v_add_f32_e32 v20, v22, v24
	v_sub_f32_e32 v23, v21, v20
	v_pk_add_f32 v[26:27], v[20:21], v[22:23] neg_lo:[0,1] neg_hi:[0,1]
	v_mov_b32_e32 v25, v20
	v_pk_add_f32 v[20:21], v[26:27], v[24:25] neg_lo:[0,1] neg_hi:[0,1]
	v_cvt_f32_i32_e32 v22, v28
	v_add_f32_e32 v9, v9, v21
	v_add_f32_e32 v9, v20, v9
	;; [unrolled: 1-line block ×4, first 2 shown]
	v_sub_f32_e32 v21, v20, v32
	v_mul_f32_e32 v9, v30, v9
	v_sub_f32_e32 v21, v31, v21
	v_add_f32_e32 v9, v21, v9
	v_add_f32_e32 v23, v20, v9
	v_mul_f32_e32 v24, v23, v23
	v_mov_b32_e32 v21, 0x3ecc95a3
	v_fmac_f32_e32 v21, 0x3e9b6dac, v24
	v_sub_f32_e32 v20, v23, v20
	v_fmaak_f32 v21, v24, v21, 0x3f2aaada
	v_sub_f32_e32 v9, v9, v20
	v_ldexp_f32 v25, v23, 1
	v_mul_f32_e32 v23, v23, v24
	v_mov_b32_e32 v20, 0x3f317218
	v_pk_mul_f32 v[20:21], v[22:23], v[20:21]
	v_ldexp_f32 v9, v9, 1
	v_fma_f32 v23, v22, s0, -v20
	v_fmamk_f32 v24, v22, 0xb102e308, v23
	v_pk_add_f32 v[22:23], v[20:21], v[24:25]
	v_mov_b32_e32 v26, v20
	v_sub_f32_e32 v25, v23, v25
	v_sub_f32_e32 v25, v21, v25
	v_add_f32_e32 v27, v9, v25
	v_pk_add_f32 v[20:21], v[22:23], v[20:21] neg_lo:[0,1] neg_hi:[0,1]
	v_pk_add_f32 v[28:29], v[22:23], v[26:27]
	v_mov_b32_e32 v25, v22
	v_mov_b32_e32 v21, v29
	v_pk_add_f32 v[30:31], v[24:25], v[20:21] neg_lo:[0,1] neg_hi:[0,1]
	v_pk_add_f32 v[20:21], v[24:25], v[20:21]
	v_mov_b32_e32 v26, v27
	v_pk_add_f32 v[24:25], v[20:21], v[22:23] op_sel:[1,0] op_sel_hi:[0,1] neg_lo:[0,1] neg_hi:[0,1]
	v_pk_add_f32 v[32:33], v[28:29], v[24:25] op_sel_hi:[1,0] neg_lo:[0,1] neg_hi:[0,1]
	v_mov_b32_e32 v28, v29
	v_mov_b32_e32 v29, v21
	v_pk_mov_b32 v[24:25], v[22:23], v[24:25] op_sel:[1,0]
	v_mov_b32_e32 v27, v22
	v_pk_add_f32 v[24:25], v[28:29], v[24:25] neg_lo:[0,1] neg_hi:[0,1]
	v_mov_b32_e32 v32, v30
	v_pk_add_f32 v[22:23], v[26:27], v[24:25] neg_lo:[0,1] neg_hi:[0,1]
	v_mov_b32_e32 v31, v21
	v_pk_add_f32 v[24:25], v[32:33], v[22:23]
	v_cmp_neq_f32_e64 s[0:1], s54, v1
	v_pk_add_f32 v[26:27], v[24:25], v[24:25] op_sel:[0,1] op_sel_hi:[1,0]
	s_nop 0
	v_pk_add_f32 v[20:21], v[20:21], v[26:27] op_sel:[1,0] op_sel_hi:[0,1]
	v_mov_b32_e32 v25, v20
	v_pk_add_f32 v[28:29], v[24:25], v[30:31] neg_lo:[0,1] neg_hi:[0,1]
	v_mov_b32_e32 v23, v26
	v_sub_f32_e32 v9, v24, v28
	v_pk_add_f32 v[22:23], v[22:23], v[28:29] neg_lo:[0,1] neg_hi:[0,1]
	v_sub_f32_e32 v9, v30, v9
	v_add_f32_e32 v9, v22, v9
	v_add_f32_e32 v9, v9, v23
	;; [unrolled: 1-line block ×3, first 2 shown]
	v_cndmask_b32_e64 v9, v18, v9, s[0:1]
	s_mov_b32 s0, 0x33800000
	v_cmp_lt_f32_e64 s[0:1], |v1|, s0
	s_nop 1
	v_cndmask_b32_e64 v1, v9, v1, s[0:1]
	v_add_f32_e32 v1, v17, v1
	v_cvt_f16_f32_e32 v21, v1
	v_cvt_f32_f16_e32 v1, v21
	v_mov_b32_e32 v9, v21
.LBB406_96:
	s_or_b64 exec, exec, s[26:27]
	v_max_f32_e32 v17, v10, v10
	v_max_f32_e32 v20, v1, v1
	v_min_f32_e32 v18, v20, v17
	v_cmp_u_f16_e64 s[0:1], v21, v21
	v_max_f32_e32 v17, v20, v17
	s_nop 0
	v_cndmask_b32_e64 v18, v18, v1, s[0:1]
	v_cndmask_b32_e64 v17, v17, v1, s[0:1]
	;; [unrolled: 1-line block ×4, first 2 shown]
	v_cmp_neq_f32_e64 s[0:1], v18, v17
	v_cmp_class_f32_e64 s[26:27], v18, s33
	s_or_b64 s[0:1], s[0:1], s[26:27]
	v_mov_b32_e32 v10, v9
	s_and_saveexec_b64 s[26:27], s[0:1]
	s_cbranch_execz .LBB406_98
; %bb.97:
	v_sub_f32_e32 v1, v18, v17
	s_mov_b32 s0, 0x3fb8aa3b
	v_mul_f32_e32 v10, 0x3fb8aa3b, v1
	v_fma_f32 v18, v1, s0, -v10
	v_rndne_f32_e32 v20, v10
	v_fmamk_f32 v18, v1, 0x32a5705f, v18
	v_sub_f32_e32 v10, v10, v20
	v_add_f32_e32 v10, v10, v18
	v_exp_f32_e32 v10, v10
	v_cvt_i32_f32_e32 v18, v20
	s_mov_b32 s0, 0xc2ce8ed0
	v_cmp_ngt_f32_e64 s[0:1], s0, v1
	s_mov_b32 s28, 0x7f800000
	v_ldexp_f32 v10, v10, v18
	v_cndmask_b32_e64 v10, 0, v10, s[0:1]
	s_mov_b32 s0, 0x42b17218
	v_mov_b32_e32 v18, 0x7f800000
	v_cmp_nlt_f32_e64 s[0:1], s0, v1
	s_nop 1
	v_cndmask_b32_e64 v1, v18, v10, s[0:1]
	v_add_f32_e32 v10, 1.0, v1
	v_add_f32_e32 v20, -1.0, v10
	v_sub_f32_e32 v21, v20, v10
	v_add_f32_e32 v21, 1.0, v21
	v_sub_f32_e32 v20, v1, v20
	s_waitcnt lgkmcnt(0)
	v_add_f32_e32 v22, v20, v21
	v_frexp_mant_f32_e32 v23, v10
	s_mov_b32 s0, 0x3f2aaaab
	v_cvt_f64_f32_e32 v[20:21], v10
	v_frexp_exp_i32_f64_e32 v20, v[20:21]
	v_cmp_gt_f32_e64 s[0:1], s0, v23
	s_nop 1
	v_subbrev_co_u32_e64 v28, s[0:1], 0, v20, s[0:1]
	v_sub_u32_e32 v20, 0, v28
	v_ldexp_f32 v10, v10, v20
	v_ldexp_f32 v20, v22, v20
	v_add_f32_e32 v22, -1.0, v10
	v_add_f32_e32 v21, 1.0, v22
	v_sub_f32_e32 v21, v10, v21
	v_add_f32_e32 v23, v20, v21
	v_add_f32_e32 v21, 1.0, v10
	v_add_f32_e32 v24, -1.0, v21
	v_sub_f32_e32 v10, v10, v24
	v_add_f32_e32 v10, v20, v10
	v_add_f32_e32 v29, v21, v10
	v_rcp_f32_e32 v30, v29
	v_sub_f32_e32 v20, v21, v29
	v_add_f32_e32 v21, v22, v23
	v_add_f32_e32 v10, v10, v20
	v_mul_f32_e32 v32, v21, v30
	v_sub_f32_e32 v20, v22, v21
	v_mul_f32_e32 v22, v29, v32
	v_fma_f32 v24, v32, v29, -v22
	v_fmac_f32_e32 v24, v32, v10
	v_add_f32_e32 v31, v23, v20
	v_add_f32_e32 v20, v22, v24
	v_sub_f32_e32 v23, v21, v20
	v_pk_add_f32 v[26:27], v[20:21], v[22:23] neg_lo:[0,1] neg_hi:[0,1]
	v_mov_b32_e32 v25, v20
	v_pk_add_f32 v[20:21], v[26:27], v[24:25] neg_lo:[0,1] neg_hi:[0,1]
	s_mov_b32 s0, 0x3f317218
	v_add_f32_e32 v21, v31, v21
	v_add_f32_e32 v20, v20, v21
	;; [unrolled: 1-line block ×3, first 2 shown]
	v_mul_f32_e32 v31, v30, v21
	v_mul_f32_e32 v22, v29, v31
	v_fma_f32 v24, v31, v29, -v22
	v_fmac_f32_e32 v24, v31, v10
	v_sub_f32_e32 v10, v23, v21
	v_add_f32_e32 v10, v20, v10
	v_add_f32_e32 v20, v22, v24
	v_sub_f32_e32 v23, v21, v20
	v_pk_add_f32 v[26:27], v[20:21], v[22:23] neg_lo:[0,1] neg_hi:[0,1]
	v_mov_b32_e32 v25, v20
	v_pk_add_f32 v[20:21], v[26:27], v[24:25] neg_lo:[0,1] neg_hi:[0,1]
	v_cvt_f32_i32_e32 v22, v28
	v_add_f32_e32 v10, v10, v21
	v_add_f32_e32 v10, v20, v10
	;; [unrolled: 1-line block ×4, first 2 shown]
	v_sub_f32_e32 v21, v20, v32
	v_mul_f32_e32 v10, v30, v10
	v_sub_f32_e32 v21, v31, v21
	v_add_f32_e32 v10, v21, v10
	v_add_f32_e32 v23, v20, v10
	v_mul_f32_e32 v24, v23, v23
	v_mov_b32_e32 v21, 0x3ecc95a3
	v_fmac_f32_e32 v21, 0x3e9b6dac, v24
	v_sub_f32_e32 v20, v23, v20
	v_fmaak_f32 v21, v24, v21, 0x3f2aaada
	v_sub_f32_e32 v10, v10, v20
	v_ldexp_f32 v25, v23, 1
	v_mul_f32_e32 v23, v23, v24
	v_mov_b32_e32 v20, 0x3f317218
	v_pk_mul_f32 v[20:21], v[22:23], v[20:21]
	v_ldexp_f32 v10, v10, 1
	v_fma_f32 v23, v22, s0, -v20
	v_fmamk_f32 v24, v22, 0xb102e308, v23
	v_pk_add_f32 v[22:23], v[20:21], v[24:25]
	v_mov_b32_e32 v26, v20
	v_sub_f32_e32 v25, v23, v25
	v_sub_f32_e32 v25, v21, v25
	v_add_f32_e32 v27, v10, v25
	v_pk_add_f32 v[20:21], v[22:23], v[20:21] neg_lo:[0,1] neg_hi:[0,1]
	v_pk_add_f32 v[28:29], v[22:23], v[26:27]
	v_mov_b32_e32 v25, v22
	v_mov_b32_e32 v21, v29
	v_pk_add_f32 v[30:31], v[24:25], v[20:21] neg_lo:[0,1] neg_hi:[0,1]
	v_pk_add_f32 v[20:21], v[24:25], v[20:21]
	v_mov_b32_e32 v26, v27
	v_pk_add_f32 v[24:25], v[20:21], v[22:23] op_sel:[1,0] op_sel_hi:[0,1] neg_lo:[0,1] neg_hi:[0,1]
	v_pk_add_f32 v[32:33], v[28:29], v[24:25] op_sel_hi:[1,0] neg_lo:[0,1] neg_hi:[0,1]
	v_mov_b32_e32 v28, v29
	v_mov_b32_e32 v29, v21
	v_pk_mov_b32 v[24:25], v[22:23], v[24:25] op_sel:[1,0]
	v_mov_b32_e32 v27, v22
	v_pk_add_f32 v[24:25], v[28:29], v[24:25] neg_lo:[0,1] neg_hi:[0,1]
	v_mov_b32_e32 v32, v30
	v_pk_add_f32 v[22:23], v[26:27], v[24:25] neg_lo:[0,1] neg_hi:[0,1]
	v_mov_b32_e32 v31, v21
	v_pk_add_f32 v[24:25], v[32:33], v[22:23]
	v_cmp_neq_f32_e64 s[0:1], s28, v1
	v_pk_add_f32 v[26:27], v[24:25], v[24:25] op_sel:[0,1] op_sel_hi:[1,0]
	s_nop 0
	v_pk_add_f32 v[20:21], v[20:21], v[26:27] op_sel:[1,0] op_sel_hi:[0,1]
	v_mov_b32_e32 v25, v20
	v_pk_add_f32 v[28:29], v[24:25], v[30:31] neg_lo:[0,1] neg_hi:[0,1]
	v_mov_b32_e32 v23, v26
	v_sub_f32_e32 v10, v24, v28
	v_pk_add_f32 v[22:23], v[22:23], v[28:29] neg_lo:[0,1] neg_hi:[0,1]
	v_sub_f32_e32 v10, v30, v10
	v_add_f32_e32 v10, v22, v10
	v_add_f32_e32 v10, v10, v23
	v_add_f32_e32 v10, v20, v10
	v_cndmask_b32_e64 v10, v18, v10, s[0:1]
	s_mov_b32 s0, 0x33800000
	v_cmp_lt_f32_e64 s[0:1], |v1|, s0
	s_nop 1
	v_cndmask_b32_e64 v1, v10, v1, s[0:1]
	v_add_f32_e32 v1, v17, v1
	v_cvt_f16_f32_e32 v21, v1
	v_cvt_f32_f16_e32 v1, v21
	v_mov_b32_e32 v10, v21
.LBB406_98:
	s_or_b64 exec, exec, s[26:27]
	v_max_f32_e32 v17, v11, v11
	v_max_f32_e32 v20, v1, v1
	v_min_f32_e32 v18, v20, v17
	v_cmp_u_f16_e64 s[0:1], v21, v21
	v_max_f32_e32 v17, v20, v17
	s_movk_i32 s28, 0x1f8
	v_cndmask_b32_e64 v18, v18, v1, s[0:1]
	v_cndmask_b32_e64 v17, v17, v1, s[0:1]
	;; [unrolled: 1-line block ×4, first 2 shown]
	v_cmp_neq_f32_e64 s[0:1], v18, v17
	v_cmp_class_f32_e64 s[26:27], v18, s28
	s_or_b64 s[0:1], s[0:1], s[26:27]
	v_mov_b32_e32 v11, v10
	s_and_saveexec_b64 s[26:27], s[0:1]
	s_cbranch_execz .LBB406_100
; %bb.99:
	v_sub_f32_e32 v1, v18, v17
	s_mov_b32 s0, 0x3fb8aa3b
	v_mul_f32_e32 v11, 0x3fb8aa3b, v1
	v_fma_f32 v18, v1, s0, -v11
	v_rndne_f32_e32 v20, v11
	v_fmamk_f32 v18, v1, 0x32a5705f, v18
	v_sub_f32_e32 v11, v11, v20
	v_add_f32_e32 v11, v11, v18
	v_exp_f32_e32 v11, v11
	v_cvt_i32_f32_e32 v18, v20
	s_mov_b32 s0, 0xc2ce8ed0
	v_cmp_ngt_f32_e64 s[0:1], s0, v1
	s_mov_b32 s29, 0x7f800000
	v_ldexp_f32 v11, v11, v18
	v_cndmask_b32_e64 v11, 0, v11, s[0:1]
	s_mov_b32 s0, 0x42b17218
	v_mov_b32_e32 v18, 0x7f800000
	v_cmp_nlt_f32_e64 s[0:1], s0, v1
	s_nop 1
	v_cndmask_b32_e64 v1, v18, v11, s[0:1]
	v_add_f32_e32 v11, 1.0, v1
	v_add_f32_e32 v20, -1.0, v11
	v_sub_f32_e32 v21, v20, v11
	v_add_f32_e32 v21, 1.0, v21
	v_sub_f32_e32 v20, v1, v20
	s_waitcnt lgkmcnt(0)
	v_add_f32_e32 v22, v20, v21
	v_frexp_mant_f32_e32 v23, v11
	s_mov_b32 s0, 0x3f2aaaab
	v_cvt_f64_f32_e32 v[20:21], v11
	v_frexp_exp_i32_f64_e32 v20, v[20:21]
	v_cmp_gt_f32_e64 s[0:1], s0, v23
	s_nop 1
	v_subbrev_co_u32_e64 v28, s[0:1], 0, v20, s[0:1]
	v_sub_u32_e32 v20, 0, v28
	v_ldexp_f32 v11, v11, v20
	v_ldexp_f32 v20, v22, v20
	v_add_f32_e32 v22, -1.0, v11
	v_add_f32_e32 v21, 1.0, v22
	v_sub_f32_e32 v21, v11, v21
	v_add_f32_e32 v23, v20, v21
	v_add_f32_e32 v21, 1.0, v11
	v_add_f32_e32 v24, -1.0, v21
	v_sub_f32_e32 v11, v11, v24
	v_add_f32_e32 v11, v20, v11
	v_add_f32_e32 v29, v21, v11
	v_rcp_f32_e32 v30, v29
	v_sub_f32_e32 v20, v21, v29
	v_add_f32_e32 v21, v22, v23
	v_add_f32_e32 v11, v11, v20
	v_mul_f32_e32 v32, v21, v30
	v_sub_f32_e32 v20, v22, v21
	v_mul_f32_e32 v22, v29, v32
	v_fma_f32 v24, v32, v29, -v22
	v_fmac_f32_e32 v24, v32, v11
	v_add_f32_e32 v31, v23, v20
	v_add_f32_e32 v20, v22, v24
	v_sub_f32_e32 v23, v21, v20
	v_pk_add_f32 v[26:27], v[20:21], v[22:23] neg_lo:[0,1] neg_hi:[0,1]
	v_mov_b32_e32 v25, v20
	v_pk_add_f32 v[20:21], v[26:27], v[24:25] neg_lo:[0,1] neg_hi:[0,1]
	s_mov_b32 s0, 0x3f317218
	v_add_f32_e32 v21, v31, v21
	v_add_f32_e32 v20, v20, v21
	;; [unrolled: 1-line block ×3, first 2 shown]
	v_mul_f32_e32 v31, v30, v21
	v_mul_f32_e32 v22, v29, v31
	v_fma_f32 v24, v31, v29, -v22
	v_fmac_f32_e32 v24, v31, v11
	v_sub_f32_e32 v11, v23, v21
	v_add_f32_e32 v11, v20, v11
	v_add_f32_e32 v20, v22, v24
	v_sub_f32_e32 v23, v21, v20
	v_pk_add_f32 v[26:27], v[20:21], v[22:23] neg_lo:[0,1] neg_hi:[0,1]
	v_mov_b32_e32 v25, v20
	v_pk_add_f32 v[20:21], v[26:27], v[24:25] neg_lo:[0,1] neg_hi:[0,1]
	v_cvt_f32_i32_e32 v22, v28
	v_add_f32_e32 v11, v11, v21
	v_add_f32_e32 v11, v20, v11
	;; [unrolled: 1-line block ×4, first 2 shown]
	v_sub_f32_e32 v21, v20, v32
	v_mul_f32_e32 v11, v30, v11
	v_sub_f32_e32 v21, v31, v21
	v_add_f32_e32 v11, v21, v11
	v_add_f32_e32 v23, v20, v11
	v_mul_f32_e32 v24, v23, v23
	v_mov_b32_e32 v21, 0x3ecc95a3
	v_fmac_f32_e32 v21, 0x3e9b6dac, v24
	v_sub_f32_e32 v20, v23, v20
	v_fmaak_f32 v21, v24, v21, 0x3f2aaada
	v_sub_f32_e32 v11, v11, v20
	v_ldexp_f32 v25, v23, 1
	v_mul_f32_e32 v23, v23, v24
	v_mov_b32_e32 v20, 0x3f317218
	v_pk_mul_f32 v[20:21], v[22:23], v[20:21]
	v_ldexp_f32 v11, v11, 1
	v_fma_f32 v23, v22, s0, -v20
	v_fmamk_f32 v24, v22, 0xb102e308, v23
	v_pk_add_f32 v[22:23], v[20:21], v[24:25]
	v_mov_b32_e32 v26, v20
	v_sub_f32_e32 v25, v23, v25
	v_sub_f32_e32 v25, v21, v25
	v_add_f32_e32 v27, v11, v25
	v_pk_add_f32 v[20:21], v[22:23], v[20:21] neg_lo:[0,1] neg_hi:[0,1]
	v_pk_add_f32 v[28:29], v[22:23], v[26:27]
	v_mov_b32_e32 v25, v22
	v_mov_b32_e32 v21, v29
	v_pk_add_f32 v[30:31], v[24:25], v[20:21] neg_lo:[0,1] neg_hi:[0,1]
	v_pk_add_f32 v[20:21], v[24:25], v[20:21]
	v_mov_b32_e32 v26, v27
	v_pk_add_f32 v[24:25], v[20:21], v[22:23] op_sel:[1,0] op_sel_hi:[0,1] neg_lo:[0,1] neg_hi:[0,1]
	v_pk_add_f32 v[32:33], v[28:29], v[24:25] op_sel_hi:[1,0] neg_lo:[0,1] neg_hi:[0,1]
	v_mov_b32_e32 v28, v29
	v_mov_b32_e32 v29, v21
	v_pk_mov_b32 v[24:25], v[22:23], v[24:25] op_sel:[1,0]
	v_mov_b32_e32 v27, v22
	v_pk_add_f32 v[24:25], v[28:29], v[24:25] neg_lo:[0,1] neg_hi:[0,1]
	v_mov_b32_e32 v32, v30
	v_pk_add_f32 v[22:23], v[26:27], v[24:25] neg_lo:[0,1] neg_hi:[0,1]
	v_mov_b32_e32 v31, v21
	v_pk_add_f32 v[24:25], v[32:33], v[22:23]
	v_cmp_neq_f32_e64 s[0:1], s29, v1
	v_pk_add_f32 v[26:27], v[24:25], v[24:25] op_sel:[0,1] op_sel_hi:[1,0]
	s_nop 0
	v_pk_add_f32 v[20:21], v[20:21], v[26:27] op_sel:[1,0] op_sel_hi:[0,1]
	v_mov_b32_e32 v25, v20
	v_pk_add_f32 v[28:29], v[24:25], v[30:31] neg_lo:[0,1] neg_hi:[0,1]
	v_mov_b32_e32 v23, v26
	v_sub_f32_e32 v11, v24, v28
	v_pk_add_f32 v[22:23], v[22:23], v[28:29] neg_lo:[0,1] neg_hi:[0,1]
	v_sub_f32_e32 v11, v30, v11
	v_add_f32_e32 v11, v22, v11
	v_add_f32_e32 v11, v11, v23
	;; [unrolled: 1-line block ×3, first 2 shown]
	v_cndmask_b32_e64 v11, v18, v11, s[0:1]
	s_mov_b32 s0, 0x33800000
	v_cmp_lt_f32_e64 s[0:1], |v1|, s0
	s_nop 1
	v_cndmask_b32_e64 v1, v11, v1, s[0:1]
	v_add_f32_e32 v1, v17, v1
	v_cvt_f16_f32_e32 v21, v1
	v_cvt_f32_f16_e32 v1, v21
	v_mov_b32_e32 v11, v21
.LBB406_100:
	s_or_b64 exec, exec, s[26:27]
	v_max_f32_e32 v17, v3, v3
	v_max_f32_e32 v20, v1, v1
	v_min_f32_e32 v18, v20, v17
	v_cmp_u_f16_e64 s[0:1], v21, v21
	v_max_f32_e32 v17, v20, v17
	s_nop 0
	v_cndmask_b32_e64 v18, v18, v1, s[0:1]
	v_cndmask_b32_e64 v17, v17, v1, s[0:1]
	;; [unrolled: 1-line block ×4, first 2 shown]
	v_cmp_neq_f32_e64 s[0:1], v18, v17
	v_cmp_class_f32_e64 s[26:27], v18, s28
	s_or_b64 s[0:1], s[0:1], s[26:27]
	v_mov_b32_e32 v3, v11
	s_and_saveexec_b64 s[26:27], s[0:1]
	s_cbranch_execz .LBB406_102
; %bb.101:
	v_sub_f32_e32 v1, v18, v17
	s_mov_b32 s0, 0x3fb8aa3b
	v_mul_f32_e32 v3, 0x3fb8aa3b, v1
	v_fma_f32 v18, v1, s0, -v3
	v_rndne_f32_e32 v20, v3
	v_fmamk_f32 v18, v1, 0x32a5705f, v18
	v_sub_f32_e32 v3, v3, v20
	v_add_f32_e32 v3, v3, v18
	v_exp_f32_e32 v3, v3
	v_cvt_i32_f32_e32 v18, v20
	s_mov_b32 s0, 0xc2ce8ed0
	v_cmp_ngt_f32_e64 s[0:1], s0, v1
	s_mov_b32 s28, 0x7f800000
	v_ldexp_f32 v3, v3, v18
	v_cndmask_b32_e64 v3, 0, v3, s[0:1]
	s_mov_b32 s0, 0x42b17218
	v_mov_b32_e32 v18, 0x7f800000
	v_cmp_nlt_f32_e64 s[0:1], s0, v1
	s_nop 1
	v_cndmask_b32_e64 v1, v18, v3, s[0:1]
	v_add_f32_e32 v3, 1.0, v1
	v_add_f32_e32 v20, -1.0, v3
	v_sub_f32_e32 v21, v20, v3
	v_add_f32_e32 v21, 1.0, v21
	v_sub_f32_e32 v20, v1, v20
	s_waitcnt lgkmcnt(0)
	v_add_f32_e32 v22, v20, v21
	v_frexp_mant_f32_e32 v23, v3
	s_mov_b32 s0, 0x3f2aaaab
	v_cvt_f64_f32_e32 v[20:21], v3
	v_frexp_exp_i32_f64_e32 v20, v[20:21]
	v_cmp_gt_f32_e64 s[0:1], s0, v23
	s_nop 1
	v_subbrev_co_u32_e64 v28, s[0:1], 0, v20, s[0:1]
	v_sub_u32_e32 v20, 0, v28
	v_ldexp_f32 v3, v3, v20
	v_ldexp_f32 v20, v22, v20
	v_add_f32_e32 v22, -1.0, v3
	v_add_f32_e32 v21, 1.0, v22
	v_sub_f32_e32 v21, v3, v21
	v_add_f32_e32 v23, v20, v21
	v_add_f32_e32 v21, 1.0, v3
	v_add_f32_e32 v24, -1.0, v21
	v_sub_f32_e32 v3, v3, v24
	v_add_f32_e32 v3, v20, v3
	v_add_f32_e32 v29, v21, v3
	v_rcp_f32_e32 v30, v29
	v_sub_f32_e32 v20, v21, v29
	v_add_f32_e32 v21, v22, v23
	v_add_f32_e32 v3, v3, v20
	v_mul_f32_e32 v32, v21, v30
	v_sub_f32_e32 v20, v22, v21
	v_mul_f32_e32 v22, v29, v32
	v_fma_f32 v24, v32, v29, -v22
	v_fmac_f32_e32 v24, v32, v3
	v_add_f32_e32 v31, v23, v20
	v_add_f32_e32 v20, v22, v24
	v_sub_f32_e32 v23, v21, v20
	v_pk_add_f32 v[26:27], v[20:21], v[22:23] neg_lo:[0,1] neg_hi:[0,1]
	v_mov_b32_e32 v25, v20
	v_pk_add_f32 v[20:21], v[26:27], v[24:25] neg_lo:[0,1] neg_hi:[0,1]
	s_mov_b32 s0, 0x3f317218
	v_add_f32_e32 v21, v31, v21
	v_add_f32_e32 v20, v20, v21
	;; [unrolled: 1-line block ×3, first 2 shown]
	v_mul_f32_e32 v31, v30, v21
	v_mul_f32_e32 v22, v29, v31
	v_fma_f32 v24, v31, v29, -v22
	v_fmac_f32_e32 v24, v31, v3
	v_sub_f32_e32 v3, v23, v21
	v_add_f32_e32 v3, v20, v3
	v_add_f32_e32 v20, v22, v24
	v_sub_f32_e32 v23, v21, v20
	v_pk_add_f32 v[26:27], v[20:21], v[22:23] neg_lo:[0,1] neg_hi:[0,1]
	v_mov_b32_e32 v25, v20
	v_pk_add_f32 v[20:21], v[26:27], v[24:25] neg_lo:[0,1] neg_hi:[0,1]
	v_cvt_f32_i32_e32 v22, v28
	v_add_f32_e32 v3, v3, v21
	v_add_f32_e32 v3, v20, v3
	;; [unrolled: 1-line block ×4, first 2 shown]
	v_sub_f32_e32 v21, v20, v32
	v_mul_f32_e32 v3, v30, v3
	v_sub_f32_e32 v21, v31, v21
	v_add_f32_e32 v3, v21, v3
	v_add_f32_e32 v23, v20, v3
	v_mul_f32_e32 v24, v23, v23
	v_mov_b32_e32 v21, 0x3ecc95a3
	v_fmac_f32_e32 v21, 0x3e9b6dac, v24
	v_sub_f32_e32 v20, v23, v20
	v_fmaak_f32 v21, v24, v21, 0x3f2aaada
	v_sub_f32_e32 v3, v3, v20
	v_ldexp_f32 v25, v23, 1
	v_mul_f32_e32 v23, v23, v24
	v_mov_b32_e32 v20, 0x3f317218
	v_pk_mul_f32 v[20:21], v[22:23], v[20:21]
	v_ldexp_f32 v3, v3, 1
	v_fma_f32 v23, v22, s0, -v20
	v_fmamk_f32 v24, v22, 0xb102e308, v23
	v_pk_add_f32 v[22:23], v[20:21], v[24:25]
	v_mov_b32_e32 v26, v20
	v_sub_f32_e32 v25, v23, v25
	v_sub_f32_e32 v25, v21, v25
	v_add_f32_e32 v27, v3, v25
	v_pk_add_f32 v[20:21], v[22:23], v[20:21] neg_lo:[0,1] neg_hi:[0,1]
	v_pk_add_f32 v[28:29], v[22:23], v[26:27]
	v_mov_b32_e32 v25, v22
	v_mov_b32_e32 v21, v29
	v_pk_add_f32 v[30:31], v[24:25], v[20:21] neg_lo:[0,1] neg_hi:[0,1]
	v_pk_add_f32 v[20:21], v[24:25], v[20:21]
	v_mov_b32_e32 v26, v27
	v_pk_add_f32 v[24:25], v[20:21], v[22:23] op_sel:[1,0] op_sel_hi:[0,1] neg_lo:[0,1] neg_hi:[0,1]
	v_pk_add_f32 v[32:33], v[28:29], v[24:25] op_sel_hi:[1,0] neg_lo:[0,1] neg_hi:[0,1]
	v_mov_b32_e32 v28, v29
	v_mov_b32_e32 v29, v21
	v_pk_mov_b32 v[24:25], v[22:23], v[24:25] op_sel:[1,0]
	v_mov_b32_e32 v27, v22
	v_pk_add_f32 v[24:25], v[28:29], v[24:25] neg_lo:[0,1] neg_hi:[0,1]
	v_mov_b32_e32 v32, v30
	v_pk_add_f32 v[22:23], v[26:27], v[24:25] neg_lo:[0,1] neg_hi:[0,1]
	v_mov_b32_e32 v31, v21
	v_pk_add_f32 v[24:25], v[32:33], v[22:23]
	v_cmp_neq_f32_e64 s[0:1], s28, v1
	v_pk_add_f32 v[26:27], v[24:25], v[24:25] op_sel:[0,1] op_sel_hi:[1,0]
	s_nop 0
	v_pk_add_f32 v[20:21], v[20:21], v[26:27] op_sel:[1,0] op_sel_hi:[0,1]
	v_mov_b32_e32 v25, v20
	v_pk_add_f32 v[28:29], v[24:25], v[30:31] neg_lo:[0,1] neg_hi:[0,1]
	v_mov_b32_e32 v23, v26
	v_sub_f32_e32 v3, v24, v28
	v_pk_add_f32 v[22:23], v[22:23], v[28:29] neg_lo:[0,1] neg_hi:[0,1]
	v_sub_f32_e32 v3, v30, v3
	v_add_f32_e32 v3, v22, v3
	v_add_f32_e32 v3, v3, v23
	;; [unrolled: 1-line block ×3, first 2 shown]
	v_cndmask_b32_e64 v3, v18, v3, s[0:1]
	s_mov_b32 s0, 0x33800000
	v_cmp_lt_f32_e64 s[0:1], |v1|, s0
	s_nop 1
	v_cndmask_b32_e64 v1, v3, v1, s[0:1]
	v_add_f32_e32 v1, v17, v1
	v_cvt_f16_f32_e32 v21, v1
	v_cvt_f32_f16_e32 v1, v21
	v_mov_b32_e32 v3, v21
.LBB406_102:
	s_or_b64 exec, exec, s[26:27]
	v_max_f32_e32 v17, v12, v12
	v_max_f32_e32 v20, v1, v1
	v_min_f32_e32 v18, v20, v17
	v_cmp_u_f16_e64 s[0:1], v21, v21
	v_max_f32_e32 v17, v20, v17
	s_movk_i32 s28, 0x1f8
	v_cndmask_b32_e64 v18, v18, v1, s[0:1]
	v_cndmask_b32_e64 v17, v17, v1, s[0:1]
	v_cndmask_b32_e64 v18, v18, v12, s[36:37]
	v_cndmask_b32_e64 v17, v17, v12, s[36:37]
	v_cmp_neq_f32_e64 s[0:1], v18, v17
	v_cmp_class_f32_e64 s[26:27], v18, s28
	s_or_b64 s[0:1], s[0:1], s[26:27]
	v_mov_b32_e32 v12, v3
	s_and_saveexec_b64 s[26:27], s[0:1]
	s_cbranch_execz .LBB406_104
; %bb.103:
	v_sub_f32_e32 v1, v18, v17
	s_mov_b32 s0, 0x3fb8aa3b
	v_mul_f32_e32 v12, 0x3fb8aa3b, v1
	v_fma_f32 v18, v1, s0, -v12
	v_rndne_f32_e32 v20, v12
	v_fmamk_f32 v18, v1, 0x32a5705f, v18
	v_sub_f32_e32 v12, v12, v20
	v_add_f32_e32 v12, v12, v18
	v_exp_f32_e32 v12, v12
	v_cvt_i32_f32_e32 v18, v20
	s_mov_b32 s0, 0xc2ce8ed0
	v_cmp_ngt_f32_e64 s[0:1], s0, v1
	s_mov_b32 s29, 0x7f800000
	v_ldexp_f32 v12, v12, v18
	v_cndmask_b32_e64 v12, 0, v12, s[0:1]
	s_mov_b32 s0, 0x42b17218
	v_mov_b32_e32 v18, 0x7f800000
	v_cmp_nlt_f32_e64 s[0:1], s0, v1
	s_nop 1
	v_cndmask_b32_e64 v1, v18, v12, s[0:1]
	v_add_f32_e32 v12, 1.0, v1
	v_add_f32_e32 v20, -1.0, v12
	v_sub_f32_e32 v21, v20, v12
	v_add_f32_e32 v21, 1.0, v21
	v_sub_f32_e32 v20, v1, v20
	s_waitcnt lgkmcnt(0)
	v_add_f32_e32 v22, v20, v21
	v_frexp_mant_f32_e32 v23, v12
	s_mov_b32 s0, 0x3f2aaaab
	v_cvt_f64_f32_e32 v[20:21], v12
	v_frexp_exp_i32_f64_e32 v20, v[20:21]
	v_cmp_gt_f32_e64 s[0:1], s0, v23
	s_nop 1
	v_subbrev_co_u32_e64 v28, s[0:1], 0, v20, s[0:1]
	v_sub_u32_e32 v20, 0, v28
	v_ldexp_f32 v12, v12, v20
	v_ldexp_f32 v20, v22, v20
	v_add_f32_e32 v22, -1.0, v12
	v_add_f32_e32 v21, 1.0, v22
	v_sub_f32_e32 v21, v12, v21
	v_add_f32_e32 v23, v20, v21
	v_add_f32_e32 v21, 1.0, v12
	v_add_f32_e32 v24, -1.0, v21
	v_sub_f32_e32 v12, v12, v24
	v_add_f32_e32 v12, v20, v12
	v_add_f32_e32 v29, v21, v12
	v_rcp_f32_e32 v30, v29
	v_sub_f32_e32 v20, v21, v29
	v_add_f32_e32 v21, v22, v23
	v_add_f32_e32 v12, v12, v20
	v_mul_f32_e32 v32, v21, v30
	v_sub_f32_e32 v20, v22, v21
	v_mul_f32_e32 v22, v29, v32
	v_fma_f32 v24, v32, v29, -v22
	v_fmac_f32_e32 v24, v32, v12
	v_add_f32_e32 v31, v23, v20
	v_add_f32_e32 v20, v22, v24
	v_sub_f32_e32 v23, v21, v20
	v_pk_add_f32 v[26:27], v[20:21], v[22:23] neg_lo:[0,1] neg_hi:[0,1]
	v_mov_b32_e32 v25, v20
	v_pk_add_f32 v[20:21], v[26:27], v[24:25] neg_lo:[0,1] neg_hi:[0,1]
	s_mov_b32 s0, 0x3f317218
	v_add_f32_e32 v21, v31, v21
	v_add_f32_e32 v20, v20, v21
	;; [unrolled: 1-line block ×3, first 2 shown]
	v_mul_f32_e32 v31, v30, v21
	v_mul_f32_e32 v22, v29, v31
	v_fma_f32 v24, v31, v29, -v22
	v_fmac_f32_e32 v24, v31, v12
	v_sub_f32_e32 v12, v23, v21
	v_add_f32_e32 v12, v20, v12
	v_add_f32_e32 v20, v22, v24
	v_sub_f32_e32 v23, v21, v20
	v_pk_add_f32 v[26:27], v[20:21], v[22:23] neg_lo:[0,1] neg_hi:[0,1]
	v_mov_b32_e32 v25, v20
	v_pk_add_f32 v[20:21], v[26:27], v[24:25] neg_lo:[0,1] neg_hi:[0,1]
	v_cvt_f32_i32_e32 v22, v28
	v_add_f32_e32 v12, v12, v21
	v_add_f32_e32 v12, v20, v12
	;; [unrolled: 1-line block ×4, first 2 shown]
	v_sub_f32_e32 v21, v20, v32
	v_mul_f32_e32 v12, v30, v12
	v_sub_f32_e32 v21, v31, v21
	v_add_f32_e32 v12, v21, v12
	v_add_f32_e32 v23, v20, v12
	v_mul_f32_e32 v24, v23, v23
	v_mov_b32_e32 v21, 0x3ecc95a3
	v_fmac_f32_e32 v21, 0x3e9b6dac, v24
	v_sub_f32_e32 v20, v23, v20
	v_fmaak_f32 v21, v24, v21, 0x3f2aaada
	v_sub_f32_e32 v12, v12, v20
	v_ldexp_f32 v25, v23, 1
	v_mul_f32_e32 v23, v23, v24
	v_mov_b32_e32 v20, 0x3f317218
	v_pk_mul_f32 v[20:21], v[22:23], v[20:21]
	v_ldexp_f32 v12, v12, 1
	v_fma_f32 v23, v22, s0, -v20
	v_fmamk_f32 v24, v22, 0xb102e308, v23
	v_pk_add_f32 v[22:23], v[20:21], v[24:25]
	v_mov_b32_e32 v26, v20
	v_sub_f32_e32 v25, v23, v25
	v_sub_f32_e32 v25, v21, v25
	v_add_f32_e32 v27, v12, v25
	v_pk_add_f32 v[20:21], v[22:23], v[20:21] neg_lo:[0,1] neg_hi:[0,1]
	v_pk_add_f32 v[28:29], v[22:23], v[26:27]
	v_mov_b32_e32 v25, v22
	v_mov_b32_e32 v21, v29
	v_pk_add_f32 v[30:31], v[24:25], v[20:21] neg_lo:[0,1] neg_hi:[0,1]
	v_pk_add_f32 v[20:21], v[24:25], v[20:21]
	v_mov_b32_e32 v26, v27
	v_pk_add_f32 v[24:25], v[20:21], v[22:23] op_sel:[1,0] op_sel_hi:[0,1] neg_lo:[0,1] neg_hi:[0,1]
	v_pk_add_f32 v[32:33], v[28:29], v[24:25] op_sel_hi:[1,0] neg_lo:[0,1] neg_hi:[0,1]
	v_mov_b32_e32 v28, v29
	v_mov_b32_e32 v29, v21
	v_pk_mov_b32 v[24:25], v[22:23], v[24:25] op_sel:[1,0]
	v_mov_b32_e32 v27, v22
	v_pk_add_f32 v[24:25], v[28:29], v[24:25] neg_lo:[0,1] neg_hi:[0,1]
	v_mov_b32_e32 v32, v30
	v_pk_add_f32 v[22:23], v[26:27], v[24:25] neg_lo:[0,1] neg_hi:[0,1]
	v_mov_b32_e32 v31, v21
	v_pk_add_f32 v[24:25], v[32:33], v[22:23]
	v_cmp_neq_f32_e64 s[0:1], s29, v1
	v_pk_add_f32 v[26:27], v[24:25], v[24:25] op_sel:[0,1] op_sel_hi:[1,0]
	s_nop 0
	v_pk_add_f32 v[20:21], v[20:21], v[26:27] op_sel:[1,0] op_sel_hi:[0,1]
	v_mov_b32_e32 v25, v20
	v_pk_add_f32 v[28:29], v[24:25], v[30:31] neg_lo:[0,1] neg_hi:[0,1]
	v_mov_b32_e32 v23, v26
	v_sub_f32_e32 v12, v24, v28
	v_pk_add_f32 v[22:23], v[22:23], v[28:29] neg_lo:[0,1] neg_hi:[0,1]
	v_sub_f32_e32 v12, v30, v12
	v_add_f32_e32 v12, v22, v12
	v_add_f32_e32 v12, v12, v23
	;; [unrolled: 1-line block ×3, first 2 shown]
	v_cndmask_b32_e64 v12, v18, v12, s[0:1]
	s_mov_b32 s0, 0x33800000
	v_cmp_lt_f32_e64 s[0:1], |v1|, s0
	s_nop 1
	v_cndmask_b32_e64 v1, v12, v1, s[0:1]
	v_add_f32_e32 v1, v17, v1
	v_cvt_f16_f32_e32 v21, v1
	v_cvt_f32_f16_e32 v1, v21
	v_mov_b32_e32 v12, v21
.LBB406_104:
	s_or_b64 exec, exec, s[26:27]
	v_max_f32_e32 v17, v6, v6
	v_max_f32_e32 v20, v1, v1
	v_min_f32_e32 v18, v20, v17
	v_cmp_u_f16_e64 s[0:1], v21, v21
	v_max_f32_e32 v17, v20, v17
	s_nop 0
	v_cndmask_b32_e64 v18, v18, v1, s[0:1]
	v_cndmask_b32_e64 v17, v17, v1, s[0:1]
	;; [unrolled: 1-line block ×4, first 2 shown]
	v_cmp_neq_f32_e64 s[0:1], v18, v17
	v_cmp_class_f32_e64 s[26:27], v18, s28
	s_or_b64 s[0:1], s[0:1], s[26:27]
	v_mov_b32_e32 v6, v12
	s_and_saveexec_b64 s[26:27], s[0:1]
	s_cbranch_execz .LBB406_106
; %bb.105:
	v_sub_f32_e32 v1, v18, v17
	s_mov_b32 s0, 0x3fb8aa3b
	v_mul_f32_e32 v6, 0x3fb8aa3b, v1
	v_fma_f32 v18, v1, s0, -v6
	v_rndne_f32_e32 v20, v6
	v_fmamk_f32 v18, v1, 0x32a5705f, v18
	v_sub_f32_e32 v6, v6, v20
	v_add_f32_e32 v6, v6, v18
	v_exp_f32_e32 v6, v6
	v_cvt_i32_f32_e32 v18, v20
	s_mov_b32 s0, 0xc2ce8ed0
	v_cmp_ngt_f32_e64 s[0:1], s0, v1
	s_mov_b32 s28, 0x7f800000
	v_ldexp_f32 v6, v6, v18
	v_cndmask_b32_e64 v6, 0, v6, s[0:1]
	s_mov_b32 s0, 0x42b17218
	v_mov_b32_e32 v18, 0x7f800000
	v_cmp_nlt_f32_e64 s[0:1], s0, v1
	s_nop 1
	v_cndmask_b32_e64 v1, v18, v6, s[0:1]
	v_add_f32_e32 v6, 1.0, v1
	v_add_f32_e32 v20, -1.0, v6
	v_sub_f32_e32 v21, v20, v6
	v_add_f32_e32 v21, 1.0, v21
	v_sub_f32_e32 v20, v1, v20
	s_waitcnt lgkmcnt(0)
	v_add_f32_e32 v22, v20, v21
	v_frexp_mant_f32_e32 v23, v6
	s_mov_b32 s0, 0x3f2aaaab
	v_cvt_f64_f32_e32 v[20:21], v6
	v_frexp_exp_i32_f64_e32 v20, v[20:21]
	v_cmp_gt_f32_e64 s[0:1], s0, v23
	s_nop 1
	v_subbrev_co_u32_e64 v28, s[0:1], 0, v20, s[0:1]
	v_sub_u32_e32 v20, 0, v28
	v_ldexp_f32 v6, v6, v20
	v_ldexp_f32 v20, v22, v20
	v_add_f32_e32 v22, -1.0, v6
	v_add_f32_e32 v21, 1.0, v22
	v_sub_f32_e32 v21, v6, v21
	v_add_f32_e32 v23, v20, v21
	v_add_f32_e32 v21, 1.0, v6
	v_add_f32_e32 v24, -1.0, v21
	v_sub_f32_e32 v6, v6, v24
	v_add_f32_e32 v6, v20, v6
	v_add_f32_e32 v29, v21, v6
	v_rcp_f32_e32 v30, v29
	v_sub_f32_e32 v20, v21, v29
	v_add_f32_e32 v21, v22, v23
	v_add_f32_e32 v6, v6, v20
	v_mul_f32_e32 v32, v21, v30
	v_sub_f32_e32 v20, v22, v21
	v_mul_f32_e32 v22, v29, v32
	v_fma_f32 v24, v32, v29, -v22
	v_fmac_f32_e32 v24, v32, v6
	v_add_f32_e32 v31, v23, v20
	v_add_f32_e32 v20, v22, v24
	v_sub_f32_e32 v23, v21, v20
	v_pk_add_f32 v[26:27], v[20:21], v[22:23] neg_lo:[0,1] neg_hi:[0,1]
	v_mov_b32_e32 v25, v20
	v_pk_add_f32 v[20:21], v[26:27], v[24:25] neg_lo:[0,1] neg_hi:[0,1]
	s_mov_b32 s0, 0x3f317218
	v_add_f32_e32 v21, v31, v21
	v_add_f32_e32 v20, v20, v21
	;; [unrolled: 1-line block ×3, first 2 shown]
	v_mul_f32_e32 v31, v30, v21
	v_mul_f32_e32 v22, v29, v31
	v_fma_f32 v24, v31, v29, -v22
	v_fmac_f32_e32 v24, v31, v6
	v_sub_f32_e32 v6, v23, v21
	v_add_f32_e32 v6, v20, v6
	v_add_f32_e32 v20, v22, v24
	v_sub_f32_e32 v23, v21, v20
	v_pk_add_f32 v[26:27], v[20:21], v[22:23] neg_lo:[0,1] neg_hi:[0,1]
	v_mov_b32_e32 v25, v20
	v_pk_add_f32 v[20:21], v[26:27], v[24:25] neg_lo:[0,1] neg_hi:[0,1]
	v_cvt_f32_i32_e32 v22, v28
	v_add_f32_e32 v6, v6, v21
	v_add_f32_e32 v6, v20, v6
	;; [unrolled: 1-line block ×4, first 2 shown]
	v_sub_f32_e32 v21, v20, v32
	v_mul_f32_e32 v6, v30, v6
	v_sub_f32_e32 v21, v31, v21
	v_add_f32_e32 v6, v21, v6
	v_add_f32_e32 v23, v20, v6
	v_mul_f32_e32 v24, v23, v23
	v_mov_b32_e32 v21, 0x3ecc95a3
	v_fmac_f32_e32 v21, 0x3e9b6dac, v24
	v_sub_f32_e32 v20, v23, v20
	v_fmaak_f32 v21, v24, v21, 0x3f2aaada
	v_sub_f32_e32 v6, v6, v20
	v_ldexp_f32 v25, v23, 1
	v_mul_f32_e32 v23, v23, v24
	v_mov_b32_e32 v20, 0x3f317218
	v_pk_mul_f32 v[20:21], v[22:23], v[20:21]
	v_ldexp_f32 v6, v6, 1
	v_fma_f32 v23, v22, s0, -v20
	v_fmamk_f32 v24, v22, 0xb102e308, v23
	v_pk_add_f32 v[22:23], v[20:21], v[24:25]
	v_mov_b32_e32 v26, v20
	v_sub_f32_e32 v25, v23, v25
	v_sub_f32_e32 v25, v21, v25
	v_add_f32_e32 v27, v6, v25
	v_pk_add_f32 v[20:21], v[22:23], v[20:21] neg_lo:[0,1] neg_hi:[0,1]
	v_pk_add_f32 v[28:29], v[22:23], v[26:27]
	v_mov_b32_e32 v25, v22
	v_mov_b32_e32 v21, v29
	v_pk_add_f32 v[30:31], v[24:25], v[20:21] neg_lo:[0,1] neg_hi:[0,1]
	v_pk_add_f32 v[20:21], v[24:25], v[20:21]
	v_mov_b32_e32 v26, v27
	v_pk_add_f32 v[24:25], v[20:21], v[22:23] op_sel:[1,0] op_sel_hi:[0,1] neg_lo:[0,1] neg_hi:[0,1]
	v_pk_add_f32 v[32:33], v[28:29], v[24:25] op_sel_hi:[1,0] neg_lo:[0,1] neg_hi:[0,1]
	v_mov_b32_e32 v28, v29
	v_mov_b32_e32 v29, v21
	v_pk_mov_b32 v[24:25], v[22:23], v[24:25] op_sel:[1,0]
	v_mov_b32_e32 v27, v22
	v_pk_add_f32 v[24:25], v[28:29], v[24:25] neg_lo:[0,1] neg_hi:[0,1]
	v_mov_b32_e32 v32, v30
	v_pk_add_f32 v[22:23], v[26:27], v[24:25] neg_lo:[0,1] neg_hi:[0,1]
	v_mov_b32_e32 v31, v21
	v_pk_add_f32 v[24:25], v[32:33], v[22:23]
	v_cmp_neq_f32_e64 s[0:1], s28, v1
	v_pk_add_f32 v[26:27], v[24:25], v[24:25] op_sel:[0,1] op_sel_hi:[1,0]
	s_nop 0
	v_pk_add_f32 v[20:21], v[20:21], v[26:27] op_sel:[1,0] op_sel_hi:[0,1]
	v_mov_b32_e32 v25, v20
	v_pk_add_f32 v[28:29], v[24:25], v[30:31] neg_lo:[0,1] neg_hi:[0,1]
	v_mov_b32_e32 v23, v26
	v_sub_f32_e32 v6, v24, v28
	v_pk_add_f32 v[22:23], v[22:23], v[28:29] neg_lo:[0,1] neg_hi:[0,1]
	v_sub_f32_e32 v6, v30, v6
	v_add_f32_e32 v6, v22, v6
	v_add_f32_e32 v6, v6, v23
	v_add_f32_e32 v6, v20, v6
	v_cndmask_b32_e64 v6, v18, v6, s[0:1]
	s_mov_b32 s0, 0x33800000
	v_cmp_lt_f32_e64 s[0:1], |v1|, s0
	s_nop 1
	v_cndmask_b32_e64 v1, v6, v1, s[0:1]
	v_add_f32_e32 v1, v17, v1
	v_cvt_f16_f32_e32 v21, v1
	v_cvt_f32_f16_e32 v1, v21
	v_mov_b32_e32 v6, v21
.LBB406_106:
	s_or_b64 exec, exec, s[26:27]
	v_max_f32_e32 v17, v13, v13
	v_max_f32_e32 v20, v1, v1
	v_min_f32_e32 v18, v20, v17
	v_cmp_u_f16_e64 s[0:1], v21, v21
	v_max_f32_e32 v17, v20, v17
	s_movk_i32 s28, 0x1f8
	v_cndmask_b32_e64 v18, v18, v1, s[0:1]
	v_cndmask_b32_e64 v17, v17, v1, s[0:1]
	;; [unrolled: 1-line block ×4, first 2 shown]
	v_cmp_neq_f32_e64 s[0:1], v18, v17
	v_cmp_class_f32_e64 s[26:27], v18, s28
	s_or_b64 s[0:1], s[0:1], s[26:27]
	v_mov_b32_e32 v13, v6
	s_and_saveexec_b64 s[26:27], s[0:1]
	s_cbranch_execz .LBB406_108
; %bb.107:
	v_sub_f32_e32 v1, v18, v17
	s_mov_b32 s0, 0x3fb8aa3b
	v_mul_f32_e32 v13, 0x3fb8aa3b, v1
	v_fma_f32 v18, v1, s0, -v13
	v_rndne_f32_e32 v20, v13
	v_fmamk_f32 v18, v1, 0x32a5705f, v18
	v_sub_f32_e32 v13, v13, v20
	v_add_f32_e32 v13, v13, v18
	v_exp_f32_e32 v13, v13
	v_cvt_i32_f32_e32 v18, v20
	s_mov_b32 s0, 0xc2ce8ed0
	v_cmp_ngt_f32_e64 s[0:1], s0, v1
	s_mov_b32 s29, 0x7f800000
	v_ldexp_f32 v13, v13, v18
	v_cndmask_b32_e64 v13, 0, v13, s[0:1]
	s_mov_b32 s0, 0x42b17218
	v_mov_b32_e32 v18, 0x7f800000
	v_cmp_nlt_f32_e64 s[0:1], s0, v1
	s_nop 1
	v_cndmask_b32_e64 v1, v18, v13, s[0:1]
	v_add_f32_e32 v13, 1.0, v1
	v_add_f32_e32 v20, -1.0, v13
	v_sub_f32_e32 v21, v20, v13
	v_add_f32_e32 v21, 1.0, v21
	v_sub_f32_e32 v20, v1, v20
	s_waitcnt lgkmcnt(0)
	v_add_f32_e32 v22, v20, v21
	v_frexp_mant_f32_e32 v23, v13
	s_mov_b32 s0, 0x3f2aaaab
	v_cvt_f64_f32_e32 v[20:21], v13
	v_frexp_exp_i32_f64_e32 v20, v[20:21]
	v_cmp_gt_f32_e64 s[0:1], s0, v23
	s_nop 1
	v_subbrev_co_u32_e64 v28, s[0:1], 0, v20, s[0:1]
	v_sub_u32_e32 v20, 0, v28
	v_ldexp_f32 v13, v13, v20
	v_ldexp_f32 v20, v22, v20
	v_add_f32_e32 v22, -1.0, v13
	v_add_f32_e32 v21, 1.0, v22
	v_sub_f32_e32 v21, v13, v21
	v_add_f32_e32 v23, v20, v21
	v_add_f32_e32 v21, 1.0, v13
	v_add_f32_e32 v24, -1.0, v21
	v_sub_f32_e32 v13, v13, v24
	v_add_f32_e32 v13, v20, v13
	v_add_f32_e32 v29, v21, v13
	v_rcp_f32_e32 v30, v29
	v_sub_f32_e32 v20, v21, v29
	v_add_f32_e32 v21, v22, v23
	v_add_f32_e32 v13, v13, v20
	v_mul_f32_e32 v32, v21, v30
	v_sub_f32_e32 v20, v22, v21
	v_mul_f32_e32 v22, v29, v32
	v_fma_f32 v24, v32, v29, -v22
	v_fmac_f32_e32 v24, v32, v13
	v_add_f32_e32 v31, v23, v20
	v_add_f32_e32 v20, v22, v24
	v_sub_f32_e32 v23, v21, v20
	v_pk_add_f32 v[26:27], v[20:21], v[22:23] neg_lo:[0,1] neg_hi:[0,1]
	v_mov_b32_e32 v25, v20
	v_pk_add_f32 v[20:21], v[26:27], v[24:25] neg_lo:[0,1] neg_hi:[0,1]
	s_mov_b32 s0, 0x3f317218
	v_add_f32_e32 v21, v31, v21
	v_add_f32_e32 v20, v20, v21
	;; [unrolled: 1-line block ×3, first 2 shown]
	v_mul_f32_e32 v31, v30, v21
	v_mul_f32_e32 v22, v29, v31
	v_fma_f32 v24, v31, v29, -v22
	v_fmac_f32_e32 v24, v31, v13
	v_sub_f32_e32 v13, v23, v21
	v_add_f32_e32 v13, v20, v13
	v_add_f32_e32 v20, v22, v24
	v_sub_f32_e32 v23, v21, v20
	v_pk_add_f32 v[26:27], v[20:21], v[22:23] neg_lo:[0,1] neg_hi:[0,1]
	v_mov_b32_e32 v25, v20
	v_pk_add_f32 v[20:21], v[26:27], v[24:25] neg_lo:[0,1] neg_hi:[0,1]
	v_cvt_f32_i32_e32 v22, v28
	v_add_f32_e32 v13, v13, v21
	v_add_f32_e32 v13, v20, v13
	;; [unrolled: 1-line block ×4, first 2 shown]
	v_sub_f32_e32 v21, v20, v32
	v_mul_f32_e32 v13, v30, v13
	v_sub_f32_e32 v21, v31, v21
	v_add_f32_e32 v13, v21, v13
	v_add_f32_e32 v23, v20, v13
	v_mul_f32_e32 v24, v23, v23
	v_mov_b32_e32 v21, 0x3ecc95a3
	v_fmac_f32_e32 v21, 0x3e9b6dac, v24
	v_sub_f32_e32 v20, v23, v20
	v_fmaak_f32 v21, v24, v21, 0x3f2aaada
	v_sub_f32_e32 v13, v13, v20
	v_ldexp_f32 v25, v23, 1
	v_mul_f32_e32 v23, v23, v24
	v_mov_b32_e32 v20, 0x3f317218
	v_pk_mul_f32 v[20:21], v[22:23], v[20:21]
	v_ldexp_f32 v13, v13, 1
	v_fma_f32 v23, v22, s0, -v20
	v_fmamk_f32 v24, v22, 0xb102e308, v23
	v_pk_add_f32 v[22:23], v[20:21], v[24:25]
	v_mov_b32_e32 v26, v20
	v_sub_f32_e32 v25, v23, v25
	v_sub_f32_e32 v25, v21, v25
	v_add_f32_e32 v27, v13, v25
	v_pk_add_f32 v[20:21], v[22:23], v[20:21] neg_lo:[0,1] neg_hi:[0,1]
	v_pk_add_f32 v[28:29], v[22:23], v[26:27]
	v_mov_b32_e32 v25, v22
	v_mov_b32_e32 v21, v29
	v_pk_add_f32 v[30:31], v[24:25], v[20:21] neg_lo:[0,1] neg_hi:[0,1]
	v_pk_add_f32 v[20:21], v[24:25], v[20:21]
	v_mov_b32_e32 v26, v27
	v_pk_add_f32 v[24:25], v[20:21], v[22:23] op_sel:[1,0] op_sel_hi:[0,1] neg_lo:[0,1] neg_hi:[0,1]
	v_pk_add_f32 v[32:33], v[28:29], v[24:25] op_sel_hi:[1,0] neg_lo:[0,1] neg_hi:[0,1]
	v_mov_b32_e32 v28, v29
	v_mov_b32_e32 v29, v21
	v_pk_mov_b32 v[24:25], v[22:23], v[24:25] op_sel:[1,0]
	v_mov_b32_e32 v27, v22
	v_pk_add_f32 v[24:25], v[28:29], v[24:25] neg_lo:[0,1] neg_hi:[0,1]
	v_mov_b32_e32 v32, v30
	v_pk_add_f32 v[22:23], v[26:27], v[24:25] neg_lo:[0,1] neg_hi:[0,1]
	v_mov_b32_e32 v31, v21
	v_pk_add_f32 v[24:25], v[32:33], v[22:23]
	v_cmp_neq_f32_e64 s[0:1], s29, v1
	v_pk_add_f32 v[26:27], v[24:25], v[24:25] op_sel:[0,1] op_sel_hi:[1,0]
	s_nop 0
	v_pk_add_f32 v[20:21], v[20:21], v[26:27] op_sel:[1,0] op_sel_hi:[0,1]
	v_mov_b32_e32 v25, v20
	v_pk_add_f32 v[28:29], v[24:25], v[30:31] neg_lo:[0,1] neg_hi:[0,1]
	v_mov_b32_e32 v23, v26
	v_sub_f32_e32 v13, v24, v28
	v_pk_add_f32 v[22:23], v[22:23], v[28:29] neg_lo:[0,1] neg_hi:[0,1]
	v_sub_f32_e32 v13, v30, v13
	v_add_f32_e32 v13, v22, v13
	v_add_f32_e32 v13, v13, v23
	;; [unrolled: 1-line block ×3, first 2 shown]
	v_cndmask_b32_e64 v13, v18, v13, s[0:1]
	s_mov_b32 s0, 0x33800000
	v_cmp_lt_f32_e64 s[0:1], |v1|, s0
	s_nop 1
	v_cndmask_b32_e64 v1, v13, v1, s[0:1]
	v_add_f32_e32 v1, v17, v1
	v_cvt_f16_f32_e32 v21, v1
	v_cvt_f32_f16_e32 v1, v21
	v_mov_b32_e32 v13, v21
.LBB406_108:
	s_or_b64 exec, exec, s[26:27]
	v_max_f32_e32 v17, v7, v7
	v_max_f32_e32 v20, v1, v1
	v_min_f32_e32 v18, v20, v17
	v_cmp_u_f16_e64 s[0:1], v21, v21
	v_max_f32_e32 v17, v20, v17
	s_nop 0
	v_cndmask_b32_e64 v18, v18, v1, s[0:1]
	v_cndmask_b32_e64 v17, v17, v1, s[0:1]
	;; [unrolled: 1-line block ×4, first 2 shown]
	v_cmp_neq_f32_e64 s[0:1], v18, v17
	v_cmp_class_f32_e64 s[26:27], v18, s28
	s_or_b64 s[0:1], s[0:1], s[26:27]
	v_mov_b32_e32 v7, v13
	s_and_saveexec_b64 s[26:27], s[0:1]
	s_cbranch_execz .LBB406_110
; %bb.109:
	v_sub_f32_e32 v1, v18, v17
	s_mov_b32 s0, 0x3fb8aa3b
	v_mul_f32_e32 v7, 0x3fb8aa3b, v1
	v_fma_f32 v18, v1, s0, -v7
	v_rndne_f32_e32 v20, v7
	v_fmamk_f32 v18, v1, 0x32a5705f, v18
	v_sub_f32_e32 v7, v7, v20
	v_add_f32_e32 v7, v7, v18
	v_exp_f32_e32 v7, v7
	v_cvt_i32_f32_e32 v18, v20
	s_mov_b32 s0, 0xc2ce8ed0
	v_cmp_ngt_f32_e64 s[0:1], s0, v1
	s_mov_b32 s28, 0x7f800000
	v_ldexp_f32 v7, v7, v18
	v_cndmask_b32_e64 v7, 0, v7, s[0:1]
	s_mov_b32 s0, 0x42b17218
	v_mov_b32_e32 v18, 0x7f800000
	v_cmp_nlt_f32_e64 s[0:1], s0, v1
	s_nop 1
	v_cndmask_b32_e64 v1, v18, v7, s[0:1]
	v_add_f32_e32 v7, 1.0, v1
	v_add_f32_e32 v20, -1.0, v7
	v_sub_f32_e32 v21, v20, v7
	v_add_f32_e32 v21, 1.0, v21
	v_sub_f32_e32 v20, v1, v20
	s_waitcnt lgkmcnt(0)
	v_add_f32_e32 v22, v20, v21
	v_frexp_mant_f32_e32 v23, v7
	s_mov_b32 s0, 0x3f2aaaab
	v_cvt_f64_f32_e32 v[20:21], v7
	v_frexp_exp_i32_f64_e32 v20, v[20:21]
	v_cmp_gt_f32_e64 s[0:1], s0, v23
	s_nop 1
	v_subbrev_co_u32_e64 v28, s[0:1], 0, v20, s[0:1]
	v_sub_u32_e32 v20, 0, v28
	v_ldexp_f32 v7, v7, v20
	v_ldexp_f32 v20, v22, v20
	v_add_f32_e32 v22, -1.0, v7
	v_add_f32_e32 v21, 1.0, v22
	v_sub_f32_e32 v21, v7, v21
	v_add_f32_e32 v23, v20, v21
	v_add_f32_e32 v21, 1.0, v7
	v_add_f32_e32 v24, -1.0, v21
	v_sub_f32_e32 v7, v7, v24
	v_add_f32_e32 v7, v20, v7
	v_add_f32_e32 v29, v21, v7
	v_rcp_f32_e32 v30, v29
	v_sub_f32_e32 v20, v21, v29
	v_add_f32_e32 v21, v22, v23
	v_add_f32_e32 v7, v7, v20
	v_mul_f32_e32 v32, v21, v30
	v_sub_f32_e32 v20, v22, v21
	v_mul_f32_e32 v22, v29, v32
	v_fma_f32 v24, v32, v29, -v22
	v_fmac_f32_e32 v24, v32, v7
	v_add_f32_e32 v31, v23, v20
	v_add_f32_e32 v20, v22, v24
	v_sub_f32_e32 v23, v21, v20
	v_pk_add_f32 v[26:27], v[20:21], v[22:23] neg_lo:[0,1] neg_hi:[0,1]
	v_mov_b32_e32 v25, v20
	v_pk_add_f32 v[20:21], v[26:27], v[24:25] neg_lo:[0,1] neg_hi:[0,1]
	s_mov_b32 s0, 0x3f317218
	v_add_f32_e32 v21, v31, v21
	v_add_f32_e32 v20, v20, v21
	;; [unrolled: 1-line block ×3, first 2 shown]
	v_mul_f32_e32 v31, v30, v21
	v_mul_f32_e32 v22, v29, v31
	v_fma_f32 v24, v31, v29, -v22
	v_fmac_f32_e32 v24, v31, v7
	v_sub_f32_e32 v7, v23, v21
	v_add_f32_e32 v7, v20, v7
	v_add_f32_e32 v20, v22, v24
	v_sub_f32_e32 v23, v21, v20
	v_pk_add_f32 v[26:27], v[20:21], v[22:23] neg_lo:[0,1] neg_hi:[0,1]
	v_mov_b32_e32 v25, v20
	v_pk_add_f32 v[20:21], v[26:27], v[24:25] neg_lo:[0,1] neg_hi:[0,1]
	v_cvt_f32_i32_e32 v22, v28
	v_add_f32_e32 v7, v7, v21
	v_add_f32_e32 v7, v20, v7
	;; [unrolled: 1-line block ×4, first 2 shown]
	v_sub_f32_e32 v21, v20, v32
	v_mul_f32_e32 v7, v30, v7
	v_sub_f32_e32 v21, v31, v21
	v_add_f32_e32 v7, v21, v7
	v_add_f32_e32 v23, v20, v7
	v_mul_f32_e32 v24, v23, v23
	v_mov_b32_e32 v21, 0x3ecc95a3
	v_fmac_f32_e32 v21, 0x3e9b6dac, v24
	v_sub_f32_e32 v20, v23, v20
	v_fmaak_f32 v21, v24, v21, 0x3f2aaada
	v_sub_f32_e32 v7, v7, v20
	v_ldexp_f32 v25, v23, 1
	v_mul_f32_e32 v23, v23, v24
	v_mov_b32_e32 v20, 0x3f317218
	v_pk_mul_f32 v[20:21], v[22:23], v[20:21]
	v_ldexp_f32 v7, v7, 1
	v_fma_f32 v23, v22, s0, -v20
	v_fmamk_f32 v24, v22, 0xb102e308, v23
	v_pk_add_f32 v[22:23], v[20:21], v[24:25]
	v_mov_b32_e32 v26, v20
	v_sub_f32_e32 v25, v23, v25
	v_sub_f32_e32 v25, v21, v25
	v_add_f32_e32 v27, v7, v25
	v_pk_add_f32 v[20:21], v[22:23], v[20:21] neg_lo:[0,1] neg_hi:[0,1]
	v_pk_add_f32 v[28:29], v[22:23], v[26:27]
	v_mov_b32_e32 v25, v22
	v_mov_b32_e32 v21, v29
	v_pk_add_f32 v[30:31], v[24:25], v[20:21] neg_lo:[0,1] neg_hi:[0,1]
	v_pk_add_f32 v[20:21], v[24:25], v[20:21]
	v_mov_b32_e32 v26, v27
	v_pk_add_f32 v[24:25], v[20:21], v[22:23] op_sel:[1,0] op_sel_hi:[0,1] neg_lo:[0,1] neg_hi:[0,1]
	v_pk_add_f32 v[32:33], v[28:29], v[24:25] op_sel_hi:[1,0] neg_lo:[0,1] neg_hi:[0,1]
	v_mov_b32_e32 v28, v29
	v_mov_b32_e32 v29, v21
	v_pk_mov_b32 v[24:25], v[22:23], v[24:25] op_sel:[1,0]
	v_mov_b32_e32 v27, v22
	v_pk_add_f32 v[24:25], v[28:29], v[24:25] neg_lo:[0,1] neg_hi:[0,1]
	v_mov_b32_e32 v32, v30
	v_pk_add_f32 v[22:23], v[26:27], v[24:25] neg_lo:[0,1] neg_hi:[0,1]
	v_mov_b32_e32 v31, v21
	v_pk_add_f32 v[24:25], v[32:33], v[22:23]
	v_cmp_neq_f32_e64 s[0:1], s28, v1
	v_pk_add_f32 v[26:27], v[24:25], v[24:25] op_sel:[0,1] op_sel_hi:[1,0]
	s_nop 0
	v_pk_add_f32 v[20:21], v[20:21], v[26:27] op_sel:[1,0] op_sel_hi:[0,1]
	v_mov_b32_e32 v25, v20
	v_pk_add_f32 v[28:29], v[24:25], v[30:31] neg_lo:[0,1] neg_hi:[0,1]
	v_mov_b32_e32 v23, v26
	v_sub_f32_e32 v7, v24, v28
	v_pk_add_f32 v[22:23], v[22:23], v[28:29] neg_lo:[0,1] neg_hi:[0,1]
	v_sub_f32_e32 v7, v30, v7
	v_add_f32_e32 v7, v22, v7
	v_add_f32_e32 v7, v7, v23
	;; [unrolled: 1-line block ×3, first 2 shown]
	v_cndmask_b32_e64 v7, v18, v7, s[0:1]
	s_mov_b32 s0, 0x33800000
	v_cmp_lt_f32_e64 s[0:1], |v1|, s0
	s_nop 1
	v_cndmask_b32_e64 v1, v7, v1, s[0:1]
	v_add_f32_e32 v1, v17, v1
	v_cvt_f16_f32_e32 v21, v1
	v_cvt_f32_f16_e32 v1, v21
	v_mov_b32_e32 v7, v21
.LBB406_110:
	s_or_b64 exec, exec, s[26:27]
	v_max_f32_e32 v17, v14, v14
	v_max_f32_e32 v20, v1, v1
	v_min_f32_e32 v18, v20, v17
	v_cmp_u_f16_e64 s[0:1], v21, v21
	v_max_f32_e32 v17, v20, v17
	s_movk_i32 s28, 0x1f8
	v_cndmask_b32_e64 v18, v18, v1, s[0:1]
	v_cndmask_b32_e64 v17, v17, v1, s[0:1]
	;; [unrolled: 1-line block ×4, first 2 shown]
	v_cmp_neq_f32_e64 s[0:1], v18, v17
	v_cmp_class_f32_e64 s[26:27], v18, s28
	s_or_b64 s[0:1], s[0:1], s[26:27]
	v_mov_b32_e32 v14, v7
	s_and_saveexec_b64 s[26:27], s[0:1]
	s_cbranch_execz .LBB406_112
; %bb.111:
	v_sub_f32_e32 v1, v18, v17
	s_mov_b32 s0, 0x3fb8aa3b
	v_mul_f32_e32 v14, 0x3fb8aa3b, v1
	v_fma_f32 v18, v1, s0, -v14
	v_rndne_f32_e32 v20, v14
	v_fmamk_f32 v18, v1, 0x32a5705f, v18
	v_sub_f32_e32 v14, v14, v20
	v_add_f32_e32 v14, v14, v18
	v_exp_f32_e32 v14, v14
	v_cvt_i32_f32_e32 v18, v20
	s_mov_b32 s0, 0xc2ce8ed0
	v_cmp_ngt_f32_e64 s[0:1], s0, v1
	s_mov_b32 s29, 0x7f800000
	v_ldexp_f32 v14, v14, v18
	v_cndmask_b32_e64 v14, 0, v14, s[0:1]
	s_mov_b32 s0, 0x42b17218
	v_mov_b32_e32 v18, 0x7f800000
	v_cmp_nlt_f32_e64 s[0:1], s0, v1
	s_nop 1
	v_cndmask_b32_e64 v1, v18, v14, s[0:1]
	v_add_f32_e32 v14, 1.0, v1
	v_add_f32_e32 v20, -1.0, v14
	v_sub_f32_e32 v21, v20, v14
	v_add_f32_e32 v21, 1.0, v21
	v_sub_f32_e32 v20, v1, v20
	s_waitcnt lgkmcnt(0)
	v_add_f32_e32 v22, v20, v21
	v_frexp_mant_f32_e32 v23, v14
	s_mov_b32 s0, 0x3f2aaaab
	v_cvt_f64_f32_e32 v[20:21], v14
	v_frexp_exp_i32_f64_e32 v20, v[20:21]
	v_cmp_gt_f32_e64 s[0:1], s0, v23
	s_nop 1
	v_subbrev_co_u32_e64 v28, s[0:1], 0, v20, s[0:1]
	v_sub_u32_e32 v20, 0, v28
	v_ldexp_f32 v14, v14, v20
	v_ldexp_f32 v20, v22, v20
	v_add_f32_e32 v22, -1.0, v14
	v_add_f32_e32 v21, 1.0, v22
	v_sub_f32_e32 v21, v14, v21
	v_add_f32_e32 v23, v20, v21
	v_add_f32_e32 v21, 1.0, v14
	v_add_f32_e32 v24, -1.0, v21
	v_sub_f32_e32 v14, v14, v24
	v_add_f32_e32 v14, v20, v14
	v_add_f32_e32 v29, v21, v14
	v_rcp_f32_e32 v30, v29
	v_sub_f32_e32 v20, v21, v29
	v_add_f32_e32 v21, v22, v23
	v_add_f32_e32 v14, v14, v20
	v_mul_f32_e32 v32, v21, v30
	v_sub_f32_e32 v20, v22, v21
	v_mul_f32_e32 v22, v29, v32
	v_fma_f32 v24, v32, v29, -v22
	v_fmac_f32_e32 v24, v32, v14
	v_add_f32_e32 v31, v23, v20
	v_add_f32_e32 v20, v22, v24
	v_sub_f32_e32 v23, v21, v20
	v_pk_add_f32 v[26:27], v[20:21], v[22:23] neg_lo:[0,1] neg_hi:[0,1]
	v_mov_b32_e32 v25, v20
	v_pk_add_f32 v[20:21], v[26:27], v[24:25] neg_lo:[0,1] neg_hi:[0,1]
	s_mov_b32 s0, 0x3f317218
	v_add_f32_e32 v21, v31, v21
	v_add_f32_e32 v20, v20, v21
	;; [unrolled: 1-line block ×3, first 2 shown]
	v_mul_f32_e32 v31, v30, v21
	v_mul_f32_e32 v22, v29, v31
	v_fma_f32 v24, v31, v29, -v22
	v_fmac_f32_e32 v24, v31, v14
	v_sub_f32_e32 v14, v23, v21
	v_add_f32_e32 v14, v20, v14
	v_add_f32_e32 v20, v22, v24
	v_sub_f32_e32 v23, v21, v20
	v_pk_add_f32 v[26:27], v[20:21], v[22:23] neg_lo:[0,1] neg_hi:[0,1]
	v_mov_b32_e32 v25, v20
	v_pk_add_f32 v[20:21], v[26:27], v[24:25] neg_lo:[0,1] neg_hi:[0,1]
	v_cvt_f32_i32_e32 v22, v28
	v_add_f32_e32 v14, v14, v21
	v_add_f32_e32 v14, v20, v14
	v_add_f32_e32 v20, v32, v31
	v_add_f32_e32 v14, v23, v14
	v_sub_f32_e32 v21, v20, v32
	v_mul_f32_e32 v14, v30, v14
	v_sub_f32_e32 v21, v31, v21
	v_add_f32_e32 v14, v21, v14
	v_add_f32_e32 v23, v20, v14
	v_mul_f32_e32 v24, v23, v23
	v_mov_b32_e32 v21, 0x3ecc95a3
	v_fmac_f32_e32 v21, 0x3e9b6dac, v24
	v_sub_f32_e32 v20, v23, v20
	v_fmaak_f32 v21, v24, v21, 0x3f2aaada
	v_sub_f32_e32 v14, v14, v20
	v_ldexp_f32 v25, v23, 1
	v_mul_f32_e32 v23, v23, v24
	v_mov_b32_e32 v20, 0x3f317218
	v_pk_mul_f32 v[20:21], v[22:23], v[20:21]
	v_ldexp_f32 v14, v14, 1
	v_fma_f32 v23, v22, s0, -v20
	v_fmamk_f32 v24, v22, 0xb102e308, v23
	v_pk_add_f32 v[22:23], v[20:21], v[24:25]
	v_mov_b32_e32 v26, v20
	v_sub_f32_e32 v25, v23, v25
	v_sub_f32_e32 v25, v21, v25
	v_add_f32_e32 v27, v14, v25
	v_pk_add_f32 v[20:21], v[22:23], v[20:21] neg_lo:[0,1] neg_hi:[0,1]
	v_pk_add_f32 v[28:29], v[22:23], v[26:27]
	v_mov_b32_e32 v25, v22
	v_mov_b32_e32 v21, v29
	v_pk_add_f32 v[30:31], v[24:25], v[20:21] neg_lo:[0,1] neg_hi:[0,1]
	v_pk_add_f32 v[20:21], v[24:25], v[20:21]
	v_mov_b32_e32 v26, v27
	v_pk_add_f32 v[24:25], v[20:21], v[22:23] op_sel:[1,0] op_sel_hi:[0,1] neg_lo:[0,1] neg_hi:[0,1]
	v_pk_add_f32 v[32:33], v[28:29], v[24:25] op_sel_hi:[1,0] neg_lo:[0,1] neg_hi:[0,1]
	v_mov_b32_e32 v28, v29
	v_mov_b32_e32 v29, v21
	v_pk_mov_b32 v[24:25], v[22:23], v[24:25] op_sel:[1,0]
	v_mov_b32_e32 v27, v22
	v_pk_add_f32 v[24:25], v[28:29], v[24:25] neg_lo:[0,1] neg_hi:[0,1]
	v_mov_b32_e32 v32, v30
	v_pk_add_f32 v[22:23], v[26:27], v[24:25] neg_lo:[0,1] neg_hi:[0,1]
	v_mov_b32_e32 v31, v21
	v_pk_add_f32 v[24:25], v[32:33], v[22:23]
	v_cmp_neq_f32_e64 s[0:1], s29, v1
	v_pk_add_f32 v[26:27], v[24:25], v[24:25] op_sel:[0,1] op_sel_hi:[1,0]
	s_nop 0
	v_pk_add_f32 v[20:21], v[20:21], v[26:27] op_sel:[1,0] op_sel_hi:[0,1]
	v_mov_b32_e32 v25, v20
	v_pk_add_f32 v[28:29], v[24:25], v[30:31] neg_lo:[0,1] neg_hi:[0,1]
	v_mov_b32_e32 v23, v26
	v_sub_f32_e32 v14, v24, v28
	v_pk_add_f32 v[22:23], v[22:23], v[28:29] neg_lo:[0,1] neg_hi:[0,1]
	v_sub_f32_e32 v14, v30, v14
	v_add_f32_e32 v14, v22, v14
	v_add_f32_e32 v14, v14, v23
	;; [unrolled: 1-line block ×3, first 2 shown]
	v_cndmask_b32_e64 v14, v18, v14, s[0:1]
	s_mov_b32 s0, 0x33800000
	v_cmp_lt_f32_e64 s[0:1], |v1|, s0
	s_nop 1
	v_cndmask_b32_e64 v1, v14, v1, s[0:1]
	v_add_f32_e32 v1, v17, v1
	v_cvt_f16_f32_e32 v21, v1
	v_cvt_f32_f16_e32 v1, v21
	v_mov_b32_e32 v14, v21
.LBB406_112:
	s_or_b64 exec, exec, s[26:27]
	v_max_f32_e32 v17, v4, v4
	v_max_f32_e32 v20, v1, v1
	v_min_f32_e32 v18, v20, v17
	v_cmp_u_f16_e64 s[0:1], v21, v21
	v_max_f32_e32 v17, v20, v17
	s_nop 0
	v_cndmask_b32_e64 v18, v18, v1, s[0:1]
	v_cndmask_b32_e64 v17, v17, v1, s[0:1]
	v_cndmask_b32_e64 v18, v18, v4, s[46:47]
	v_cndmask_b32_e64 v17, v17, v4, s[46:47]
	v_cmp_neq_f32_e64 s[0:1], v18, v17
	v_cmp_class_f32_e64 s[26:27], v18, s28
	s_or_b64 s[0:1], s[0:1], s[26:27]
	v_mov_b32_e32 v4, v14
	s_and_saveexec_b64 s[26:27], s[0:1]
	s_cbranch_execz .LBB406_114
; %bb.113:
	v_sub_f32_e32 v1, v18, v17
	s_mov_b32 s0, 0x3fb8aa3b
	v_mul_f32_e32 v4, 0x3fb8aa3b, v1
	v_fma_f32 v18, v1, s0, -v4
	v_rndne_f32_e32 v20, v4
	v_fmamk_f32 v18, v1, 0x32a5705f, v18
	v_sub_f32_e32 v4, v4, v20
	v_add_f32_e32 v4, v4, v18
	v_exp_f32_e32 v4, v4
	v_cvt_i32_f32_e32 v18, v20
	s_mov_b32 s0, 0xc2ce8ed0
	v_cmp_ngt_f32_e64 s[0:1], s0, v1
	s_mov_b32 s28, 0x7f800000
	v_ldexp_f32 v4, v4, v18
	v_cndmask_b32_e64 v4, 0, v4, s[0:1]
	s_mov_b32 s0, 0x42b17218
	v_mov_b32_e32 v18, 0x7f800000
	v_cmp_nlt_f32_e64 s[0:1], s0, v1
	s_nop 1
	v_cndmask_b32_e64 v1, v18, v4, s[0:1]
	v_add_f32_e32 v4, 1.0, v1
	v_add_f32_e32 v20, -1.0, v4
	v_sub_f32_e32 v21, v20, v4
	v_add_f32_e32 v21, 1.0, v21
	v_sub_f32_e32 v20, v1, v20
	s_waitcnt lgkmcnt(0)
	v_add_f32_e32 v22, v20, v21
	v_frexp_mant_f32_e32 v23, v4
	s_mov_b32 s0, 0x3f2aaaab
	v_cvt_f64_f32_e32 v[20:21], v4
	v_frexp_exp_i32_f64_e32 v20, v[20:21]
	v_cmp_gt_f32_e64 s[0:1], s0, v23
	s_nop 1
	v_subbrev_co_u32_e64 v28, s[0:1], 0, v20, s[0:1]
	v_sub_u32_e32 v20, 0, v28
	v_ldexp_f32 v4, v4, v20
	v_ldexp_f32 v20, v22, v20
	v_add_f32_e32 v22, -1.0, v4
	v_add_f32_e32 v21, 1.0, v22
	v_sub_f32_e32 v21, v4, v21
	v_add_f32_e32 v23, v20, v21
	v_add_f32_e32 v21, 1.0, v4
	v_add_f32_e32 v24, -1.0, v21
	v_sub_f32_e32 v4, v4, v24
	v_add_f32_e32 v4, v20, v4
	v_add_f32_e32 v29, v21, v4
	v_rcp_f32_e32 v30, v29
	v_sub_f32_e32 v20, v21, v29
	v_add_f32_e32 v21, v22, v23
	v_add_f32_e32 v4, v4, v20
	v_mul_f32_e32 v32, v21, v30
	v_sub_f32_e32 v20, v22, v21
	v_mul_f32_e32 v22, v29, v32
	v_fma_f32 v24, v32, v29, -v22
	v_fmac_f32_e32 v24, v32, v4
	v_add_f32_e32 v31, v23, v20
	v_add_f32_e32 v20, v22, v24
	v_sub_f32_e32 v23, v21, v20
	v_pk_add_f32 v[26:27], v[20:21], v[22:23] neg_lo:[0,1] neg_hi:[0,1]
	v_mov_b32_e32 v25, v20
	v_pk_add_f32 v[20:21], v[26:27], v[24:25] neg_lo:[0,1] neg_hi:[0,1]
	s_mov_b32 s0, 0x3f317218
	v_add_f32_e32 v21, v31, v21
	v_add_f32_e32 v20, v20, v21
	;; [unrolled: 1-line block ×3, first 2 shown]
	v_mul_f32_e32 v31, v30, v21
	v_mul_f32_e32 v22, v29, v31
	v_fma_f32 v24, v31, v29, -v22
	v_fmac_f32_e32 v24, v31, v4
	v_sub_f32_e32 v4, v23, v21
	v_add_f32_e32 v4, v20, v4
	v_add_f32_e32 v20, v22, v24
	v_sub_f32_e32 v23, v21, v20
	v_pk_add_f32 v[26:27], v[20:21], v[22:23] neg_lo:[0,1] neg_hi:[0,1]
	v_mov_b32_e32 v25, v20
	v_pk_add_f32 v[20:21], v[26:27], v[24:25] neg_lo:[0,1] neg_hi:[0,1]
	v_cvt_f32_i32_e32 v22, v28
	v_add_f32_e32 v4, v4, v21
	v_add_f32_e32 v4, v20, v4
	;; [unrolled: 1-line block ×4, first 2 shown]
	v_sub_f32_e32 v21, v20, v32
	v_mul_f32_e32 v4, v30, v4
	v_sub_f32_e32 v21, v31, v21
	v_add_f32_e32 v4, v21, v4
	v_add_f32_e32 v23, v20, v4
	v_mul_f32_e32 v24, v23, v23
	v_mov_b32_e32 v21, 0x3ecc95a3
	v_fmac_f32_e32 v21, 0x3e9b6dac, v24
	v_sub_f32_e32 v20, v23, v20
	v_fmaak_f32 v21, v24, v21, 0x3f2aaada
	v_sub_f32_e32 v4, v4, v20
	v_ldexp_f32 v25, v23, 1
	v_mul_f32_e32 v23, v23, v24
	v_mov_b32_e32 v20, 0x3f317218
	v_pk_mul_f32 v[20:21], v[22:23], v[20:21]
	v_ldexp_f32 v4, v4, 1
	v_fma_f32 v23, v22, s0, -v20
	v_fmamk_f32 v24, v22, 0xb102e308, v23
	v_pk_add_f32 v[22:23], v[20:21], v[24:25]
	v_mov_b32_e32 v26, v20
	v_sub_f32_e32 v25, v23, v25
	v_sub_f32_e32 v25, v21, v25
	v_add_f32_e32 v27, v4, v25
	v_pk_add_f32 v[20:21], v[22:23], v[20:21] neg_lo:[0,1] neg_hi:[0,1]
	v_pk_add_f32 v[28:29], v[22:23], v[26:27]
	v_mov_b32_e32 v25, v22
	v_mov_b32_e32 v21, v29
	v_pk_add_f32 v[30:31], v[24:25], v[20:21] neg_lo:[0,1] neg_hi:[0,1]
	v_pk_add_f32 v[20:21], v[24:25], v[20:21]
	v_mov_b32_e32 v26, v27
	v_pk_add_f32 v[24:25], v[20:21], v[22:23] op_sel:[1,0] op_sel_hi:[0,1] neg_lo:[0,1] neg_hi:[0,1]
	v_pk_add_f32 v[32:33], v[28:29], v[24:25] op_sel_hi:[1,0] neg_lo:[0,1] neg_hi:[0,1]
	v_mov_b32_e32 v28, v29
	v_mov_b32_e32 v29, v21
	v_pk_mov_b32 v[24:25], v[22:23], v[24:25] op_sel:[1,0]
	v_mov_b32_e32 v27, v22
	v_pk_add_f32 v[24:25], v[28:29], v[24:25] neg_lo:[0,1] neg_hi:[0,1]
	v_mov_b32_e32 v32, v30
	v_pk_add_f32 v[22:23], v[26:27], v[24:25] neg_lo:[0,1] neg_hi:[0,1]
	v_mov_b32_e32 v31, v21
	v_pk_add_f32 v[24:25], v[32:33], v[22:23]
	v_cmp_neq_f32_e64 s[0:1], s28, v1
	v_pk_add_f32 v[26:27], v[24:25], v[24:25] op_sel:[0,1] op_sel_hi:[1,0]
	s_nop 0
	v_pk_add_f32 v[20:21], v[20:21], v[26:27] op_sel:[1,0] op_sel_hi:[0,1]
	v_mov_b32_e32 v25, v20
	v_pk_add_f32 v[28:29], v[24:25], v[30:31] neg_lo:[0,1] neg_hi:[0,1]
	v_mov_b32_e32 v23, v26
	v_sub_f32_e32 v4, v24, v28
	v_pk_add_f32 v[22:23], v[22:23], v[28:29] neg_lo:[0,1] neg_hi:[0,1]
	v_sub_f32_e32 v4, v30, v4
	v_add_f32_e32 v4, v22, v4
	v_add_f32_e32 v4, v4, v23
	;; [unrolled: 1-line block ×3, first 2 shown]
	v_cndmask_b32_e64 v4, v18, v4, s[0:1]
	s_mov_b32 s0, 0x33800000
	v_cmp_lt_f32_e64 s[0:1], |v1|, s0
	s_nop 1
	v_cndmask_b32_e64 v1, v4, v1, s[0:1]
	v_add_f32_e32 v1, v17, v1
	v_cvt_f16_f32_e32 v21, v1
	v_cvt_f32_f16_e32 v1, v21
	v_mov_b32_e32 v4, v21
.LBB406_114:
	s_or_b64 exec, exec, s[26:27]
	v_max_f32_e32 v17, v15, v15
	v_max_f32_e32 v20, v1, v1
	v_min_f32_e32 v18, v20, v17
	v_cmp_u_f16_e64 s[0:1], v21, v21
	v_max_f32_e32 v17, v20, v17
	s_movk_i32 s28, 0x1f8
	v_cndmask_b32_e64 v18, v18, v1, s[0:1]
	v_cndmask_b32_e64 v17, v17, v1, s[0:1]
	;; [unrolled: 1-line block ×4, first 2 shown]
	v_cmp_neq_f32_e64 s[0:1], v18, v17
	v_cmp_class_f32_e64 s[26:27], v18, s28
	s_or_b64 s[0:1], s[0:1], s[26:27]
	v_mov_b32_e32 v15, v4
	s_and_saveexec_b64 s[26:27], s[0:1]
	s_cbranch_execz .LBB406_116
; %bb.115:
	v_sub_f32_e32 v1, v18, v17
	s_mov_b32 s0, 0x3fb8aa3b
	v_mul_f32_e32 v15, 0x3fb8aa3b, v1
	v_fma_f32 v18, v1, s0, -v15
	v_rndne_f32_e32 v20, v15
	v_fmamk_f32 v18, v1, 0x32a5705f, v18
	v_sub_f32_e32 v15, v15, v20
	v_add_f32_e32 v15, v15, v18
	v_exp_f32_e32 v15, v15
	v_cvt_i32_f32_e32 v18, v20
	s_mov_b32 s0, 0xc2ce8ed0
	v_cmp_ngt_f32_e64 s[0:1], s0, v1
	s_mov_b32 s29, 0x7f800000
	v_ldexp_f32 v15, v15, v18
	v_cndmask_b32_e64 v15, 0, v15, s[0:1]
	s_mov_b32 s0, 0x42b17218
	v_mov_b32_e32 v18, 0x7f800000
	v_cmp_nlt_f32_e64 s[0:1], s0, v1
	s_nop 1
	v_cndmask_b32_e64 v1, v18, v15, s[0:1]
	v_add_f32_e32 v15, 1.0, v1
	v_add_f32_e32 v20, -1.0, v15
	v_sub_f32_e32 v21, v20, v15
	v_add_f32_e32 v21, 1.0, v21
	v_sub_f32_e32 v20, v1, v20
	s_waitcnt lgkmcnt(0)
	v_add_f32_e32 v22, v20, v21
	v_frexp_mant_f32_e32 v23, v15
	s_mov_b32 s0, 0x3f2aaaab
	v_cvt_f64_f32_e32 v[20:21], v15
	v_frexp_exp_i32_f64_e32 v20, v[20:21]
	v_cmp_gt_f32_e64 s[0:1], s0, v23
	s_nop 1
	v_subbrev_co_u32_e64 v28, s[0:1], 0, v20, s[0:1]
	v_sub_u32_e32 v20, 0, v28
	v_ldexp_f32 v15, v15, v20
	v_ldexp_f32 v20, v22, v20
	v_add_f32_e32 v22, -1.0, v15
	v_add_f32_e32 v21, 1.0, v22
	v_sub_f32_e32 v21, v15, v21
	v_add_f32_e32 v23, v20, v21
	v_add_f32_e32 v21, 1.0, v15
	v_add_f32_e32 v24, -1.0, v21
	v_sub_f32_e32 v15, v15, v24
	v_add_f32_e32 v15, v20, v15
	v_add_f32_e32 v29, v21, v15
	v_rcp_f32_e32 v30, v29
	v_sub_f32_e32 v20, v21, v29
	v_add_f32_e32 v21, v22, v23
	v_add_f32_e32 v15, v15, v20
	v_mul_f32_e32 v32, v21, v30
	v_sub_f32_e32 v20, v22, v21
	v_mul_f32_e32 v22, v29, v32
	v_fma_f32 v24, v32, v29, -v22
	v_fmac_f32_e32 v24, v32, v15
	v_add_f32_e32 v31, v23, v20
	v_add_f32_e32 v20, v22, v24
	v_sub_f32_e32 v23, v21, v20
	v_pk_add_f32 v[26:27], v[20:21], v[22:23] neg_lo:[0,1] neg_hi:[0,1]
	v_mov_b32_e32 v25, v20
	v_pk_add_f32 v[20:21], v[26:27], v[24:25] neg_lo:[0,1] neg_hi:[0,1]
	s_mov_b32 s0, 0x3f317218
	v_add_f32_e32 v21, v31, v21
	v_add_f32_e32 v20, v20, v21
	;; [unrolled: 1-line block ×3, first 2 shown]
	v_mul_f32_e32 v31, v30, v21
	v_mul_f32_e32 v22, v29, v31
	v_fma_f32 v24, v31, v29, -v22
	v_fmac_f32_e32 v24, v31, v15
	v_sub_f32_e32 v15, v23, v21
	v_add_f32_e32 v15, v20, v15
	v_add_f32_e32 v20, v22, v24
	v_sub_f32_e32 v23, v21, v20
	v_pk_add_f32 v[26:27], v[20:21], v[22:23] neg_lo:[0,1] neg_hi:[0,1]
	v_mov_b32_e32 v25, v20
	v_pk_add_f32 v[20:21], v[26:27], v[24:25] neg_lo:[0,1] neg_hi:[0,1]
	v_cvt_f32_i32_e32 v22, v28
	v_add_f32_e32 v15, v15, v21
	v_add_f32_e32 v15, v20, v15
	;; [unrolled: 1-line block ×4, first 2 shown]
	v_sub_f32_e32 v21, v20, v32
	v_mul_f32_e32 v15, v30, v15
	v_sub_f32_e32 v21, v31, v21
	v_add_f32_e32 v15, v21, v15
	v_add_f32_e32 v23, v20, v15
	v_mul_f32_e32 v24, v23, v23
	v_mov_b32_e32 v21, 0x3ecc95a3
	v_fmac_f32_e32 v21, 0x3e9b6dac, v24
	v_sub_f32_e32 v20, v23, v20
	v_fmaak_f32 v21, v24, v21, 0x3f2aaada
	v_sub_f32_e32 v15, v15, v20
	v_ldexp_f32 v25, v23, 1
	v_mul_f32_e32 v23, v23, v24
	v_mov_b32_e32 v20, 0x3f317218
	v_pk_mul_f32 v[20:21], v[22:23], v[20:21]
	v_ldexp_f32 v15, v15, 1
	v_fma_f32 v23, v22, s0, -v20
	v_fmamk_f32 v24, v22, 0xb102e308, v23
	v_pk_add_f32 v[22:23], v[20:21], v[24:25]
	v_mov_b32_e32 v26, v20
	v_sub_f32_e32 v25, v23, v25
	v_sub_f32_e32 v25, v21, v25
	v_add_f32_e32 v27, v15, v25
	v_pk_add_f32 v[20:21], v[22:23], v[20:21] neg_lo:[0,1] neg_hi:[0,1]
	v_pk_add_f32 v[28:29], v[22:23], v[26:27]
	v_mov_b32_e32 v25, v22
	v_mov_b32_e32 v21, v29
	v_pk_add_f32 v[30:31], v[24:25], v[20:21] neg_lo:[0,1] neg_hi:[0,1]
	v_pk_add_f32 v[20:21], v[24:25], v[20:21]
	v_mov_b32_e32 v26, v27
	v_pk_add_f32 v[24:25], v[20:21], v[22:23] op_sel:[1,0] op_sel_hi:[0,1] neg_lo:[0,1] neg_hi:[0,1]
	v_pk_add_f32 v[32:33], v[28:29], v[24:25] op_sel_hi:[1,0] neg_lo:[0,1] neg_hi:[0,1]
	v_mov_b32_e32 v28, v29
	v_mov_b32_e32 v29, v21
	v_pk_mov_b32 v[24:25], v[22:23], v[24:25] op_sel:[1,0]
	v_mov_b32_e32 v27, v22
	v_pk_add_f32 v[24:25], v[28:29], v[24:25] neg_lo:[0,1] neg_hi:[0,1]
	v_mov_b32_e32 v32, v30
	v_pk_add_f32 v[22:23], v[26:27], v[24:25] neg_lo:[0,1] neg_hi:[0,1]
	v_mov_b32_e32 v31, v21
	v_pk_add_f32 v[24:25], v[32:33], v[22:23]
	v_cmp_neq_f32_e64 s[0:1], s29, v1
	v_pk_add_f32 v[26:27], v[24:25], v[24:25] op_sel:[0,1] op_sel_hi:[1,0]
	s_nop 0
	v_pk_add_f32 v[20:21], v[20:21], v[26:27] op_sel:[1,0] op_sel_hi:[0,1]
	v_mov_b32_e32 v25, v20
	v_pk_add_f32 v[28:29], v[24:25], v[30:31] neg_lo:[0,1] neg_hi:[0,1]
	v_mov_b32_e32 v23, v26
	v_sub_f32_e32 v15, v24, v28
	v_pk_add_f32 v[22:23], v[22:23], v[28:29] neg_lo:[0,1] neg_hi:[0,1]
	v_sub_f32_e32 v15, v30, v15
	v_add_f32_e32 v15, v22, v15
	v_add_f32_e32 v15, v15, v23
	;; [unrolled: 1-line block ×3, first 2 shown]
	v_cndmask_b32_e64 v15, v18, v15, s[0:1]
	s_mov_b32 s0, 0x33800000
	v_cmp_lt_f32_e64 s[0:1], |v1|, s0
	s_nop 1
	v_cndmask_b32_e64 v1, v15, v1, s[0:1]
	v_add_f32_e32 v1, v17, v1
	v_cvt_f16_f32_e32 v21, v1
	v_cvt_f32_f16_e32 v1, v21
	v_mov_b32_e32 v15, v21
.LBB406_116:
	s_or_b64 exec, exec, s[26:27]
	v_max_f32_e32 v17, v5, v5
	v_max_f32_e32 v20, v1, v1
	v_min_f32_e32 v18, v20, v17
	v_cmp_u_f16_e64 s[0:1], v21, v21
	v_max_f32_e32 v17, v20, v17
	s_nop 0
	v_cndmask_b32_e64 v18, v18, v1, s[0:1]
	v_cndmask_b32_e64 v17, v17, v1, s[0:1]
	;; [unrolled: 1-line block ×4, first 2 shown]
	v_cmp_neq_f32_e64 s[0:1], v18, v17
	v_cmp_class_f32_e64 s[26:27], v18, s28
	s_or_b64 s[0:1], s[0:1], s[26:27]
	v_mov_b32_e32 v5, v15
	s_and_saveexec_b64 s[26:27], s[0:1]
	s_cbranch_execz .LBB406_118
; %bb.117:
	v_sub_f32_e32 v1, v18, v17
	s_mov_b32 s0, 0x3fb8aa3b
	v_mul_f32_e32 v5, 0x3fb8aa3b, v1
	v_fma_f32 v18, v1, s0, -v5
	v_rndne_f32_e32 v20, v5
	v_fmamk_f32 v18, v1, 0x32a5705f, v18
	v_sub_f32_e32 v5, v5, v20
	v_add_f32_e32 v5, v5, v18
	v_exp_f32_e32 v5, v5
	v_cvt_i32_f32_e32 v18, v20
	s_mov_b32 s0, 0xc2ce8ed0
	v_cmp_ngt_f32_e64 s[0:1], s0, v1
	s_mov_b32 s28, 0x7f800000
	v_ldexp_f32 v5, v5, v18
	v_cndmask_b32_e64 v5, 0, v5, s[0:1]
	s_mov_b32 s0, 0x42b17218
	v_mov_b32_e32 v18, 0x7f800000
	v_cmp_nlt_f32_e64 s[0:1], s0, v1
	s_nop 1
	v_cndmask_b32_e64 v1, v18, v5, s[0:1]
	v_add_f32_e32 v5, 1.0, v1
	v_add_f32_e32 v20, -1.0, v5
	v_sub_f32_e32 v21, v20, v5
	v_add_f32_e32 v21, 1.0, v21
	v_sub_f32_e32 v20, v1, v20
	s_waitcnt lgkmcnt(0)
	v_add_f32_e32 v22, v20, v21
	v_frexp_mant_f32_e32 v23, v5
	s_mov_b32 s0, 0x3f2aaaab
	v_cvt_f64_f32_e32 v[20:21], v5
	v_frexp_exp_i32_f64_e32 v20, v[20:21]
	v_cmp_gt_f32_e64 s[0:1], s0, v23
	s_nop 1
	v_subbrev_co_u32_e64 v28, s[0:1], 0, v20, s[0:1]
	v_sub_u32_e32 v20, 0, v28
	v_ldexp_f32 v5, v5, v20
	v_ldexp_f32 v20, v22, v20
	v_add_f32_e32 v22, -1.0, v5
	v_add_f32_e32 v21, 1.0, v22
	v_sub_f32_e32 v21, v5, v21
	v_add_f32_e32 v23, v20, v21
	v_add_f32_e32 v21, 1.0, v5
	v_add_f32_e32 v24, -1.0, v21
	v_sub_f32_e32 v5, v5, v24
	v_add_f32_e32 v5, v20, v5
	v_add_f32_e32 v29, v21, v5
	v_rcp_f32_e32 v30, v29
	v_sub_f32_e32 v20, v21, v29
	v_add_f32_e32 v21, v22, v23
	v_add_f32_e32 v5, v5, v20
	v_mul_f32_e32 v32, v21, v30
	v_sub_f32_e32 v20, v22, v21
	v_mul_f32_e32 v22, v29, v32
	v_fma_f32 v24, v32, v29, -v22
	v_fmac_f32_e32 v24, v32, v5
	v_add_f32_e32 v31, v23, v20
	v_add_f32_e32 v20, v22, v24
	v_sub_f32_e32 v23, v21, v20
	v_pk_add_f32 v[26:27], v[20:21], v[22:23] neg_lo:[0,1] neg_hi:[0,1]
	v_mov_b32_e32 v25, v20
	v_pk_add_f32 v[20:21], v[26:27], v[24:25] neg_lo:[0,1] neg_hi:[0,1]
	s_mov_b32 s0, 0x3f317218
	v_add_f32_e32 v21, v31, v21
	v_add_f32_e32 v20, v20, v21
	;; [unrolled: 1-line block ×3, first 2 shown]
	v_mul_f32_e32 v31, v30, v21
	v_mul_f32_e32 v22, v29, v31
	v_fma_f32 v24, v31, v29, -v22
	v_fmac_f32_e32 v24, v31, v5
	v_sub_f32_e32 v5, v23, v21
	v_add_f32_e32 v5, v20, v5
	v_add_f32_e32 v20, v22, v24
	v_sub_f32_e32 v23, v21, v20
	v_pk_add_f32 v[26:27], v[20:21], v[22:23] neg_lo:[0,1] neg_hi:[0,1]
	v_mov_b32_e32 v25, v20
	v_pk_add_f32 v[20:21], v[26:27], v[24:25] neg_lo:[0,1] neg_hi:[0,1]
	v_cvt_f32_i32_e32 v22, v28
	v_add_f32_e32 v5, v5, v21
	v_add_f32_e32 v5, v20, v5
	;; [unrolled: 1-line block ×4, first 2 shown]
	v_sub_f32_e32 v21, v20, v32
	v_mul_f32_e32 v5, v30, v5
	v_sub_f32_e32 v21, v31, v21
	v_add_f32_e32 v5, v21, v5
	v_add_f32_e32 v23, v20, v5
	v_mul_f32_e32 v24, v23, v23
	v_mov_b32_e32 v21, 0x3ecc95a3
	v_fmac_f32_e32 v21, 0x3e9b6dac, v24
	v_sub_f32_e32 v20, v23, v20
	v_fmaak_f32 v21, v24, v21, 0x3f2aaada
	v_sub_f32_e32 v5, v5, v20
	v_ldexp_f32 v25, v23, 1
	v_mul_f32_e32 v23, v23, v24
	v_mov_b32_e32 v20, 0x3f317218
	v_pk_mul_f32 v[20:21], v[22:23], v[20:21]
	v_ldexp_f32 v5, v5, 1
	v_fma_f32 v23, v22, s0, -v20
	v_fmamk_f32 v24, v22, 0xb102e308, v23
	v_pk_add_f32 v[22:23], v[20:21], v[24:25]
	v_mov_b32_e32 v26, v20
	v_sub_f32_e32 v25, v23, v25
	v_sub_f32_e32 v25, v21, v25
	v_add_f32_e32 v27, v5, v25
	v_pk_add_f32 v[20:21], v[22:23], v[20:21] neg_lo:[0,1] neg_hi:[0,1]
	v_pk_add_f32 v[28:29], v[22:23], v[26:27]
	v_mov_b32_e32 v25, v22
	v_mov_b32_e32 v21, v29
	v_pk_add_f32 v[30:31], v[24:25], v[20:21] neg_lo:[0,1] neg_hi:[0,1]
	v_pk_add_f32 v[20:21], v[24:25], v[20:21]
	v_mov_b32_e32 v26, v27
	v_pk_add_f32 v[24:25], v[20:21], v[22:23] op_sel:[1,0] op_sel_hi:[0,1] neg_lo:[0,1] neg_hi:[0,1]
	v_pk_add_f32 v[32:33], v[28:29], v[24:25] op_sel_hi:[1,0] neg_lo:[0,1] neg_hi:[0,1]
	v_mov_b32_e32 v28, v29
	v_mov_b32_e32 v29, v21
	v_pk_mov_b32 v[24:25], v[22:23], v[24:25] op_sel:[1,0]
	v_mov_b32_e32 v27, v22
	v_pk_add_f32 v[24:25], v[28:29], v[24:25] neg_lo:[0,1] neg_hi:[0,1]
	v_mov_b32_e32 v32, v30
	v_pk_add_f32 v[22:23], v[26:27], v[24:25] neg_lo:[0,1] neg_hi:[0,1]
	v_mov_b32_e32 v31, v21
	v_pk_add_f32 v[24:25], v[32:33], v[22:23]
	v_cmp_neq_f32_e64 s[0:1], s28, v1
	v_pk_add_f32 v[26:27], v[24:25], v[24:25] op_sel:[0,1] op_sel_hi:[1,0]
	s_nop 0
	v_pk_add_f32 v[20:21], v[20:21], v[26:27] op_sel:[1,0] op_sel_hi:[0,1]
	v_mov_b32_e32 v25, v20
	v_pk_add_f32 v[28:29], v[24:25], v[30:31] neg_lo:[0,1] neg_hi:[0,1]
	v_mov_b32_e32 v23, v26
	v_sub_f32_e32 v5, v24, v28
	v_pk_add_f32 v[22:23], v[22:23], v[28:29] neg_lo:[0,1] neg_hi:[0,1]
	v_sub_f32_e32 v5, v30, v5
	v_add_f32_e32 v5, v22, v5
	v_add_f32_e32 v5, v5, v23
	;; [unrolled: 1-line block ×3, first 2 shown]
	v_cndmask_b32_e64 v5, v18, v5, s[0:1]
	s_mov_b32 s0, 0x33800000
	v_cmp_lt_f32_e64 s[0:1], |v1|, s0
	s_nop 1
	v_cndmask_b32_e64 v1, v5, v1, s[0:1]
	v_add_f32_e32 v1, v17, v1
	v_cvt_f16_f32_e32 v21, v1
	v_cvt_f32_f16_e32 v1, v21
	v_mov_b32_e32 v5, v21
.LBB406_118:
	s_or_b64 exec, exec, s[26:27]
	v_max_f32_e32 v18, v16, v16
	v_max_f32_e32 v20, v1, v1
	v_min_f32_e32 v17, v20, v18
	v_cmp_u_f16_e64 s[0:1], v21, v21
	v_max_f32_e32 v18, v20, v18
	s_movk_i32 s26, 0x1f8
	v_cndmask_b32_e64 v17, v17, v1, s[0:1]
	v_cndmask_b32_e64 v1, v18, v1, s[0:1]
	;; [unrolled: 1-line block ×4, first 2 shown]
	v_cmp_neq_f32_e64 s[0:1], v17, v1
	v_cmp_class_f32_e64 s[26:27], v17, s26
	s_or_b64 s[0:1], s[0:1], s[26:27]
	v_mov_b32_e32 v16, v5
	s_and_saveexec_b64 s[26:27], s[0:1]
	s_cbranch_execz .LBB406_120
; %bb.119:
	v_sub_f32_e32 v16, v17, v1
	s_mov_b32 s0, 0x3fb8aa3b
	v_mul_f32_e32 v17, 0x3fb8aa3b, v16
	v_fma_f32 v18, v16, s0, -v17
	v_rndne_f32_e32 v20, v17
	v_fmamk_f32 v18, v16, 0x32a5705f, v18
	v_sub_f32_e32 v17, v17, v20
	v_add_f32_e32 v17, v17, v18
	v_exp_f32_e32 v17, v17
	v_cvt_i32_f32_e32 v18, v20
	s_mov_b32 s0, 0xc2ce8ed0
	v_cmp_ngt_f32_e64 s[0:1], s0, v16
	s_mov_b32 s28, 0x7f800000
	v_ldexp_f32 v17, v17, v18
	v_cndmask_b32_e64 v17, 0, v17, s[0:1]
	s_mov_b32 s0, 0x42b17218
	v_mov_b32_e32 v18, 0x7f800000
	v_cmp_nlt_f32_e64 s[0:1], s0, v16
	s_nop 1
	v_cndmask_b32_e64 v32, v18, v17, s[0:1]
	v_add_f32_e32 v20, 1.0, v32
	v_add_f32_e32 v16, -1.0, v20
	v_sub_f32_e32 v17, v16, v20
	v_add_f32_e32 v17, 1.0, v17
	v_sub_f32_e32 v16, v32, v16
	v_add_f32_e32 v21, v16, v17
	s_waitcnt lgkmcnt(0)
	v_frexp_mant_f32_e32 v22, v20
	s_mov_b32 s0, 0x3f2aaaab
	v_cvt_f64_f32_e32 v[16:17], v20
	v_frexp_exp_i32_f64_e32 v16, v[16:17]
	v_cmp_gt_f32_e64 s[0:1], s0, v22
	s_nop 1
	v_subbrev_co_u32_e64 v26, s[0:1], 0, v16, s[0:1]
	v_sub_u32_e32 v16, 0, v26
	v_ldexp_f32 v17, v20, v16
	v_add_f32_e32 v20, -1.0, v17
	v_add_f32_e32 v22, 1.0, v17
	v_ldexp_f32 v16, v21, v16
	v_add_f32_e32 v21, 1.0, v20
	v_add_f32_e32 v23, -1.0, v22
	v_sub_f32_e32 v21, v17, v21
	v_sub_f32_e32 v17, v17, v23
	v_add_f32_e32 v21, v16, v21
	v_add_f32_e32 v16, v16, v17
	;; [unrolled: 1-line block ×3, first 2 shown]
	v_rcp_f32_e32 v29, v27
	v_sub_f32_e32 v17, v22, v27
	v_add_f32_e32 v28, v16, v17
	v_add_f32_e32 v17, v20, v21
	v_mul_f32_e32 v31, v17, v29
	v_sub_f32_e32 v16, v20, v17
	v_mul_f32_e32 v20, v27, v31
	v_fma_f32 v22, v31, v27, -v20
	v_fmac_f32_e32 v22, v31, v28
	v_add_f32_e32 v30, v21, v16
	v_add_f32_e32 v16, v20, v22
	v_sub_f32_e32 v21, v17, v16
	v_pk_add_f32 v[24:25], v[16:17], v[20:21] neg_lo:[0,1] neg_hi:[0,1]
	v_mov_b32_e32 v23, v16
	v_pk_add_f32 v[16:17], v[24:25], v[22:23] neg_lo:[0,1] neg_hi:[0,1]
	s_mov_b32 s0, 0x3f317218
	v_add_f32_e32 v17, v30, v17
	v_add_f32_e32 v16, v16, v17
	;; [unrolled: 1-line block ×3, first 2 shown]
	v_mul_f32_e32 v30, v29, v17
	v_mul_f32_e32 v20, v27, v30
	v_fma_f32 v22, v30, v27, -v20
	v_fmac_f32_e32 v22, v30, v28
	v_sub_f32_e32 v21, v21, v17
	v_add_f32_e32 v27, v16, v21
	v_add_f32_e32 v16, v20, v22
	v_sub_f32_e32 v21, v17, v16
	v_pk_add_f32 v[24:25], v[16:17], v[20:21] neg_lo:[0,1] neg_hi:[0,1]
	v_mov_b32_e32 v23, v16
	v_pk_add_f32 v[16:17], v[24:25], v[22:23] neg_lo:[0,1] neg_hi:[0,1]
	v_cvt_f32_i32_e32 v20, v26
	v_add_f32_e32 v17, v27, v17
	v_add_f32_e32 v16, v16, v17
	;; [unrolled: 1-line block ×4, first 2 shown]
	v_sub_f32_e32 v17, v21, v31
	v_mul_f32_e32 v16, v29, v16
	v_sub_f32_e32 v17, v30, v17
	v_add_f32_e32 v16, v17, v16
	v_add_f32_e32 v22, v21, v16
	v_mul_f32_e32 v24, v22, v22
	v_mov_b32_e32 v17, 0x3ecc95a3
	v_sub_f32_e32 v21, v22, v21
	v_fmac_f32_e32 v17, 0x3e9b6dac, v24
	v_sub_f32_e32 v16, v16, v21
	v_fmaak_f32 v17, v24, v17, 0x3f2aaada
	v_ldexp_f32 v25, v16, 1
	v_mul_f32_e32 v21, v22, v24
	v_mov_b32_e32 v16, 0x3f317218
	v_pk_mul_f32 v[16:17], v[20:21], v[16:17]
	v_ldexp_f32 v23, v22, 1
	v_fma_f32 v21, v20, s0, -v16
	v_fmamk_f32 v22, v20, 0xb102e308, v21
	v_pk_add_f32 v[20:21], v[16:17], v[22:23]
	v_mov_b32_e32 v24, v16
	v_sub_f32_e32 v23, v21, v23
	v_sub_f32_e32 v23, v17, v23
	v_add_f32_e32 v25, v25, v23
	v_pk_add_f32 v[16:17], v[20:21], v[16:17] neg_lo:[0,1] neg_hi:[0,1]
	v_pk_add_f32 v[26:27], v[20:21], v[24:25]
	v_mov_b32_e32 v23, v20
	v_mov_b32_e32 v17, v27
	v_pk_add_f32 v[28:29], v[22:23], v[16:17] neg_lo:[0,1] neg_hi:[0,1]
	v_pk_add_f32 v[16:17], v[22:23], v[16:17]
	v_mov_b32_e32 v24, v25
	v_pk_add_f32 v[22:23], v[16:17], v[20:21] op_sel:[1,0] op_sel_hi:[0,1] neg_lo:[0,1] neg_hi:[0,1]
	v_pk_add_f32 v[30:31], v[26:27], v[22:23] op_sel_hi:[1,0] neg_lo:[0,1] neg_hi:[0,1]
	v_mov_b32_e32 v26, v27
	v_mov_b32_e32 v27, v17
	v_pk_mov_b32 v[22:23], v[20:21], v[22:23] op_sel:[1,0]
	v_mov_b32_e32 v25, v20
	v_pk_add_f32 v[22:23], v[26:27], v[22:23] neg_lo:[0,1] neg_hi:[0,1]
	v_mov_b32_e32 v30, v28
	v_pk_add_f32 v[20:21], v[24:25], v[22:23] neg_lo:[0,1] neg_hi:[0,1]
	v_mov_b32_e32 v29, v17
	v_pk_add_f32 v[22:23], v[30:31], v[20:21]
	v_cmp_neq_f32_e64 s[0:1], s28, v32
	v_pk_add_f32 v[24:25], v[22:23], v[22:23] op_sel:[0,1] op_sel_hi:[1,0]
	s_nop 0
	v_pk_add_f32 v[16:17], v[16:17], v[24:25] op_sel:[1,0] op_sel_hi:[0,1]
	v_mov_b32_e32 v23, v16
	v_pk_add_f32 v[26:27], v[22:23], v[28:29] neg_lo:[0,1] neg_hi:[0,1]
	v_mov_b32_e32 v21, v24
	v_sub_f32_e32 v17, v22, v26
	v_pk_add_f32 v[20:21], v[20:21], v[26:27] neg_lo:[0,1] neg_hi:[0,1]
	v_sub_f32_e32 v17, v28, v17
	v_add_f32_e32 v17, v20, v17
	v_add_f32_e32 v17, v17, v21
	;; [unrolled: 1-line block ×3, first 2 shown]
	v_cndmask_b32_e64 v16, v18, v16, s[0:1]
	s_mov_b32 s0, 0x33800000
	v_cmp_lt_f32_e64 s[0:1], |v32|, s0
	s_nop 1
	v_cndmask_b32_e64 v16, v16, v32, s[0:1]
	v_add_f32_e32 v1, v1, v16
	v_cvt_f16_f32_e32 v16, v1
.LBB406_120:
	s_or_b64 exec, exec, s[26:27]
	s_mov_b32 s0, 0x5040100
	v_add_u32_e32 v1, v8, v19
	v_perm_b32 v10, v11, v10, s0
	v_perm_b32 v2, v9, v2, s0
	s_waitcnt lgkmcnt(0)
	s_barrier
	ds_write2_b32 v1, v2, v10 offset1:1
	v_perm_b32 v2, v13, v6, s0
	v_perm_b32 v3, v12, v3, s0
	ds_write2_b32 v1, v3, v2 offset0:2 offset1:3
	v_perm_b32 v2, v15, v4, s0
	v_perm_b32 v3, v14, v7, s0
	ds_write2_b32 v1, v3, v2 offset0:4 offset1:5
	v_perm_b32 v2, v16, v5, s0
	ds_write_b32 v1, v2 offset:24
	s_waitcnt lgkmcnt(0)
	s_barrier
	ds_read_u16 v15, v8 offset:256
	ds_read_u16 v14, v8 offset:512
	;; [unrolled: 1-line block ×13, first 2 shown]
	v_lshlrev_b32_e32 v0, 1, v0
	v_mov_b32_e32 v1, 0
	v_lshl_add_u64 v[0:1], s[60:61], 0, v[0:1]
	s_and_saveexec_b64 s[0:1], vcc
	s_cbranch_execnz .LBB406_135
; %bb.121:
	s_or_b64 exec, exec, s[0:1]
	s_and_saveexec_b64 s[0:1], s[56:57]
	s_cbranch_execnz .LBB406_136
.LBB406_122:
	s_or_b64 exec, exec, s[0:1]
	s_and_saveexec_b64 s[0:1], s[2:3]
	s_cbranch_execnz .LBB406_137
.LBB406_123:
	s_or_b64 exec, exec, s[0:1]
	s_and_saveexec_b64 s[0:1], s[4:5]
	s_cbranch_execnz .LBB406_138
.LBB406_124:
	s_or_b64 exec, exec, s[0:1]
	s_and_saveexec_b64 s[0:1], s[6:7]
	s_cbranch_execnz .LBB406_139
.LBB406_125:
	s_or_b64 exec, exec, s[0:1]
	s_and_saveexec_b64 s[0:1], s[8:9]
	s_cbranch_execnz .LBB406_140
.LBB406_126:
	s_or_b64 exec, exec, s[0:1]
	s_and_saveexec_b64 s[0:1], s[10:11]
	s_cbranch_execnz .LBB406_141
.LBB406_127:
	s_or_b64 exec, exec, s[0:1]
	s_and_saveexec_b64 s[0:1], s[12:13]
	s_cbranch_execnz .LBB406_142
.LBB406_128:
	s_or_b64 exec, exec, s[0:1]
	s_and_saveexec_b64 s[0:1], s[14:15]
	s_cbranch_execnz .LBB406_143
.LBB406_129:
	s_or_b64 exec, exec, s[0:1]
	s_and_saveexec_b64 s[0:1], s[16:17]
	s_cbranch_execnz .LBB406_144
.LBB406_130:
	s_or_b64 exec, exec, s[0:1]
	s_and_saveexec_b64 s[0:1], s[18:19]
	s_cbranch_execnz .LBB406_145
.LBB406_131:
	s_or_b64 exec, exec, s[0:1]
	s_and_saveexec_b64 s[0:1], s[20:21]
	s_cbranch_execnz .LBB406_146
.LBB406_132:
	s_or_b64 exec, exec, s[0:1]
	s_and_saveexec_b64 s[0:1], s[22:23]
	s_cbranch_execnz .LBB406_147
.LBB406_133:
	s_or_b64 exec, exec, s[0:1]
	s_and_saveexec_b64 s[0:1], s[24:25]
	s_cbranch_execnz .LBB406_148
.LBB406_134:
	s_endpgm
.LBB406_135:
	ds_read_u16 v8, v8
	s_waitcnt lgkmcnt(0)
	global_store_short v[0:1], v8, off
	s_or_b64 exec, exec, s[0:1]
	s_and_saveexec_b64 s[0:1], s[56:57]
	s_cbranch_execz .LBB406_122
.LBB406_136:
	s_waitcnt lgkmcnt(12)
	global_store_short v[0:1], v15, off offset:256
	s_or_b64 exec, exec, s[0:1]
	s_and_saveexec_b64 s[0:1], s[2:3]
	s_cbranch_execz .LBB406_123
.LBB406_137:
	s_waitcnt lgkmcnt(11)
	global_store_short v[0:1], v14, off offset:512
	s_or_b64 exec, exec, s[0:1]
	s_and_saveexec_b64 s[0:1], s[4:5]
	s_cbranch_execz .LBB406_124
.LBB406_138:
	s_waitcnt lgkmcnt(10)
	global_store_short v[0:1], v13, off offset:768
	s_or_b64 exec, exec, s[0:1]
	s_and_saveexec_b64 s[0:1], s[6:7]
	s_cbranch_execz .LBB406_125
.LBB406_139:
	s_waitcnt lgkmcnt(9)
	global_store_short v[0:1], v12, off offset:1024
	s_or_b64 exec, exec, s[0:1]
	s_and_saveexec_b64 s[0:1], s[8:9]
	s_cbranch_execz .LBB406_126
.LBB406_140:
	s_waitcnt lgkmcnt(8)
	global_store_short v[0:1], v11, off offset:1280
	s_or_b64 exec, exec, s[0:1]
	s_and_saveexec_b64 s[0:1], s[10:11]
	s_cbranch_execz .LBB406_127
.LBB406_141:
	s_waitcnt lgkmcnt(7)
	global_store_short v[0:1], v10, off offset:1536
	s_or_b64 exec, exec, s[0:1]
	s_and_saveexec_b64 s[0:1], s[12:13]
	s_cbranch_execz .LBB406_128
.LBB406_142:
	s_waitcnt lgkmcnt(6)
	global_store_short v[0:1], v9, off offset:1792
	s_or_b64 exec, exec, s[0:1]
	s_and_saveexec_b64 s[0:1], s[14:15]
	s_cbranch_execz .LBB406_129
.LBB406_143:
	s_waitcnt lgkmcnt(5)
	global_store_short v[0:1], v7, off offset:2048
	s_or_b64 exec, exec, s[0:1]
	s_and_saveexec_b64 s[0:1], s[16:17]
	s_cbranch_execz .LBB406_130
.LBB406_144:
	s_waitcnt lgkmcnt(4)
	global_store_short v[0:1], v6, off offset:2304
	s_or_b64 exec, exec, s[0:1]
	s_and_saveexec_b64 s[0:1], s[18:19]
	s_cbranch_execz .LBB406_131
.LBB406_145:
	s_waitcnt lgkmcnt(3)
	global_store_short v[0:1], v5, off offset:2560
	s_or_b64 exec, exec, s[0:1]
	s_and_saveexec_b64 s[0:1], s[20:21]
	s_cbranch_execz .LBB406_132
.LBB406_146:
	s_waitcnt lgkmcnt(2)
	global_store_short v[0:1], v4, off offset:2816
	s_or_b64 exec, exec, s[0:1]
	s_and_saveexec_b64 s[0:1], s[22:23]
	s_cbranch_execz .LBB406_133
.LBB406_147:
	s_waitcnt lgkmcnt(1)
	global_store_short v[0:1], v3, off offset:3072
	s_or_b64 exec, exec, s[0:1]
	s_and_saveexec_b64 s[0:1], s[24:25]
	s_cbranch_execz .LBB406_134
.LBB406_148:
	s_waitcnt lgkmcnt(0)
	global_store_short v[0:1], v2, off offset:3328
	s_endpgm
	.section	.rodata,"a",@progbits
	.p2align	6, 0x0
	.amdhsa_kernel _ZN7rocprim17ROCPRIM_400000_NS6detail17trampoline_kernelINS0_14default_configENS1_20scan_config_selectorIN3c104HalfEEEZZNS1_9scan_implILNS1_25lookback_scan_determinismE0ELb0ELb0ES3_PKS6_PS6_S6_ZZZN2at6native31launch_logcumsumexp_cuda_kernelERKNSD_10TensorBaseESH_lENKUlvE_clEvENKUlvE3_clEvEUlS6_S6_E_S6_EEDaPvRmT3_T4_T5_mT6_P12ihipStream_tbENKUlT_T0_E_clISt17integral_constantIbLb1EESX_IbLb0EEEEDaST_SU_EUlST_E0_NS1_11comp_targetILNS1_3genE0ELNS1_11target_archE4294967295ELNS1_3gpuE0ELNS1_3repE0EEENS1_30default_config_static_selectorELNS0_4arch9wavefront6targetE1EEEvT1_
		.amdhsa_group_segment_fixed_size 3584
		.amdhsa_private_segment_fixed_size 0
		.amdhsa_kernarg_size 32
		.amdhsa_user_sgpr_count 2
		.amdhsa_user_sgpr_dispatch_ptr 0
		.amdhsa_user_sgpr_queue_ptr 0
		.amdhsa_user_sgpr_kernarg_segment_ptr 1
		.amdhsa_user_sgpr_dispatch_id 0
		.amdhsa_user_sgpr_kernarg_preload_length 0
		.amdhsa_user_sgpr_kernarg_preload_offset 0
		.amdhsa_user_sgpr_private_segment_size 0
		.amdhsa_uses_dynamic_stack 0
		.amdhsa_enable_private_segment 0
		.amdhsa_system_sgpr_workgroup_id_x 1
		.amdhsa_system_sgpr_workgroup_id_y 0
		.amdhsa_system_sgpr_workgroup_id_z 0
		.amdhsa_system_sgpr_workgroup_info 0
		.amdhsa_system_vgpr_workitem_id 0
		.amdhsa_next_free_vgpr 40
		.amdhsa_next_free_sgpr 66
		.amdhsa_accum_offset 40
		.amdhsa_reserve_vcc 1
		.amdhsa_float_round_mode_32 0
		.amdhsa_float_round_mode_16_64 0
		.amdhsa_float_denorm_mode_32 3
		.amdhsa_float_denorm_mode_16_64 3
		.amdhsa_dx10_clamp 1
		.amdhsa_ieee_mode 1
		.amdhsa_fp16_overflow 0
		.amdhsa_tg_split 0
		.amdhsa_exception_fp_ieee_invalid_op 0
		.amdhsa_exception_fp_denorm_src 0
		.amdhsa_exception_fp_ieee_div_zero 0
		.amdhsa_exception_fp_ieee_overflow 0
		.amdhsa_exception_fp_ieee_underflow 0
		.amdhsa_exception_fp_ieee_inexact 0
		.amdhsa_exception_int_div_zero 0
	.end_amdhsa_kernel
	.section	.text._ZN7rocprim17ROCPRIM_400000_NS6detail17trampoline_kernelINS0_14default_configENS1_20scan_config_selectorIN3c104HalfEEEZZNS1_9scan_implILNS1_25lookback_scan_determinismE0ELb0ELb0ES3_PKS6_PS6_S6_ZZZN2at6native31launch_logcumsumexp_cuda_kernelERKNSD_10TensorBaseESH_lENKUlvE_clEvENKUlvE3_clEvEUlS6_S6_E_S6_EEDaPvRmT3_T4_T5_mT6_P12ihipStream_tbENKUlT_T0_E_clISt17integral_constantIbLb1EESX_IbLb0EEEEDaST_SU_EUlST_E0_NS1_11comp_targetILNS1_3genE0ELNS1_11target_archE4294967295ELNS1_3gpuE0ELNS1_3repE0EEENS1_30default_config_static_selectorELNS0_4arch9wavefront6targetE1EEEvT1_,"axG",@progbits,_ZN7rocprim17ROCPRIM_400000_NS6detail17trampoline_kernelINS0_14default_configENS1_20scan_config_selectorIN3c104HalfEEEZZNS1_9scan_implILNS1_25lookback_scan_determinismE0ELb0ELb0ES3_PKS6_PS6_S6_ZZZN2at6native31launch_logcumsumexp_cuda_kernelERKNSD_10TensorBaseESH_lENKUlvE_clEvENKUlvE3_clEvEUlS6_S6_E_S6_EEDaPvRmT3_T4_T5_mT6_P12ihipStream_tbENKUlT_T0_E_clISt17integral_constantIbLb1EESX_IbLb0EEEEDaST_SU_EUlST_E0_NS1_11comp_targetILNS1_3genE0ELNS1_11target_archE4294967295ELNS1_3gpuE0ELNS1_3repE0EEENS1_30default_config_static_selectorELNS0_4arch9wavefront6targetE1EEEvT1_,comdat
.Lfunc_end406:
	.size	_ZN7rocprim17ROCPRIM_400000_NS6detail17trampoline_kernelINS0_14default_configENS1_20scan_config_selectorIN3c104HalfEEEZZNS1_9scan_implILNS1_25lookback_scan_determinismE0ELb0ELb0ES3_PKS6_PS6_S6_ZZZN2at6native31launch_logcumsumexp_cuda_kernelERKNSD_10TensorBaseESH_lENKUlvE_clEvENKUlvE3_clEvEUlS6_S6_E_S6_EEDaPvRmT3_T4_T5_mT6_P12ihipStream_tbENKUlT_T0_E_clISt17integral_constantIbLb1EESX_IbLb0EEEEDaST_SU_EUlST_E0_NS1_11comp_targetILNS1_3genE0ELNS1_11target_archE4294967295ELNS1_3gpuE0ELNS1_3repE0EEENS1_30default_config_static_selectorELNS0_4arch9wavefront6targetE1EEEvT1_, .Lfunc_end406-_ZN7rocprim17ROCPRIM_400000_NS6detail17trampoline_kernelINS0_14default_configENS1_20scan_config_selectorIN3c104HalfEEEZZNS1_9scan_implILNS1_25lookback_scan_determinismE0ELb0ELb0ES3_PKS6_PS6_S6_ZZZN2at6native31launch_logcumsumexp_cuda_kernelERKNSD_10TensorBaseESH_lENKUlvE_clEvENKUlvE3_clEvEUlS6_S6_E_S6_EEDaPvRmT3_T4_T5_mT6_P12ihipStream_tbENKUlT_T0_E_clISt17integral_constantIbLb1EESX_IbLb0EEEEDaST_SU_EUlST_E0_NS1_11comp_targetILNS1_3genE0ELNS1_11target_archE4294967295ELNS1_3gpuE0ELNS1_3repE0EEENS1_30default_config_static_selectorELNS0_4arch9wavefront6targetE1EEEvT1_
                                        ; -- End function
	.set _ZN7rocprim17ROCPRIM_400000_NS6detail17trampoline_kernelINS0_14default_configENS1_20scan_config_selectorIN3c104HalfEEEZZNS1_9scan_implILNS1_25lookback_scan_determinismE0ELb0ELb0ES3_PKS6_PS6_S6_ZZZN2at6native31launch_logcumsumexp_cuda_kernelERKNSD_10TensorBaseESH_lENKUlvE_clEvENKUlvE3_clEvEUlS6_S6_E_S6_EEDaPvRmT3_T4_T5_mT6_P12ihipStream_tbENKUlT_T0_E_clISt17integral_constantIbLb1EESX_IbLb0EEEEDaST_SU_EUlST_E0_NS1_11comp_targetILNS1_3genE0ELNS1_11target_archE4294967295ELNS1_3gpuE0ELNS1_3repE0EEENS1_30default_config_static_selectorELNS0_4arch9wavefront6targetE1EEEvT1_.num_vgpr, 40
	.set _ZN7rocprim17ROCPRIM_400000_NS6detail17trampoline_kernelINS0_14default_configENS1_20scan_config_selectorIN3c104HalfEEEZZNS1_9scan_implILNS1_25lookback_scan_determinismE0ELb0ELb0ES3_PKS6_PS6_S6_ZZZN2at6native31launch_logcumsumexp_cuda_kernelERKNSD_10TensorBaseESH_lENKUlvE_clEvENKUlvE3_clEvEUlS6_S6_E_S6_EEDaPvRmT3_T4_T5_mT6_P12ihipStream_tbENKUlT_T0_E_clISt17integral_constantIbLb1EESX_IbLb0EEEEDaST_SU_EUlST_E0_NS1_11comp_targetILNS1_3genE0ELNS1_11target_archE4294967295ELNS1_3gpuE0ELNS1_3repE0EEENS1_30default_config_static_selectorELNS0_4arch9wavefront6targetE1EEEvT1_.num_agpr, 0
	.set _ZN7rocprim17ROCPRIM_400000_NS6detail17trampoline_kernelINS0_14default_configENS1_20scan_config_selectorIN3c104HalfEEEZZNS1_9scan_implILNS1_25lookback_scan_determinismE0ELb0ELb0ES3_PKS6_PS6_S6_ZZZN2at6native31launch_logcumsumexp_cuda_kernelERKNSD_10TensorBaseESH_lENKUlvE_clEvENKUlvE3_clEvEUlS6_S6_E_S6_EEDaPvRmT3_T4_T5_mT6_P12ihipStream_tbENKUlT_T0_E_clISt17integral_constantIbLb1EESX_IbLb0EEEEDaST_SU_EUlST_E0_NS1_11comp_targetILNS1_3genE0ELNS1_11target_archE4294967295ELNS1_3gpuE0ELNS1_3repE0EEENS1_30default_config_static_selectorELNS0_4arch9wavefront6targetE1EEEvT1_.numbered_sgpr, 66
	.set _ZN7rocprim17ROCPRIM_400000_NS6detail17trampoline_kernelINS0_14default_configENS1_20scan_config_selectorIN3c104HalfEEEZZNS1_9scan_implILNS1_25lookback_scan_determinismE0ELb0ELb0ES3_PKS6_PS6_S6_ZZZN2at6native31launch_logcumsumexp_cuda_kernelERKNSD_10TensorBaseESH_lENKUlvE_clEvENKUlvE3_clEvEUlS6_S6_E_S6_EEDaPvRmT3_T4_T5_mT6_P12ihipStream_tbENKUlT_T0_E_clISt17integral_constantIbLb1EESX_IbLb0EEEEDaST_SU_EUlST_E0_NS1_11comp_targetILNS1_3genE0ELNS1_11target_archE4294967295ELNS1_3gpuE0ELNS1_3repE0EEENS1_30default_config_static_selectorELNS0_4arch9wavefront6targetE1EEEvT1_.num_named_barrier, 0
	.set _ZN7rocprim17ROCPRIM_400000_NS6detail17trampoline_kernelINS0_14default_configENS1_20scan_config_selectorIN3c104HalfEEEZZNS1_9scan_implILNS1_25lookback_scan_determinismE0ELb0ELb0ES3_PKS6_PS6_S6_ZZZN2at6native31launch_logcumsumexp_cuda_kernelERKNSD_10TensorBaseESH_lENKUlvE_clEvENKUlvE3_clEvEUlS6_S6_E_S6_EEDaPvRmT3_T4_T5_mT6_P12ihipStream_tbENKUlT_T0_E_clISt17integral_constantIbLb1EESX_IbLb0EEEEDaST_SU_EUlST_E0_NS1_11comp_targetILNS1_3genE0ELNS1_11target_archE4294967295ELNS1_3gpuE0ELNS1_3repE0EEENS1_30default_config_static_selectorELNS0_4arch9wavefront6targetE1EEEvT1_.private_seg_size, 0
	.set _ZN7rocprim17ROCPRIM_400000_NS6detail17trampoline_kernelINS0_14default_configENS1_20scan_config_selectorIN3c104HalfEEEZZNS1_9scan_implILNS1_25lookback_scan_determinismE0ELb0ELb0ES3_PKS6_PS6_S6_ZZZN2at6native31launch_logcumsumexp_cuda_kernelERKNSD_10TensorBaseESH_lENKUlvE_clEvENKUlvE3_clEvEUlS6_S6_E_S6_EEDaPvRmT3_T4_T5_mT6_P12ihipStream_tbENKUlT_T0_E_clISt17integral_constantIbLb1EESX_IbLb0EEEEDaST_SU_EUlST_E0_NS1_11comp_targetILNS1_3genE0ELNS1_11target_archE4294967295ELNS1_3gpuE0ELNS1_3repE0EEENS1_30default_config_static_selectorELNS0_4arch9wavefront6targetE1EEEvT1_.uses_vcc, 1
	.set _ZN7rocprim17ROCPRIM_400000_NS6detail17trampoline_kernelINS0_14default_configENS1_20scan_config_selectorIN3c104HalfEEEZZNS1_9scan_implILNS1_25lookback_scan_determinismE0ELb0ELb0ES3_PKS6_PS6_S6_ZZZN2at6native31launch_logcumsumexp_cuda_kernelERKNSD_10TensorBaseESH_lENKUlvE_clEvENKUlvE3_clEvEUlS6_S6_E_S6_EEDaPvRmT3_T4_T5_mT6_P12ihipStream_tbENKUlT_T0_E_clISt17integral_constantIbLb1EESX_IbLb0EEEEDaST_SU_EUlST_E0_NS1_11comp_targetILNS1_3genE0ELNS1_11target_archE4294967295ELNS1_3gpuE0ELNS1_3repE0EEENS1_30default_config_static_selectorELNS0_4arch9wavefront6targetE1EEEvT1_.uses_flat_scratch, 0
	.set _ZN7rocprim17ROCPRIM_400000_NS6detail17trampoline_kernelINS0_14default_configENS1_20scan_config_selectorIN3c104HalfEEEZZNS1_9scan_implILNS1_25lookback_scan_determinismE0ELb0ELb0ES3_PKS6_PS6_S6_ZZZN2at6native31launch_logcumsumexp_cuda_kernelERKNSD_10TensorBaseESH_lENKUlvE_clEvENKUlvE3_clEvEUlS6_S6_E_S6_EEDaPvRmT3_T4_T5_mT6_P12ihipStream_tbENKUlT_T0_E_clISt17integral_constantIbLb1EESX_IbLb0EEEEDaST_SU_EUlST_E0_NS1_11comp_targetILNS1_3genE0ELNS1_11target_archE4294967295ELNS1_3gpuE0ELNS1_3repE0EEENS1_30default_config_static_selectorELNS0_4arch9wavefront6targetE1EEEvT1_.has_dyn_sized_stack, 0
	.set _ZN7rocprim17ROCPRIM_400000_NS6detail17trampoline_kernelINS0_14default_configENS1_20scan_config_selectorIN3c104HalfEEEZZNS1_9scan_implILNS1_25lookback_scan_determinismE0ELb0ELb0ES3_PKS6_PS6_S6_ZZZN2at6native31launch_logcumsumexp_cuda_kernelERKNSD_10TensorBaseESH_lENKUlvE_clEvENKUlvE3_clEvEUlS6_S6_E_S6_EEDaPvRmT3_T4_T5_mT6_P12ihipStream_tbENKUlT_T0_E_clISt17integral_constantIbLb1EESX_IbLb0EEEEDaST_SU_EUlST_E0_NS1_11comp_targetILNS1_3genE0ELNS1_11target_archE4294967295ELNS1_3gpuE0ELNS1_3repE0EEENS1_30default_config_static_selectorELNS0_4arch9wavefront6targetE1EEEvT1_.has_recursion, 0
	.set _ZN7rocprim17ROCPRIM_400000_NS6detail17trampoline_kernelINS0_14default_configENS1_20scan_config_selectorIN3c104HalfEEEZZNS1_9scan_implILNS1_25lookback_scan_determinismE0ELb0ELb0ES3_PKS6_PS6_S6_ZZZN2at6native31launch_logcumsumexp_cuda_kernelERKNSD_10TensorBaseESH_lENKUlvE_clEvENKUlvE3_clEvEUlS6_S6_E_S6_EEDaPvRmT3_T4_T5_mT6_P12ihipStream_tbENKUlT_T0_E_clISt17integral_constantIbLb1EESX_IbLb0EEEEDaST_SU_EUlST_E0_NS1_11comp_targetILNS1_3genE0ELNS1_11target_archE4294967295ELNS1_3gpuE0ELNS1_3repE0EEENS1_30default_config_static_selectorELNS0_4arch9wavefront6targetE1EEEvT1_.has_indirect_call, 0
	.section	.AMDGPU.csdata,"",@progbits
; Kernel info:
; codeLenInByte = 33060
; TotalNumSgprs: 72
; NumVgprs: 40
; NumAgprs: 0
; TotalNumVgprs: 40
; ScratchSize: 0
; MemoryBound: 0
; FloatMode: 240
; IeeeMode: 1
; LDSByteSize: 3584 bytes/workgroup (compile time only)
; SGPRBlocks: 8
; VGPRBlocks: 4
; NumSGPRsForWavesPerEU: 72
; NumVGPRsForWavesPerEU: 40
; AccumOffset: 40
; Occupancy: 8
; WaveLimiterHint : 0
; COMPUTE_PGM_RSRC2:SCRATCH_EN: 0
; COMPUTE_PGM_RSRC2:USER_SGPR: 2
; COMPUTE_PGM_RSRC2:TRAP_HANDLER: 0
; COMPUTE_PGM_RSRC2:TGID_X_EN: 1
; COMPUTE_PGM_RSRC2:TGID_Y_EN: 0
; COMPUTE_PGM_RSRC2:TGID_Z_EN: 0
; COMPUTE_PGM_RSRC2:TIDIG_COMP_CNT: 0
; COMPUTE_PGM_RSRC3_GFX90A:ACCUM_OFFSET: 9
; COMPUTE_PGM_RSRC3_GFX90A:TG_SPLIT: 0
	.section	.text._ZN7rocprim17ROCPRIM_400000_NS6detail17trampoline_kernelINS0_14default_configENS1_20scan_config_selectorIN3c104HalfEEEZZNS1_9scan_implILNS1_25lookback_scan_determinismE0ELb0ELb0ES3_PKS6_PS6_S6_ZZZN2at6native31launch_logcumsumexp_cuda_kernelERKNSD_10TensorBaseESH_lENKUlvE_clEvENKUlvE3_clEvEUlS6_S6_E_S6_EEDaPvRmT3_T4_T5_mT6_P12ihipStream_tbENKUlT_T0_E_clISt17integral_constantIbLb1EESX_IbLb0EEEEDaST_SU_EUlST_E0_NS1_11comp_targetILNS1_3genE5ELNS1_11target_archE942ELNS1_3gpuE9ELNS1_3repE0EEENS1_30default_config_static_selectorELNS0_4arch9wavefront6targetE1EEEvT1_,"axG",@progbits,_ZN7rocprim17ROCPRIM_400000_NS6detail17trampoline_kernelINS0_14default_configENS1_20scan_config_selectorIN3c104HalfEEEZZNS1_9scan_implILNS1_25lookback_scan_determinismE0ELb0ELb0ES3_PKS6_PS6_S6_ZZZN2at6native31launch_logcumsumexp_cuda_kernelERKNSD_10TensorBaseESH_lENKUlvE_clEvENKUlvE3_clEvEUlS6_S6_E_S6_EEDaPvRmT3_T4_T5_mT6_P12ihipStream_tbENKUlT_T0_E_clISt17integral_constantIbLb1EESX_IbLb0EEEEDaST_SU_EUlST_E0_NS1_11comp_targetILNS1_3genE5ELNS1_11target_archE942ELNS1_3gpuE9ELNS1_3repE0EEENS1_30default_config_static_selectorELNS0_4arch9wavefront6targetE1EEEvT1_,comdat
	.globl	_ZN7rocprim17ROCPRIM_400000_NS6detail17trampoline_kernelINS0_14default_configENS1_20scan_config_selectorIN3c104HalfEEEZZNS1_9scan_implILNS1_25lookback_scan_determinismE0ELb0ELb0ES3_PKS6_PS6_S6_ZZZN2at6native31launch_logcumsumexp_cuda_kernelERKNSD_10TensorBaseESH_lENKUlvE_clEvENKUlvE3_clEvEUlS6_S6_E_S6_EEDaPvRmT3_T4_T5_mT6_P12ihipStream_tbENKUlT_T0_E_clISt17integral_constantIbLb1EESX_IbLb0EEEEDaST_SU_EUlST_E0_NS1_11comp_targetILNS1_3genE5ELNS1_11target_archE942ELNS1_3gpuE9ELNS1_3repE0EEENS1_30default_config_static_selectorELNS0_4arch9wavefront6targetE1EEEvT1_ ; -- Begin function _ZN7rocprim17ROCPRIM_400000_NS6detail17trampoline_kernelINS0_14default_configENS1_20scan_config_selectorIN3c104HalfEEEZZNS1_9scan_implILNS1_25lookback_scan_determinismE0ELb0ELb0ES3_PKS6_PS6_S6_ZZZN2at6native31launch_logcumsumexp_cuda_kernelERKNSD_10TensorBaseESH_lENKUlvE_clEvENKUlvE3_clEvEUlS6_S6_E_S6_EEDaPvRmT3_T4_T5_mT6_P12ihipStream_tbENKUlT_T0_E_clISt17integral_constantIbLb1EESX_IbLb0EEEEDaST_SU_EUlST_E0_NS1_11comp_targetILNS1_3genE5ELNS1_11target_archE942ELNS1_3gpuE9ELNS1_3repE0EEENS1_30default_config_static_selectorELNS0_4arch9wavefront6targetE1EEEvT1_
	.p2align	8
	.type	_ZN7rocprim17ROCPRIM_400000_NS6detail17trampoline_kernelINS0_14default_configENS1_20scan_config_selectorIN3c104HalfEEEZZNS1_9scan_implILNS1_25lookback_scan_determinismE0ELb0ELb0ES3_PKS6_PS6_S6_ZZZN2at6native31launch_logcumsumexp_cuda_kernelERKNSD_10TensorBaseESH_lENKUlvE_clEvENKUlvE3_clEvEUlS6_S6_E_S6_EEDaPvRmT3_T4_T5_mT6_P12ihipStream_tbENKUlT_T0_E_clISt17integral_constantIbLb1EESX_IbLb0EEEEDaST_SU_EUlST_E0_NS1_11comp_targetILNS1_3genE5ELNS1_11target_archE942ELNS1_3gpuE9ELNS1_3repE0EEENS1_30default_config_static_selectorELNS0_4arch9wavefront6targetE1EEEvT1_,@function
_ZN7rocprim17ROCPRIM_400000_NS6detail17trampoline_kernelINS0_14default_configENS1_20scan_config_selectorIN3c104HalfEEEZZNS1_9scan_implILNS1_25lookback_scan_determinismE0ELb0ELb0ES3_PKS6_PS6_S6_ZZZN2at6native31launch_logcumsumexp_cuda_kernelERKNSD_10TensorBaseESH_lENKUlvE_clEvENKUlvE3_clEvEUlS6_S6_E_S6_EEDaPvRmT3_T4_T5_mT6_P12ihipStream_tbENKUlT_T0_E_clISt17integral_constantIbLb1EESX_IbLb0EEEEDaST_SU_EUlST_E0_NS1_11comp_targetILNS1_3genE5ELNS1_11target_archE942ELNS1_3gpuE9ELNS1_3repE0EEENS1_30default_config_static_selectorELNS0_4arch9wavefront6targetE1EEEvT1_: ; @_ZN7rocprim17ROCPRIM_400000_NS6detail17trampoline_kernelINS0_14default_configENS1_20scan_config_selectorIN3c104HalfEEEZZNS1_9scan_implILNS1_25lookback_scan_determinismE0ELb0ELb0ES3_PKS6_PS6_S6_ZZZN2at6native31launch_logcumsumexp_cuda_kernelERKNSD_10TensorBaseESH_lENKUlvE_clEvENKUlvE3_clEvEUlS6_S6_E_S6_EEDaPvRmT3_T4_T5_mT6_P12ihipStream_tbENKUlT_T0_E_clISt17integral_constantIbLb1EESX_IbLb0EEEEDaST_SU_EUlST_E0_NS1_11comp_targetILNS1_3genE5ELNS1_11target_archE942ELNS1_3gpuE9ELNS1_3repE0EEENS1_30default_config_static_selectorELNS0_4arch9wavefront6targetE1EEEvT1_
; %bb.0:
	.section	.rodata,"a",@progbits
	.p2align	6, 0x0
	.amdhsa_kernel _ZN7rocprim17ROCPRIM_400000_NS6detail17trampoline_kernelINS0_14default_configENS1_20scan_config_selectorIN3c104HalfEEEZZNS1_9scan_implILNS1_25lookback_scan_determinismE0ELb0ELb0ES3_PKS6_PS6_S6_ZZZN2at6native31launch_logcumsumexp_cuda_kernelERKNSD_10TensorBaseESH_lENKUlvE_clEvENKUlvE3_clEvEUlS6_S6_E_S6_EEDaPvRmT3_T4_T5_mT6_P12ihipStream_tbENKUlT_T0_E_clISt17integral_constantIbLb1EESX_IbLb0EEEEDaST_SU_EUlST_E0_NS1_11comp_targetILNS1_3genE5ELNS1_11target_archE942ELNS1_3gpuE9ELNS1_3repE0EEENS1_30default_config_static_selectorELNS0_4arch9wavefront6targetE1EEEvT1_
		.amdhsa_group_segment_fixed_size 0
		.amdhsa_private_segment_fixed_size 0
		.amdhsa_kernarg_size 32
		.amdhsa_user_sgpr_count 2
		.amdhsa_user_sgpr_dispatch_ptr 0
		.amdhsa_user_sgpr_queue_ptr 0
		.amdhsa_user_sgpr_kernarg_segment_ptr 1
		.amdhsa_user_sgpr_dispatch_id 0
		.amdhsa_user_sgpr_kernarg_preload_length 0
		.amdhsa_user_sgpr_kernarg_preload_offset 0
		.amdhsa_user_sgpr_private_segment_size 0
		.amdhsa_uses_dynamic_stack 0
		.amdhsa_enable_private_segment 0
		.amdhsa_system_sgpr_workgroup_id_x 1
		.amdhsa_system_sgpr_workgroup_id_y 0
		.amdhsa_system_sgpr_workgroup_id_z 0
		.amdhsa_system_sgpr_workgroup_info 0
		.amdhsa_system_vgpr_workitem_id 0
		.amdhsa_next_free_vgpr 1
		.amdhsa_next_free_sgpr 0
		.amdhsa_accum_offset 4
		.amdhsa_reserve_vcc 0
		.amdhsa_float_round_mode_32 0
		.amdhsa_float_round_mode_16_64 0
		.amdhsa_float_denorm_mode_32 3
		.amdhsa_float_denorm_mode_16_64 3
		.amdhsa_dx10_clamp 1
		.amdhsa_ieee_mode 1
		.amdhsa_fp16_overflow 0
		.amdhsa_tg_split 0
		.amdhsa_exception_fp_ieee_invalid_op 0
		.amdhsa_exception_fp_denorm_src 0
		.amdhsa_exception_fp_ieee_div_zero 0
		.amdhsa_exception_fp_ieee_overflow 0
		.amdhsa_exception_fp_ieee_underflow 0
		.amdhsa_exception_fp_ieee_inexact 0
		.amdhsa_exception_int_div_zero 0
	.end_amdhsa_kernel
	.section	.text._ZN7rocprim17ROCPRIM_400000_NS6detail17trampoline_kernelINS0_14default_configENS1_20scan_config_selectorIN3c104HalfEEEZZNS1_9scan_implILNS1_25lookback_scan_determinismE0ELb0ELb0ES3_PKS6_PS6_S6_ZZZN2at6native31launch_logcumsumexp_cuda_kernelERKNSD_10TensorBaseESH_lENKUlvE_clEvENKUlvE3_clEvEUlS6_S6_E_S6_EEDaPvRmT3_T4_T5_mT6_P12ihipStream_tbENKUlT_T0_E_clISt17integral_constantIbLb1EESX_IbLb0EEEEDaST_SU_EUlST_E0_NS1_11comp_targetILNS1_3genE5ELNS1_11target_archE942ELNS1_3gpuE9ELNS1_3repE0EEENS1_30default_config_static_selectorELNS0_4arch9wavefront6targetE1EEEvT1_,"axG",@progbits,_ZN7rocprim17ROCPRIM_400000_NS6detail17trampoline_kernelINS0_14default_configENS1_20scan_config_selectorIN3c104HalfEEEZZNS1_9scan_implILNS1_25lookback_scan_determinismE0ELb0ELb0ES3_PKS6_PS6_S6_ZZZN2at6native31launch_logcumsumexp_cuda_kernelERKNSD_10TensorBaseESH_lENKUlvE_clEvENKUlvE3_clEvEUlS6_S6_E_S6_EEDaPvRmT3_T4_T5_mT6_P12ihipStream_tbENKUlT_T0_E_clISt17integral_constantIbLb1EESX_IbLb0EEEEDaST_SU_EUlST_E0_NS1_11comp_targetILNS1_3genE5ELNS1_11target_archE942ELNS1_3gpuE9ELNS1_3repE0EEENS1_30default_config_static_selectorELNS0_4arch9wavefront6targetE1EEEvT1_,comdat
.Lfunc_end407:
	.size	_ZN7rocprim17ROCPRIM_400000_NS6detail17trampoline_kernelINS0_14default_configENS1_20scan_config_selectorIN3c104HalfEEEZZNS1_9scan_implILNS1_25lookback_scan_determinismE0ELb0ELb0ES3_PKS6_PS6_S6_ZZZN2at6native31launch_logcumsumexp_cuda_kernelERKNSD_10TensorBaseESH_lENKUlvE_clEvENKUlvE3_clEvEUlS6_S6_E_S6_EEDaPvRmT3_T4_T5_mT6_P12ihipStream_tbENKUlT_T0_E_clISt17integral_constantIbLb1EESX_IbLb0EEEEDaST_SU_EUlST_E0_NS1_11comp_targetILNS1_3genE5ELNS1_11target_archE942ELNS1_3gpuE9ELNS1_3repE0EEENS1_30default_config_static_selectorELNS0_4arch9wavefront6targetE1EEEvT1_, .Lfunc_end407-_ZN7rocprim17ROCPRIM_400000_NS6detail17trampoline_kernelINS0_14default_configENS1_20scan_config_selectorIN3c104HalfEEEZZNS1_9scan_implILNS1_25lookback_scan_determinismE0ELb0ELb0ES3_PKS6_PS6_S6_ZZZN2at6native31launch_logcumsumexp_cuda_kernelERKNSD_10TensorBaseESH_lENKUlvE_clEvENKUlvE3_clEvEUlS6_S6_E_S6_EEDaPvRmT3_T4_T5_mT6_P12ihipStream_tbENKUlT_T0_E_clISt17integral_constantIbLb1EESX_IbLb0EEEEDaST_SU_EUlST_E0_NS1_11comp_targetILNS1_3genE5ELNS1_11target_archE942ELNS1_3gpuE9ELNS1_3repE0EEENS1_30default_config_static_selectorELNS0_4arch9wavefront6targetE1EEEvT1_
                                        ; -- End function
	.set _ZN7rocprim17ROCPRIM_400000_NS6detail17trampoline_kernelINS0_14default_configENS1_20scan_config_selectorIN3c104HalfEEEZZNS1_9scan_implILNS1_25lookback_scan_determinismE0ELb0ELb0ES3_PKS6_PS6_S6_ZZZN2at6native31launch_logcumsumexp_cuda_kernelERKNSD_10TensorBaseESH_lENKUlvE_clEvENKUlvE3_clEvEUlS6_S6_E_S6_EEDaPvRmT3_T4_T5_mT6_P12ihipStream_tbENKUlT_T0_E_clISt17integral_constantIbLb1EESX_IbLb0EEEEDaST_SU_EUlST_E0_NS1_11comp_targetILNS1_3genE5ELNS1_11target_archE942ELNS1_3gpuE9ELNS1_3repE0EEENS1_30default_config_static_selectorELNS0_4arch9wavefront6targetE1EEEvT1_.num_vgpr, 0
	.set _ZN7rocprim17ROCPRIM_400000_NS6detail17trampoline_kernelINS0_14default_configENS1_20scan_config_selectorIN3c104HalfEEEZZNS1_9scan_implILNS1_25lookback_scan_determinismE0ELb0ELb0ES3_PKS6_PS6_S6_ZZZN2at6native31launch_logcumsumexp_cuda_kernelERKNSD_10TensorBaseESH_lENKUlvE_clEvENKUlvE3_clEvEUlS6_S6_E_S6_EEDaPvRmT3_T4_T5_mT6_P12ihipStream_tbENKUlT_T0_E_clISt17integral_constantIbLb1EESX_IbLb0EEEEDaST_SU_EUlST_E0_NS1_11comp_targetILNS1_3genE5ELNS1_11target_archE942ELNS1_3gpuE9ELNS1_3repE0EEENS1_30default_config_static_selectorELNS0_4arch9wavefront6targetE1EEEvT1_.num_agpr, 0
	.set _ZN7rocprim17ROCPRIM_400000_NS6detail17trampoline_kernelINS0_14default_configENS1_20scan_config_selectorIN3c104HalfEEEZZNS1_9scan_implILNS1_25lookback_scan_determinismE0ELb0ELb0ES3_PKS6_PS6_S6_ZZZN2at6native31launch_logcumsumexp_cuda_kernelERKNSD_10TensorBaseESH_lENKUlvE_clEvENKUlvE3_clEvEUlS6_S6_E_S6_EEDaPvRmT3_T4_T5_mT6_P12ihipStream_tbENKUlT_T0_E_clISt17integral_constantIbLb1EESX_IbLb0EEEEDaST_SU_EUlST_E0_NS1_11comp_targetILNS1_3genE5ELNS1_11target_archE942ELNS1_3gpuE9ELNS1_3repE0EEENS1_30default_config_static_selectorELNS0_4arch9wavefront6targetE1EEEvT1_.numbered_sgpr, 0
	.set _ZN7rocprim17ROCPRIM_400000_NS6detail17trampoline_kernelINS0_14default_configENS1_20scan_config_selectorIN3c104HalfEEEZZNS1_9scan_implILNS1_25lookback_scan_determinismE0ELb0ELb0ES3_PKS6_PS6_S6_ZZZN2at6native31launch_logcumsumexp_cuda_kernelERKNSD_10TensorBaseESH_lENKUlvE_clEvENKUlvE3_clEvEUlS6_S6_E_S6_EEDaPvRmT3_T4_T5_mT6_P12ihipStream_tbENKUlT_T0_E_clISt17integral_constantIbLb1EESX_IbLb0EEEEDaST_SU_EUlST_E0_NS1_11comp_targetILNS1_3genE5ELNS1_11target_archE942ELNS1_3gpuE9ELNS1_3repE0EEENS1_30default_config_static_selectorELNS0_4arch9wavefront6targetE1EEEvT1_.num_named_barrier, 0
	.set _ZN7rocprim17ROCPRIM_400000_NS6detail17trampoline_kernelINS0_14default_configENS1_20scan_config_selectorIN3c104HalfEEEZZNS1_9scan_implILNS1_25lookback_scan_determinismE0ELb0ELb0ES3_PKS6_PS6_S6_ZZZN2at6native31launch_logcumsumexp_cuda_kernelERKNSD_10TensorBaseESH_lENKUlvE_clEvENKUlvE3_clEvEUlS6_S6_E_S6_EEDaPvRmT3_T4_T5_mT6_P12ihipStream_tbENKUlT_T0_E_clISt17integral_constantIbLb1EESX_IbLb0EEEEDaST_SU_EUlST_E0_NS1_11comp_targetILNS1_3genE5ELNS1_11target_archE942ELNS1_3gpuE9ELNS1_3repE0EEENS1_30default_config_static_selectorELNS0_4arch9wavefront6targetE1EEEvT1_.private_seg_size, 0
	.set _ZN7rocprim17ROCPRIM_400000_NS6detail17trampoline_kernelINS0_14default_configENS1_20scan_config_selectorIN3c104HalfEEEZZNS1_9scan_implILNS1_25lookback_scan_determinismE0ELb0ELb0ES3_PKS6_PS6_S6_ZZZN2at6native31launch_logcumsumexp_cuda_kernelERKNSD_10TensorBaseESH_lENKUlvE_clEvENKUlvE3_clEvEUlS6_S6_E_S6_EEDaPvRmT3_T4_T5_mT6_P12ihipStream_tbENKUlT_T0_E_clISt17integral_constantIbLb1EESX_IbLb0EEEEDaST_SU_EUlST_E0_NS1_11comp_targetILNS1_3genE5ELNS1_11target_archE942ELNS1_3gpuE9ELNS1_3repE0EEENS1_30default_config_static_selectorELNS0_4arch9wavefront6targetE1EEEvT1_.uses_vcc, 0
	.set _ZN7rocprim17ROCPRIM_400000_NS6detail17trampoline_kernelINS0_14default_configENS1_20scan_config_selectorIN3c104HalfEEEZZNS1_9scan_implILNS1_25lookback_scan_determinismE0ELb0ELb0ES3_PKS6_PS6_S6_ZZZN2at6native31launch_logcumsumexp_cuda_kernelERKNSD_10TensorBaseESH_lENKUlvE_clEvENKUlvE3_clEvEUlS6_S6_E_S6_EEDaPvRmT3_T4_T5_mT6_P12ihipStream_tbENKUlT_T0_E_clISt17integral_constantIbLb1EESX_IbLb0EEEEDaST_SU_EUlST_E0_NS1_11comp_targetILNS1_3genE5ELNS1_11target_archE942ELNS1_3gpuE9ELNS1_3repE0EEENS1_30default_config_static_selectorELNS0_4arch9wavefront6targetE1EEEvT1_.uses_flat_scratch, 0
	.set _ZN7rocprim17ROCPRIM_400000_NS6detail17trampoline_kernelINS0_14default_configENS1_20scan_config_selectorIN3c104HalfEEEZZNS1_9scan_implILNS1_25lookback_scan_determinismE0ELb0ELb0ES3_PKS6_PS6_S6_ZZZN2at6native31launch_logcumsumexp_cuda_kernelERKNSD_10TensorBaseESH_lENKUlvE_clEvENKUlvE3_clEvEUlS6_S6_E_S6_EEDaPvRmT3_T4_T5_mT6_P12ihipStream_tbENKUlT_T0_E_clISt17integral_constantIbLb1EESX_IbLb0EEEEDaST_SU_EUlST_E0_NS1_11comp_targetILNS1_3genE5ELNS1_11target_archE942ELNS1_3gpuE9ELNS1_3repE0EEENS1_30default_config_static_selectorELNS0_4arch9wavefront6targetE1EEEvT1_.has_dyn_sized_stack, 0
	.set _ZN7rocprim17ROCPRIM_400000_NS6detail17trampoline_kernelINS0_14default_configENS1_20scan_config_selectorIN3c104HalfEEEZZNS1_9scan_implILNS1_25lookback_scan_determinismE0ELb0ELb0ES3_PKS6_PS6_S6_ZZZN2at6native31launch_logcumsumexp_cuda_kernelERKNSD_10TensorBaseESH_lENKUlvE_clEvENKUlvE3_clEvEUlS6_S6_E_S6_EEDaPvRmT3_T4_T5_mT6_P12ihipStream_tbENKUlT_T0_E_clISt17integral_constantIbLb1EESX_IbLb0EEEEDaST_SU_EUlST_E0_NS1_11comp_targetILNS1_3genE5ELNS1_11target_archE942ELNS1_3gpuE9ELNS1_3repE0EEENS1_30default_config_static_selectorELNS0_4arch9wavefront6targetE1EEEvT1_.has_recursion, 0
	.set _ZN7rocprim17ROCPRIM_400000_NS6detail17trampoline_kernelINS0_14default_configENS1_20scan_config_selectorIN3c104HalfEEEZZNS1_9scan_implILNS1_25lookback_scan_determinismE0ELb0ELb0ES3_PKS6_PS6_S6_ZZZN2at6native31launch_logcumsumexp_cuda_kernelERKNSD_10TensorBaseESH_lENKUlvE_clEvENKUlvE3_clEvEUlS6_S6_E_S6_EEDaPvRmT3_T4_T5_mT6_P12ihipStream_tbENKUlT_T0_E_clISt17integral_constantIbLb1EESX_IbLb0EEEEDaST_SU_EUlST_E0_NS1_11comp_targetILNS1_3genE5ELNS1_11target_archE942ELNS1_3gpuE9ELNS1_3repE0EEENS1_30default_config_static_selectorELNS0_4arch9wavefront6targetE1EEEvT1_.has_indirect_call, 0
	.section	.AMDGPU.csdata,"",@progbits
; Kernel info:
; codeLenInByte = 0
; TotalNumSgprs: 6
; NumVgprs: 0
; NumAgprs: 0
; TotalNumVgprs: 0
; ScratchSize: 0
; MemoryBound: 0
; FloatMode: 240
; IeeeMode: 1
; LDSByteSize: 0 bytes/workgroup (compile time only)
; SGPRBlocks: 0
; VGPRBlocks: 0
; NumSGPRsForWavesPerEU: 6
; NumVGPRsForWavesPerEU: 1
; AccumOffset: 4
; Occupancy: 8
; WaveLimiterHint : 0
; COMPUTE_PGM_RSRC2:SCRATCH_EN: 0
; COMPUTE_PGM_RSRC2:USER_SGPR: 2
; COMPUTE_PGM_RSRC2:TRAP_HANDLER: 0
; COMPUTE_PGM_RSRC2:TGID_X_EN: 1
; COMPUTE_PGM_RSRC2:TGID_Y_EN: 0
; COMPUTE_PGM_RSRC2:TGID_Z_EN: 0
; COMPUTE_PGM_RSRC2:TIDIG_COMP_CNT: 0
; COMPUTE_PGM_RSRC3_GFX90A:ACCUM_OFFSET: 0
; COMPUTE_PGM_RSRC3_GFX90A:TG_SPLIT: 0
	.section	.text._ZN7rocprim17ROCPRIM_400000_NS6detail17trampoline_kernelINS0_14default_configENS1_20scan_config_selectorIN3c104HalfEEEZZNS1_9scan_implILNS1_25lookback_scan_determinismE0ELb0ELb0ES3_PKS6_PS6_S6_ZZZN2at6native31launch_logcumsumexp_cuda_kernelERKNSD_10TensorBaseESH_lENKUlvE_clEvENKUlvE3_clEvEUlS6_S6_E_S6_EEDaPvRmT3_T4_T5_mT6_P12ihipStream_tbENKUlT_T0_E_clISt17integral_constantIbLb1EESX_IbLb0EEEEDaST_SU_EUlST_E0_NS1_11comp_targetILNS1_3genE4ELNS1_11target_archE910ELNS1_3gpuE8ELNS1_3repE0EEENS1_30default_config_static_selectorELNS0_4arch9wavefront6targetE1EEEvT1_,"axG",@progbits,_ZN7rocprim17ROCPRIM_400000_NS6detail17trampoline_kernelINS0_14default_configENS1_20scan_config_selectorIN3c104HalfEEEZZNS1_9scan_implILNS1_25lookback_scan_determinismE0ELb0ELb0ES3_PKS6_PS6_S6_ZZZN2at6native31launch_logcumsumexp_cuda_kernelERKNSD_10TensorBaseESH_lENKUlvE_clEvENKUlvE3_clEvEUlS6_S6_E_S6_EEDaPvRmT3_T4_T5_mT6_P12ihipStream_tbENKUlT_T0_E_clISt17integral_constantIbLb1EESX_IbLb0EEEEDaST_SU_EUlST_E0_NS1_11comp_targetILNS1_3genE4ELNS1_11target_archE910ELNS1_3gpuE8ELNS1_3repE0EEENS1_30default_config_static_selectorELNS0_4arch9wavefront6targetE1EEEvT1_,comdat
	.globl	_ZN7rocprim17ROCPRIM_400000_NS6detail17trampoline_kernelINS0_14default_configENS1_20scan_config_selectorIN3c104HalfEEEZZNS1_9scan_implILNS1_25lookback_scan_determinismE0ELb0ELb0ES3_PKS6_PS6_S6_ZZZN2at6native31launch_logcumsumexp_cuda_kernelERKNSD_10TensorBaseESH_lENKUlvE_clEvENKUlvE3_clEvEUlS6_S6_E_S6_EEDaPvRmT3_T4_T5_mT6_P12ihipStream_tbENKUlT_T0_E_clISt17integral_constantIbLb1EESX_IbLb0EEEEDaST_SU_EUlST_E0_NS1_11comp_targetILNS1_3genE4ELNS1_11target_archE910ELNS1_3gpuE8ELNS1_3repE0EEENS1_30default_config_static_selectorELNS0_4arch9wavefront6targetE1EEEvT1_ ; -- Begin function _ZN7rocprim17ROCPRIM_400000_NS6detail17trampoline_kernelINS0_14default_configENS1_20scan_config_selectorIN3c104HalfEEEZZNS1_9scan_implILNS1_25lookback_scan_determinismE0ELb0ELb0ES3_PKS6_PS6_S6_ZZZN2at6native31launch_logcumsumexp_cuda_kernelERKNSD_10TensorBaseESH_lENKUlvE_clEvENKUlvE3_clEvEUlS6_S6_E_S6_EEDaPvRmT3_T4_T5_mT6_P12ihipStream_tbENKUlT_T0_E_clISt17integral_constantIbLb1EESX_IbLb0EEEEDaST_SU_EUlST_E0_NS1_11comp_targetILNS1_3genE4ELNS1_11target_archE910ELNS1_3gpuE8ELNS1_3repE0EEENS1_30default_config_static_selectorELNS0_4arch9wavefront6targetE1EEEvT1_
	.p2align	8
	.type	_ZN7rocprim17ROCPRIM_400000_NS6detail17trampoline_kernelINS0_14default_configENS1_20scan_config_selectorIN3c104HalfEEEZZNS1_9scan_implILNS1_25lookback_scan_determinismE0ELb0ELb0ES3_PKS6_PS6_S6_ZZZN2at6native31launch_logcumsumexp_cuda_kernelERKNSD_10TensorBaseESH_lENKUlvE_clEvENKUlvE3_clEvEUlS6_S6_E_S6_EEDaPvRmT3_T4_T5_mT6_P12ihipStream_tbENKUlT_T0_E_clISt17integral_constantIbLb1EESX_IbLb0EEEEDaST_SU_EUlST_E0_NS1_11comp_targetILNS1_3genE4ELNS1_11target_archE910ELNS1_3gpuE8ELNS1_3repE0EEENS1_30default_config_static_selectorELNS0_4arch9wavefront6targetE1EEEvT1_,@function
_ZN7rocprim17ROCPRIM_400000_NS6detail17trampoline_kernelINS0_14default_configENS1_20scan_config_selectorIN3c104HalfEEEZZNS1_9scan_implILNS1_25lookback_scan_determinismE0ELb0ELb0ES3_PKS6_PS6_S6_ZZZN2at6native31launch_logcumsumexp_cuda_kernelERKNSD_10TensorBaseESH_lENKUlvE_clEvENKUlvE3_clEvEUlS6_S6_E_S6_EEDaPvRmT3_T4_T5_mT6_P12ihipStream_tbENKUlT_T0_E_clISt17integral_constantIbLb1EESX_IbLb0EEEEDaST_SU_EUlST_E0_NS1_11comp_targetILNS1_3genE4ELNS1_11target_archE910ELNS1_3gpuE8ELNS1_3repE0EEENS1_30default_config_static_selectorELNS0_4arch9wavefront6targetE1EEEvT1_: ; @_ZN7rocprim17ROCPRIM_400000_NS6detail17trampoline_kernelINS0_14default_configENS1_20scan_config_selectorIN3c104HalfEEEZZNS1_9scan_implILNS1_25lookback_scan_determinismE0ELb0ELb0ES3_PKS6_PS6_S6_ZZZN2at6native31launch_logcumsumexp_cuda_kernelERKNSD_10TensorBaseESH_lENKUlvE_clEvENKUlvE3_clEvEUlS6_S6_E_S6_EEDaPvRmT3_T4_T5_mT6_P12ihipStream_tbENKUlT_T0_E_clISt17integral_constantIbLb1EESX_IbLb0EEEEDaST_SU_EUlST_E0_NS1_11comp_targetILNS1_3genE4ELNS1_11target_archE910ELNS1_3gpuE8ELNS1_3repE0EEENS1_30default_config_static_selectorELNS0_4arch9wavefront6targetE1EEEvT1_
; %bb.0:
	.section	.rodata,"a",@progbits
	.p2align	6, 0x0
	.amdhsa_kernel _ZN7rocprim17ROCPRIM_400000_NS6detail17trampoline_kernelINS0_14default_configENS1_20scan_config_selectorIN3c104HalfEEEZZNS1_9scan_implILNS1_25lookback_scan_determinismE0ELb0ELb0ES3_PKS6_PS6_S6_ZZZN2at6native31launch_logcumsumexp_cuda_kernelERKNSD_10TensorBaseESH_lENKUlvE_clEvENKUlvE3_clEvEUlS6_S6_E_S6_EEDaPvRmT3_T4_T5_mT6_P12ihipStream_tbENKUlT_T0_E_clISt17integral_constantIbLb1EESX_IbLb0EEEEDaST_SU_EUlST_E0_NS1_11comp_targetILNS1_3genE4ELNS1_11target_archE910ELNS1_3gpuE8ELNS1_3repE0EEENS1_30default_config_static_selectorELNS0_4arch9wavefront6targetE1EEEvT1_
		.amdhsa_group_segment_fixed_size 0
		.amdhsa_private_segment_fixed_size 0
		.amdhsa_kernarg_size 32
		.amdhsa_user_sgpr_count 2
		.amdhsa_user_sgpr_dispatch_ptr 0
		.amdhsa_user_sgpr_queue_ptr 0
		.amdhsa_user_sgpr_kernarg_segment_ptr 1
		.amdhsa_user_sgpr_dispatch_id 0
		.amdhsa_user_sgpr_kernarg_preload_length 0
		.amdhsa_user_sgpr_kernarg_preload_offset 0
		.amdhsa_user_sgpr_private_segment_size 0
		.amdhsa_uses_dynamic_stack 0
		.amdhsa_enable_private_segment 0
		.amdhsa_system_sgpr_workgroup_id_x 1
		.amdhsa_system_sgpr_workgroup_id_y 0
		.amdhsa_system_sgpr_workgroup_id_z 0
		.amdhsa_system_sgpr_workgroup_info 0
		.amdhsa_system_vgpr_workitem_id 0
		.amdhsa_next_free_vgpr 1
		.amdhsa_next_free_sgpr 0
		.amdhsa_accum_offset 4
		.amdhsa_reserve_vcc 0
		.amdhsa_float_round_mode_32 0
		.amdhsa_float_round_mode_16_64 0
		.amdhsa_float_denorm_mode_32 3
		.amdhsa_float_denorm_mode_16_64 3
		.amdhsa_dx10_clamp 1
		.amdhsa_ieee_mode 1
		.amdhsa_fp16_overflow 0
		.amdhsa_tg_split 0
		.amdhsa_exception_fp_ieee_invalid_op 0
		.amdhsa_exception_fp_denorm_src 0
		.amdhsa_exception_fp_ieee_div_zero 0
		.amdhsa_exception_fp_ieee_overflow 0
		.amdhsa_exception_fp_ieee_underflow 0
		.amdhsa_exception_fp_ieee_inexact 0
		.amdhsa_exception_int_div_zero 0
	.end_amdhsa_kernel
	.section	.text._ZN7rocprim17ROCPRIM_400000_NS6detail17trampoline_kernelINS0_14default_configENS1_20scan_config_selectorIN3c104HalfEEEZZNS1_9scan_implILNS1_25lookback_scan_determinismE0ELb0ELb0ES3_PKS6_PS6_S6_ZZZN2at6native31launch_logcumsumexp_cuda_kernelERKNSD_10TensorBaseESH_lENKUlvE_clEvENKUlvE3_clEvEUlS6_S6_E_S6_EEDaPvRmT3_T4_T5_mT6_P12ihipStream_tbENKUlT_T0_E_clISt17integral_constantIbLb1EESX_IbLb0EEEEDaST_SU_EUlST_E0_NS1_11comp_targetILNS1_3genE4ELNS1_11target_archE910ELNS1_3gpuE8ELNS1_3repE0EEENS1_30default_config_static_selectorELNS0_4arch9wavefront6targetE1EEEvT1_,"axG",@progbits,_ZN7rocprim17ROCPRIM_400000_NS6detail17trampoline_kernelINS0_14default_configENS1_20scan_config_selectorIN3c104HalfEEEZZNS1_9scan_implILNS1_25lookback_scan_determinismE0ELb0ELb0ES3_PKS6_PS6_S6_ZZZN2at6native31launch_logcumsumexp_cuda_kernelERKNSD_10TensorBaseESH_lENKUlvE_clEvENKUlvE3_clEvEUlS6_S6_E_S6_EEDaPvRmT3_T4_T5_mT6_P12ihipStream_tbENKUlT_T0_E_clISt17integral_constantIbLb1EESX_IbLb0EEEEDaST_SU_EUlST_E0_NS1_11comp_targetILNS1_3genE4ELNS1_11target_archE910ELNS1_3gpuE8ELNS1_3repE0EEENS1_30default_config_static_selectorELNS0_4arch9wavefront6targetE1EEEvT1_,comdat
.Lfunc_end408:
	.size	_ZN7rocprim17ROCPRIM_400000_NS6detail17trampoline_kernelINS0_14default_configENS1_20scan_config_selectorIN3c104HalfEEEZZNS1_9scan_implILNS1_25lookback_scan_determinismE0ELb0ELb0ES3_PKS6_PS6_S6_ZZZN2at6native31launch_logcumsumexp_cuda_kernelERKNSD_10TensorBaseESH_lENKUlvE_clEvENKUlvE3_clEvEUlS6_S6_E_S6_EEDaPvRmT3_T4_T5_mT6_P12ihipStream_tbENKUlT_T0_E_clISt17integral_constantIbLb1EESX_IbLb0EEEEDaST_SU_EUlST_E0_NS1_11comp_targetILNS1_3genE4ELNS1_11target_archE910ELNS1_3gpuE8ELNS1_3repE0EEENS1_30default_config_static_selectorELNS0_4arch9wavefront6targetE1EEEvT1_, .Lfunc_end408-_ZN7rocprim17ROCPRIM_400000_NS6detail17trampoline_kernelINS0_14default_configENS1_20scan_config_selectorIN3c104HalfEEEZZNS1_9scan_implILNS1_25lookback_scan_determinismE0ELb0ELb0ES3_PKS6_PS6_S6_ZZZN2at6native31launch_logcumsumexp_cuda_kernelERKNSD_10TensorBaseESH_lENKUlvE_clEvENKUlvE3_clEvEUlS6_S6_E_S6_EEDaPvRmT3_T4_T5_mT6_P12ihipStream_tbENKUlT_T0_E_clISt17integral_constantIbLb1EESX_IbLb0EEEEDaST_SU_EUlST_E0_NS1_11comp_targetILNS1_3genE4ELNS1_11target_archE910ELNS1_3gpuE8ELNS1_3repE0EEENS1_30default_config_static_selectorELNS0_4arch9wavefront6targetE1EEEvT1_
                                        ; -- End function
	.set _ZN7rocprim17ROCPRIM_400000_NS6detail17trampoline_kernelINS0_14default_configENS1_20scan_config_selectorIN3c104HalfEEEZZNS1_9scan_implILNS1_25lookback_scan_determinismE0ELb0ELb0ES3_PKS6_PS6_S6_ZZZN2at6native31launch_logcumsumexp_cuda_kernelERKNSD_10TensorBaseESH_lENKUlvE_clEvENKUlvE3_clEvEUlS6_S6_E_S6_EEDaPvRmT3_T4_T5_mT6_P12ihipStream_tbENKUlT_T0_E_clISt17integral_constantIbLb1EESX_IbLb0EEEEDaST_SU_EUlST_E0_NS1_11comp_targetILNS1_3genE4ELNS1_11target_archE910ELNS1_3gpuE8ELNS1_3repE0EEENS1_30default_config_static_selectorELNS0_4arch9wavefront6targetE1EEEvT1_.num_vgpr, 0
	.set _ZN7rocprim17ROCPRIM_400000_NS6detail17trampoline_kernelINS0_14default_configENS1_20scan_config_selectorIN3c104HalfEEEZZNS1_9scan_implILNS1_25lookback_scan_determinismE0ELb0ELb0ES3_PKS6_PS6_S6_ZZZN2at6native31launch_logcumsumexp_cuda_kernelERKNSD_10TensorBaseESH_lENKUlvE_clEvENKUlvE3_clEvEUlS6_S6_E_S6_EEDaPvRmT3_T4_T5_mT6_P12ihipStream_tbENKUlT_T0_E_clISt17integral_constantIbLb1EESX_IbLb0EEEEDaST_SU_EUlST_E0_NS1_11comp_targetILNS1_3genE4ELNS1_11target_archE910ELNS1_3gpuE8ELNS1_3repE0EEENS1_30default_config_static_selectorELNS0_4arch9wavefront6targetE1EEEvT1_.num_agpr, 0
	.set _ZN7rocprim17ROCPRIM_400000_NS6detail17trampoline_kernelINS0_14default_configENS1_20scan_config_selectorIN3c104HalfEEEZZNS1_9scan_implILNS1_25lookback_scan_determinismE0ELb0ELb0ES3_PKS6_PS6_S6_ZZZN2at6native31launch_logcumsumexp_cuda_kernelERKNSD_10TensorBaseESH_lENKUlvE_clEvENKUlvE3_clEvEUlS6_S6_E_S6_EEDaPvRmT3_T4_T5_mT6_P12ihipStream_tbENKUlT_T0_E_clISt17integral_constantIbLb1EESX_IbLb0EEEEDaST_SU_EUlST_E0_NS1_11comp_targetILNS1_3genE4ELNS1_11target_archE910ELNS1_3gpuE8ELNS1_3repE0EEENS1_30default_config_static_selectorELNS0_4arch9wavefront6targetE1EEEvT1_.numbered_sgpr, 0
	.set _ZN7rocprim17ROCPRIM_400000_NS6detail17trampoline_kernelINS0_14default_configENS1_20scan_config_selectorIN3c104HalfEEEZZNS1_9scan_implILNS1_25lookback_scan_determinismE0ELb0ELb0ES3_PKS6_PS6_S6_ZZZN2at6native31launch_logcumsumexp_cuda_kernelERKNSD_10TensorBaseESH_lENKUlvE_clEvENKUlvE3_clEvEUlS6_S6_E_S6_EEDaPvRmT3_T4_T5_mT6_P12ihipStream_tbENKUlT_T0_E_clISt17integral_constantIbLb1EESX_IbLb0EEEEDaST_SU_EUlST_E0_NS1_11comp_targetILNS1_3genE4ELNS1_11target_archE910ELNS1_3gpuE8ELNS1_3repE0EEENS1_30default_config_static_selectorELNS0_4arch9wavefront6targetE1EEEvT1_.num_named_barrier, 0
	.set _ZN7rocprim17ROCPRIM_400000_NS6detail17trampoline_kernelINS0_14default_configENS1_20scan_config_selectorIN3c104HalfEEEZZNS1_9scan_implILNS1_25lookback_scan_determinismE0ELb0ELb0ES3_PKS6_PS6_S6_ZZZN2at6native31launch_logcumsumexp_cuda_kernelERKNSD_10TensorBaseESH_lENKUlvE_clEvENKUlvE3_clEvEUlS6_S6_E_S6_EEDaPvRmT3_T4_T5_mT6_P12ihipStream_tbENKUlT_T0_E_clISt17integral_constantIbLb1EESX_IbLb0EEEEDaST_SU_EUlST_E0_NS1_11comp_targetILNS1_3genE4ELNS1_11target_archE910ELNS1_3gpuE8ELNS1_3repE0EEENS1_30default_config_static_selectorELNS0_4arch9wavefront6targetE1EEEvT1_.private_seg_size, 0
	.set _ZN7rocprim17ROCPRIM_400000_NS6detail17trampoline_kernelINS0_14default_configENS1_20scan_config_selectorIN3c104HalfEEEZZNS1_9scan_implILNS1_25lookback_scan_determinismE0ELb0ELb0ES3_PKS6_PS6_S6_ZZZN2at6native31launch_logcumsumexp_cuda_kernelERKNSD_10TensorBaseESH_lENKUlvE_clEvENKUlvE3_clEvEUlS6_S6_E_S6_EEDaPvRmT3_T4_T5_mT6_P12ihipStream_tbENKUlT_T0_E_clISt17integral_constantIbLb1EESX_IbLb0EEEEDaST_SU_EUlST_E0_NS1_11comp_targetILNS1_3genE4ELNS1_11target_archE910ELNS1_3gpuE8ELNS1_3repE0EEENS1_30default_config_static_selectorELNS0_4arch9wavefront6targetE1EEEvT1_.uses_vcc, 0
	.set _ZN7rocprim17ROCPRIM_400000_NS6detail17trampoline_kernelINS0_14default_configENS1_20scan_config_selectorIN3c104HalfEEEZZNS1_9scan_implILNS1_25lookback_scan_determinismE0ELb0ELb0ES3_PKS6_PS6_S6_ZZZN2at6native31launch_logcumsumexp_cuda_kernelERKNSD_10TensorBaseESH_lENKUlvE_clEvENKUlvE3_clEvEUlS6_S6_E_S6_EEDaPvRmT3_T4_T5_mT6_P12ihipStream_tbENKUlT_T0_E_clISt17integral_constantIbLb1EESX_IbLb0EEEEDaST_SU_EUlST_E0_NS1_11comp_targetILNS1_3genE4ELNS1_11target_archE910ELNS1_3gpuE8ELNS1_3repE0EEENS1_30default_config_static_selectorELNS0_4arch9wavefront6targetE1EEEvT1_.uses_flat_scratch, 0
	.set _ZN7rocprim17ROCPRIM_400000_NS6detail17trampoline_kernelINS0_14default_configENS1_20scan_config_selectorIN3c104HalfEEEZZNS1_9scan_implILNS1_25lookback_scan_determinismE0ELb0ELb0ES3_PKS6_PS6_S6_ZZZN2at6native31launch_logcumsumexp_cuda_kernelERKNSD_10TensorBaseESH_lENKUlvE_clEvENKUlvE3_clEvEUlS6_S6_E_S6_EEDaPvRmT3_T4_T5_mT6_P12ihipStream_tbENKUlT_T0_E_clISt17integral_constantIbLb1EESX_IbLb0EEEEDaST_SU_EUlST_E0_NS1_11comp_targetILNS1_3genE4ELNS1_11target_archE910ELNS1_3gpuE8ELNS1_3repE0EEENS1_30default_config_static_selectorELNS0_4arch9wavefront6targetE1EEEvT1_.has_dyn_sized_stack, 0
	.set _ZN7rocprim17ROCPRIM_400000_NS6detail17trampoline_kernelINS0_14default_configENS1_20scan_config_selectorIN3c104HalfEEEZZNS1_9scan_implILNS1_25lookback_scan_determinismE0ELb0ELb0ES3_PKS6_PS6_S6_ZZZN2at6native31launch_logcumsumexp_cuda_kernelERKNSD_10TensorBaseESH_lENKUlvE_clEvENKUlvE3_clEvEUlS6_S6_E_S6_EEDaPvRmT3_T4_T5_mT6_P12ihipStream_tbENKUlT_T0_E_clISt17integral_constantIbLb1EESX_IbLb0EEEEDaST_SU_EUlST_E0_NS1_11comp_targetILNS1_3genE4ELNS1_11target_archE910ELNS1_3gpuE8ELNS1_3repE0EEENS1_30default_config_static_selectorELNS0_4arch9wavefront6targetE1EEEvT1_.has_recursion, 0
	.set _ZN7rocprim17ROCPRIM_400000_NS6detail17trampoline_kernelINS0_14default_configENS1_20scan_config_selectorIN3c104HalfEEEZZNS1_9scan_implILNS1_25lookback_scan_determinismE0ELb0ELb0ES3_PKS6_PS6_S6_ZZZN2at6native31launch_logcumsumexp_cuda_kernelERKNSD_10TensorBaseESH_lENKUlvE_clEvENKUlvE3_clEvEUlS6_S6_E_S6_EEDaPvRmT3_T4_T5_mT6_P12ihipStream_tbENKUlT_T0_E_clISt17integral_constantIbLb1EESX_IbLb0EEEEDaST_SU_EUlST_E0_NS1_11comp_targetILNS1_3genE4ELNS1_11target_archE910ELNS1_3gpuE8ELNS1_3repE0EEENS1_30default_config_static_selectorELNS0_4arch9wavefront6targetE1EEEvT1_.has_indirect_call, 0
	.section	.AMDGPU.csdata,"",@progbits
; Kernel info:
; codeLenInByte = 0
; TotalNumSgprs: 6
; NumVgprs: 0
; NumAgprs: 0
; TotalNumVgprs: 0
; ScratchSize: 0
; MemoryBound: 0
; FloatMode: 240
; IeeeMode: 1
; LDSByteSize: 0 bytes/workgroup (compile time only)
; SGPRBlocks: 0
; VGPRBlocks: 0
; NumSGPRsForWavesPerEU: 6
; NumVGPRsForWavesPerEU: 1
; AccumOffset: 4
; Occupancy: 8
; WaveLimiterHint : 0
; COMPUTE_PGM_RSRC2:SCRATCH_EN: 0
; COMPUTE_PGM_RSRC2:USER_SGPR: 2
; COMPUTE_PGM_RSRC2:TRAP_HANDLER: 0
; COMPUTE_PGM_RSRC2:TGID_X_EN: 1
; COMPUTE_PGM_RSRC2:TGID_Y_EN: 0
; COMPUTE_PGM_RSRC2:TGID_Z_EN: 0
; COMPUTE_PGM_RSRC2:TIDIG_COMP_CNT: 0
; COMPUTE_PGM_RSRC3_GFX90A:ACCUM_OFFSET: 0
; COMPUTE_PGM_RSRC3_GFX90A:TG_SPLIT: 0
	.section	.text._ZN7rocprim17ROCPRIM_400000_NS6detail17trampoline_kernelINS0_14default_configENS1_20scan_config_selectorIN3c104HalfEEEZZNS1_9scan_implILNS1_25lookback_scan_determinismE0ELb0ELb0ES3_PKS6_PS6_S6_ZZZN2at6native31launch_logcumsumexp_cuda_kernelERKNSD_10TensorBaseESH_lENKUlvE_clEvENKUlvE3_clEvEUlS6_S6_E_S6_EEDaPvRmT3_T4_T5_mT6_P12ihipStream_tbENKUlT_T0_E_clISt17integral_constantIbLb1EESX_IbLb0EEEEDaST_SU_EUlST_E0_NS1_11comp_targetILNS1_3genE3ELNS1_11target_archE908ELNS1_3gpuE7ELNS1_3repE0EEENS1_30default_config_static_selectorELNS0_4arch9wavefront6targetE1EEEvT1_,"axG",@progbits,_ZN7rocprim17ROCPRIM_400000_NS6detail17trampoline_kernelINS0_14default_configENS1_20scan_config_selectorIN3c104HalfEEEZZNS1_9scan_implILNS1_25lookback_scan_determinismE0ELb0ELb0ES3_PKS6_PS6_S6_ZZZN2at6native31launch_logcumsumexp_cuda_kernelERKNSD_10TensorBaseESH_lENKUlvE_clEvENKUlvE3_clEvEUlS6_S6_E_S6_EEDaPvRmT3_T4_T5_mT6_P12ihipStream_tbENKUlT_T0_E_clISt17integral_constantIbLb1EESX_IbLb0EEEEDaST_SU_EUlST_E0_NS1_11comp_targetILNS1_3genE3ELNS1_11target_archE908ELNS1_3gpuE7ELNS1_3repE0EEENS1_30default_config_static_selectorELNS0_4arch9wavefront6targetE1EEEvT1_,comdat
	.globl	_ZN7rocprim17ROCPRIM_400000_NS6detail17trampoline_kernelINS0_14default_configENS1_20scan_config_selectorIN3c104HalfEEEZZNS1_9scan_implILNS1_25lookback_scan_determinismE0ELb0ELb0ES3_PKS6_PS6_S6_ZZZN2at6native31launch_logcumsumexp_cuda_kernelERKNSD_10TensorBaseESH_lENKUlvE_clEvENKUlvE3_clEvEUlS6_S6_E_S6_EEDaPvRmT3_T4_T5_mT6_P12ihipStream_tbENKUlT_T0_E_clISt17integral_constantIbLb1EESX_IbLb0EEEEDaST_SU_EUlST_E0_NS1_11comp_targetILNS1_3genE3ELNS1_11target_archE908ELNS1_3gpuE7ELNS1_3repE0EEENS1_30default_config_static_selectorELNS0_4arch9wavefront6targetE1EEEvT1_ ; -- Begin function _ZN7rocprim17ROCPRIM_400000_NS6detail17trampoline_kernelINS0_14default_configENS1_20scan_config_selectorIN3c104HalfEEEZZNS1_9scan_implILNS1_25lookback_scan_determinismE0ELb0ELb0ES3_PKS6_PS6_S6_ZZZN2at6native31launch_logcumsumexp_cuda_kernelERKNSD_10TensorBaseESH_lENKUlvE_clEvENKUlvE3_clEvEUlS6_S6_E_S6_EEDaPvRmT3_T4_T5_mT6_P12ihipStream_tbENKUlT_T0_E_clISt17integral_constantIbLb1EESX_IbLb0EEEEDaST_SU_EUlST_E0_NS1_11comp_targetILNS1_3genE3ELNS1_11target_archE908ELNS1_3gpuE7ELNS1_3repE0EEENS1_30default_config_static_selectorELNS0_4arch9wavefront6targetE1EEEvT1_
	.p2align	8
	.type	_ZN7rocprim17ROCPRIM_400000_NS6detail17trampoline_kernelINS0_14default_configENS1_20scan_config_selectorIN3c104HalfEEEZZNS1_9scan_implILNS1_25lookback_scan_determinismE0ELb0ELb0ES3_PKS6_PS6_S6_ZZZN2at6native31launch_logcumsumexp_cuda_kernelERKNSD_10TensorBaseESH_lENKUlvE_clEvENKUlvE3_clEvEUlS6_S6_E_S6_EEDaPvRmT3_T4_T5_mT6_P12ihipStream_tbENKUlT_T0_E_clISt17integral_constantIbLb1EESX_IbLb0EEEEDaST_SU_EUlST_E0_NS1_11comp_targetILNS1_3genE3ELNS1_11target_archE908ELNS1_3gpuE7ELNS1_3repE0EEENS1_30default_config_static_selectorELNS0_4arch9wavefront6targetE1EEEvT1_,@function
_ZN7rocprim17ROCPRIM_400000_NS6detail17trampoline_kernelINS0_14default_configENS1_20scan_config_selectorIN3c104HalfEEEZZNS1_9scan_implILNS1_25lookback_scan_determinismE0ELb0ELb0ES3_PKS6_PS6_S6_ZZZN2at6native31launch_logcumsumexp_cuda_kernelERKNSD_10TensorBaseESH_lENKUlvE_clEvENKUlvE3_clEvEUlS6_S6_E_S6_EEDaPvRmT3_T4_T5_mT6_P12ihipStream_tbENKUlT_T0_E_clISt17integral_constantIbLb1EESX_IbLb0EEEEDaST_SU_EUlST_E0_NS1_11comp_targetILNS1_3genE3ELNS1_11target_archE908ELNS1_3gpuE7ELNS1_3repE0EEENS1_30default_config_static_selectorELNS0_4arch9wavefront6targetE1EEEvT1_: ; @_ZN7rocprim17ROCPRIM_400000_NS6detail17trampoline_kernelINS0_14default_configENS1_20scan_config_selectorIN3c104HalfEEEZZNS1_9scan_implILNS1_25lookback_scan_determinismE0ELb0ELb0ES3_PKS6_PS6_S6_ZZZN2at6native31launch_logcumsumexp_cuda_kernelERKNSD_10TensorBaseESH_lENKUlvE_clEvENKUlvE3_clEvEUlS6_S6_E_S6_EEDaPvRmT3_T4_T5_mT6_P12ihipStream_tbENKUlT_T0_E_clISt17integral_constantIbLb1EESX_IbLb0EEEEDaST_SU_EUlST_E0_NS1_11comp_targetILNS1_3genE3ELNS1_11target_archE908ELNS1_3gpuE7ELNS1_3repE0EEENS1_30default_config_static_selectorELNS0_4arch9wavefront6targetE1EEEvT1_
; %bb.0:
	.section	.rodata,"a",@progbits
	.p2align	6, 0x0
	.amdhsa_kernel _ZN7rocprim17ROCPRIM_400000_NS6detail17trampoline_kernelINS0_14default_configENS1_20scan_config_selectorIN3c104HalfEEEZZNS1_9scan_implILNS1_25lookback_scan_determinismE0ELb0ELb0ES3_PKS6_PS6_S6_ZZZN2at6native31launch_logcumsumexp_cuda_kernelERKNSD_10TensorBaseESH_lENKUlvE_clEvENKUlvE3_clEvEUlS6_S6_E_S6_EEDaPvRmT3_T4_T5_mT6_P12ihipStream_tbENKUlT_T0_E_clISt17integral_constantIbLb1EESX_IbLb0EEEEDaST_SU_EUlST_E0_NS1_11comp_targetILNS1_3genE3ELNS1_11target_archE908ELNS1_3gpuE7ELNS1_3repE0EEENS1_30default_config_static_selectorELNS0_4arch9wavefront6targetE1EEEvT1_
		.amdhsa_group_segment_fixed_size 0
		.amdhsa_private_segment_fixed_size 0
		.amdhsa_kernarg_size 32
		.amdhsa_user_sgpr_count 2
		.amdhsa_user_sgpr_dispatch_ptr 0
		.amdhsa_user_sgpr_queue_ptr 0
		.amdhsa_user_sgpr_kernarg_segment_ptr 1
		.amdhsa_user_sgpr_dispatch_id 0
		.amdhsa_user_sgpr_kernarg_preload_length 0
		.amdhsa_user_sgpr_kernarg_preload_offset 0
		.amdhsa_user_sgpr_private_segment_size 0
		.amdhsa_uses_dynamic_stack 0
		.amdhsa_enable_private_segment 0
		.amdhsa_system_sgpr_workgroup_id_x 1
		.amdhsa_system_sgpr_workgroup_id_y 0
		.amdhsa_system_sgpr_workgroup_id_z 0
		.amdhsa_system_sgpr_workgroup_info 0
		.amdhsa_system_vgpr_workitem_id 0
		.amdhsa_next_free_vgpr 1
		.amdhsa_next_free_sgpr 0
		.amdhsa_accum_offset 4
		.amdhsa_reserve_vcc 0
		.amdhsa_float_round_mode_32 0
		.amdhsa_float_round_mode_16_64 0
		.amdhsa_float_denorm_mode_32 3
		.amdhsa_float_denorm_mode_16_64 3
		.amdhsa_dx10_clamp 1
		.amdhsa_ieee_mode 1
		.amdhsa_fp16_overflow 0
		.amdhsa_tg_split 0
		.amdhsa_exception_fp_ieee_invalid_op 0
		.amdhsa_exception_fp_denorm_src 0
		.amdhsa_exception_fp_ieee_div_zero 0
		.amdhsa_exception_fp_ieee_overflow 0
		.amdhsa_exception_fp_ieee_underflow 0
		.amdhsa_exception_fp_ieee_inexact 0
		.amdhsa_exception_int_div_zero 0
	.end_amdhsa_kernel
	.section	.text._ZN7rocprim17ROCPRIM_400000_NS6detail17trampoline_kernelINS0_14default_configENS1_20scan_config_selectorIN3c104HalfEEEZZNS1_9scan_implILNS1_25lookback_scan_determinismE0ELb0ELb0ES3_PKS6_PS6_S6_ZZZN2at6native31launch_logcumsumexp_cuda_kernelERKNSD_10TensorBaseESH_lENKUlvE_clEvENKUlvE3_clEvEUlS6_S6_E_S6_EEDaPvRmT3_T4_T5_mT6_P12ihipStream_tbENKUlT_T0_E_clISt17integral_constantIbLb1EESX_IbLb0EEEEDaST_SU_EUlST_E0_NS1_11comp_targetILNS1_3genE3ELNS1_11target_archE908ELNS1_3gpuE7ELNS1_3repE0EEENS1_30default_config_static_selectorELNS0_4arch9wavefront6targetE1EEEvT1_,"axG",@progbits,_ZN7rocprim17ROCPRIM_400000_NS6detail17trampoline_kernelINS0_14default_configENS1_20scan_config_selectorIN3c104HalfEEEZZNS1_9scan_implILNS1_25lookback_scan_determinismE0ELb0ELb0ES3_PKS6_PS6_S6_ZZZN2at6native31launch_logcumsumexp_cuda_kernelERKNSD_10TensorBaseESH_lENKUlvE_clEvENKUlvE3_clEvEUlS6_S6_E_S6_EEDaPvRmT3_T4_T5_mT6_P12ihipStream_tbENKUlT_T0_E_clISt17integral_constantIbLb1EESX_IbLb0EEEEDaST_SU_EUlST_E0_NS1_11comp_targetILNS1_3genE3ELNS1_11target_archE908ELNS1_3gpuE7ELNS1_3repE0EEENS1_30default_config_static_selectorELNS0_4arch9wavefront6targetE1EEEvT1_,comdat
.Lfunc_end409:
	.size	_ZN7rocprim17ROCPRIM_400000_NS6detail17trampoline_kernelINS0_14default_configENS1_20scan_config_selectorIN3c104HalfEEEZZNS1_9scan_implILNS1_25lookback_scan_determinismE0ELb0ELb0ES3_PKS6_PS6_S6_ZZZN2at6native31launch_logcumsumexp_cuda_kernelERKNSD_10TensorBaseESH_lENKUlvE_clEvENKUlvE3_clEvEUlS6_S6_E_S6_EEDaPvRmT3_T4_T5_mT6_P12ihipStream_tbENKUlT_T0_E_clISt17integral_constantIbLb1EESX_IbLb0EEEEDaST_SU_EUlST_E0_NS1_11comp_targetILNS1_3genE3ELNS1_11target_archE908ELNS1_3gpuE7ELNS1_3repE0EEENS1_30default_config_static_selectorELNS0_4arch9wavefront6targetE1EEEvT1_, .Lfunc_end409-_ZN7rocprim17ROCPRIM_400000_NS6detail17trampoline_kernelINS0_14default_configENS1_20scan_config_selectorIN3c104HalfEEEZZNS1_9scan_implILNS1_25lookback_scan_determinismE0ELb0ELb0ES3_PKS6_PS6_S6_ZZZN2at6native31launch_logcumsumexp_cuda_kernelERKNSD_10TensorBaseESH_lENKUlvE_clEvENKUlvE3_clEvEUlS6_S6_E_S6_EEDaPvRmT3_T4_T5_mT6_P12ihipStream_tbENKUlT_T0_E_clISt17integral_constantIbLb1EESX_IbLb0EEEEDaST_SU_EUlST_E0_NS1_11comp_targetILNS1_3genE3ELNS1_11target_archE908ELNS1_3gpuE7ELNS1_3repE0EEENS1_30default_config_static_selectorELNS0_4arch9wavefront6targetE1EEEvT1_
                                        ; -- End function
	.set _ZN7rocprim17ROCPRIM_400000_NS6detail17trampoline_kernelINS0_14default_configENS1_20scan_config_selectorIN3c104HalfEEEZZNS1_9scan_implILNS1_25lookback_scan_determinismE0ELb0ELb0ES3_PKS6_PS6_S6_ZZZN2at6native31launch_logcumsumexp_cuda_kernelERKNSD_10TensorBaseESH_lENKUlvE_clEvENKUlvE3_clEvEUlS6_S6_E_S6_EEDaPvRmT3_T4_T5_mT6_P12ihipStream_tbENKUlT_T0_E_clISt17integral_constantIbLb1EESX_IbLb0EEEEDaST_SU_EUlST_E0_NS1_11comp_targetILNS1_3genE3ELNS1_11target_archE908ELNS1_3gpuE7ELNS1_3repE0EEENS1_30default_config_static_selectorELNS0_4arch9wavefront6targetE1EEEvT1_.num_vgpr, 0
	.set _ZN7rocprim17ROCPRIM_400000_NS6detail17trampoline_kernelINS0_14default_configENS1_20scan_config_selectorIN3c104HalfEEEZZNS1_9scan_implILNS1_25lookback_scan_determinismE0ELb0ELb0ES3_PKS6_PS6_S6_ZZZN2at6native31launch_logcumsumexp_cuda_kernelERKNSD_10TensorBaseESH_lENKUlvE_clEvENKUlvE3_clEvEUlS6_S6_E_S6_EEDaPvRmT3_T4_T5_mT6_P12ihipStream_tbENKUlT_T0_E_clISt17integral_constantIbLb1EESX_IbLb0EEEEDaST_SU_EUlST_E0_NS1_11comp_targetILNS1_3genE3ELNS1_11target_archE908ELNS1_3gpuE7ELNS1_3repE0EEENS1_30default_config_static_selectorELNS0_4arch9wavefront6targetE1EEEvT1_.num_agpr, 0
	.set _ZN7rocprim17ROCPRIM_400000_NS6detail17trampoline_kernelINS0_14default_configENS1_20scan_config_selectorIN3c104HalfEEEZZNS1_9scan_implILNS1_25lookback_scan_determinismE0ELb0ELb0ES3_PKS6_PS6_S6_ZZZN2at6native31launch_logcumsumexp_cuda_kernelERKNSD_10TensorBaseESH_lENKUlvE_clEvENKUlvE3_clEvEUlS6_S6_E_S6_EEDaPvRmT3_T4_T5_mT6_P12ihipStream_tbENKUlT_T0_E_clISt17integral_constantIbLb1EESX_IbLb0EEEEDaST_SU_EUlST_E0_NS1_11comp_targetILNS1_3genE3ELNS1_11target_archE908ELNS1_3gpuE7ELNS1_3repE0EEENS1_30default_config_static_selectorELNS0_4arch9wavefront6targetE1EEEvT1_.numbered_sgpr, 0
	.set _ZN7rocprim17ROCPRIM_400000_NS6detail17trampoline_kernelINS0_14default_configENS1_20scan_config_selectorIN3c104HalfEEEZZNS1_9scan_implILNS1_25lookback_scan_determinismE0ELb0ELb0ES3_PKS6_PS6_S6_ZZZN2at6native31launch_logcumsumexp_cuda_kernelERKNSD_10TensorBaseESH_lENKUlvE_clEvENKUlvE3_clEvEUlS6_S6_E_S6_EEDaPvRmT3_T4_T5_mT6_P12ihipStream_tbENKUlT_T0_E_clISt17integral_constantIbLb1EESX_IbLb0EEEEDaST_SU_EUlST_E0_NS1_11comp_targetILNS1_3genE3ELNS1_11target_archE908ELNS1_3gpuE7ELNS1_3repE0EEENS1_30default_config_static_selectorELNS0_4arch9wavefront6targetE1EEEvT1_.num_named_barrier, 0
	.set _ZN7rocprim17ROCPRIM_400000_NS6detail17trampoline_kernelINS0_14default_configENS1_20scan_config_selectorIN3c104HalfEEEZZNS1_9scan_implILNS1_25lookback_scan_determinismE0ELb0ELb0ES3_PKS6_PS6_S6_ZZZN2at6native31launch_logcumsumexp_cuda_kernelERKNSD_10TensorBaseESH_lENKUlvE_clEvENKUlvE3_clEvEUlS6_S6_E_S6_EEDaPvRmT3_T4_T5_mT6_P12ihipStream_tbENKUlT_T0_E_clISt17integral_constantIbLb1EESX_IbLb0EEEEDaST_SU_EUlST_E0_NS1_11comp_targetILNS1_3genE3ELNS1_11target_archE908ELNS1_3gpuE7ELNS1_3repE0EEENS1_30default_config_static_selectorELNS0_4arch9wavefront6targetE1EEEvT1_.private_seg_size, 0
	.set _ZN7rocprim17ROCPRIM_400000_NS6detail17trampoline_kernelINS0_14default_configENS1_20scan_config_selectorIN3c104HalfEEEZZNS1_9scan_implILNS1_25lookback_scan_determinismE0ELb0ELb0ES3_PKS6_PS6_S6_ZZZN2at6native31launch_logcumsumexp_cuda_kernelERKNSD_10TensorBaseESH_lENKUlvE_clEvENKUlvE3_clEvEUlS6_S6_E_S6_EEDaPvRmT3_T4_T5_mT6_P12ihipStream_tbENKUlT_T0_E_clISt17integral_constantIbLb1EESX_IbLb0EEEEDaST_SU_EUlST_E0_NS1_11comp_targetILNS1_3genE3ELNS1_11target_archE908ELNS1_3gpuE7ELNS1_3repE0EEENS1_30default_config_static_selectorELNS0_4arch9wavefront6targetE1EEEvT1_.uses_vcc, 0
	.set _ZN7rocprim17ROCPRIM_400000_NS6detail17trampoline_kernelINS0_14default_configENS1_20scan_config_selectorIN3c104HalfEEEZZNS1_9scan_implILNS1_25lookback_scan_determinismE0ELb0ELb0ES3_PKS6_PS6_S6_ZZZN2at6native31launch_logcumsumexp_cuda_kernelERKNSD_10TensorBaseESH_lENKUlvE_clEvENKUlvE3_clEvEUlS6_S6_E_S6_EEDaPvRmT3_T4_T5_mT6_P12ihipStream_tbENKUlT_T0_E_clISt17integral_constantIbLb1EESX_IbLb0EEEEDaST_SU_EUlST_E0_NS1_11comp_targetILNS1_3genE3ELNS1_11target_archE908ELNS1_3gpuE7ELNS1_3repE0EEENS1_30default_config_static_selectorELNS0_4arch9wavefront6targetE1EEEvT1_.uses_flat_scratch, 0
	.set _ZN7rocprim17ROCPRIM_400000_NS6detail17trampoline_kernelINS0_14default_configENS1_20scan_config_selectorIN3c104HalfEEEZZNS1_9scan_implILNS1_25lookback_scan_determinismE0ELb0ELb0ES3_PKS6_PS6_S6_ZZZN2at6native31launch_logcumsumexp_cuda_kernelERKNSD_10TensorBaseESH_lENKUlvE_clEvENKUlvE3_clEvEUlS6_S6_E_S6_EEDaPvRmT3_T4_T5_mT6_P12ihipStream_tbENKUlT_T0_E_clISt17integral_constantIbLb1EESX_IbLb0EEEEDaST_SU_EUlST_E0_NS1_11comp_targetILNS1_3genE3ELNS1_11target_archE908ELNS1_3gpuE7ELNS1_3repE0EEENS1_30default_config_static_selectorELNS0_4arch9wavefront6targetE1EEEvT1_.has_dyn_sized_stack, 0
	.set _ZN7rocprim17ROCPRIM_400000_NS6detail17trampoline_kernelINS0_14default_configENS1_20scan_config_selectorIN3c104HalfEEEZZNS1_9scan_implILNS1_25lookback_scan_determinismE0ELb0ELb0ES3_PKS6_PS6_S6_ZZZN2at6native31launch_logcumsumexp_cuda_kernelERKNSD_10TensorBaseESH_lENKUlvE_clEvENKUlvE3_clEvEUlS6_S6_E_S6_EEDaPvRmT3_T4_T5_mT6_P12ihipStream_tbENKUlT_T0_E_clISt17integral_constantIbLb1EESX_IbLb0EEEEDaST_SU_EUlST_E0_NS1_11comp_targetILNS1_3genE3ELNS1_11target_archE908ELNS1_3gpuE7ELNS1_3repE0EEENS1_30default_config_static_selectorELNS0_4arch9wavefront6targetE1EEEvT1_.has_recursion, 0
	.set _ZN7rocprim17ROCPRIM_400000_NS6detail17trampoline_kernelINS0_14default_configENS1_20scan_config_selectorIN3c104HalfEEEZZNS1_9scan_implILNS1_25lookback_scan_determinismE0ELb0ELb0ES3_PKS6_PS6_S6_ZZZN2at6native31launch_logcumsumexp_cuda_kernelERKNSD_10TensorBaseESH_lENKUlvE_clEvENKUlvE3_clEvEUlS6_S6_E_S6_EEDaPvRmT3_T4_T5_mT6_P12ihipStream_tbENKUlT_T0_E_clISt17integral_constantIbLb1EESX_IbLb0EEEEDaST_SU_EUlST_E0_NS1_11comp_targetILNS1_3genE3ELNS1_11target_archE908ELNS1_3gpuE7ELNS1_3repE0EEENS1_30default_config_static_selectorELNS0_4arch9wavefront6targetE1EEEvT1_.has_indirect_call, 0
	.section	.AMDGPU.csdata,"",@progbits
; Kernel info:
; codeLenInByte = 0
; TotalNumSgprs: 6
; NumVgprs: 0
; NumAgprs: 0
; TotalNumVgprs: 0
; ScratchSize: 0
; MemoryBound: 0
; FloatMode: 240
; IeeeMode: 1
; LDSByteSize: 0 bytes/workgroup (compile time only)
; SGPRBlocks: 0
; VGPRBlocks: 0
; NumSGPRsForWavesPerEU: 6
; NumVGPRsForWavesPerEU: 1
; AccumOffset: 4
; Occupancy: 8
; WaveLimiterHint : 0
; COMPUTE_PGM_RSRC2:SCRATCH_EN: 0
; COMPUTE_PGM_RSRC2:USER_SGPR: 2
; COMPUTE_PGM_RSRC2:TRAP_HANDLER: 0
; COMPUTE_PGM_RSRC2:TGID_X_EN: 1
; COMPUTE_PGM_RSRC2:TGID_Y_EN: 0
; COMPUTE_PGM_RSRC2:TGID_Z_EN: 0
; COMPUTE_PGM_RSRC2:TIDIG_COMP_CNT: 0
; COMPUTE_PGM_RSRC3_GFX90A:ACCUM_OFFSET: 0
; COMPUTE_PGM_RSRC3_GFX90A:TG_SPLIT: 0
	.section	.text._ZN7rocprim17ROCPRIM_400000_NS6detail17trampoline_kernelINS0_14default_configENS1_20scan_config_selectorIN3c104HalfEEEZZNS1_9scan_implILNS1_25lookback_scan_determinismE0ELb0ELb0ES3_PKS6_PS6_S6_ZZZN2at6native31launch_logcumsumexp_cuda_kernelERKNSD_10TensorBaseESH_lENKUlvE_clEvENKUlvE3_clEvEUlS6_S6_E_S6_EEDaPvRmT3_T4_T5_mT6_P12ihipStream_tbENKUlT_T0_E_clISt17integral_constantIbLb1EESX_IbLb0EEEEDaST_SU_EUlST_E0_NS1_11comp_targetILNS1_3genE2ELNS1_11target_archE906ELNS1_3gpuE6ELNS1_3repE0EEENS1_30default_config_static_selectorELNS0_4arch9wavefront6targetE1EEEvT1_,"axG",@progbits,_ZN7rocprim17ROCPRIM_400000_NS6detail17trampoline_kernelINS0_14default_configENS1_20scan_config_selectorIN3c104HalfEEEZZNS1_9scan_implILNS1_25lookback_scan_determinismE0ELb0ELb0ES3_PKS6_PS6_S6_ZZZN2at6native31launch_logcumsumexp_cuda_kernelERKNSD_10TensorBaseESH_lENKUlvE_clEvENKUlvE3_clEvEUlS6_S6_E_S6_EEDaPvRmT3_T4_T5_mT6_P12ihipStream_tbENKUlT_T0_E_clISt17integral_constantIbLb1EESX_IbLb0EEEEDaST_SU_EUlST_E0_NS1_11comp_targetILNS1_3genE2ELNS1_11target_archE906ELNS1_3gpuE6ELNS1_3repE0EEENS1_30default_config_static_selectorELNS0_4arch9wavefront6targetE1EEEvT1_,comdat
	.globl	_ZN7rocprim17ROCPRIM_400000_NS6detail17trampoline_kernelINS0_14default_configENS1_20scan_config_selectorIN3c104HalfEEEZZNS1_9scan_implILNS1_25lookback_scan_determinismE0ELb0ELb0ES3_PKS6_PS6_S6_ZZZN2at6native31launch_logcumsumexp_cuda_kernelERKNSD_10TensorBaseESH_lENKUlvE_clEvENKUlvE3_clEvEUlS6_S6_E_S6_EEDaPvRmT3_T4_T5_mT6_P12ihipStream_tbENKUlT_T0_E_clISt17integral_constantIbLb1EESX_IbLb0EEEEDaST_SU_EUlST_E0_NS1_11comp_targetILNS1_3genE2ELNS1_11target_archE906ELNS1_3gpuE6ELNS1_3repE0EEENS1_30default_config_static_selectorELNS0_4arch9wavefront6targetE1EEEvT1_ ; -- Begin function _ZN7rocprim17ROCPRIM_400000_NS6detail17trampoline_kernelINS0_14default_configENS1_20scan_config_selectorIN3c104HalfEEEZZNS1_9scan_implILNS1_25lookback_scan_determinismE0ELb0ELb0ES3_PKS6_PS6_S6_ZZZN2at6native31launch_logcumsumexp_cuda_kernelERKNSD_10TensorBaseESH_lENKUlvE_clEvENKUlvE3_clEvEUlS6_S6_E_S6_EEDaPvRmT3_T4_T5_mT6_P12ihipStream_tbENKUlT_T0_E_clISt17integral_constantIbLb1EESX_IbLb0EEEEDaST_SU_EUlST_E0_NS1_11comp_targetILNS1_3genE2ELNS1_11target_archE906ELNS1_3gpuE6ELNS1_3repE0EEENS1_30default_config_static_selectorELNS0_4arch9wavefront6targetE1EEEvT1_
	.p2align	8
	.type	_ZN7rocprim17ROCPRIM_400000_NS6detail17trampoline_kernelINS0_14default_configENS1_20scan_config_selectorIN3c104HalfEEEZZNS1_9scan_implILNS1_25lookback_scan_determinismE0ELb0ELb0ES3_PKS6_PS6_S6_ZZZN2at6native31launch_logcumsumexp_cuda_kernelERKNSD_10TensorBaseESH_lENKUlvE_clEvENKUlvE3_clEvEUlS6_S6_E_S6_EEDaPvRmT3_T4_T5_mT6_P12ihipStream_tbENKUlT_T0_E_clISt17integral_constantIbLb1EESX_IbLb0EEEEDaST_SU_EUlST_E0_NS1_11comp_targetILNS1_3genE2ELNS1_11target_archE906ELNS1_3gpuE6ELNS1_3repE0EEENS1_30default_config_static_selectorELNS0_4arch9wavefront6targetE1EEEvT1_,@function
_ZN7rocprim17ROCPRIM_400000_NS6detail17trampoline_kernelINS0_14default_configENS1_20scan_config_selectorIN3c104HalfEEEZZNS1_9scan_implILNS1_25lookback_scan_determinismE0ELb0ELb0ES3_PKS6_PS6_S6_ZZZN2at6native31launch_logcumsumexp_cuda_kernelERKNSD_10TensorBaseESH_lENKUlvE_clEvENKUlvE3_clEvEUlS6_S6_E_S6_EEDaPvRmT3_T4_T5_mT6_P12ihipStream_tbENKUlT_T0_E_clISt17integral_constantIbLb1EESX_IbLb0EEEEDaST_SU_EUlST_E0_NS1_11comp_targetILNS1_3genE2ELNS1_11target_archE906ELNS1_3gpuE6ELNS1_3repE0EEENS1_30default_config_static_selectorELNS0_4arch9wavefront6targetE1EEEvT1_: ; @_ZN7rocprim17ROCPRIM_400000_NS6detail17trampoline_kernelINS0_14default_configENS1_20scan_config_selectorIN3c104HalfEEEZZNS1_9scan_implILNS1_25lookback_scan_determinismE0ELb0ELb0ES3_PKS6_PS6_S6_ZZZN2at6native31launch_logcumsumexp_cuda_kernelERKNSD_10TensorBaseESH_lENKUlvE_clEvENKUlvE3_clEvEUlS6_S6_E_S6_EEDaPvRmT3_T4_T5_mT6_P12ihipStream_tbENKUlT_T0_E_clISt17integral_constantIbLb1EESX_IbLb0EEEEDaST_SU_EUlST_E0_NS1_11comp_targetILNS1_3genE2ELNS1_11target_archE906ELNS1_3gpuE6ELNS1_3repE0EEENS1_30default_config_static_selectorELNS0_4arch9wavefront6targetE1EEEvT1_
; %bb.0:
	.section	.rodata,"a",@progbits
	.p2align	6, 0x0
	.amdhsa_kernel _ZN7rocprim17ROCPRIM_400000_NS6detail17trampoline_kernelINS0_14default_configENS1_20scan_config_selectorIN3c104HalfEEEZZNS1_9scan_implILNS1_25lookback_scan_determinismE0ELb0ELb0ES3_PKS6_PS6_S6_ZZZN2at6native31launch_logcumsumexp_cuda_kernelERKNSD_10TensorBaseESH_lENKUlvE_clEvENKUlvE3_clEvEUlS6_S6_E_S6_EEDaPvRmT3_T4_T5_mT6_P12ihipStream_tbENKUlT_T0_E_clISt17integral_constantIbLb1EESX_IbLb0EEEEDaST_SU_EUlST_E0_NS1_11comp_targetILNS1_3genE2ELNS1_11target_archE906ELNS1_3gpuE6ELNS1_3repE0EEENS1_30default_config_static_selectorELNS0_4arch9wavefront6targetE1EEEvT1_
		.amdhsa_group_segment_fixed_size 0
		.amdhsa_private_segment_fixed_size 0
		.amdhsa_kernarg_size 32
		.amdhsa_user_sgpr_count 2
		.amdhsa_user_sgpr_dispatch_ptr 0
		.amdhsa_user_sgpr_queue_ptr 0
		.amdhsa_user_sgpr_kernarg_segment_ptr 1
		.amdhsa_user_sgpr_dispatch_id 0
		.amdhsa_user_sgpr_kernarg_preload_length 0
		.amdhsa_user_sgpr_kernarg_preload_offset 0
		.amdhsa_user_sgpr_private_segment_size 0
		.amdhsa_uses_dynamic_stack 0
		.amdhsa_enable_private_segment 0
		.amdhsa_system_sgpr_workgroup_id_x 1
		.amdhsa_system_sgpr_workgroup_id_y 0
		.amdhsa_system_sgpr_workgroup_id_z 0
		.amdhsa_system_sgpr_workgroup_info 0
		.amdhsa_system_vgpr_workitem_id 0
		.amdhsa_next_free_vgpr 1
		.amdhsa_next_free_sgpr 0
		.amdhsa_accum_offset 4
		.amdhsa_reserve_vcc 0
		.amdhsa_float_round_mode_32 0
		.amdhsa_float_round_mode_16_64 0
		.amdhsa_float_denorm_mode_32 3
		.amdhsa_float_denorm_mode_16_64 3
		.amdhsa_dx10_clamp 1
		.amdhsa_ieee_mode 1
		.amdhsa_fp16_overflow 0
		.amdhsa_tg_split 0
		.amdhsa_exception_fp_ieee_invalid_op 0
		.amdhsa_exception_fp_denorm_src 0
		.amdhsa_exception_fp_ieee_div_zero 0
		.amdhsa_exception_fp_ieee_overflow 0
		.amdhsa_exception_fp_ieee_underflow 0
		.amdhsa_exception_fp_ieee_inexact 0
		.amdhsa_exception_int_div_zero 0
	.end_amdhsa_kernel
	.section	.text._ZN7rocprim17ROCPRIM_400000_NS6detail17trampoline_kernelINS0_14default_configENS1_20scan_config_selectorIN3c104HalfEEEZZNS1_9scan_implILNS1_25lookback_scan_determinismE0ELb0ELb0ES3_PKS6_PS6_S6_ZZZN2at6native31launch_logcumsumexp_cuda_kernelERKNSD_10TensorBaseESH_lENKUlvE_clEvENKUlvE3_clEvEUlS6_S6_E_S6_EEDaPvRmT3_T4_T5_mT6_P12ihipStream_tbENKUlT_T0_E_clISt17integral_constantIbLb1EESX_IbLb0EEEEDaST_SU_EUlST_E0_NS1_11comp_targetILNS1_3genE2ELNS1_11target_archE906ELNS1_3gpuE6ELNS1_3repE0EEENS1_30default_config_static_selectorELNS0_4arch9wavefront6targetE1EEEvT1_,"axG",@progbits,_ZN7rocprim17ROCPRIM_400000_NS6detail17trampoline_kernelINS0_14default_configENS1_20scan_config_selectorIN3c104HalfEEEZZNS1_9scan_implILNS1_25lookback_scan_determinismE0ELb0ELb0ES3_PKS6_PS6_S6_ZZZN2at6native31launch_logcumsumexp_cuda_kernelERKNSD_10TensorBaseESH_lENKUlvE_clEvENKUlvE3_clEvEUlS6_S6_E_S6_EEDaPvRmT3_T4_T5_mT6_P12ihipStream_tbENKUlT_T0_E_clISt17integral_constantIbLb1EESX_IbLb0EEEEDaST_SU_EUlST_E0_NS1_11comp_targetILNS1_3genE2ELNS1_11target_archE906ELNS1_3gpuE6ELNS1_3repE0EEENS1_30default_config_static_selectorELNS0_4arch9wavefront6targetE1EEEvT1_,comdat
.Lfunc_end410:
	.size	_ZN7rocprim17ROCPRIM_400000_NS6detail17trampoline_kernelINS0_14default_configENS1_20scan_config_selectorIN3c104HalfEEEZZNS1_9scan_implILNS1_25lookback_scan_determinismE0ELb0ELb0ES3_PKS6_PS6_S6_ZZZN2at6native31launch_logcumsumexp_cuda_kernelERKNSD_10TensorBaseESH_lENKUlvE_clEvENKUlvE3_clEvEUlS6_S6_E_S6_EEDaPvRmT3_T4_T5_mT6_P12ihipStream_tbENKUlT_T0_E_clISt17integral_constantIbLb1EESX_IbLb0EEEEDaST_SU_EUlST_E0_NS1_11comp_targetILNS1_3genE2ELNS1_11target_archE906ELNS1_3gpuE6ELNS1_3repE0EEENS1_30default_config_static_selectorELNS0_4arch9wavefront6targetE1EEEvT1_, .Lfunc_end410-_ZN7rocprim17ROCPRIM_400000_NS6detail17trampoline_kernelINS0_14default_configENS1_20scan_config_selectorIN3c104HalfEEEZZNS1_9scan_implILNS1_25lookback_scan_determinismE0ELb0ELb0ES3_PKS6_PS6_S6_ZZZN2at6native31launch_logcumsumexp_cuda_kernelERKNSD_10TensorBaseESH_lENKUlvE_clEvENKUlvE3_clEvEUlS6_S6_E_S6_EEDaPvRmT3_T4_T5_mT6_P12ihipStream_tbENKUlT_T0_E_clISt17integral_constantIbLb1EESX_IbLb0EEEEDaST_SU_EUlST_E0_NS1_11comp_targetILNS1_3genE2ELNS1_11target_archE906ELNS1_3gpuE6ELNS1_3repE0EEENS1_30default_config_static_selectorELNS0_4arch9wavefront6targetE1EEEvT1_
                                        ; -- End function
	.set _ZN7rocprim17ROCPRIM_400000_NS6detail17trampoline_kernelINS0_14default_configENS1_20scan_config_selectorIN3c104HalfEEEZZNS1_9scan_implILNS1_25lookback_scan_determinismE0ELb0ELb0ES3_PKS6_PS6_S6_ZZZN2at6native31launch_logcumsumexp_cuda_kernelERKNSD_10TensorBaseESH_lENKUlvE_clEvENKUlvE3_clEvEUlS6_S6_E_S6_EEDaPvRmT3_T4_T5_mT6_P12ihipStream_tbENKUlT_T0_E_clISt17integral_constantIbLb1EESX_IbLb0EEEEDaST_SU_EUlST_E0_NS1_11comp_targetILNS1_3genE2ELNS1_11target_archE906ELNS1_3gpuE6ELNS1_3repE0EEENS1_30default_config_static_selectorELNS0_4arch9wavefront6targetE1EEEvT1_.num_vgpr, 0
	.set _ZN7rocprim17ROCPRIM_400000_NS6detail17trampoline_kernelINS0_14default_configENS1_20scan_config_selectorIN3c104HalfEEEZZNS1_9scan_implILNS1_25lookback_scan_determinismE0ELb0ELb0ES3_PKS6_PS6_S6_ZZZN2at6native31launch_logcumsumexp_cuda_kernelERKNSD_10TensorBaseESH_lENKUlvE_clEvENKUlvE3_clEvEUlS6_S6_E_S6_EEDaPvRmT3_T4_T5_mT6_P12ihipStream_tbENKUlT_T0_E_clISt17integral_constantIbLb1EESX_IbLb0EEEEDaST_SU_EUlST_E0_NS1_11comp_targetILNS1_3genE2ELNS1_11target_archE906ELNS1_3gpuE6ELNS1_3repE0EEENS1_30default_config_static_selectorELNS0_4arch9wavefront6targetE1EEEvT1_.num_agpr, 0
	.set _ZN7rocprim17ROCPRIM_400000_NS6detail17trampoline_kernelINS0_14default_configENS1_20scan_config_selectorIN3c104HalfEEEZZNS1_9scan_implILNS1_25lookback_scan_determinismE0ELb0ELb0ES3_PKS6_PS6_S6_ZZZN2at6native31launch_logcumsumexp_cuda_kernelERKNSD_10TensorBaseESH_lENKUlvE_clEvENKUlvE3_clEvEUlS6_S6_E_S6_EEDaPvRmT3_T4_T5_mT6_P12ihipStream_tbENKUlT_T0_E_clISt17integral_constantIbLb1EESX_IbLb0EEEEDaST_SU_EUlST_E0_NS1_11comp_targetILNS1_3genE2ELNS1_11target_archE906ELNS1_3gpuE6ELNS1_3repE0EEENS1_30default_config_static_selectorELNS0_4arch9wavefront6targetE1EEEvT1_.numbered_sgpr, 0
	.set _ZN7rocprim17ROCPRIM_400000_NS6detail17trampoline_kernelINS0_14default_configENS1_20scan_config_selectorIN3c104HalfEEEZZNS1_9scan_implILNS1_25lookback_scan_determinismE0ELb0ELb0ES3_PKS6_PS6_S6_ZZZN2at6native31launch_logcumsumexp_cuda_kernelERKNSD_10TensorBaseESH_lENKUlvE_clEvENKUlvE3_clEvEUlS6_S6_E_S6_EEDaPvRmT3_T4_T5_mT6_P12ihipStream_tbENKUlT_T0_E_clISt17integral_constantIbLb1EESX_IbLb0EEEEDaST_SU_EUlST_E0_NS1_11comp_targetILNS1_3genE2ELNS1_11target_archE906ELNS1_3gpuE6ELNS1_3repE0EEENS1_30default_config_static_selectorELNS0_4arch9wavefront6targetE1EEEvT1_.num_named_barrier, 0
	.set _ZN7rocprim17ROCPRIM_400000_NS6detail17trampoline_kernelINS0_14default_configENS1_20scan_config_selectorIN3c104HalfEEEZZNS1_9scan_implILNS1_25lookback_scan_determinismE0ELb0ELb0ES3_PKS6_PS6_S6_ZZZN2at6native31launch_logcumsumexp_cuda_kernelERKNSD_10TensorBaseESH_lENKUlvE_clEvENKUlvE3_clEvEUlS6_S6_E_S6_EEDaPvRmT3_T4_T5_mT6_P12ihipStream_tbENKUlT_T0_E_clISt17integral_constantIbLb1EESX_IbLb0EEEEDaST_SU_EUlST_E0_NS1_11comp_targetILNS1_3genE2ELNS1_11target_archE906ELNS1_3gpuE6ELNS1_3repE0EEENS1_30default_config_static_selectorELNS0_4arch9wavefront6targetE1EEEvT1_.private_seg_size, 0
	.set _ZN7rocprim17ROCPRIM_400000_NS6detail17trampoline_kernelINS0_14default_configENS1_20scan_config_selectorIN3c104HalfEEEZZNS1_9scan_implILNS1_25lookback_scan_determinismE0ELb0ELb0ES3_PKS6_PS6_S6_ZZZN2at6native31launch_logcumsumexp_cuda_kernelERKNSD_10TensorBaseESH_lENKUlvE_clEvENKUlvE3_clEvEUlS6_S6_E_S6_EEDaPvRmT3_T4_T5_mT6_P12ihipStream_tbENKUlT_T0_E_clISt17integral_constantIbLb1EESX_IbLb0EEEEDaST_SU_EUlST_E0_NS1_11comp_targetILNS1_3genE2ELNS1_11target_archE906ELNS1_3gpuE6ELNS1_3repE0EEENS1_30default_config_static_selectorELNS0_4arch9wavefront6targetE1EEEvT1_.uses_vcc, 0
	.set _ZN7rocprim17ROCPRIM_400000_NS6detail17trampoline_kernelINS0_14default_configENS1_20scan_config_selectorIN3c104HalfEEEZZNS1_9scan_implILNS1_25lookback_scan_determinismE0ELb0ELb0ES3_PKS6_PS6_S6_ZZZN2at6native31launch_logcumsumexp_cuda_kernelERKNSD_10TensorBaseESH_lENKUlvE_clEvENKUlvE3_clEvEUlS6_S6_E_S6_EEDaPvRmT3_T4_T5_mT6_P12ihipStream_tbENKUlT_T0_E_clISt17integral_constantIbLb1EESX_IbLb0EEEEDaST_SU_EUlST_E0_NS1_11comp_targetILNS1_3genE2ELNS1_11target_archE906ELNS1_3gpuE6ELNS1_3repE0EEENS1_30default_config_static_selectorELNS0_4arch9wavefront6targetE1EEEvT1_.uses_flat_scratch, 0
	.set _ZN7rocprim17ROCPRIM_400000_NS6detail17trampoline_kernelINS0_14default_configENS1_20scan_config_selectorIN3c104HalfEEEZZNS1_9scan_implILNS1_25lookback_scan_determinismE0ELb0ELb0ES3_PKS6_PS6_S6_ZZZN2at6native31launch_logcumsumexp_cuda_kernelERKNSD_10TensorBaseESH_lENKUlvE_clEvENKUlvE3_clEvEUlS6_S6_E_S6_EEDaPvRmT3_T4_T5_mT6_P12ihipStream_tbENKUlT_T0_E_clISt17integral_constantIbLb1EESX_IbLb0EEEEDaST_SU_EUlST_E0_NS1_11comp_targetILNS1_3genE2ELNS1_11target_archE906ELNS1_3gpuE6ELNS1_3repE0EEENS1_30default_config_static_selectorELNS0_4arch9wavefront6targetE1EEEvT1_.has_dyn_sized_stack, 0
	.set _ZN7rocprim17ROCPRIM_400000_NS6detail17trampoline_kernelINS0_14default_configENS1_20scan_config_selectorIN3c104HalfEEEZZNS1_9scan_implILNS1_25lookback_scan_determinismE0ELb0ELb0ES3_PKS6_PS6_S6_ZZZN2at6native31launch_logcumsumexp_cuda_kernelERKNSD_10TensorBaseESH_lENKUlvE_clEvENKUlvE3_clEvEUlS6_S6_E_S6_EEDaPvRmT3_T4_T5_mT6_P12ihipStream_tbENKUlT_T0_E_clISt17integral_constantIbLb1EESX_IbLb0EEEEDaST_SU_EUlST_E0_NS1_11comp_targetILNS1_3genE2ELNS1_11target_archE906ELNS1_3gpuE6ELNS1_3repE0EEENS1_30default_config_static_selectorELNS0_4arch9wavefront6targetE1EEEvT1_.has_recursion, 0
	.set _ZN7rocprim17ROCPRIM_400000_NS6detail17trampoline_kernelINS0_14default_configENS1_20scan_config_selectorIN3c104HalfEEEZZNS1_9scan_implILNS1_25lookback_scan_determinismE0ELb0ELb0ES3_PKS6_PS6_S6_ZZZN2at6native31launch_logcumsumexp_cuda_kernelERKNSD_10TensorBaseESH_lENKUlvE_clEvENKUlvE3_clEvEUlS6_S6_E_S6_EEDaPvRmT3_T4_T5_mT6_P12ihipStream_tbENKUlT_T0_E_clISt17integral_constantIbLb1EESX_IbLb0EEEEDaST_SU_EUlST_E0_NS1_11comp_targetILNS1_3genE2ELNS1_11target_archE906ELNS1_3gpuE6ELNS1_3repE0EEENS1_30default_config_static_selectorELNS0_4arch9wavefront6targetE1EEEvT1_.has_indirect_call, 0
	.section	.AMDGPU.csdata,"",@progbits
; Kernel info:
; codeLenInByte = 0
; TotalNumSgprs: 6
; NumVgprs: 0
; NumAgprs: 0
; TotalNumVgprs: 0
; ScratchSize: 0
; MemoryBound: 0
; FloatMode: 240
; IeeeMode: 1
; LDSByteSize: 0 bytes/workgroup (compile time only)
; SGPRBlocks: 0
; VGPRBlocks: 0
; NumSGPRsForWavesPerEU: 6
; NumVGPRsForWavesPerEU: 1
; AccumOffset: 4
; Occupancy: 8
; WaveLimiterHint : 0
; COMPUTE_PGM_RSRC2:SCRATCH_EN: 0
; COMPUTE_PGM_RSRC2:USER_SGPR: 2
; COMPUTE_PGM_RSRC2:TRAP_HANDLER: 0
; COMPUTE_PGM_RSRC2:TGID_X_EN: 1
; COMPUTE_PGM_RSRC2:TGID_Y_EN: 0
; COMPUTE_PGM_RSRC2:TGID_Z_EN: 0
; COMPUTE_PGM_RSRC2:TIDIG_COMP_CNT: 0
; COMPUTE_PGM_RSRC3_GFX90A:ACCUM_OFFSET: 0
; COMPUTE_PGM_RSRC3_GFX90A:TG_SPLIT: 0
	.section	.text._ZN7rocprim17ROCPRIM_400000_NS6detail17trampoline_kernelINS0_14default_configENS1_20scan_config_selectorIN3c104HalfEEEZZNS1_9scan_implILNS1_25lookback_scan_determinismE0ELb0ELb0ES3_PKS6_PS6_S6_ZZZN2at6native31launch_logcumsumexp_cuda_kernelERKNSD_10TensorBaseESH_lENKUlvE_clEvENKUlvE3_clEvEUlS6_S6_E_S6_EEDaPvRmT3_T4_T5_mT6_P12ihipStream_tbENKUlT_T0_E_clISt17integral_constantIbLb1EESX_IbLb0EEEEDaST_SU_EUlST_E0_NS1_11comp_targetILNS1_3genE10ELNS1_11target_archE1201ELNS1_3gpuE5ELNS1_3repE0EEENS1_30default_config_static_selectorELNS0_4arch9wavefront6targetE1EEEvT1_,"axG",@progbits,_ZN7rocprim17ROCPRIM_400000_NS6detail17trampoline_kernelINS0_14default_configENS1_20scan_config_selectorIN3c104HalfEEEZZNS1_9scan_implILNS1_25lookback_scan_determinismE0ELb0ELb0ES3_PKS6_PS6_S6_ZZZN2at6native31launch_logcumsumexp_cuda_kernelERKNSD_10TensorBaseESH_lENKUlvE_clEvENKUlvE3_clEvEUlS6_S6_E_S6_EEDaPvRmT3_T4_T5_mT6_P12ihipStream_tbENKUlT_T0_E_clISt17integral_constantIbLb1EESX_IbLb0EEEEDaST_SU_EUlST_E0_NS1_11comp_targetILNS1_3genE10ELNS1_11target_archE1201ELNS1_3gpuE5ELNS1_3repE0EEENS1_30default_config_static_selectorELNS0_4arch9wavefront6targetE1EEEvT1_,comdat
	.globl	_ZN7rocprim17ROCPRIM_400000_NS6detail17trampoline_kernelINS0_14default_configENS1_20scan_config_selectorIN3c104HalfEEEZZNS1_9scan_implILNS1_25lookback_scan_determinismE0ELb0ELb0ES3_PKS6_PS6_S6_ZZZN2at6native31launch_logcumsumexp_cuda_kernelERKNSD_10TensorBaseESH_lENKUlvE_clEvENKUlvE3_clEvEUlS6_S6_E_S6_EEDaPvRmT3_T4_T5_mT6_P12ihipStream_tbENKUlT_T0_E_clISt17integral_constantIbLb1EESX_IbLb0EEEEDaST_SU_EUlST_E0_NS1_11comp_targetILNS1_3genE10ELNS1_11target_archE1201ELNS1_3gpuE5ELNS1_3repE0EEENS1_30default_config_static_selectorELNS0_4arch9wavefront6targetE1EEEvT1_ ; -- Begin function _ZN7rocprim17ROCPRIM_400000_NS6detail17trampoline_kernelINS0_14default_configENS1_20scan_config_selectorIN3c104HalfEEEZZNS1_9scan_implILNS1_25lookback_scan_determinismE0ELb0ELb0ES3_PKS6_PS6_S6_ZZZN2at6native31launch_logcumsumexp_cuda_kernelERKNSD_10TensorBaseESH_lENKUlvE_clEvENKUlvE3_clEvEUlS6_S6_E_S6_EEDaPvRmT3_T4_T5_mT6_P12ihipStream_tbENKUlT_T0_E_clISt17integral_constantIbLb1EESX_IbLb0EEEEDaST_SU_EUlST_E0_NS1_11comp_targetILNS1_3genE10ELNS1_11target_archE1201ELNS1_3gpuE5ELNS1_3repE0EEENS1_30default_config_static_selectorELNS0_4arch9wavefront6targetE1EEEvT1_
	.p2align	8
	.type	_ZN7rocprim17ROCPRIM_400000_NS6detail17trampoline_kernelINS0_14default_configENS1_20scan_config_selectorIN3c104HalfEEEZZNS1_9scan_implILNS1_25lookback_scan_determinismE0ELb0ELb0ES3_PKS6_PS6_S6_ZZZN2at6native31launch_logcumsumexp_cuda_kernelERKNSD_10TensorBaseESH_lENKUlvE_clEvENKUlvE3_clEvEUlS6_S6_E_S6_EEDaPvRmT3_T4_T5_mT6_P12ihipStream_tbENKUlT_T0_E_clISt17integral_constantIbLb1EESX_IbLb0EEEEDaST_SU_EUlST_E0_NS1_11comp_targetILNS1_3genE10ELNS1_11target_archE1201ELNS1_3gpuE5ELNS1_3repE0EEENS1_30default_config_static_selectorELNS0_4arch9wavefront6targetE1EEEvT1_,@function
_ZN7rocprim17ROCPRIM_400000_NS6detail17trampoline_kernelINS0_14default_configENS1_20scan_config_selectorIN3c104HalfEEEZZNS1_9scan_implILNS1_25lookback_scan_determinismE0ELb0ELb0ES3_PKS6_PS6_S6_ZZZN2at6native31launch_logcumsumexp_cuda_kernelERKNSD_10TensorBaseESH_lENKUlvE_clEvENKUlvE3_clEvEUlS6_S6_E_S6_EEDaPvRmT3_T4_T5_mT6_P12ihipStream_tbENKUlT_T0_E_clISt17integral_constantIbLb1EESX_IbLb0EEEEDaST_SU_EUlST_E0_NS1_11comp_targetILNS1_3genE10ELNS1_11target_archE1201ELNS1_3gpuE5ELNS1_3repE0EEENS1_30default_config_static_selectorELNS0_4arch9wavefront6targetE1EEEvT1_: ; @_ZN7rocprim17ROCPRIM_400000_NS6detail17trampoline_kernelINS0_14default_configENS1_20scan_config_selectorIN3c104HalfEEEZZNS1_9scan_implILNS1_25lookback_scan_determinismE0ELb0ELb0ES3_PKS6_PS6_S6_ZZZN2at6native31launch_logcumsumexp_cuda_kernelERKNSD_10TensorBaseESH_lENKUlvE_clEvENKUlvE3_clEvEUlS6_S6_E_S6_EEDaPvRmT3_T4_T5_mT6_P12ihipStream_tbENKUlT_T0_E_clISt17integral_constantIbLb1EESX_IbLb0EEEEDaST_SU_EUlST_E0_NS1_11comp_targetILNS1_3genE10ELNS1_11target_archE1201ELNS1_3gpuE5ELNS1_3repE0EEENS1_30default_config_static_selectorELNS0_4arch9wavefront6targetE1EEEvT1_
; %bb.0:
	.section	.rodata,"a",@progbits
	.p2align	6, 0x0
	.amdhsa_kernel _ZN7rocprim17ROCPRIM_400000_NS6detail17trampoline_kernelINS0_14default_configENS1_20scan_config_selectorIN3c104HalfEEEZZNS1_9scan_implILNS1_25lookback_scan_determinismE0ELb0ELb0ES3_PKS6_PS6_S6_ZZZN2at6native31launch_logcumsumexp_cuda_kernelERKNSD_10TensorBaseESH_lENKUlvE_clEvENKUlvE3_clEvEUlS6_S6_E_S6_EEDaPvRmT3_T4_T5_mT6_P12ihipStream_tbENKUlT_T0_E_clISt17integral_constantIbLb1EESX_IbLb0EEEEDaST_SU_EUlST_E0_NS1_11comp_targetILNS1_3genE10ELNS1_11target_archE1201ELNS1_3gpuE5ELNS1_3repE0EEENS1_30default_config_static_selectorELNS0_4arch9wavefront6targetE1EEEvT1_
		.amdhsa_group_segment_fixed_size 0
		.amdhsa_private_segment_fixed_size 0
		.amdhsa_kernarg_size 32
		.amdhsa_user_sgpr_count 2
		.amdhsa_user_sgpr_dispatch_ptr 0
		.amdhsa_user_sgpr_queue_ptr 0
		.amdhsa_user_sgpr_kernarg_segment_ptr 1
		.amdhsa_user_sgpr_dispatch_id 0
		.amdhsa_user_sgpr_kernarg_preload_length 0
		.amdhsa_user_sgpr_kernarg_preload_offset 0
		.amdhsa_user_sgpr_private_segment_size 0
		.amdhsa_uses_dynamic_stack 0
		.amdhsa_enable_private_segment 0
		.amdhsa_system_sgpr_workgroup_id_x 1
		.amdhsa_system_sgpr_workgroup_id_y 0
		.amdhsa_system_sgpr_workgroup_id_z 0
		.amdhsa_system_sgpr_workgroup_info 0
		.amdhsa_system_vgpr_workitem_id 0
		.amdhsa_next_free_vgpr 1
		.amdhsa_next_free_sgpr 0
		.amdhsa_accum_offset 4
		.amdhsa_reserve_vcc 0
		.amdhsa_float_round_mode_32 0
		.amdhsa_float_round_mode_16_64 0
		.amdhsa_float_denorm_mode_32 3
		.amdhsa_float_denorm_mode_16_64 3
		.amdhsa_dx10_clamp 1
		.amdhsa_ieee_mode 1
		.amdhsa_fp16_overflow 0
		.amdhsa_tg_split 0
		.amdhsa_exception_fp_ieee_invalid_op 0
		.amdhsa_exception_fp_denorm_src 0
		.amdhsa_exception_fp_ieee_div_zero 0
		.amdhsa_exception_fp_ieee_overflow 0
		.amdhsa_exception_fp_ieee_underflow 0
		.amdhsa_exception_fp_ieee_inexact 0
		.amdhsa_exception_int_div_zero 0
	.end_amdhsa_kernel
	.section	.text._ZN7rocprim17ROCPRIM_400000_NS6detail17trampoline_kernelINS0_14default_configENS1_20scan_config_selectorIN3c104HalfEEEZZNS1_9scan_implILNS1_25lookback_scan_determinismE0ELb0ELb0ES3_PKS6_PS6_S6_ZZZN2at6native31launch_logcumsumexp_cuda_kernelERKNSD_10TensorBaseESH_lENKUlvE_clEvENKUlvE3_clEvEUlS6_S6_E_S6_EEDaPvRmT3_T4_T5_mT6_P12ihipStream_tbENKUlT_T0_E_clISt17integral_constantIbLb1EESX_IbLb0EEEEDaST_SU_EUlST_E0_NS1_11comp_targetILNS1_3genE10ELNS1_11target_archE1201ELNS1_3gpuE5ELNS1_3repE0EEENS1_30default_config_static_selectorELNS0_4arch9wavefront6targetE1EEEvT1_,"axG",@progbits,_ZN7rocprim17ROCPRIM_400000_NS6detail17trampoline_kernelINS0_14default_configENS1_20scan_config_selectorIN3c104HalfEEEZZNS1_9scan_implILNS1_25lookback_scan_determinismE0ELb0ELb0ES3_PKS6_PS6_S6_ZZZN2at6native31launch_logcumsumexp_cuda_kernelERKNSD_10TensorBaseESH_lENKUlvE_clEvENKUlvE3_clEvEUlS6_S6_E_S6_EEDaPvRmT3_T4_T5_mT6_P12ihipStream_tbENKUlT_T0_E_clISt17integral_constantIbLb1EESX_IbLb0EEEEDaST_SU_EUlST_E0_NS1_11comp_targetILNS1_3genE10ELNS1_11target_archE1201ELNS1_3gpuE5ELNS1_3repE0EEENS1_30default_config_static_selectorELNS0_4arch9wavefront6targetE1EEEvT1_,comdat
.Lfunc_end411:
	.size	_ZN7rocprim17ROCPRIM_400000_NS6detail17trampoline_kernelINS0_14default_configENS1_20scan_config_selectorIN3c104HalfEEEZZNS1_9scan_implILNS1_25lookback_scan_determinismE0ELb0ELb0ES3_PKS6_PS6_S6_ZZZN2at6native31launch_logcumsumexp_cuda_kernelERKNSD_10TensorBaseESH_lENKUlvE_clEvENKUlvE3_clEvEUlS6_S6_E_S6_EEDaPvRmT3_T4_T5_mT6_P12ihipStream_tbENKUlT_T0_E_clISt17integral_constantIbLb1EESX_IbLb0EEEEDaST_SU_EUlST_E0_NS1_11comp_targetILNS1_3genE10ELNS1_11target_archE1201ELNS1_3gpuE5ELNS1_3repE0EEENS1_30default_config_static_selectorELNS0_4arch9wavefront6targetE1EEEvT1_, .Lfunc_end411-_ZN7rocprim17ROCPRIM_400000_NS6detail17trampoline_kernelINS0_14default_configENS1_20scan_config_selectorIN3c104HalfEEEZZNS1_9scan_implILNS1_25lookback_scan_determinismE0ELb0ELb0ES3_PKS6_PS6_S6_ZZZN2at6native31launch_logcumsumexp_cuda_kernelERKNSD_10TensorBaseESH_lENKUlvE_clEvENKUlvE3_clEvEUlS6_S6_E_S6_EEDaPvRmT3_T4_T5_mT6_P12ihipStream_tbENKUlT_T0_E_clISt17integral_constantIbLb1EESX_IbLb0EEEEDaST_SU_EUlST_E0_NS1_11comp_targetILNS1_3genE10ELNS1_11target_archE1201ELNS1_3gpuE5ELNS1_3repE0EEENS1_30default_config_static_selectorELNS0_4arch9wavefront6targetE1EEEvT1_
                                        ; -- End function
	.set _ZN7rocprim17ROCPRIM_400000_NS6detail17trampoline_kernelINS0_14default_configENS1_20scan_config_selectorIN3c104HalfEEEZZNS1_9scan_implILNS1_25lookback_scan_determinismE0ELb0ELb0ES3_PKS6_PS6_S6_ZZZN2at6native31launch_logcumsumexp_cuda_kernelERKNSD_10TensorBaseESH_lENKUlvE_clEvENKUlvE3_clEvEUlS6_S6_E_S6_EEDaPvRmT3_T4_T5_mT6_P12ihipStream_tbENKUlT_T0_E_clISt17integral_constantIbLb1EESX_IbLb0EEEEDaST_SU_EUlST_E0_NS1_11comp_targetILNS1_3genE10ELNS1_11target_archE1201ELNS1_3gpuE5ELNS1_3repE0EEENS1_30default_config_static_selectorELNS0_4arch9wavefront6targetE1EEEvT1_.num_vgpr, 0
	.set _ZN7rocprim17ROCPRIM_400000_NS6detail17trampoline_kernelINS0_14default_configENS1_20scan_config_selectorIN3c104HalfEEEZZNS1_9scan_implILNS1_25lookback_scan_determinismE0ELb0ELb0ES3_PKS6_PS6_S6_ZZZN2at6native31launch_logcumsumexp_cuda_kernelERKNSD_10TensorBaseESH_lENKUlvE_clEvENKUlvE3_clEvEUlS6_S6_E_S6_EEDaPvRmT3_T4_T5_mT6_P12ihipStream_tbENKUlT_T0_E_clISt17integral_constantIbLb1EESX_IbLb0EEEEDaST_SU_EUlST_E0_NS1_11comp_targetILNS1_3genE10ELNS1_11target_archE1201ELNS1_3gpuE5ELNS1_3repE0EEENS1_30default_config_static_selectorELNS0_4arch9wavefront6targetE1EEEvT1_.num_agpr, 0
	.set _ZN7rocprim17ROCPRIM_400000_NS6detail17trampoline_kernelINS0_14default_configENS1_20scan_config_selectorIN3c104HalfEEEZZNS1_9scan_implILNS1_25lookback_scan_determinismE0ELb0ELb0ES3_PKS6_PS6_S6_ZZZN2at6native31launch_logcumsumexp_cuda_kernelERKNSD_10TensorBaseESH_lENKUlvE_clEvENKUlvE3_clEvEUlS6_S6_E_S6_EEDaPvRmT3_T4_T5_mT6_P12ihipStream_tbENKUlT_T0_E_clISt17integral_constantIbLb1EESX_IbLb0EEEEDaST_SU_EUlST_E0_NS1_11comp_targetILNS1_3genE10ELNS1_11target_archE1201ELNS1_3gpuE5ELNS1_3repE0EEENS1_30default_config_static_selectorELNS0_4arch9wavefront6targetE1EEEvT1_.numbered_sgpr, 0
	.set _ZN7rocprim17ROCPRIM_400000_NS6detail17trampoline_kernelINS0_14default_configENS1_20scan_config_selectorIN3c104HalfEEEZZNS1_9scan_implILNS1_25lookback_scan_determinismE0ELb0ELb0ES3_PKS6_PS6_S6_ZZZN2at6native31launch_logcumsumexp_cuda_kernelERKNSD_10TensorBaseESH_lENKUlvE_clEvENKUlvE3_clEvEUlS6_S6_E_S6_EEDaPvRmT3_T4_T5_mT6_P12ihipStream_tbENKUlT_T0_E_clISt17integral_constantIbLb1EESX_IbLb0EEEEDaST_SU_EUlST_E0_NS1_11comp_targetILNS1_3genE10ELNS1_11target_archE1201ELNS1_3gpuE5ELNS1_3repE0EEENS1_30default_config_static_selectorELNS0_4arch9wavefront6targetE1EEEvT1_.num_named_barrier, 0
	.set _ZN7rocprim17ROCPRIM_400000_NS6detail17trampoline_kernelINS0_14default_configENS1_20scan_config_selectorIN3c104HalfEEEZZNS1_9scan_implILNS1_25lookback_scan_determinismE0ELb0ELb0ES3_PKS6_PS6_S6_ZZZN2at6native31launch_logcumsumexp_cuda_kernelERKNSD_10TensorBaseESH_lENKUlvE_clEvENKUlvE3_clEvEUlS6_S6_E_S6_EEDaPvRmT3_T4_T5_mT6_P12ihipStream_tbENKUlT_T0_E_clISt17integral_constantIbLb1EESX_IbLb0EEEEDaST_SU_EUlST_E0_NS1_11comp_targetILNS1_3genE10ELNS1_11target_archE1201ELNS1_3gpuE5ELNS1_3repE0EEENS1_30default_config_static_selectorELNS0_4arch9wavefront6targetE1EEEvT1_.private_seg_size, 0
	.set _ZN7rocprim17ROCPRIM_400000_NS6detail17trampoline_kernelINS0_14default_configENS1_20scan_config_selectorIN3c104HalfEEEZZNS1_9scan_implILNS1_25lookback_scan_determinismE0ELb0ELb0ES3_PKS6_PS6_S6_ZZZN2at6native31launch_logcumsumexp_cuda_kernelERKNSD_10TensorBaseESH_lENKUlvE_clEvENKUlvE3_clEvEUlS6_S6_E_S6_EEDaPvRmT3_T4_T5_mT6_P12ihipStream_tbENKUlT_T0_E_clISt17integral_constantIbLb1EESX_IbLb0EEEEDaST_SU_EUlST_E0_NS1_11comp_targetILNS1_3genE10ELNS1_11target_archE1201ELNS1_3gpuE5ELNS1_3repE0EEENS1_30default_config_static_selectorELNS0_4arch9wavefront6targetE1EEEvT1_.uses_vcc, 0
	.set _ZN7rocprim17ROCPRIM_400000_NS6detail17trampoline_kernelINS0_14default_configENS1_20scan_config_selectorIN3c104HalfEEEZZNS1_9scan_implILNS1_25lookback_scan_determinismE0ELb0ELb0ES3_PKS6_PS6_S6_ZZZN2at6native31launch_logcumsumexp_cuda_kernelERKNSD_10TensorBaseESH_lENKUlvE_clEvENKUlvE3_clEvEUlS6_S6_E_S6_EEDaPvRmT3_T4_T5_mT6_P12ihipStream_tbENKUlT_T0_E_clISt17integral_constantIbLb1EESX_IbLb0EEEEDaST_SU_EUlST_E0_NS1_11comp_targetILNS1_3genE10ELNS1_11target_archE1201ELNS1_3gpuE5ELNS1_3repE0EEENS1_30default_config_static_selectorELNS0_4arch9wavefront6targetE1EEEvT1_.uses_flat_scratch, 0
	.set _ZN7rocprim17ROCPRIM_400000_NS6detail17trampoline_kernelINS0_14default_configENS1_20scan_config_selectorIN3c104HalfEEEZZNS1_9scan_implILNS1_25lookback_scan_determinismE0ELb0ELb0ES3_PKS6_PS6_S6_ZZZN2at6native31launch_logcumsumexp_cuda_kernelERKNSD_10TensorBaseESH_lENKUlvE_clEvENKUlvE3_clEvEUlS6_S6_E_S6_EEDaPvRmT3_T4_T5_mT6_P12ihipStream_tbENKUlT_T0_E_clISt17integral_constantIbLb1EESX_IbLb0EEEEDaST_SU_EUlST_E0_NS1_11comp_targetILNS1_3genE10ELNS1_11target_archE1201ELNS1_3gpuE5ELNS1_3repE0EEENS1_30default_config_static_selectorELNS0_4arch9wavefront6targetE1EEEvT1_.has_dyn_sized_stack, 0
	.set _ZN7rocprim17ROCPRIM_400000_NS6detail17trampoline_kernelINS0_14default_configENS1_20scan_config_selectorIN3c104HalfEEEZZNS1_9scan_implILNS1_25lookback_scan_determinismE0ELb0ELb0ES3_PKS6_PS6_S6_ZZZN2at6native31launch_logcumsumexp_cuda_kernelERKNSD_10TensorBaseESH_lENKUlvE_clEvENKUlvE3_clEvEUlS6_S6_E_S6_EEDaPvRmT3_T4_T5_mT6_P12ihipStream_tbENKUlT_T0_E_clISt17integral_constantIbLb1EESX_IbLb0EEEEDaST_SU_EUlST_E0_NS1_11comp_targetILNS1_3genE10ELNS1_11target_archE1201ELNS1_3gpuE5ELNS1_3repE0EEENS1_30default_config_static_selectorELNS0_4arch9wavefront6targetE1EEEvT1_.has_recursion, 0
	.set _ZN7rocprim17ROCPRIM_400000_NS6detail17trampoline_kernelINS0_14default_configENS1_20scan_config_selectorIN3c104HalfEEEZZNS1_9scan_implILNS1_25lookback_scan_determinismE0ELb0ELb0ES3_PKS6_PS6_S6_ZZZN2at6native31launch_logcumsumexp_cuda_kernelERKNSD_10TensorBaseESH_lENKUlvE_clEvENKUlvE3_clEvEUlS6_S6_E_S6_EEDaPvRmT3_T4_T5_mT6_P12ihipStream_tbENKUlT_T0_E_clISt17integral_constantIbLb1EESX_IbLb0EEEEDaST_SU_EUlST_E0_NS1_11comp_targetILNS1_3genE10ELNS1_11target_archE1201ELNS1_3gpuE5ELNS1_3repE0EEENS1_30default_config_static_selectorELNS0_4arch9wavefront6targetE1EEEvT1_.has_indirect_call, 0
	.section	.AMDGPU.csdata,"",@progbits
; Kernel info:
; codeLenInByte = 0
; TotalNumSgprs: 6
; NumVgprs: 0
; NumAgprs: 0
; TotalNumVgprs: 0
; ScratchSize: 0
; MemoryBound: 0
; FloatMode: 240
; IeeeMode: 1
; LDSByteSize: 0 bytes/workgroup (compile time only)
; SGPRBlocks: 0
; VGPRBlocks: 0
; NumSGPRsForWavesPerEU: 6
; NumVGPRsForWavesPerEU: 1
; AccumOffset: 4
; Occupancy: 8
; WaveLimiterHint : 0
; COMPUTE_PGM_RSRC2:SCRATCH_EN: 0
; COMPUTE_PGM_RSRC2:USER_SGPR: 2
; COMPUTE_PGM_RSRC2:TRAP_HANDLER: 0
; COMPUTE_PGM_RSRC2:TGID_X_EN: 1
; COMPUTE_PGM_RSRC2:TGID_Y_EN: 0
; COMPUTE_PGM_RSRC2:TGID_Z_EN: 0
; COMPUTE_PGM_RSRC2:TIDIG_COMP_CNT: 0
; COMPUTE_PGM_RSRC3_GFX90A:ACCUM_OFFSET: 0
; COMPUTE_PGM_RSRC3_GFX90A:TG_SPLIT: 0
	.section	.text._ZN7rocprim17ROCPRIM_400000_NS6detail17trampoline_kernelINS0_14default_configENS1_20scan_config_selectorIN3c104HalfEEEZZNS1_9scan_implILNS1_25lookback_scan_determinismE0ELb0ELb0ES3_PKS6_PS6_S6_ZZZN2at6native31launch_logcumsumexp_cuda_kernelERKNSD_10TensorBaseESH_lENKUlvE_clEvENKUlvE3_clEvEUlS6_S6_E_S6_EEDaPvRmT3_T4_T5_mT6_P12ihipStream_tbENKUlT_T0_E_clISt17integral_constantIbLb1EESX_IbLb0EEEEDaST_SU_EUlST_E0_NS1_11comp_targetILNS1_3genE10ELNS1_11target_archE1200ELNS1_3gpuE4ELNS1_3repE0EEENS1_30default_config_static_selectorELNS0_4arch9wavefront6targetE1EEEvT1_,"axG",@progbits,_ZN7rocprim17ROCPRIM_400000_NS6detail17trampoline_kernelINS0_14default_configENS1_20scan_config_selectorIN3c104HalfEEEZZNS1_9scan_implILNS1_25lookback_scan_determinismE0ELb0ELb0ES3_PKS6_PS6_S6_ZZZN2at6native31launch_logcumsumexp_cuda_kernelERKNSD_10TensorBaseESH_lENKUlvE_clEvENKUlvE3_clEvEUlS6_S6_E_S6_EEDaPvRmT3_T4_T5_mT6_P12ihipStream_tbENKUlT_T0_E_clISt17integral_constantIbLb1EESX_IbLb0EEEEDaST_SU_EUlST_E0_NS1_11comp_targetILNS1_3genE10ELNS1_11target_archE1200ELNS1_3gpuE4ELNS1_3repE0EEENS1_30default_config_static_selectorELNS0_4arch9wavefront6targetE1EEEvT1_,comdat
	.globl	_ZN7rocprim17ROCPRIM_400000_NS6detail17trampoline_kernelINS0_14default_configENS1_20scan_config_selectorIN3c104HalfEEEZZNS1_9scan_implILNS1_25lookback_scan_determinismE0ELb0ELb0ES3_PKS6_PS6_S6_ZZZN2at6native31launch_logcumsumexp_cuda_kernelERKNSD_10TensorBaseESH_lENKUlvE_clEvENKUlvE3_clEvEUlS6_S6_E_S6_EEDaPvRmT3_T4_T5_mT6_P12ihipStream_tbENKUlT_T0_E_clISt17integral_constantIbLb1EESX_IbLb0EEEEDaST_SU_EUlST_E0_NS1_11comp_targetILNS1_3genE10ELNS1_11target_archE1200ELNS1_3gpuE4ELNS1_3repE0EEENS1_30default_config_static_selectorELNS0_4arch9wavefront6targetE1EEEvT1_ ; -- Begin function _ZN7rocprim17ROCPRIM_400000_NS6detail17trampoline_kernelINS0_14default_configENS1_20scan_config_selectorIN3c104HalfEEEZZNS1_9scan_implILNS1_25lookback_scan_determinismE0ELb0ELb0ES3_PKS6_PS6_S6_ZZZN2at6native31launch_logcumsumexp_cuda_kernelERKNSD_10TensorBaseESH_lENKUlvE_clEvENKUlvE3_clEvEUlS6_S6_E_S6_EEDaPvRmT3_T4_T5_mT6_P12ihipStream_tbENKUlT_T0_E_clISt17integral_constantIbLb1EESX_IbLb0EEEEDaST_SU_EUlST_E0_NS1_11comp_targetILNS1_3genE10ELNS1_11target_archE1200ELNS1_3gpuE4ELNS1_3repE0EEENS1_30default_config_static_selectorELNS0_4arch9wavefront6targetE1EEEvT1_
	.p2align	8
	.type	_ZN7rocprim17ROCPRIM_400000_NS6detail17trampoline_kernelINS0_14default_configENS1_20scan_config_selectorIN3c104HalfEEEZZNS1_9scan_implILNS1_25lookback_scan_determinismE0ELb0ELb0ES3_PKS6_PS6_S6_ZZZN2at6native31launch_logcumsumexp_cuda_kernelERKNSD_10TensorBaseESH_lENKUlvE_clEvENKUlvE3_clEvEUlS6_S6_E_S6_EEDaPvRmT3_T4_T5_mT6_P12ihipStream_tbENKUlT_T0_E_clISt17integral_constantIbLb1EESX_IbLb0EEEEDaST_SU_EUlST_E0_NS1_11comp_targetILNS1_3genE10ELNS1_11target_archE1200ELNS1_3gpuE4ELNS1_3repE0EEENS1_30default_config_static_selectorELNS0_4arch9wavefront6targetE1EEEvT1_,@function
_ZN7rocprim17ROCPRIM_400000_NS6detail17trampoline_kernelINS0_14default_configENS1_20scan_config_selectorIN3c104HalfEEEZZNS1_9scan_implILNS1_25lookback_scan_determinismE0ELb0ELb0ES3_PKS6_PS6_S6_ZZZN2at6native31launch_logcumsumexp_cuda_kernelERKNSD_10TensorBaseESH_lENKUlvE_clEvENKUlvE3_clEvEUlS6_S6_E_S6_EEDaPvRmT3_T4_T5_mT6_P12ihipStream_tbENKUlT_T0_E_clISt17integral_constantIbLb1EESX_IbLb0EEEEDaST_SU_EUlST_E0_NS1_11comp_targetILNS1_3genE10ELNS1_11target_archE1200ELNS1_3gpuE4ELNS1_3repE0EEENS1_30default_config_static_selectorELNS0_4arch9wavefront6targetE1EEEvT1_: ; @_ZN7rocprim17ROCPRIM_400000_NS6detail17trampoline_kernelINS0_14default_configENS1_20scan_config_selectorIN3c104HalfEEEZZNS1_9scan_implILNS1_25lookback_scan_determinismE0ELb0ELb0ES3_PKS6_PS6_S6_ZZZN2at6native31launch_logcumsumexp_cuda_kernelERKNSD_10TensorBaseESH_lENKUlvE_clEvENKUlvE3_clEvEUlS6_S6_E_S6_EEDaPvRmT3_T4_T5_mT6_P12ihipStream_tbENKUlT_T0_E_clISt17integral_constantIbLb1EESX_IbLb0EEEEDaST_SU_EUlST_E0_NS1_11comp_targetILNS1_3genE10ELNS1_11target_archE1200ELNS1_3gpuE4ELNS1_3repE0EEENS1_30default_config_static_selectorELNS0_4arch9wavefront6targetE1EEEvT1_
; %bb.0:
	.section	.rodata,"a",@progbits
	.p2align	6, 0x0
	.amdhsa_kernel _ZN7rocprim17ROCPRIM_400000_NS6detail17trampoline_kernelINS0_14default_configENS1_20scan_config_selectorIN3c104HalfEEEZZNS1_9scan_implILNS1_25lookback_scan_determinismE0ELb0ELb0ES3_PKS6_PS6_S6_ZZZN2at6native31launch_logcumsumexp_cuda_kernelERKNSD_10TensorBaseESH_lENKUlvE_clEvENKUlvE3_clEvEUlS6_S6_E_S6_EEDaPvRmT3_T4_T5_mT6_P12ihipStream_tbENKUlT_T0_E_clISt17integral_constantIbLb1EESX_IbLb0EEEEDaST_SU_EUlST_E0_NS1_11comp_targetILNS1_3genE10ELNS1_11target_archE1200ELNS1_3gpuE4ELNS1_3repE0EEENS1_30default_config_static_selectorELNS0_4arch9wavefront6targetE1EEEvT1_
		.amdhsa_group_segment_fixed_size 0
		.amdhsa_private_segment_fixed_size 0
		.amdhsa_kernarg_size 32
		.amdhsa_user_sgpr_count 2
		.amdhsa_user_sgpr_dispatch_ptr 0
		.amdhsa_user_sgpr_queue_ptr 0
		.amdhsa_user_sgpr_kernarg_segment_ptr 1
		.amdhsa_user_sgpr_dispatch_id 0
		.amdhsa_user_sgpr_kernarg_preload_length 0
		.amdhsa_user_sgpr_kernarg_preload_offset 0
		.amdhsa_user_sgpr_private_segment_size 0
		.amdhsa_uses_dynamic_stack 0
		.amdhsa_enable_private_segment 0
		.amdhsa_system_sgpr_workgroup_id_x 1
		.amdhsa_system_sgpr_workgroup_id_y 0
		.amdhsa_system_sgpr_workgroup_id_z 0
		.amdhsa_system_sgpr_workgroup_info 0
		.amdhsa_system_vgpr_workitem_id 0
		.amdhsa_next_free_vgpr 1
		.amdhsa_next_free_sgpr 0
		.amdhsa_accum_offset 4
		.amdhsa_reserve_vcc 0
		.amdhsa_float_round_mode_32 0
		.amdhsa_float_round_mode_16_64 0
		.amdhsa_float_denorm_mode_32 3
		.amdhsa_float_denorm_mode_16_64 3
		.amdhsa_dx10_clamp 1
		.amdhsa_ieee_mode 1
		.amdhsa_fp16_overflow 0
		.amdhsa_tg_split 0
		.amdhsa_exception_fp_ieee_invalid_op 0
		.amdhsa_exception_fp_denorm_src 0
		.amdhsa_exception_fp_ieee_div_zero 0
		.amdhsa_exception_fp_ieee_overflow 0
		.amdhsa_exception_fp_ieee_underflow 0
		.amdhsa_exception_fp_ieee_inexact 0
		.amdhsa_exception_int_div_zero 0
	.end_amdhsa_kernel
	.section	.text._ZN7rocprim17ROCPRIM_400000_NS6detail17trampoline_kernelINS0_14default_configENS1_20scan_config_selectorIN3c104HalfEEEZZNS1_9scan_implILNS1_25lookback_scan_determinismE0ELb0ELb0ES3_PKS6_PS6_S6_ZZZN2at6native31launch_logcumsumexp_cuda_kernelERKNSD_10TensorBaseESH_lENKUlvE_clEvENKUlvE3_clEvEUlS6_S6_E_S6_EEDaPvRmT3_T4_T5_mT6_P12ihipStream_tbENKUlT_T0_E_clISt17integral_constantIbLb1EESX_IbLb0EEEEDaST_SU_EUlST_E0_NS1_11comp_targetILNS1_3genE10ELNS1_11target_archE1200ELNS1_3gpuE4ELNS1_3repE0EEENS1_30default_config_static_selectorELNS0_4arch9wavefront6targetE1EEEvT1_,"axG",@progbits,_ZN7rocprim17ROCPRIM_400000_NS6detail17trampoline_kernelINS0_14default_configENS1_20scan_config_selectorIN3c104HalfEEEZZNS1_9scan_implILNS1_25lookback_scan_determinismE0ELb0ELb0ES3_PKS6_PS6_S6_ZZZN2at6native31launch_logcumsumexp_cuda_kernelERKNSD_10TensorBaseESH_lENKUlvE_clEvENKUlvE3_clEvEUlS6_S6_E_S6_EEDaPvRmT3_T4_T5_mT6_P12ihipStream_tbENKUlT_T0_E_clISt17integral_constantIbLb1EESX_IbLb0EEEEDaST_SU_EUlST_E0_NS1_11comp_targetILNS1_3genE10ELNS1_11target_archE1200ELNS1_3gpuE4ELNS1_3repE0EEENS1_30default_config_static_selectorELNS0_4arch9wavefront6targetE1EEEvT1_,comdat
.Lfunc_end412:
	.size	_ZN7rocprim17ROCPRIM_400000_NS6detail17trampoline_kernelINS0_14default_configENS1_20scan_config_selectorIN3c104HalfEEEZZNS1_9scan_implILNS1_25lookback_scan_determinismE0ELb0ELb0ES3_PKS6_PS6_S6_ZZZN2at6native31launch_logcumsumexp_cuda_kernelERKNSD_10TensorBaseESH_lENKUlvE_clEvENKUlvE3_clEvEUlS6_S6_E_S6_EEDaPvRmT3_T4_T5_mT6_P12ihipStream_tbENKUlT_T0_E_clISt17integral_constantIbLb1EESX_IbLb0EEEEDaST_SU_EUlST_E0_NS1_11comp_targetILNS1_3genE10ELNS1_11target_archE1200ELNS1_3gpuE4ELNS1_3repE0EEENS1_30default_config_static_selectorELNS0_4arch9wavefront6targetE1EEEvT1_, .Lfunc_end412-_ZN7rocprim17ROCPRIM_400000_NS6detail17trampoline_kernelINS0_14default_configENS1_20scan_config_selectorIN3c104HalfEEEZZNS1_9scan_implILNS1_25lookback_scan_determinismE0ELb0ELb0ES3_PKS6_PS6_S6_ZZZN2at6native31launch_logcumsumexp_cuda_kernelERKNSD_10TensorBaseESH_lENKUlvE_clEvENKUlvE3_clEvEUlS6_S6_E_S6_EEDaPvRmT3_T4_T5_mT6_P12ihipStream_tbENKUlT_T0_E_clISt17integral_constantIbLb1EESX_IbLb0EEEEDaST_SU_EUlST_E0_NS1_11comp_targetILNS1_3genE10ELNS1_11target_archE1200ELNS1_3gpuE4ELNS1_3repE0EEENS1_30default_config_static_selectorELNS0_4arch9wavefront6targetE1EEEvT1_
                                        ; -- End function
	.set _ZN7rocprim17ROCPRIM_400000_NS6detail17trampoline_kernelINS0_14default_configENS1_20scan_config_selectorIN3c104HalfEEEZZNS1_9scan_implILNS1_25lookback_scan_determinismE0ELb0ELb0ES3_PKS6_PS6_S6_ZZZN2at6native31launch_logcumsumexp_cuda_kernelERKNSD_10TensorBaseESH_lENKUlvE_clEvENKUlvE3_clEvEUlS6_S6_E_S6_EEDaPvRmT3_T4_T5_mT6_P12ihipStream_tbENKUlT_T0_E_clISt17integral_constantIbLb1EESX_IbLb0EEEEDaST_SU_EUlST_E0_NS1_11comp_targetILNS1_3genE10ELNS1_11target_archE1200ELNS1_3gpuE4ELNS1_3repE0EEENS1_30default_config_static_selectorELNS0_4arch9wavefront6targetE1EEEvT1_.num_vgpr, 0
	.set _ZN7rocprim17ROCPRIM_400000_NS6detail17trampoline_kernelINS0_14default_configENS1_20scan_config_selectorIN3c104HalfEEEZZNS1_9scan_implILNS1_25lookback_scan_determinismE0ELb0ELb0ES3_PKS6_PS6_S6_ZZZN2at6native31launch_logcumsumexp_cuda_kernelERKNSD_10TensorBaseESH_lENKUlvE_clEvENKUlvE3_clEvEUlS6_S6_E_S6_EEDaPvRmT3_T4_T5_mT6_P12ihipStream_tbENKUlT_T0_E_clISt17integral_constantIbLb1EESX_IbLb0EEEEDaST_SU_EUlST_E0_NS1_11comp_targetILNS1_3genE10ELNS1_11target_archE1200ELNS1_3gpuE4ELNS1_3repE0EEENS1_30default_config_static_selectorELNS0_4arch9wavefront6targetE1EEEvT1_.num_agpr, 0
	.set _ZN7rocprim17ROCPRIM_400000_NS6detail17trampoline_kernelINS0_14default_configENS1_20scan_config_selectorIN3c104HalfEEEZZNS1_9scan_implILNS1_25lookback_scan_determinismE0ELb0ELb0ES3_PKS6_PS6_S6_ZZZN2at6native31launch_logcumsumexp_cuda_kernelERKNSD_10TensorBaseESH_lENKUlvE_clEvENKUlvE3_clEvEUlS6_S6_E_S6_EEDaPvRmT3_T4_T5_mT6_P12ihipStream_tbENKUlT_T0_E_clISt17integral_constantIbLb1EESX_IbLb0EEEEDaST_SU_EUlST_E0_NS1_11comp_targetILNS1_3genE10ELNS1_11target_archE1200ELNS1_3gpuE4ELNS1_3repE0EEENS1_30default_config_static_selectorELNS0_4arch9wavefront6targetE1EEEvT1_.numbered_sgpr, 0
	.set _ZN7rocprim17ROCPRIM_400000_NS6detail17trampoline_kernelINS0_14default_configENS1_20scan_config_selectorIN3c104HalfEEEZZNS1_9scan_implILNS1_25lookback_scan_determinismE0ELb0ELb0ES3_PKS6_PS6_S6_ZZZN2at6native31launch_logcumsumexp_cuda_kernelERKNSD_10TensorBaseESH_lENKUlvE_clEvENKUlvE3_clEvEUlS6_S6_E_S6_EEDaPvRmT3_T4_T5_mT6_P12ihipStream_tbENKUlT_T0_E_clISt17integral_constantIbLb1EESX_IbLb0EEEEDaST_SU_EUlST_E0_NS1_11comp_targetILNS1_3genE10ELNS1_11target_archE1200ELNS1_3gpuE4ELNS1_3repE0EEENS1_30default_config_static_selectorELNS0_4arch9wavefront6targetE1EEEvT1_.num_named_barrier, 0
	.set _ZN7rocprim17ROCPRIM_400000_NS6detail17trampoline_kernelINS0_14default_configENS1_20scan_config_selectorIN3c104HalfEEEZZNS1_9scan_implILNS1_25lookback_scan_determinismE0ELb0ELb0ES3_PKS6_PS6_S6_ZZZN2at6native31launch_logcumsumexp_cuda_kernelERKNSD_10TensorBaseESH_lENKUlvE_clEvENKUlvE3_clEvEUlS6_S6_E_S6_EEDaPvRmT3_T4_T5_mT6_P12ihipStream_tbENKUlT_T0_E_clISt17integral_constantIbLb1EESX_IbLb0EEEEDaST_SU_EUlST_E0_NS1_11comp_targetILNS1_3genE10ELNS1_11target_archE1200ELNS1_3gpuE4ELNS1_3repE0EEENS1_30default_config_static_selectorELNS0_4arch9wavefront6targetE1EEEvT1_.private_seg_size, 0
	.set _ZN7rocprim17ROCPRIM_400000_NS6detail17trampoline_kernelINS0_14default_configENS1_20scan_config_selectorIN3c104HalfEEEZZNS1_9scan_implILNS1_25lookback_scan_determinismE0ELb0ELb0ES3_PKS6_PS6_S6_ZZZN2at6native31launch_logcumsumexp_cuda_kernelERKNSD_10TensorBaseESH_lENKUlvE_clEvENKUlvE3_clEvEUlS6_S6_E_S6_EEDaPvRmT3_T4_T5_mT6_P12ihipStream_tbENKUlT_T0_E_clISt17integral_constantIbLb1EESX_IbLb0EEEEDaST_SU_EUlST_E0_NS1_11comp_targetILNS1_3genE10ELNS1_11target_archE1200ELNS1_3gpuE4ELNS1_3repE0EEENS1_30default_config_static_selectorELNS0_4arch9wavefront6targetE1EEEvT1_.uses_vcc, 0
	.set _ZN7rocprim17ROCPRIM_400000_NS6detail17trampoline_kernelINS0_14default_configENS1_20scan_config_selectorIN3c104HalfEEEZZNS1_9scan_implILNS1_25lookback_scan_determinismE0ELb0ELb0ES3_PKS6_PS6_S6_ZZZN2at6native31launch_logcumsumexp_cuda_kernelERKNSD_10TensorBaseESH_lENKUlvE_clEvENKUlvE3_clEvEUlS6_S6_E_S6_EEDaPvRmT3_T4_T5_mT6_P12ihipStream_tbENKUlT_T0_E_clISt17integral_constantIbLb1EESX_IbLb0EEEEDaST_SU_EUlST_E0_NS1_11comp_targetILNS1_3genE10ELNS1_11target_archE1200ELNS1_3gpuE4ELNS1_3repE0EEENS1_30default_config_static_selectorELNS0_4arch9wavefront6targetE1EEEvT1_.uses_flat_scratch, 0
	.set _ZN7rocprim17ROCPRIM_400000_NS6detail17trampoline_kernelINS0_14default_configENS1_20scan_config_selectorIN3c104HalfEEEZZNS1_9scan_implILNS1_25lookback_scan_determinismE0ELb0ELb0ES3_PKS6_PS6_S6_ZZZN2at6native31launch_logcumsumexp_cuda_kernelERKNSD_10TensorBaseESH_lENKUlvE_clEvENKUlvE3_clEvEUlS6_S6_E_S6_EEDaPvRmT3_T4_T5_mT6_P12ihipStream_tbENKUlT_T0_E_clISt17integral_constantIbLb1EESX_IbLb0EEEEDaST_SU_EUlST_E0_NS1_11comp_targetILNS1_3genE10ELNS1_11target_archE1200ELNS1_3gpuE4ELNS1_3repE0EEENS1_30default_config_static_selectorELNS0_4arch9wavefront6targetE1EEEvT1_.has_dyn_sized_stack, 0
	.set _ZN7rocprim17ROCPRIM_400000_NS6detail17trampoline_kernelINS0_14default_configENS1_20scan_config_selectorIN3c104HalfEEEZZNS1_9scan_implILNS1_25lookback_scan_determinismE0ELb0ELb0ES3_PKS6_PS6_S6_ZZZN2at6native31launch_logcumsumexp_cuda_kernelERKNSD_10TensorBaseESH_lENKUlvE_clEvENKUlvE3_clEvEUlS6_S6_E_S6_EEDaPvRmT3_T4_T5_mT6_P12ihipStream_tbENKUlT_T0_E_clISt17integral_constantIbLb1EESX_IbLb0EEEEDaST_SU_EUlST_E0_NS1_11comp_targetILNS1_3genE10ELNS1_11target_archE1200ELNS1_3gpuE4ELNS1_3repE0EEENS1_30default_config_static_selectorELNS0_4arch9wavefront6targetE1EEEvT1_.has_recursion, 0
	.set _ZN7rocprim17ROCPRIM_400000_NS6detail17trampoline_kernelINS0_14default_configENS1_20scan_config_selectorIN3c104HalfEEEZZNS1_9scan_implILNS1_25lookback_scan_determinismE0ELb0ELb0ES3_PKS6_PS6_S6_ZZZN2at6native31launch_logcumsumexp_cuda_kernelERKNSD_10TensorBaseESH_lENKUlvE_clEvENKUlvE3_clEvEUlS6_S6_E_S6_EEDaPvRmT3_T4_T5_mT6_P12ihipStream_tbENKUlT_T0_E_clISt17integral_constantIbLb1EESX_IbLb0EEEEDaST_SU_EUlST_E0_NS1_11comp_targetILNS1_3genE10ELNS1_11target_archE1200ELNS1_3gpuE4ELNS1_3repE0EEENS1_30default_config_static_selectorELNS0_4arch9wavefront6targetE1EEEvT1_.has_indirect_call, 0
	.section	.AMDGPU.csdata,"",@progbits
; Kernel info:
; codeLenInByte = 0
; TotalNumSgprs: 6
; NumVgprs: 0
; NumAgprs: 0
; TotalNumVgprs: 0
; ScratchSize: 0
; MemoryBound: 0
; FloatMode: 240
; IeeeMode: 1
; LDSByteSize: 0 bytes/workgroup (compile time only)
; SGPRBlocks: 0
; VGPRBlocks: 0
; NumSGPRsForWavesPerEU: 6
; NumVGPRsForWavesPerEU: 1
; AccumOffset: 4
; Occupancy: 8
; WaveLimiterHint : 0
; COMPUTE_PGM_RSRC2:SCRATCH_EN: 0
; COMPUTE_PGM_RSRC2:USER_SGPR: 2
; COMPUTE_PGM_RSRC2:TRAP_HANDLER: 0
; COMPUTE_PGM_RSRC2:TGID_X_EN: 1
; COMPUTE_PGM_RSRC2:TGID_Y_EN: 0
; COMPUTE_PGM_RSRC2:TGID_Z_EN: 0
; COMPUTE_PGM_RSRC2:TIDIG_COMP_CNT: 0
; COMPUTE_PGM_RSRC3_GFX90A:ACCUM_OFFSET: 0
; COMPUTE_PGM_RSRC3_GFX90A:TG_SPLIT: 0
	.section	.text._ZN7rocprim17ROCPRIM_400000_NS6detail17trampoline_kernelINS0_14default_configENS1_20scan_config_selectorIN3c104HalfEEEZZNS1_9scan_implILNS1_25lookback_scan_determinismE0ELb0ELb0ES3_PKS6_PS6_S6_ZZZN2at6native31launch_logcumsumexp_cuda_kernelERKNSD_10TensorBaseESH_lENKUlvE_clEvENKUlvE3_clEvEUlS6_S6_E_S6_EEDaPvRmT3_T4_T5_mT6_P12ihipStream_tbENKUlT_T0_E_clISt17integral_constantIbLb1EESX_IbLb0EEEEDaST_SU_EUlST_E0_NS1_11comp_targetILNS1_3genE9ELNS1_11target_archE1100ELNS1_3gpuE3ELNS1_3repE0EEENS1_30default_config_static_selectorELNS0_4arch9wavefront6targetE1EEEvT1_,"axG",@progbits,_ZN7rocprim17ROCPRIM_400000_NS6detail17trampoline_kernelINS0_14default_configENS1_20scan_config_selectorIN3c104HalfEEEZZNS1_9scan_implILNS1_25lookback_scan_determinismE0ELb0ELb0ES3_PKS6_PS6_S6_ZZZN2at6native31launch_logcumsumexp_cuda_kernelERKNSD_10TensorBaseESH_lENKUlvE_clEvENKUlvE3_clEvEUlS6_S6_E_S6_EEDaPvRmT3_T4_T5_mT6_P12ihipStream_tbENKUlT_T0_E_clISt17integral_constantIbLb1EESX_IbLb0EEEEDaST_SU_EUlST_E0_NS1_11comp_targetILNS1_3genE9ELNS1_11target_archE1100ELNS1_3gpuE3ELNS1_3repE0EEENS1_30default_config_static_selectorELNS0_4arch9wavefront6targetE1EEEvT1_,comdat
	.globl	_ZN7rocprim17ROCPRIM_400000_NS6detail17trampoline_kernelINS0_14default_configENS1_20scan_config_selectorIN3c104HalfEEEZZNS1_9scan_implILNS1_25lookback_scan_determinismE0ELb0ELb0ES3_PKS6_PS6_S6_ZZZN2at6native31launch_logcumsumexp_cuda_kernelERKNSD_10TensorBaseESH_lENKUlvE_clEvENKUlvE3_clEvEUlS6_S6_E_S6_EEDaPvRmT3_T4_T5_mT6_P12ihipStream_tbENKUlT_T0_E_clISt17integral_constantIbLb1EESX_IbLb0EEEEDaST_SU_EUlST_E0_NS1_11comp_targetILNS1_3genE9ELNS1_11target_archE1100ELNS1_3gpuE3ELNS1_3repE0EEENS1_30default_config_static_selectorELNS0_4arch9wavefront6targetE1EEEvT1_ ; -- Begin function _ZN7rocprim17ROCPRIM_400000_NS6detail17trampoline_kernelINS0_14default_configENS1_20scan_config_selectorIN3c104HalfEEEZZNS1_9scan_implILNS1_25lookback_scan_determinismE0ELb0ELb0ES3_PKS6_PS6_S6_ZZZN2at6native31launch_logcumsumexp_cuda_kernelERKNSD_10TensorBaseESH_lENKUlvE_clEvENKUlvE3_clEvEUlS6_S6_E_S6_EEDaPvRmT3_T4_T5_mT6_P12ihipStream_tbENKUlT_T0_E_clISt17integral_constantIbLb1EESX_IbLb0EEEEDaST_SU_EUlST_E0_NS1_11comp_targetILNS1_3genE9ELNS1_11target_archE1100ELNS1_3gpuE3ELNS1_3repE0EEENS1_30default_config_static_selectorELNS0_4arch9wavefront6targetE1EEEvT1_
	.p2align	8
	.type	_ZN7rocprim17ROCPRIM_400000_NS6detail17trampoline_kernelINS0_14default_configENS1_20scan_config_selectorIN3c104HalfEEEZZNS1_9scan_implILNS1_25lookback_scan_determinismE0ELb0ELb0ES3_PKS6_PS6_S6_ZZZN2at6native31launch_logcumsumexp_cuda_kernelERKNSD_10TensorBaseESH_lENKUlvE_clEvENKUlvE3_clEvEUlS6_S6_E_S6_EEDaPvRmT3_T4_T5_mT6_P12ihipStream_tbENKUlT_T0_E_clISt17integral_constantIbLb1EESX_IbLb0EEEEDaST_SU_EUlST_E0_NS1_11comp_targetILNS1_3genE9ELNS1_11target_archE1100ELNS1_3gpuE3ELNS1_3repE0EEENS1_30default_config_static_selectorELNS0_4arch9wavefront6targetE1EEEvT1_,@function
_ZN7rocprim17ROCPRIM_400000_NS6detail17trampoline_kernelINS0_14default_configENS1_20scan_config_selectorIN3c104HalfEEEZZNS1_9scan_implILNS1_25lookback_scan_determinismE0ELb0ELb0ES3_PKS6_PS6_S6_ZZZN2at6native31launch_logcumsumexp_cuda_kernelERKNSD_10TensorBaseESH_lENKUlvE_clEvENKUlvE3_clEvEUlS6_S6_E_S6_EEDaPvRmT3_T4_T5_mT6_P12ihipStream_tbENKUlT_T0_E_clISt17integral_constantIbLb1EESX_IbLb0EEEEDaST_SU_EUlST_E0_NS1_11comp_targetILNS1_3genE9ELNS1_11target_archE1100ELNS1_3gpuE3ELNS1_3repE0EEENS1_30default_config_static_selectorELNS0_4arch9wavefront6targetE1EEEvT1_: ; @_ZN7rocprim17ROCPRIM_400000_NS6detail17trampoline_kernelINS0_14default_configENS1_20scan_config_selectorIN3c104HalfEEEZZNS1_9scan_implILNS1_25lookback_scan_determinismE0ELb0ELb0ES3_PKS6_PS6_S6_ZZZN2at6native31launch_logcumsumexp_cuda_kernelERKNSD_10TensorBaseESH_lENKUlvE_clEvENKUlvE3_clEvEUlS6_S6_E_S6_EEDaPvRmT3_T4_T5_mT6_P12ihipStream_tbENKUlT_T0_E_clISt17integral_constantIbLb1EESX_IbLb0EEEEDaST_SU_EUlST_E0_NS1_11comp_targetILNS1_3genE9ELNS1_11target_archE1100ELNS1_3gpuE3ELNS1_3repE0EEENS1_30default_config_static_selectorELNS0_4arch9wavefront6targetE1EEEvT1_
; %bb.0:
	.section	.rodata,"a",@progbits
	.p2align	6, 0x0
	.amdhsa_kernel _ZN7rocprim17ROCPRIM_400000_NS6detail17trampoline_kernelINS0_14default_configENS1_20scan_config_selectorIN3c104HalfEEEZZNS1_9scan_implILNS1_25lookback_scan_determinismE0ELb0ELb0ES3_PKS6_PS6_S6_ZZZN2at6native31launch_logcumsumexp_cuda_kernelERKNSD_10TensorBaseESH_lENKUlvE_clEvENKUlvE3_clEvEUlS6_S6_E_S6_EEDaPvRmT3_T4_T5_mT6_P12ihipStream_tbENKUlT_T0_E_clISt17integral_constantIbLb1EESX_IbLb0EEEEDaST_SU_EUlST_E0_NS1_11comp_targetILNS1_3genE9ELNS1_11target_archE1100ELNS1_3gpuE3ELNS1_3repE0EEENS1_30default_config_static_selectorELNS0_4arch9wavefront6targetE1EEEvT1_
		.amdhsa_group_segment_fixed_size 0
		.amdhsa_private_segment_fixed_size 0
		.amdhsa_kernarg_size 32
		.amdhsa_user_sgpr_count 2
		.amdhsa_user_sgpr_dispatch_ptr 0
		.amdhsa_user_sgpr_queue_ptr 0
		.amdhsa_user_sgpr_kernarg_segment_ptr 1
		.amdhsa_user_sgpr_dispatch_id 0
		.amdhsa_user_sgpr_kernarg_preload_length 0
		.amdhsa_user_sgpr_kernarg_preload_offset 0
		.amdhsa_user_sgpr_private_segment_size 0
		.amdhsa_uses_dynamic_stack 0
		.amdhsa_enable_private_segment 0
		.amdhsa_system_sgpr_workgroup_id_x 1
		.amdhsa_system_sgpr_workgroup_id_y 0
		.amdhsa_system_sgpr_workgroup_id_z 0
		.amdhsa_system_sgpr_workgroup_info 0
		.amdhsa_system_vgpr_workitem_id 0
		.amdhsa_next_free_vgpr 1
		.amdhsa_next_free_sgpr 0
		.amdhsa_accum_offset 4
		.amdhsa_reserve_vcc 0
		.amdhsa_float_round_mode_32 0
		.amdhsa_float_round_mode_16_64 0
		.amdhsa_float_denorm_mode_32 3
		.amdhsa_float_denorm_mode_16_64 3
		.amdhsa_dx10_clamp 1
		.amdhsa_ieee_mode 1
		.amdhsa_fp16_overflow 0
		.amdhsa_tg_split 0
		.amdhsa_exception_fp_ieee_invalid_op 0
		.amdhsa_exception_fp_denorm_src 0
		.amdhsa_exception_fp_ieee_div_zero 0
		.amdhsa_exception_fp_ieee_overflow 0
		.amdhsa_exception_fp_ieee_underflow 0
		.amdhsa_exception_fp_ieee_inexact 0
		.amdhsa_exception_int_div_zero 0
	.end_amdhsa_kernel
	.section	.text._ZN7rocprim17ROCPRIM_400000_NS6detail17trampoline_kernelINS0_14default_configENS1_20scan_config_selectorIN3c104HalfEEEZZNS1_9scan_implILNS1_25lookback_scan_determinismE0ELb0ELb0ES3_PKS6_PS6_S6_ZZZN2at6native31launch_logcumsumexp_cuda_kernelERKNSD_10TensorBaseESH_lENKUlvE_clEvENKUlvE3_clEvEUlS6_S6_E_S6_EEDaPvRmT3_T4_T5_mT6_P12ihipStream_tbENKUlT_T0_E_clISt17integral_constantIbLb1EESX_IbLb0EEEEDaST_SU_EUlST_E0_NS1_11comp_targetILNS1_3genE9ELNS1_11target_archE1100ELNS1_3gpuE3ELNS1_3repE0EEENS1_30default_config_static_selectorELNS0_4arch9wavefront6targetE1EEEvT1_,"axG",@progbits,_ZN7rocprim17ROCPRIM_400000_NS6detail17trampoline_kernelINS0_14default_configENS1_20scan_config_selectorIN3c104HalfEEEZZNS1_9scan_implILNS1_25lookback_scan_determinismE0ELb0ELb0ES3_PKS6_PS6_S6_ZZZN2at6native31launch_logcumsumexp_cuda_kernelERKNSD_10TensorBaseESH_lENKUlvE_clEvENKUlvE3_clEvEUlS6_S6_E_S6_EEDaPvRmT3_T4_T5_mT6_P12ihipStream_tbENKUlT_T0_E_clISt17integral_constantIbLb1EESX_IbLb0EEEEDaST_SU_EUlST_E0_NS1_11comp_targetILNS1_3genE9ELNS1_11target_archE1100ELNS1_3gpuE3ELNS1_3repE0EEENS1_30default_config_static_selectorELNS0_4arch9wavefront6targetE1EEEvT1_,comdat
.Lfunc_end413:
	.size	_ZN7rocprim17ROCPRIM_400000_NS6detail17trampoline_kernelINS0_14default_configENS1_20scan_config_selectorIN3c104HalfEEEZZNS1_9scan_implILNS1_25lookback_scan_determinismE0ELb0ELb0ES3_PKS6_PS6_S6_ZZZN2at6native31launch_logcumsumexp_cuda_kernelERKNSD_10TensorBaseESH_lENKUlvE_clEvENKUlvE3_clEvEUlS6_S6_E_S6_EEDaPvRmT3_T4_T5_mT6_P12ihipStream_tbENKUlT_T0_E_clISt17integral_constantIbLb1EESX_IbLb0EEEEDaST_SU_EUlST_E0_NS1_11comp_targetILNS1_3genE9ELNS1_11target_archE1100ELNS1_3gpuE3ELNS1_3repE0EEENS1_30default_config_static_selectorELNS0_4arch9wavefront6targetE1EEEvT1_, .Lfunc_end413-_ZN7rocprim17ROCPRIM_400000_NS6detail17trampoline_kernelINS0_14default_configENS1_20scan_config_selectorIN3c104HalfEEEZZNS1_9scan_implILNS1_25lookback_scan_determinismE0ELb0ELb0ES3_PKS6_PS6_S6_ZZZN2at6native31launch_logcumsumexp_cuda_kernelERKNSD_10TensorBaseESH_lENKUlvE_clEvENKUlvE3_clEvEUlS6_S6_E_S6_EEDaPvRmT3_T4_T5_mT6_P12ihipStream_tbENKUlT_T0_E_clISt17integral_constantIbLb1EESX_IbLb0EEEEDaST_SU_EUlST_E0_NS1_11comp_targetILNS1_3genE9ELNS1_11target_archE1100ELNS1_3gpuE3ELNS1_3repE0EEENS1_30default_config_static_selectorELNS0_4arch9wavefront6targetE1EEEvT1_
                                        ; -- End function
	.set _ZN7rocprim17ROCPRIM_400000_NS6detail17trampoline_kernelINS0_14default_configENS1_20scan_config_selectorIN3c104HalfEEEZZNS1_9scan_implILNS1_25lookback_scan_determinismE0ELb0ELb0ES3_PKS6_PS6_S6_ZZZN2at6native31launch_logcumsumexp_cuda_kernelERKNSD_10TensorBaseESH_lENKUlvE_clEvENKUlvE3_clEvEUlS6_S6_E_S6_EEDaPvRmT3_T4_T5_mT6_P12ihipStream_tbENKUlT_T0_E_clISt17integral_constantIbLb1EESX_IbLb0EEEEDaST_SU_EUlST_E0_NS1_11comp_targetILNS1_3genE9ELNS1_11target_archE1100ELNS1_3gpuE3ELNS1_3repE0EEENS1_30default_config_static_selectorELNS0_4arch9wavefront6targetE1EEEvT1_.num_vgpr, 0
	.set _ZN7rocprim17ROCPRIM_400000_NS6detail17trampoline_kernelINS0_14default_configENS1_20scan_config_selectorIN3c104HalfEEEZZNS1_9scan_implILNS1_25lookback_scan_determinismE0ELb0ELb0ES3_PKS6_PS6_S6_ZZZN2at6native31launch_logcumsumexp_cuda_kernelERKNSD_10TensorBaseESH_lENKUlvE_clEvENKUlvE3_clEvEUlS6_S6_E_S6_EEDaPvRmT3_T4_T5_mT6_P12ihipStream_tbENKUlT_T0_E_clISt17integral_constantIbLb1EESX_IbLb0EEEEDaST_SU_EUlST_E0_NS1_11comp_targetILNS1_3genE9ELNS1_11target_archE1100ELNS1_3gpuE3ELNS1_3repE0EEENS1_30default_config_static_selectorELNS0_4arch9wavefront6targetE1EEEvT1_.num_agpr, 0
	.set _ZN7rocprim17ROCPRIM_400000_NS6detail17trampoline_kernelINS0_14default_configENS1_20scan_config_selectorIN3c104HalfEEEZZNS1_9scan_implILNS1_25lookback_scan_determinismE0ELb0ELb0ES3_PKS6_PS6_S6_ZZZN2at6native31launch_logcumsumexp_cuda_kernelERKNSD_10TensorBaseESH_lENKUlvE_clEvENKUlvE3_clEvEUlS6_S6_E_S6_EEDaPvRmT3_T4_T5_mT6_P12ihipStream_tbENKUlT_T0_E_clISt17integral_constantIbLb1EESX_IbLb0EEEEDaST_SU_EUlST_E0_NS1_11comp_targetILNS1_3genE9ELNS1_11target_archE1100ELNS1_3gpuE3ELNS1_3repE0EEENS1_30default_config_static_selectorELNS0_4arch9wavefront6targetE1EEEvT1_.numbered_sgpr, 0
	.set _ZN7rocprim17ROCPRIM_400000_NS6detail17trampoline_kernelINS0_14default_configENS1_20scan_config_selectorIN3c104HalfEEEZZNS1_9scan_implILNS1_25lookback_scan_determinismE0ELb0ELb0ES3_PKS6_PS6_S6_ZZZN2at6native31launch_logcumsumexp_cuda_kernelERKNSD_10TensorBaseESH_lENKUlvE_clEvENKUlvE3_clEvEUlS6_S6_E_S6_EEDaPvRmT3_T4_T5_mT6_P12ihipStream_tbENKUlT_T0_E_clISt17integral_constantIbLb1EESX_IbLb0EEEEDaST_SU_EUlST_E0_NS1_11comp_targetILNS1_3genE9ELNS1_11target_archE1100ELNS1_3gpuE3ELNS1_3repE0EEENS1_30default_config_static_selectorELNS0_4arch9wavefront6targetE1EEEvT1_.num_named_barrier, 0
	.set _ZN7rocprim17ROCPRIM_400000_NS6detail17trampoline_kernelINS0_14default_configENS1_20scan_config_selectorIN3c104HalfEEEZZNS1_9scan_implILNS1_25lookback_scan_determinismE0ELb0ELb0ES3_PKS6_PS6_S6_ZZZN2at6native31launch_logcumsumexp_cuda_kernelERKNSD_10TensorBaseESH_lENKUlvE_clEvENKUlvE3_clEvEUlS6_S6_E_S6_EEDaPvRmT3_T4_T5_mT6_P12ihipStream_tbENKUlT_T0_E_clISt17integral_constantIbLb1EESX_IbLb0EEEEDaST_SU_EUlST_E0_NS1_11comp_targetILNS1_3genE9ELNS1_11target_archE1100ELNS1_3gpuE3ELNS1_3repE0EEENS1_30default_config_static_selectorELNS0_4arch9wavefront6targetE1EEEvT1_.private_seg_size, 0
	.set _ZN7rocprim17ROCPRIM_400000_NS6detail17trampoline_kernelINS0_14default_configENS1_20scan_config_selectorIN3c104HalfEEEZZNS1_9scan_implILNS1_25lookback_scan_determinismE0ELb0ELb0ES3_PKS6_PS6_S6_ZZZN2at6native31launch_logcumsumexp_cuda_kernelERKNSD_10TensorBaseESH_lENKUlvE_clEvENKUlvE3_clEvEUlS6_S6_E_S6_EEDaPvRmT3_T4_T5_mT6_P12ihipStream_tbENKUlT_T0_E_clISt17integral_constantIbLb1EESX_IbLb0EEEEDaST_SU_EUlST_E0_NS1_11comp_targetILNS1_3genE9ELNS1_11target_archE1100ELNS1_3gpuE3ELNS1_3repE0EEENS1_30default_config_static_selectorELNS0_4arch9wavefront6targetE1EEEvT1_.uses_vcc, 0
	.set _ZN7rocprim17ROCPRIM_400000_NS6detail17trampoline_kernelINS0_14default_configENS1_20scan_config_selectorIN3c104HalfEEEZZNS1_9scan_implILNS1_25lookback_scan_determinismE0ELb0ELb0ES3_PKS6_PS6_S6_ZZZN2at6native31launch_logcumsumexp_cuda_kernelERKNSD_10TensorBaseESH_lENKUlvE_clEvENKUlvE3_clEvEUlS6_S6_E_S6_EEDaPvRmT3_T4_T5_mT6_P12ihipStream_tbENKUlT_T0_E_clISt17integral_constantIbLb1EESX_IbLb0EEEEDaST_SU_EUlST_E0_NS1_11comp_targetILNS1_3genE9ELNS1_11target_archE1100ELNS1_3gpuE3ELNS1_3repE0EEENS1_30default_config_static_selectorELNS0_4arch9wavefront6targetE1EEEvT1_.uses_flat_scratch, 0
	.set _ZN7rocprim17ROCPRIM_400000_NS6detail17trampoline_kernelINS0_14default_configENS1_20scan_config_selectorIN3c104HalfEEEZZNS1_9scan_implILNS1_25lookback_scan_determinismE0ELb0ELb0ES3_PKS6_PS6_S6_ZZZN2at6native31launch_logcumsumexp_cuda_kernelERKNSD_10TensorBaseESH_lENKUlvE_clEvENKUlvE3_clEvEUlS6_S6_E_S6_EEDaPvRmT3_T4_T5_mT6_P12ihipStream_tbENKUlT_T0_E_clISt17integral_constantIbLb1EESX_IbLb0EEEEDaST_SU_EUlST_E0_NS1_11comp_targetILNS1_3genE9ELNS1_11target_archE1100ELNS1_3gpuE3ELNS1_3repE0EEENS1_30default_config_static_selectorELNS0_4arch9wavefront6targetE1EEEvT1_.has_dyn_sized_stack, 0
	.set _ZN7rocprim17ROCPRIM_400000_NS6detail17trampoline_kernelINS0_14default_configENS1_20scan_config_selectorIN3c104HalfEEEZZNS1_9scan_implILNS1_25lookback_scan_determinismE0ELb0ELb0ES3_PKS6_PS6_S6_ZZZN2at6native31launch_logcumsumexp_cuda_kernelERKNSD_10TensorBaseESH_lENKUlvE_clEvENKUlvE3_clEvEUlS6_S6_E_S6_EEDaPvRmT3_T4_T5_mT6_P12ihipStream_tbENKUlT_T0_E_clISt17integral_constantIbLb1EESX_IbLb0EEEEDaST_SU_EUlST_E0_NS1_11comp_targetILNS1_3genE9ELNS1_11target_archE1100ELNS1_3gpuE3ELNS1_3repE0EEENS1_30default_config_static_selectorELNS0_4arch9wavefront6targetE1EEEvT1_.has_recursion, 0
	.set _ZN7rocprim17ROCPRIM_400000_NS6detail17trampoline_kernelINS0_14default_configENS1_20scan_config_selectorIN3c104HalfEEEZZNS1_9scan_implILNS1_25lookback_scan_determinismE0ELb0ELb0ES3_PKS6_PS6_S6_ZZZN2at6native31launch_logcumsumexp_cuda_kernelERKNSD_10TensorBaseESH_lENKUlvE_clEvENKUlvE3_clEvEUlS6_S6_E_S6_EEDaPvRmT3_T4_T5_mT6_P12ihipStream_tbENKUlT_T0_E_clISt17integral_constantIbLb1EESX_IbLb0EEEEDaST_SU_EUlST_E0_NS1_11comp_targetILNS1_3genE9ELNS1_11target_archE1100ELNS1_3gpuE3ELNS1_3repE0EEENS1_30default_config_static_selectorELNS0_4arch9wavefront6targetE1EEEvT1_.has_indirect_call, 0
	.section	.AMDGPU.csdata,"",@progbits
; Kernel info:
; codeLenInByte = 0
; TotalNumSgprs: 6
; NumVgprs: 0
; NumAgprs: 0
; TotalNumVgprs: 0
; ScratchSize: 0
; MemoryBound: 0
; FloatMode: 240
; IeeeMode: 1
; LDSByteSize: 0 bytes/workgroup (compile time only)
; SGPRBlocks: 0
; VGPRBlocks: 0
; NumSGPRsForWavesPerEU: 6
; NumVGPRsForWavesPerEU: 1
; AccumOffset: 4
; Occupancy: 8
; WaveLimiterHint : 0
; COMPUTE_PGM_RSRC2:SCRATCH_EN: 0
; COMPUTE_PGM_RSRC2:USER_SGPR: 2
; COMPUTE_PGM_RSRC2:TRAP_HANDLER: 0
; COMPUTE_PGM_RSRC2:TGID_X_EN: 1
; COMPUTE_PGM_RSRC2:TGID_Y_EN: 0
; COMPUTE_PGM_RSRC2:TGID_Z_EN: 0
; COMPUTE_PGM_RSRC2:TIDIG_COMP_CNT: 0
; COMPUTE_PGM_RSRC3_GFX90A:ACCUM_OFFSET: 0
; COMPUTE_PGM_RSRC3_GFX90A:TG_SPLIT: 0
	.section	.text._ZN7rocprim17ROCPRIM_400000_NS6detail17trampoline_kernelINS0_14default_configENS1_20scan_config_selectorIN3c104HalfEEEZZNS1_9scan_implILNS1_25lookback_scan_determinismE0ELb0ELb0ES3_PKS6_PS6_S6_ZZZN2at6native31launch_logcumsumexp_cuda_kernelERKNSD_10TensorBaseESH_lENKUlvE_clEvENKUlvE3_clEvEUlS6_S6_E_S6_EEDaPvRmT3_T4_T5_mT6_P12ihipStream_tbENKUlT_T0_E_clISt17integral_constantIbLb1EESX_IbLb0EEEEDaST_SU_EUlST_E0_NS1_11comp_targetILNS1_3genE8ELNS1_11target_archE1030ELNS1_3gpuE2ELNS1_3repE0EEENS1_30default_config_static_selectorELNS0_4arch9wavefront6targetE1EEEvT1_,"axG",@progbits,_ZN7rocprim17ROCPRIM_400000_NS6detail17trampoline_kernelINS0_14default_configENS1_20scan_config_selectorIN3c104HalfEEEZZNS1_9scan_implILNS1_25lookback_scan_determinismE0ELb0ELb0ES3_PKS6_PS6_S6_ZZZN2at6native31launch_logcumsumexp_cuda_kernelERKNSD_10TensorBaseESH_lENKUlvE_clEvENKUlvE3_clEvEUlS6_S6_E_S6_EEDaPvRmT3_T4_T5_mT6_P12ihipStream_tbENKUlT_T0_E_clISt17integral_constantIbLb1EESX_IbLb0EEEEDaST_SU_EUlST_E0_NS1_11comp_targetILNS1_3genE8ELNS1_11target_archE1030ELNS1_3gpuE2ELNS1_3repE0EEENS1_30default_config_static_selectorELNS0_4arch9wavefront6targetE1EEEvT1_,comdat
	.globl	_ZN7rocprim17ROCPRIM_400000_NS6detail17trampoline_kernelINS0_14default_configENS1_20scan_config_selectorIN3c104HalfEEEZZNS1_9scan_implILNS1_25lookback_scan_determinismE0ELb0ELb0ES3_PKS6_PS6_S6_ZZZN2at6native31launch_logcumsumexp_cuda_kernelERKNSD_10TensorBaseESH_lENKUlvE_clEvENKUlvE3_clEvEUlS6_S6_E_S6_EEDaPvRmT3_T4_T5_mT6_P12ihipStream_tbENKUlT_T0_E_clISt17integral_constantIbLb1EESX_IbLb0EEEEDaST_SU_EUlST_E0_NS1_11comp_targetILNS1_3genE8ELNS1_11target_archE1030ELNS1_3gpuE2ELNS1_3repE0EEENS1_30default_config_static_selectorELNS0_4arch9wavefront6targetE1EEEvT1_ ; -- Begin function _ZN7rocprim17ROCPRIM_400000_NS6detail17trampoline_kernelINS0_14default_configENS1_20scan_config_selectorIN3c104HalfEEEZZNS1_9scan_implILNS1_25lookback_scan_determinismE0ELb0ELb0ES3_PKS6_PS6_S6_ZZZN2at6native31launch_logcumsumexp_cuda_kernelERKNSD_10TensorBaseESH_lENKUlvE_clEvENKUlvE3_clEvEUlS6_S6_E_S6_EEDaPvRmT3_T4_T5_mT6_P12ihipStream_tbENKUlT_T0_E_clISt17integral_constantIbLb1EESX_IbLb0EEEEDaST_SU_EUlST_E0_NS1_11comp_targetILNS1_3genE8ELNS1_11target_archE1030ELNS1_3gpuE2ELNS1_3repE0EEENS1_30default_config_static_selectorELNS0_4arch9wavefront6targetE1EEEvT1_
	.p2align	8
	.type	_ZN7rocprim17ROCPRIM_400000_NS6detail17trampoline_kernelINS0_14default_configENS1_20scan_config_selectorIN3c104HalfEEEZZNS1_9scan_implILNS1_25lookback_scan_determinismE0ELb0ELb0ES3_PKS6_PS6_S6_ZZZN2at6native31launch_logcumsumexp_cuda_kernelERKNSD_10TensorBaseESH_lENKUlvE_clEvENKUlvE3_clEvEUlS6_S6_E_S6_EEDaPvRmT3_T4_T5_mT6_P12ihipStream_tbENKUlT_T0_E_clISt17integral_constantIbLb1EESX_IbLb0EEEEDaST_SU_EUlST_E0_NS1_11comp_targetILNS1_3genE8ELNS1_11target_archE1030ELNS1_3gpuE2ELNS1_3repE0EEENS1_30default_config_static_selectorELNS0_4arch9wavefront6targetE1EEEvT1_,@function
_ZN7rocprim17ROCPRIM_400000_NS6detail17trampoline_kernelINS0_14default_configENS1_20scan_config_selectorIN3c104HalfEEEZZNS1_9scan_implILNS1_25lookback_scan_determinismE0ELb0ELb0ES3_PKS6_PS6_S6_ZZZN2at6native31launch_logcumsumexp_cuda_kernelERKNSD_10TensorBaseESH_lENKUlvE_clEvENKUlvE3_clEvEUlS6_S6_E_S6_EEDaPvRmT3_T4_T5_mT6_P12ihipStream_tbENKUlT_T0_E_clISt17integral_constantIbLb1EESX_IbLb0EEEEDaST_SU_EUlST_E0_NS1_11comp_targetILNS1_3genE8ELNS1_11target_archE1030ELNS1_3gpuE2ELNS1_3repE0EEENS1_30default_config_static_selectorELNS0_4arch9wavefront6targetE1EEEvT1_: ; @_ZN7rocprim17ROCPRIM_400000_NS6detail17trampoline_kernelINS0_14default_configENS1_20scan_config_selectorIN3c104HalfEEEZZNS1_9scan_implILNS1_25lookback_scan_determinismE0ELb0ELb0ES3_PKS6_PS6_S6_ZZZN2at6native31launch_logcumsumexp_cuda_kernelERKNSD_10TensorBaseESH_lENKUlvE_clEvENKUlvE3_clEvEUlS6_S6_E_S6_EEDaPvRmT3_T4_T5_mT6_P12ihipStream_tbENKUlT_T0_E_clISt17integral_constantIbLb1EESX_IbLb0EEEEDaST_SU_EUlST_E0_NS1_11comp_targetILNS1_3genE8ELNS1_11target_archE1030ELNS1_3gpuE2ELNS1_3repE0EEENS1_30default_config_static_selectorELNS0_4arch9wavefront6targetE1EEEvT1_
; %bb.0:
	.section	.rodata,"a",@progbits
	.p2align	6, 0x0
	.amdhsa_kernel _ZN7rocprim17ROCPRIM_400000_NS6detail17trampoline_kernelINS0_14default_configENS1_20scan_config_selectorIN3c104HalfEEEZZNS1_9scan_implILNS1_25lookback_scan_determinismE0ELb0ELb0ES3_PKS6_PS6_S6_ZZZN2at6native31launch_logcumsumexp_cuda_kernelERKNSD_10TensorBaseESH_lENKUlvE_clEvENKUlvE3_clEvEUlS6_S6_E_S6_EEDaPvRmT3_T4_T5_mT6_P12ihipStream_tbENKUlT_T0_E_clISt17integral_constantIbLb1EESX_IbLb0EEEEDaST_SU_EUlST_E0_NS1_11comp_targetILNS1_3genE8ELNS1_11target_archE1030ELNS1_3gpuE2ELNS1_3repE0EEENS1_30default_config_static_selectorELNS0_4arch9wavefront6targetE1EEEvT1_
		.amdhsa_group_segment_fixed_size 0
		.amdhsa_private_segment_fixed_size 0
		.amdhsa_kernarg_size 32
		.amdhsa_user_sgpr_count 2
		.amdhsa_user_sgpr_dispatch_ptr 0
		.amdhsa_user_sgpr_queue_ptr 0
		.amdhsa_user_sgpr_kernarg_segment_ptr 1
		.amdhsa_user_sgpr_dispatch_id 0
		.amdhsa_user_sgpr_kernarg_preload_length 0
		.amdhsa_user_sgpr_kernarg_preload_offset 0
		.amdhsa_user_sgpr_private_segment_size 0
		.amdhsa_uses_dynamic_stack 0
		.amdhsa_enable_private_segment 0
		.amdhsa_system_sgpr_workgroup_id_x 1
		.amdhsa_system_sgpr_workgroup_id_y 0
		.amdhsa_system_sgpr_workgroup_id_z 0
		.amdhsa_system_sgpr_workgroup_info 0
		.amdhsa_system_vgpr_workitem_id 0
		.amdhsa_next_free_vgpr 1
		.amdhsa_next_free_sgpr 0
		.amdhsa_accum_offset 4
		.amdhsa_reserve_vcc 0
		.amdhsa_float_round_mode_32 0
		.amdhsa_float_round_mode_16_64 0
		.amdhsa_float_denorm_mode_32 3
		.amdhsa_float_denorm_mode_16_64 3
		.amdhsa_dx10_clamp 1
		.amdhsa_ieee_mode 1
		.amdhsa_fp16_overflow 0
		.amdhsa_tg_split 0
		.amdhsa_exception_fp_ieee_invalid_op 0
		.amdhsa_exception_fp_denorm_src 0
		.amdhsa_exception_fp_ieee_div_zero 0
		.amdhsa_exception_fp_ieee_overflow 0
		.amdhsa_exception_fp_ieee_underflow 0
		.amdhsa_exception_fp_ieee_inexact 0
		.amdhsa_exception_int_div_zero 0
	.end_amdhsa_kernel
	.section	.text._ZN7rocprim17ROCPRIM_400000_NS6detail17trampoline_kernelINS0_14default_configENS1_20scan_config_selectorIN3c104HalfEEEZZNS1_9scan_implILNS1_25lookback_scan_determinismE0ELb0ELb0ES3_PKS6_PS6_S6_ZZZN2at6native31launch_logcumsumexp_cuda_kernelERKNSD_10TensorBaseESH_lENKUlvE_clEvENKUlvE3_clEvEUlS6_S6_E_S6_EEDaPvRmT3_T4_T5_mT6_P12ihipStream_tbENKUlT_T0_E_clISt17integral_constantIbLb1EESX_IbLb0EEEEDaST_SU_EUlST_E0_NS1_11comp_targetILNS1_3genE8ELNS1_11target_archE1030ELNS1_3gpuE2ELNS1_3repE0EEENS1_30default_config_static_selectorELNS0_4arch9wavefront6targetE1EEEvT1_,"axG",@progbits,_ZN7rocprim17ROCPRIM_400000_NS6detail17trampoline_kernelINS0_14default_configENS1_20scan_config_selectorIN3c104HalfEEEZZNS1_9scan_implILNS1_25lookback_scan_determinismE0ELb0ELb0ES3_PKS6_PS6_S6_ZZZN2at6native31launch_logcumsumexp_cuda_kernelERKNSD_10TensorBaseESH_lENKUlvE_clEvENKUlvE3_clEvEUlS6_S6_E_S6_EEDaPvRmT3_T4_T5_mT6_P12ihipStream_tbENKUlT_T0_E_clISt17integral_constantIbLb1EESX_IbLb0EEEEDaST_SU_EUlST_E0_NS1_11comp_targetILNS1_3genE8ELNS1_11target_archE1030ELNS1_3gpuE2ELNS1_3repE0EEENS1_30default_config_static_selectorELNS0_4arch9wavefront6targetE1EEEvT1_,comdat
.Lfunc_end414:
	.size	_ZN7rocprim17ROCPRIM_400000_NS6detail17trampoline_kernelINS0_14default_configENS1_20scan_config_selectorIN3c104HalfEEEZZNS1_9scan_implILNS1_25lookback_scan_determinismE0ELb0ELb0ES3_PKS6_PS6_S6_ZZZN2at6native31launch_logcumsumexp_cuda_kernelERKNSD_10TensorBaseESH_lENKUlvE_clEvENKUlvE3_clEvEUlS6_S6_E_S6_EEDaPvRmT3_T4_T5_mT6_P12ihipStream_tbENKUlT_T0_E_clISt17integral_constantIbLb1EESX_IbLb0EEEEDaST_SU_EUlST_E0_NS1_11comp_targetILNS1_3genE8ELNS1_11target_archE1030ELNS1_3gpuE2ELNS1_3repE0EEENS1_30default_config_static_selectorELNS0_4arch9wavefront6targetE1EEEvT1_, .Lfunc_end414-_ZN7rocprim17ROCPRIM_400000_NS6detail17trampoline_kernelINS0_14default_configENS1_20scan_config_selectorIN3c104HalfEEEZZNS1_9scan_implILNS1_25lookback_scan_determinismE0ELb0ELb0ES3_PKS6_PS6_S6_ZZZN2at6native31launch_logcumsumexp_cuda_kernelERKNSD_10TensorBaseESH_lENKUlvE_clEvENKUlvE3_clEvEUlS6_S6_E_S6_EEDaPvRmT3_T4_T5_mT6_P12ihipStream_tbENKUlT_T0_E_clISt17integral_constantIbLb1EESX_IbLb0EEEEDaST_SU_EUlST_E0_NS1_11comp_targetILNS1_3genE8ELNS1_11target_archE1030ELNS1_3gpuE2ELNS1_3repE0EEENS1_30default_config_static_selectorELNS0_4arch9wavefront6targetE1EEEvT1_
                                        ; -- End function
	.set _ZN7rocprim17ROCPRIM_400000_NS6detail17trampoline_kernelINS0_14default_configENS1_20scan_config_selectorIN3c104HalfEEEZZNS1_9scan_implILNS1_25lookback_scan_determinismE0ELb0ELb0ES3_PKS6_PS6_S6_ZZZN2at6native31launch_logcumsumexp_cuda_kernelERKNSD_10TensorBaseESH_lENKUlvE_clEvENKUlvE3_clEvEUlS6_S6_E_S6_EEDaPvRmT3_T4_T5_mT6_P12ihipStream_tbENKUlT_T0_E_clISt17integral_constantIbLb1EESX_IbLb0EEEEDaST_SU_EUlST_E0_NS1_11comp_targetILNS1_3genE8ELNS1_11target_archE1030ELNS1_3gpuE2ELNS1_3repE0EEENS1_30default_config_static_selectorELNS0_4arch9wavefront6targetE1EEEvT1_.num_vgpr, 0
	.set _ZN7rocprim17ROCPRIM_400000_NS6detail17trampoline_kernelINS0_14default_configENS1_20scan_config_selectorIN3c104HalfEEEZZNS1_9scan_implILNS1_25lookback_scan_determinismE0ELb0ELb0ES3_PKS6_PS6_S6_ZZZN2at6native31launch_logcumsumexp_cuda_kernelERKNSD_10TensorBaseESH_lENKUlvE_clEvENKUlvE3_clEvEUlS6_S6_E_S6_EEDaPvRmT3_T4_T5_mT6_P12ihipStream_tbENKUlT_T0_E_clISt17integral_constantIbLb1EESX_IbLb0EEEEDaST_SU_EUlST_E0_NS1_11comp_targetILNS1_3genE8ELNS1_11target_archE1030ELNS1_3gpuE2ELNS1_3repE0EEENS1_30default_config_static_selectorELNS0_4arch9wavefront6targetE1EEEvT1_.num_agpr, 0
	.set _ZN7rocprim17ROCPRIM_400000_NS6detail17trampoline_kernelINS0_14default_configENS1_20scan_config_selectorIN3c104HalfEEEZZNS1_9scan_implILNS1_25lookback_scan_determinismE0ELb0ELb0ES3_PKS6_PS6_S6_ZZZN2at6native31launch_logcumsumexp_cuda_kernelERKNSD_10TensorBaseESH_lENKUlvE_clEvENKUlvE3_clEvEUlS6_S6_E_S6_EEDaPvRmT3_T4_T5_mT6_P12ihipStream_tbENKUlT_T0_E_clISt17integral_constantIbLb1EESX_IbLb0EEEEDaST_SU_EUlST_E0_NS1_11comp_targetILNS1_3genE8ELNS1_11target_archE1030ELNS1_3gpuE2ELNS1_3repE0EEENS1_30default_config_static_selectorELNS0_4arch9wavefront6targetE1EEEvT1_.numbered_sgpr, 0
	.set _ZN7rocprim17ROCPRIM_400000_NS6detail17trampoline_kernelINS0_14default_configENS1_20scan_config_selectorIN3c104HalfEEEZZNS1_9scan_implILNS1_25lookback_scan_determinismE0ELb0ELb0ES3_PKS6_PS6_S6_ZZZN2at6native31launch_logcumsumexp_cuda_kernelERKNSD_10TensorBaseESH_lENKUlvE_clEvENKUlvE3_clEvEUlS6_S6_E_S6_EEDaPvRmT3_T4_T5_mT6_P12ihipStream_tbENKUlT_T0_E_clISt17integral_constantIbLb1EESX_IbLb0EEEEDaST_SU_EUlST_E0_NS1_11comp_targetILNS1_3genE8ELNS1_11target_archE1030ELNS1_3gpuE2ELNS1_3repE0EEENS1_30default_config_static_selectorELNS0_4arch9wavefront6targetE1EEEvT1_.num_named_barrier, 0
	.set _ZN7rocprim17ROCPRIM_400000_NS6detail17trampoline_kernelINS0_14default_configENS1_20scan_config_selectorIN3c104HalfEEEZZNS1_9scan_implILNS1_25lookback_scan_determinismE0ELb0ELb0ES3_PKS6_PS6_S6_ZZZN2at6native31launch_logcumsumexp_cuda_kernelERKNSD_10TensorBaseESH_lENKUlvE_clEvENKUlvE3_clEvEUlS6_S6_E_S6_EEDaPvRmT3_T4_T5_mT6_P12ihipStream_tbENKUlT_T0_E_clISt17integral_constantIbLb1EESX_IbLb0EEEEDaST_SU_EUlST_E0_NS1_11comp_targetILNS1_3genE8ELNS1_11target_archE1030ELNS1_3gpuE2ELNS1_3repE0EEENS1_30default_config_static_selectorELNS0_4arch9wavefront6targetE1EEEvT1_.private_seg_size, 0
	.set _ZN7rocprim17ROCPRIM_400000_NS6detail17trampoline_kernelINS0_14default_configENS1_20scan_config_selectorIN3c104HalfEEEZZNS1_9scan_implILNS1_25lookback_scan_determinismE0ELb0ELb0ES3_PKS6_PS6_S6_ZZZN2at6native31launch_logcumsumexp_cuda_kernelERKNSD_10TensorBaseESH_lENKUlvE_clEvENKUlvE3_clEvEUlS6_S6_E_S6_EEDaPvRmT3_T4_T5_mT6_P12ihipStream_tbENKUlT_T0_E_clISt17integral_constantIbLb1EESX_IbLb0EEEEDaST_SU_EUlST_E0_NS1_11comp_targetILNS1_3genE8ELNS1_11target_archE1030ELNS1_3gpuE2ELNS1_3repE0EEENS1_30default_config_static_selectorELNS0_4arch9wavefront6targetE1EEEvT1_.uses_vcc, 0
	.set _ZN7rocprim17ROCPRIM_400000_NS6detail17trampoline_kernelINS0_14default_configENS1_20scan_config_selectorIN3c104HalfEEEZZNS1_9scan_implILNS1_25lookback_scan_determinismE0ELb0ELb0ES3_PKS6_PS6_S6_ZZZN2at6native31launch_logcumsumexp_cuda_kernelERKNSD_10TensorBaseESH_lENKUlvE_clEvENKUlvE3_clEvEUlS6_S6_E_S6_EEDaPvRmT3_T4_T5_mT6_P12ihipStream_tbENKUlT_T0_E_clISt17integral_constantIbLb1EESX_IbLb0EEEEDaST_SU_EUlST_E0_NS1_11comp_targetILNS1_3genE8ELNS1_11target_archE1030ELNS1_3gpuE2ELNS1_3repE0EEENS1_30default_config_static_selectorELNS0_4arch9wavefront6targetE1EEEvT1_.uses_flat_scratch, 0
	.set _ZN7rocprim17ROCPRIM_400000_NS6detail17trampoline_kernelINS0_14default_configENS1_20scan_config_selectorIN3c104HalfEEEZZNS1_9scan_implILNS1_25lookback_scan_determinismE0ELb0ELb0ES3_PKS6_PS6_S6_ZZZN2at6native31launch_logcumsumexp_cuda_kernelERKNSD_10TensorBaseESH_lENKUlvE_clEvENKUlvE3_clEvEUlS6_S6_E_S6_EEDaPvRmT3_T4_T5_mT6_P12ihipStream_tbENKUlT_T0_E_clISt17integral_constantIbLb1EESX_IbLb0EEEEDaST_SU_EUlST_E0_NS1_11comp_targetILNS1_3genE8ELNS1_11target_archE1030ELNS1_3gpuE2ELNS1_3repE0EEENS1_30default_config_static_selectorELNS0_4arch9wavefront6targetE1EEEvT1_.has_dyn_sized_stack, 0
	.set _ZN7rocprim17ROCPRIM_400000_NS6detail17trampoline_kernelINS0_14default_configENS1_20scan_config_selectorIN3c104HalfEEEZZNS1_9scan_implILNS1_25lookback_scan_determinismE0ELb0ELb0ES3_PKS6_PS6_S6_ZZZN2at6native31launch_logcumsumexp_cuda_kernelERKNSD_10TensorBaseESH_lENKUlvE_clEvENKUlvE3_clEvEUlS6_S6_E_S6_EEDaPvRmT3_T4_T5_mT6_P12ihipStream_tbENKUlT_T0_E_clISt17integral_constantIbLb1EESX_IbLb0EEEEDaST_SU_EUlST_E0_NS1_11comp_targetILNS1_3genE8ELNS1_11target_archE1030ELNS1_3gpuE2ELNS1_3repE0EEENS1_30default_config_static_selectorELNS0_4arch9wavefront6targetE1EEEvT1_.has_recursion, 0
	.set _ZN7rocprim17ROCPRIM_400000_NS6detail17trampoline_kernelINS0_14default_configENS1_20scan_config_selectorIN3c104HalfEEEZZNS1_9scan_implILNS1_25lookback_scan_determinismE0ELb0ELb0ES3_PKS6_PS6_S6_ZZZN2at6native31launch_logcumsumexp_cuda_kernelERKNSD_10TensorBaseESH_lENKUlvE_clEvENKUlvE3_clEvEUlS6_S6_E_S6_EEDaPvRmT3_T4_T5_mT6_P12ihipStream_tbENKUlT_T0_E_clISt17integral_constantIbLb1EESX_IbLb0EEEEDaST_SU_EUlST_E0_NS1_11comp_targetILNS1_3genE8ELNS1_11target_archE1030ELNS1_3gpuE2ELNS1_3repE0EEENS1_30default_config_static_selectorELNS0_4arch9wavefront6targetE1EEEvT1_.has_indirect_call, 0
	.section	.AMDGPU.csdata,"",@progbits
; Kernel info:
; codeLenInByte = 0
; TotalNumSgprs: 6
; NumVgprs: 0
; NumAgprs: 0
; TotalNumVgprs: 0
; ScratchSize: 0
; MemoryBound: 0
; FloatMode: 240
; IeeeMode: 1
; LDSByteSize: 0 bytes/workgroup (compile time only)
; SGPRBlocks: 0
; VGPRBlocks: 0
; NumSGPRsForWavesPerEU: 6
; NumVGPRsForWavesPerEU: 1
; AccumOffset: 4
; Occupancy: 8
; WaveLimiterHint : 0
; COMPUTE_PGM_RSRC2:SCRATCH_EN: 0
; COMPUTE_PGM_RSRC2:USER_SGPR: 2
; COMPUTE_PGM_RSRC2:TRAP_HANDLER: 0
; COMPUTE_PGM_RSRC2:TGID_X_EN: 1
; COMPUTE_PGM_RSRC2:TGID_Y_EN: 0
; COMPUTE_PGM_RSRC2:TGID_Z_EN: 0
; COMPUTE_PGM_RSRC2:TIDIG_COMP_CNT: 0
; COMPUTE_PGM_RSRC3_GFX90A:ACCUM_OFFSET: 0
; COMPUTE_PGM_RSRC3_GFX90A:TG_SPLIT: 0
	.section	.text._ZN7rocprim17ROCPRIM_400000_NS6detail31init_lookback_scan_state_kernelINS1_19lookback_scan_stateIN3c104HalfELb0ELb1EEENS1_16block_id_wrapperIjLb1EEEEEvT_jT0_jPNS9_10value_typeE,"axG",@progbits,_ZN7rocprim17ROCPRIM_400000_NS6detail31init_lookback_scan_state_kernelINS1_19lookback_scan_stateIN3c104HalfELb0ELb1EEENS1_16block_id_wrapperIjLb1EEEEEvT_jT0_jPNS9_10value_typeE,comdat
	.protected	_ZN7rocprim17ROCPRIM_400000_NS6detail31init_lookback_scan_state_kernelINS1_19lookback_scan_stateIN3c104HalfELb0ELb1EEENS1_16block_id_wrapperIjLb1EEEEEvT_jT0_jPNS9_10value_typeE ; -- Begin function _ZN7rocprim17ROCPRIM_400000_NS6detail31init_lookback_scan_state_kernelINS1_19lookback_scan_stateIN3c104HalfELb0ELb1EEENS1_16block_id_wrapperIjLb1EEEEEvT_jT0_jPNS9_10value_typeE
	.globl	_ZN7rocprim17ROCPRIM_400000_NS6detail31init_lookback_scan_state_kernelINS1_19lookback_scan_stateIN3c104HalfELb0ELb1EEENS1_16block_id_wrapperIjLb1EEEEEvT_jT0_jPNS9_10value_typeE
	.p2align	8
	.type	_ZN7rocprim17ROCPRIM_400000_NS6detail31init_lookback_scan_state_kernelINS1_19lookback_scan_stateIN3c104HalfELb0ELb1EEENS1_16block_id_wrapperIjLb1EEEEEvT_jT0_jPNS9_10value_typeE,@function
_ZN7rocprim17ROCPRIM_400000_NS6detail31init_lookback_scan_state_kernelINS1_19lookback_scan_stateIN3c104HalfELb0ELb1EEENS1_16block_id_wrapperIjLb1EEEEEvT_jT0_jPNS9_10value_typeE: ; @_ZN7rocprim17ROCPRIM_400000_NS6detail31init_lookback_scan_state_kernelINS1_19lookback_scan_stateIN3c104HalfELb0ELb1EEENS1_16block_id_wrapperIjLb1EEEEEvT_jT0_jPNS9_10value_typeE
; %bb.0:
	s_load_dword s3, s[0:1], 0x34
	s_load_dwordx2 s[6:7], s[0:1], 0x20
	s_load_dwordx2 s[4:5], s[0:1], 0x0
	s_load_dword s10, s[0:1], 0x8
	s_waitcnt lgkmcnt(0)
	s_and_b32 s3, s3, 0xffff
	s_mul_i32 s2, s2, s3
	s_cmp_eq_u64 s[6:7], 0
	v_add_u32_e32 v0, s2, v0
	s_cbranch_scc1 .LBB415_6
; %bb.1:
	s_load_dword s8, s[0:1], 0x18
	s_mov_b32 s9, 0
	s_waitcnt lgkmcnt(0)
	s_cmp_lt_u32 s8, s10
	s_cselect_b32 s2, s8, 0
	v_cmp_eq_u32_e32 vcc, s2, v0
	s_and_saveexec_b64 s[2:3], vcc
	s_cbranch_execz .LBB415_5
; %bb.2:
	s_add_i32 s8, s8, 64
	s_lshl_b64 s[8:9], s[8:9], 2
	s_add_u32 s8, s4, s8
	s_addc_u32 s9, s5, s9
	v_mov_b32_e32 v2, 0
	global_load_dword v1, v2, s[8:9] sc1
	s_waitcnt vmcnt(0)
	v_and_b32_e32 v3, 0xff0000, v1
	v_cmp_ne_u32_e32 vcc, 0, v3
	s_cbranch_vccnz .LBB415_4
.LBB415_3:                              ; =>This Inner Loop Header: Depth=1
	global_load_dword v1, v2, s[8:9] sc1
	s_waitcnt vmcnt(0)
	v_and_b32_e32 v3, 0xff0000, v1
	v_cmp_eq_u32_e32 vcc, 0, v3
	s_cbranch_vccnz .LBB415_3
.LBB415_4:
	v_mov_b32_e32 v2, 0
	global_store_short v2, v1, s[6:7]
.LBB415_5:
	s_or_b64 exec, exec, s[2:3]
.LBB415_6:
	v_cmp_eq_u32_e32 vcc, 0, v0
	s_and_saveexec_b64 s[2:3], vcc
	s_cbranch_execnz .LBB415_10
; %bb.7:
	s_or_b64 exec, exec, s[2:3]
	v_cmp_gt_u32_e32 vcc, s10, v0
	s_and_saveexec_b64 s[0:1], vcc
	s_cbranch_execnz .LBB415_11
.LBB415_8:
	s_or_b64 exec, exec, s[0:1]
	v_cmp_gt_u32_e32 vcc, 64, v0
	s_and_saveexec_b64 s[0:1], vcc
	s_cbranch_execnz .LBB415_12
.LBB415_9:
	s_endpgm
.LBB415_10:
	s_load_dwordx2 s[0:1], s[0:1], 0x10
	v_mov_b32_e32 v1, 0
	s_waitcnt lgkmcnt(0)
	global_store_dword v1, v1, s[0:1]
	s_or_b64 exec, exec, s[2:3]
	v_cmp_gt_u32_e32 vcc, s10, v0
	s_and_saveexec_b64 s[0:1], vcc
	s_cbranch_execz .LBB415_8
.LBB415_11:
	v_add_u32_e32 v2, 64, v0
	v_mov_b32_e32 v3, 0
	v_lshl_add_u64 v[4:5], v[2:3], 2, s[4:5]
	global_store_dword v[4:5], v3, off
	s_or_b64 exec, exec, s[0:1]
	v_cmp_gt_u32_e32 vcc, 64, v0
	s_and_saveexec_b64 s[0:1], vcc
	s_cbranch_execz .LBB415_9
.LBB415_12:
	v_mov_b32_e32 v1, 0
	v_lshl_add_u64 v[0:1], v[0:1], 2, s[4:5]
	v_mov_b32_e32 v2, 0xff0000
	global_store_dword v[0:1], v2, off
	s_endpgm
	.section	.rodata,"a",@progbits
	.p2align	6, 0x0
	.amdhsa_kernel _ZN7rocprim17ROCPRIM_400000_NS6detail31init_lookback_scan_state_kernelINS1_19lookback_scan_stateIN3c104HalfELb0ELb1EEENS1_16block_id_wrapperIjLb1EEEEEvT_jT0_jPNS9_10value_typeE
		.amdhsa_group_segment_fixed_size 0
		.amdhsa_private_segment_fixed_size 0
		.amdhsa_kernarg_size 296
		.amdhsa_user_sgpr_count 2
		.amdhsa_user_sgpr_dispatch_ptr 0
		.amdhsa_user_sgpr_queue_ptr 0
		.amdhsa_user_sgpr_kernarg_segment_ptr 1
		.amdhsa_user_sgpr_dispatch_id 0
		.amdhsa_user_sgpr_kernarg_preload_length 0
		.amdhsa_user_sgpr_kernarg_preload_offset 0
		.amdhsa_user_sgpr_private_segment_size 0
		.amdhsa_uses_dynamic_stack 0
		.amdhsa_enable_private_segment 0
		.amdhsa_system_sgpr_workgroup_id_x 1
		.amdhsa_system_sgpr_workgroup_id_y 0
		.amdhsa_system_sgpr_workgroup_id_z 0
		.amdhsa_system_sgpr_workgroup_info 0
		.amdhsa_system_vgpr_workitem_id 0
		.amdhsa_next_free_vgpr 6
		.amdhsa_next_free_sgpr 11
		.amdhsa_accum_offset 8
		.amdhsa_reserve_vcc 1
		.amdhsa_float_round_mode_32 0
		.amdhsa_float_round_mode_16_64 0
		.amdhsa_float_denorm_mode_32 3
		.amdhsa_float_denorm_mode_16_64 3
		.amdhsa_dx10_clamp 1
		.amdhsa_ieee_mode 1
		.amdhsa_fp16_overflow 0
		.amdhsa_tg_split 0
		.amdhsa_exception_fp_ieee_invalid_op 0
		.amdhsa_exception_fp_denorm_src 0
		.amdhsa_exception_fp_ieee_div_zero 0
		.amdhsa_exception_fp_ieee_overflow 0
		.amdhsa_exception_fp_ieee_underflow 0
		.amdhsa_exception_fp_ieee_inexact 0
		.amdhsa_exception_int_div_zero 0
	.end_amdhsa_kernel
	.section	.text._ZN7rocprim17ROCPRIM_400000_NS6detail31init_lookback_scan_state_kernelINS1_19lookback_scan_stateIN3c104HalfELb0ELb1EEENS1_16block_id_wrapperIjLb1EEEEEvT_jT0_jPNS9_10value_typeE,"axG",@progbits,_ZN7rocprim17ROCPRIM_400000_NS6detail31init_lookback_scan_state_kernelINS1_19lookback_scan_stateIN3c104HalfELb0ELb1EEENS1_16block_id_wrapperIjLb1EEEEEvT_jT0_jPNS9_10value_typeE,comdat
.Lfunc_end415:
	.size	_ZN7rocprim17ROCPRIM_400000_NS6detail31init_lookback_scan_state_kernelINS1_19lookback_scan_stateIN3c104HalfELb0ELb1EEENS1_16block_id_wrapperIjLb1EEEEEvT_jT0_jPNS9_10value_typeE, .Lfunc_end415-_ZN7rocprim17ROCPRIM_400000_NS6detail31init_lookback_scan_state_kernelINS1_19lookback_scan_stateIN3c104HalfELb0ELb1EEENS1_16block_id_wrapperIjLb1EEEEEvT_jT0_jPNS9_10value_typeE
                                        ; -- End function
	.set _ZN7rocprim17ROCPRIM_400000_NS6detail31init_lookback_scan_state_kernelINS1_19lookback_scan_stateIN3c104HalfELb0ELb1EEENS1_16block_id_wrapperIjLb1EEEEEvT_jT0_jPNS9_10value_typeE.num_vgpr, 6
	.set _ZN7rocprim17ROCPRIM_400000_NS6detail31init_lookback_scan_state_kernelINS1_19lookback_scan_stateIN3c104HalfELb0ELb1EEENS1_16block_id_wrapperIjLb1EEEEEvT_jT0_jPNS9_10value_typeE.num_agpr, 0
	.set _ZN7rocprim17ROCPRIM_400000_NS6detail31init_lookback_scan_state_kernelINS1_19lookback_scan_stateIN3c104HalfELb0ELb1EEENS1_16block_id_wrapperIjLb1EEEEEvT_jT0_jPNS9_10value_typeE.numbered_sgpr, 11
	.set _ZN7rocprim17ROCPRIM_400000_NS6detail31init_lookback_scan_state_kernelINS1_19lookback_scan_stateIN3c104HalfELb0ELb1EEENS1_16block_id_wrapperIjLb1EEEEEvT_jT0_jPNS9_10value_typeE.num_named_barrier, 0
	.set _ZN7rocprim17ROCPRIM_400000_NS6detail31init_lookback_scan_state_kernelINS1_19lookback_scan_stateIN3c104HalfELb0ELb1EEENS1_16block_id_wrapperIjLb1EEEEEvT_jT0_jPNS9_10value_typeE.private_seg_size, 0
	.set _ZN7rocprim17ROCPRIM_400000_NS6detail31init_lookback_scan_state_kernelINS1_19lookback_scan_stateIN3c104HalfELb0ELb1EEENS1_16block_id_wrapperIjLb1EEEEEvT_jT0_jPNS9_10value_typeE.uses_vcc, 1
	.set _ZN7rocprim17ROCPRIM_400000_NS6detail31init_lookback_scan_state_kernelINS1_19lookback_scan_stateIN3c104HalfELb0ELb1EEENS1_16block_id_wrapperIjLb1EEEEEvT_jT0_jPNS9_10value_typeE.uses_flat_scratch, 0
	.set _ZN7rocprim17ROCPRIM_400000_NS6detail31init_lookback_scan_state_kernelINS1_19lookback_scan_stateIN3c104HalfELb0ELb1EEENS1_16block_id_wrapperIjLb1EEEEEvT_jT0_jPNS9_10value_typeE.has_dyn_sized_stack, 0
	.set _ZN7rocprim17ROCPRIM_400000_NS6detail31init_lookback_scan_state_kernelINS1_19lookback_scan_stateIN3c104HalfELb0ELb1EEENS1_16block_id_wrapperIjLb1EEEEEvT_jT0_jPNS9_10value_typeE.has_recursion, 0
	.set _ZN7rocprim17ROCPRIM_400000_NS6detail31init_lookback_scan_state_kernelINS1_19lookback_scan_stateIN3c104HalfELb0ELb1EEENS1_16block_id_wrapperIjLb1EEEEEvT_jT0_jPNS9_10value_typeE.has_indirect_call, 0
	.section	.AMDGPU.csdata,"",@progbits
; Kernel info:
; codeLenInByte = 348
; TotalNumSgprs: 17
; NumVgprs: 6
; NumAgprs: 0
; TotalNumVgprs: 6
; ScratchSize: 0
; MemoryBound: 0
; FloatMode: 240
; IeeeMode: 1
; LDSByteSize: 0 bytes/workgroup (compile time only)
; SGPRBlocks: 2
; VGPRBlocks: 0
; NumSGPRsForWavesPerEU: 17
; NumVGPRsForWavesPerEU: 6
; AccumOffset: 8
; Occupancy: 8
; WaveLimiterHint : 0
; COMPUTE_PGM_RSRC2:SCRATCH_EN: 0
; COMPUTE_PGM_RSRC2:USER_SGPR: 2
; COMPUTE_PGM_RSRC2:TRAP_HANDLER: 0
; COMPUTE_PGM_RSRC2:TGID_X_EN: 1
; COMPUTE_PGM_RSRC2:TGID_Y_EN: 0
; COMPUTE_PGM_RSRC2:TGID_Z_EN: 0
; COMPUTE_PGM_RSRC2:TIDIG_COMP_CNT: 0
; COMPUTE_PGM_RSRC3_GFX90A:ACCUM_OFFSET: 1
; COMPUTE_PGM_RSRC3_GFX90A:TG_SPLIT: 0
	.section	.text._ZN7rocprim17ROCPRIM_400000_NS6detail17trampoline_kernelINS0_14default_configENS1_20scan_config_selectorIN3c104HalfEEEZZNS1_9scan_implILNS1_25lookback_scan_determinismE0ELb0ELb0ES3_PKS6_PS6_S6_ZZZN2at6native31launch_logcumsumexp_cuda_kernelERKNSD_10TensorBaseESH_lENKUlvE_clEvENKUlvE3_clEvEUlS6_S6_E_S6_EEDaPvRmT3_T4_T5_mT6_P12ihipStream_tbENKUlT_T0_E_clISt17integral_constantIbLb0EESX_IbLb1EEEEDaST_SU_EUlST_E_NS1_11comp_targetILNS1_3genE0ELNS1_11target_archE4294967295ELNS1_3gpuE0ELNS1_3repE0EEENS1_30default_config_static_selectorELNS0_4arch9wavefront6targetE1EEEvT1_,"axG",@progbits,_ZN7rocprim17ROCPRIM_400000_NS6detail17trampoline_kernelINS0_14default_configENS1_20scan_config_selectorIN3c104HalfEEEZZNS1_9scan_implILNS1_25lookback_scan_determinismE0ELb0ELb0ES3_PKS6_PS6_S6_ZZZN2at6native31launch_logcumsumexp_cuda_kernelERKNSD_10TensorBaseESH_lENKUlvE_clEvENKUlvE3_clEvEUlS6_S6_E_S6_EEDaPvRmT3_T4_T5_mT6_P12ihipStream_tbENKUlT_T0_E_clISt17integral_constantIbLb0EESX_IbLb1EEEEDaST_SU_EUlST_E_NS1_11comp_targetILNS1_3genE0ELNS1_11target_archE4294967295ELNS1_3gpuE0ELNS1_3repE0EEENS1_30default_config_static_selectorELNS0_4arch9wavefront6targetE1EEEvT1_,comdat
	.globl	_ZN7rocprim17ROCPRIM_400000_NS6detail17trampoline_kernelINS0_14default_configENS1_20scan_config_selectorIN3c104HalfEEEZZNS1_9scan_implILNS1_25lookback_scan_determinismE0ELb0ELb0ES3_PKS6_PS6_S6_ZZZN2at6native31launch_logcumsumexp_cuda_kernelERKNSD_10TensorBaseESH_lENKUlvE_clEvENKUlvE3_clEvEUlS6_S6_E_S6_EEDaPvRmT3_T4_T5_mT6_P12ihipStream_tbENKUlT_T0_E_clISt17integral_constantIbLb0EESX_IbLb1EEEEDaST_SU_EUlST_E_NS1_11comp_targetILNS1_3genE0ELNS1_11target_archE4294967295ELNS1_3gpuE0ELNS1_3repE0EEENS1_30default_config_static_selectorELNS0_4arch9wavefront6targetE1EEEvT1_ ; -- Begin function _ZN7rocprim17ROCPRIM_400000_NS6detail17trampoline_kernelINS0_14default_configENS1_20scan_config_selectorIN3c104HalfEEEZZNS1_9scan_implILNS1_25lookback_scan_determinismE0ELb0ELb0ES3_PKS6_PS6_S6_ZZZN2at6native31launch_logcumsumexp_cuda_kernelERKNSD_10TensorBaseESH_lENKUlvE_clEvENKUlvE3_clEvEUlS6_S6_E_S6_EEDaPvRmT3_T4_T5_mT6_P12ihipStream_tbENKUlT_T0_E_clISt17integral_constantIbLb0EESX_IbLb1EEEEDaST_SU_EUlST_E_NS1_11comp_targetILNS1_3genE0ELNS1_11target_archE4294967295ELNS1_3gpuE0ELNS1_3repE0EEENS1_30default_config_static_selectorELNS0_4arch9wavefront6targetE1EEEvT1_
	.p2align	8
	.type	_ZN7rocprim17ROCPRIM_400000_NS6detail17trampoline_kernelINS0_14default_configENS1_20scan_config_selectorIN3c104HalfEEEZZNS1_9scan_implILNS1_25lookback_scan_determinismE0ELb0ELb0ES3_PKS6_PS6_S6_ZZZN2at6native31launch_logcumsumexp_cuda_kernelERKNSD_10TensorBaseESH_lENKUlvE_clEvENKUlvE3_clEvEUlS6_S6_E_S6_EEDaPvRmT3_T4_T5_mT6_P12ihipStream_tbENKUlT_T0_E_clISt17integral_constantIbLb0EESX_IbLb1EEEEDaST_SU_EUlST_E_NS1_11comp_targetILNS1_3genE0ELNS1_11target_archE4294967295ELNS1_3gpuE0ELNS1_3repE0EEENS1_30default_config_static_selectorELNS0_4arch9wavefront6targetE1EEEvT1_,@function
_ZN7rocprim17ROCPRIM_400000_NS6detail17trampoline_kernelINS0_14default_configENS1_20scan_config_selectorIN3c104HalfEEEZZNS1_9scan_implILNS1_25lookback_scan_determinismE0ELb0ELb0ES3_PKS6_PS6_S6_ZZZN2at6native31launch_logcumsumexp_cuda_kernelERKNSD_10TensorBaseESH_lENKUlvE_clEvENKUlvE3_clEvEUlS6_S6_E_S6_EEDaPvRmT3_T4_T5_mT6_P12ihipStream_tbENKUlT_T0_E_clISt17integral_constantIbLb0EESX_IbLb1EEEEDaST_SU_EUlST_E_NS1_11comp_targetILNS1_3genE0ELNS1_11target_archE4294967295ELNS1_3gpuE0ELNS1_3repE0EEENS1_30default_config_static_selectorELNS0_4arch9wavefront6targetE1EEEvT1_: ; @_ZN7rocprim17ROCPRIM_400000_NS6detail17trampoline_kernelINS0_14default_configENS1_20scan_config_selectorIN3c104HalfEEEZZNS1_9scan_implILNS1_25lookback_scan_determinismE0ELb0ELb0ES3_PKS6_PS6_S6_ZZZN2at6native31launch_logcumsumexp_cuda_kernelERKNSD_10TensorBaseESH_lENKUlvE_clEvENKUlvE3_clEvEUlS6_S6_E_S6_EEDaPvRmT3_T4_T5_mT6_P12ihipStream_tbENKUlT_T0_E_clISt17integral_constantIbLb0EESX_IbLb1EEEEDaST_SU_EUlST_E_NS1_11comp_targetILNS1_3genE0ELNS1_11target_archE4294967295ELNS1_3gpuE0ELNS1_3repE0EEENS1_30default_config_static_selectorELNS0_4arch9wavefront6targetE1EEEvT1_
; %bb.0:
	s_load_dwordx2 s[56:57], s[0:1], 0x28
	v_cmp_ne_u32_e64 s[2:3], 0, v0
	v_cmp_eq_u32_e64 s[4:5], 0, v0
	s_and_saveexec_b64 s[6:7], s[4:5]
	s_cbranch_execz .LBB416_4
; %bb.1:
	s_mov_b64 s[10:11], exec
	v_mbcnt_lo_u32_b32 v1, s10, 0
	v_mbcnt_hi_u32_b32 v1, s11, v1
	v_cmp_eq_u32_e32 vcc, 0, v1
                                        ; implicit-def: $vgpr2
	s_and_saveexec_b64 s[8:9], vcc
	s_cbranch_execz .LBB416_3
; %bb.2:
	s_load_dwordx2 s[12:13], s[0:1], 0x58
	s_bcnt1_i32_b64 s10, s[10:11]
	v_mov_b32_e32 v2, 0
	v_mov_b32_e32 v3, s10
	s_waitcnt lgkmcnt(0)
	global_atomic_add v2, v2, v3, s[12:13] sc0
.LBB416_3:
	s_or_b64 exec, exec, s[8:9]
	s_waitcnt vmcnt(0)
	v_readfirstlane_b32 s8, v2
	v_mov_b32_e32 v2, 0
	s_nop 0
	v_add_u32_e32 v1, s8, v1
	ds_write_b32 v2, v1
.LBB416_4:
	s_or_b64 exec, exec, s[6:7]
	s_load_dwordx8 s[48:55], s[0:1], 0x0
	s_load_dword s6, s[0:1], 0x30
	s_load_dwordx8 s[40:47], s[0:1], 0x38
	v_mov_b32_e32 v1, 0
	s_waitcnt lgkmcnt(0)
	s_barrier
	ds_read_b32 v1, v1
	s_lshl_b64 s[50:51], s[50:51], 1
	s_add_u32 s7, s48, s50
	s_addc_u32 s10, s49, s51
	s_add_i32 s0, s6, -1
	s_waitcnt lgkmcnt(0)
	v_readfirstlane_b32 s61, v1
	s_mul_i32 s1, s0, 0x700
	s_mul_i32 s8, s61, 0x700
	s_mov_b32 s9, 0
	s_sub_u32 s33, s54, s1
	s_subb_u32 s60, s55, 0
	s_lshl_b64 s[48:49], s[8:9], 1
	v_cmp_ne_u32_e64 s[0:1], s0, v1
	s_add_u32 s8, s7, s48
	s_addc_u32 s9, s10, s49
	s_mov_b64 s[6:7], -1
	s_and_b64 vcc, exec, s[0:1]
	v_lshlrev_b32_e32 v2, 1, v0
	s_barrier
	s_cbranch_vccz .LBB416_6
; %bb.5:
	global_load_ushort v1, v2, s[8:9]
	global_load_ushort v3, v2, s[8:9] offset:256
	global_load_ushort v4, v2, s[8:9] offset:512
	;; [unrolled: 1-line block ×13, first 2 shown]
	s_mov_b64 s[6:7], 0
	s_waitcnt vmcnt(13)
	ds_write_b16 v2, v1
	s_waitcnt vmcnt(12)
	ds_write_b16 v2, v3 offset:256
	s_waitcnt vmcnt(11)
	ds_write_b16 v2, v4 offset:512
	;; [unrolled: 2-line block ×13, first 2 shown]
	s_waitcnt lgkmcnt(0)
	s_barrier
.LBB416_6:
	s_andn2_b64 vcc, exec, s[6:7]
	v_cmp_gt_u32_e64 s[6:7], s33, v0
	s_cbranch_vccnz .LBB416_36
; %bb.7:
	v_mov_b32_e32 v1, 0
	global_load_ushort v1, v1, s[8:9]
	s_waitcnt vmcnt(0)
	v_mov_b32_e32 v3, v1
	s_and_saveexec_b64 s[10:11], s[6:7]
	s_cbranch_execz .LBB416_9
; %bb.8:
	global_load_ushort v3, v2, s[8:9]
.LBB416_9:
	s_or_b64 exec, exec, s[10:11]
	v_or_b32_e32 v4, 0x80, v0
	v_cmp_gt_u32_e32 vcc, s33, v4
	v_mov_b32_e32 v4, v1
	s_and_saveexec_b64 s[6:7], vcc
	s_cbranch_execz .LBB416_11
; %bb.10:
	global_load_ushort v4, v2, s[8:9] offset:256
.LBB416_11:
	s_or_b64 exec, exec, s[6:7]
	v_or_b32_e32 v5, 0x100, v0
	v_cmp_gt_u32_e32 vcc, s33, v5
	v_mov_b32_e32 v5, v1
	s_and_saveexec_b64 s[6:7], vcc
	s_cbranch_execz .LBB416_13
; %bb.12:
	global_load_ushort v5, v2, s[8:9] offset:512
.LBB416_13:
	;; [unrolled: 9-line block ×12, first 2 shown]
	s_or_b64 exec, exec, s[6:7]
	v_or_b32_e32 v16, 0x680, v0
	v_cmp_gt_u32_e32 vcc, s33, v16
	s_and_saveexec_b64 s[6:7], vcc
	s_cbranch_execz .LBB416_35
; %bb.34:
	global_load_ushort v1, v2, s[8:9] offset:3328
.LBB416_35:
	s_or_b64 exec, exec, s[6:7]
	s_waitcnt vmcnt(0)
	ds_write_b16 v2, v3
	ds_write_b16 v2, v4 offset:256
	ds_write_b16 v2, v5 offset:512
	;; [unrolled: 1-line block ×13, first 2 shown]
	s_waitcnt lgkmcnt(0)
	s_barrier
.LBB416_36:
	v_mul_u32_u24_e32 v1, 28, v0
	ds_read2_b32 v[8:9], v1 offset1:1
	ds_read2_b32 v[6:7], v1 offset0:2 offset1:3
	ds_read2_b32 v[4:5], v1 offset0:4 offset1:5
	ds_read_b32 v18, v1 offset:24
	s_cmp_lg_u32 s61, 0
	s_waitcnt lgkmcnt(3)
	v_cvt_f32_f16_sdwa v3, v8 dst_sel:DWORD dst_unused:UNUSED_PAD src0_sel:WORD_1
	v_cmp_u_f16_sdwa s[6:7], v8, v8 src0_sel:WORD_1 src1_sel:WORD_1
	s_waitcnt lgkmcnt(0)
	s_barrier
	s_cbranch_scc0 .LBB416_164
; %bb.37:
	v_cvt_f32_f16_e32 v31, v8
	v_cmp_u_f16_e64 s[34:35], v8, v8
	s_movk_i32 s10, 0x1f8
	v_min_f32_e32 v10, v31, v3
	v_max_f32_e32 v11, v31, v3
	v_cndmask_b32_e64 v10, v10, v31, s[34:35]
	v_cndmask_b32_e64 v11, v11, v31, s[34:35]
	;; [unrolled: 1-line block ×4, first 2 shown]
	v_cmp_neq_f32_e32 vcc, v14, v13
	v_cmp_class_f32_e64 s[8:9], v14, s10
	s_or_b64 s[12:13], vcc, s[8:9]
	v_mov_b32_e32 v12, v31
	v_mov_b32_e32 v11, v8
	;; [unrolled: 1-line block ×3, first 2 shown]
	s_and_saveexec_b64 s[8:9], s[12:13]
	s_cbranch_execz .LBB416_39
; %bb.38:
	v_sub_f32_e32 v10, v14, v13
	s_mov_b32 s11, 0x3fb8aa3b
	v_mul_f32_e32 v11, 0x3fb8aa3b, v10
	v_fma_f32 v12, v10, s11, -v11
	v_rndne_f32_e32 v14, v11
	v_fmamk_f32 v12, v10, 0x32a5705f, v12
	v_sub_f32_e32 v11, v11, v14
	v_add_f32_e32 v11, v11, v12
	v_exp_f32_e32 v11, v11
	v_cvt_i32_f32_e32 v12, v14
	s_mov_b32 s11, 0xc2ce8ed0
	v_cmp_ngt_f32_e32 vcc, s11, v10
	s_mov_b32 s11, 0x42b17218
	v_ldexp_f32 v11, v11, v12
	v_cndmask_b32_e32 v11, 0, v11, vcc
	v_mov_b32_e32 v12, 0x7f800000
	v_cmp_nlt_f32_e32 vcc, s11, v10
	s_mov_b32 s11, 0x3f2aaaab
	s_mov_b32 s12, 0x7f800000
	v_cndmask_b32_e32 v19, v12, v11, vcc
	v_add_f32_e32 v14, 1.0, v19
	v_add_f32_e32 v10, -1.0, v14
	v_sub_f32_e32 v11, v10, v14
	v_add_f32_e32 v11, 1.0, v11
	v_sub_f32_e32 v10, v19, v10
	v_add_f32_e32 v15, v10, v11
	v_frexp_mant_f32_e32 v16, v14
	v_cvt_f64_f32_e32 v[10:11], v14
	v_frexp_exp_i32_f64_e32 v10, v[10:11]
	v_cmp_gt_f32_e32 vcc, s11, v16
	s_mov_b32 s11, 0x3f317218
	s_nop 0
	v_subbrev_co_u32_e32 v22, vcc, 0, v10, vcc
	v_sub_u32_e32 v10, 0, v22
	v_ldexp_f32 v11, v14, v10
	v_add_f32_e32 v14, -1.0, v11
	v_add_f32_e32 v16, 1.0, v11
	v_ldexp_f32 v10, v15, v10
	v_add_f32_e32 v15, 1.0, v14
	v_add_f32_e32 v17, -1.0, v16
	v_sub_f32_e32 v15, v11, v15
	v_sub_f32_e32 v11, v11, v17
	v_add_f32_e32 v15, v10, v15
	v_add_f32_e32 v10, v10, v11
	;; [unrolled: 1-line block ×3, first 2 shown]
	v_rcp_f32_e32 v25, v23
	v_sub_f32_e32 v11, v16, v23
	v_add_f32_e32 v24, v10, v11
	v_add_f32_e32 v11, v14, v15
	v_mul_f32_e32 v27, v11, v25
	v_sub_f32_e32 v10, v14, v11
	v_mul_f32_e32 v14, v23, v27
	v_fma_f32 v16, v27, v23, -v14
	v_fmac_f32_e32 v16, v27, v24
	v_add_f32_e32 v26, v15, v10
	v_add_f32_e32 v10, v14, v16
	v_sub_f32_e32 v15, v11, v10
	v_pk_add_f32 v[20:21], v[10:11], v[14:15] neg_lo:[0,1] neg_hi:[0,1]
	v_mov_b32_e32 v17, v10
	v_pk_add_f32 v[10:11], v[20:21], v[16:17] neg_lo:[0,1] neg_hi:[0,1]
	v_cmp_neq_f32_e32 vcc, s12, v19
	v_add_f32_e32 v11, v26, v11
	v_add_f32_e32 v10, v10, v11
	;; [unrolled: 1-line block ×3, first 2 shown]
	v_mul_f32_e32 v26, v25, v11
	v_mul_f32_e32 v14, v23, v26
	v_fma_f32 v16, v26, v23, -v14
	v_fmac_f32_e32 v16, v26, v24
	v_sub_f32_e32 v15, v15, v11
	v_add_f32_e32 v23, v10, v15
	v_add_f32_e32 v10, v14, v16
	v_sub_f32_e32 v15, v11, v10
	v_pk_add_f32 v[20:21], v[10:11], v[14:15] neg_lo:[0,1] neg_hi:[0,1]
	v_mov_b32_e32 v17, v10
	v_pk_add_f32 v[10:11], v[20:21], v[16:17] neg_lo:[0,1] neg_hi:[0,1]
	v_cvt_f32_i32_e32 v14, v22
	v_add_f32_e32 v11, v23, v11
	v_add_f32_e32 v10, v10, v11
	;; [unrolled: 1-line block ×4, first 2 shown]
	v_sub_f32_e32 v11, v15, v27
	v_mul_f32_e32 v10, v25, v10
	v_sub_f32_e32 v11, v26, v11
	v_add_f32_e32 v10, v11, v10
	v_add_f32_e32 v16, v15, v10
	v_mul_f32_e32 v20, v16, v16
	v_mov_b32_e32 v11, 0x3ecc95a3
	v_sub_f32_e32 v15, v16, v15
	v_fmac_f32_e32 v11, 0x3e9b6dac, v20
	v_sub_f32_e32 v10, v10, v15
	v_fmaak_f32 v11, v20, v11, 0x3f2aaada
	v_ldexp_f32 v21, v10, 1
	v_mul_f32_e32 v15, v16, v20
	v_mov_b32_e32 v10, 0x3f317218
	v_pk_mul_f32 v[10:11], v[14:15], v[10:11]
	v_ldexp_f32 v17, v16, 1
	v_fma_f32 v15, v14, s11, -v10
	v_fmamk_f32 v16, v14, 0xb102e308, v15
	v_pk_add_f32 v[14:15], v[10:11], v[16:17]
	v_mov_b32_e32 v20, v10
	v_sub_f32_e32 v17, v15, v17
	v_sub_f32_e32 v17, v11, v17
	v_add_f32_e32 v21, v21, v17
	v_pk_add_f32 v[10:11], v[14:15], v[10:11] neg_lo:[0,1] neg_hi:[0,1]
	v_pk_add_f32 v[22:23], v[14:15], v[20:21]
	v_mov_b32_e32 v17, v14
	v_mov_b32_e32 v11, v23
	v_pk_add_f32 v[24:25], v[16:17], v[10:11] neg_lo:[0,1] neg_hi:[0,1]
	v_pk_add_f32 v[10:11], v[16:17], v[10:11]
	v_mov_b32_e32 v20, v21
	v_pk_add_f32 v[16:17], v[10:11], v[14:15] op_sel:[1,0] op_sel_hi:[0,1] neg_lo:[0,1] neg_hi:[0,1]
	v_pk_add_f32 v[26:27], v[22:23], v[16:17] op_sel_hi:[1,0] neg_lo:[0,1] neg_hi:[0,1]
	v_mov_b32_e32 v22, v23
	v_mov_b32_e32 v23, v11
	v_pk_mov_b32 v[16:17], v[14:15], v[16:17] op_sel:[1,0]
	v_mov_b32_e32 v21, v14
	v_pk_add_f32 v[16:17], v[22:23], v[16:17] neg_lo:[0,1] neg_hi:[0,1]
	v_mov_b32_e32 v26, v24
	v_pk_add_f32 v[14:15], v[20:21], v[16:17] neg_lo:[0,1] neg_hi:[0,1]
	v_mov_b32_e32 v25, v11
	v_pk_add_f32 v[16:17], v[26:27], v[14:15]
	s_mov_b32 s11, 0x33800000
	v_pk_add_f32 v[20:21], v[16:17], v[16:17] op_sel:[0,1] op_sel_hi:[1,0]
	s_nop 0
	v_pk_add_f32 v[10:11], v[10:11], v[20:21] op_sel:[1,0] op_sel_hi:[0,1]
	v_mov_b32_e32 v17, v10
	v_pk_add_f32 v[22:23], v[16:17], v[24:25] neg_lo:[0,1] neg_hi:[0,1]
	v_mov_b32_e32 v15, v20
	v_sub_f32_e32 v11, v16, v22
	v_pk_add_f32 v[14:15], v[14:15], v[22:23] neg_lo:[0,1] neg_hi:[0,1]
	v_sub_f32_e32 v11, v24, v11
	v_add_f32_e32 v11, v14, v11
	v_add_f32_e32 v11, v11, v15
	;; [unrolled: 1-line block ×3, first 2 shown]
	v_cndmask_b32_e32 v10, v12, v10, vcc
	v_cmp_lt_f32_e64 vcc, |v19|, s11
	s_nop 1
	v_cndmask_b32_e32 v10, v10, v19, vcc
	v_add_f32_e32 v10, v13, v10
	v_cvt_f16_f32_e32 v11, v10
	v_cvt_f32_f16_e32 v12, v11
	v_mov_b32_e32 v10, v11
.LBB416_39:
	s_or_b64 exec, exec, s[8:9]
	v_cvt_f32_f16_e32 v19, v9
	v_max_f32_e32 v13, v12, v12
	v_cmp_u_f16_e32 vcc, v11, v11
	v_cmp_u_f16_e64 s[8:9], v9, v9
	v_min_f32_e32 v14, v13, v19
	v_max_f32_e32 v13, v13, v19
	v_cndmask_b32_e32 v14, v14, v12, vcc
	v_cndmask_b32_e32 v13, v13, v12, vcc
	v_cndmask_b32_e64 v14, v14, v19, s[8:9]
	v_cndmask_b32_e64 v13, v13, v19, s[8:9]
	v_cmp_neq_f32_e32 vcc, v14, v13
	v_cmp_class_f32_e64 s[10:11], v14, s10
	s_or_b64 s[12:13], vcc, s[10:11]
	s_and_saveexec_b64 s[10:11], s[12:13]
	s_cbranch_execz .LBB416_41
; %bb.40:
	v_sub_f32_e32 v10, v14, v13
	s_mov_b32 s12, 0x3fb8aa3b
	v_mul_f32_e32 v11, 0x3fb8aa3b, v10
	v_fma_f32 v12, v10, s12, -v11
	v_rndne_f32_e32 v14, v11
	v_fmamk_f32 v12, v10, 0x32a5705f, v12
	v_sub_f32_e32 v11, v11, v14
	v_add_f32_e32 v11, v11, v12
	v_exp_f32_e32 v11, v11
	v_cvt_i32_f32_e32 v12, v14
	s_mov_b32 s12, 0xc2ce8ed0
	v_cmp_ngt_f32_e32 vcc, s12, v10
	s_mov_b32 s12, 0x42b17218
	v_ldexp_f32 v11, v11, v12
	v_cndmask_b32_e32 v11, 0, v11, vcc
	v_mov_b32_e32 v12, 0x7f800000
	v_cmp_nlt_f32_e32 vcc, s12, v10
	s_mov_b32 s12, 0x3f2aaaab
	s_mov_b32 s13, 0x7f800000
	v_cndmask_b32_e32 v28, v12, v11, vcc
	v_add_f32_e32 v14, 1.0, v28
	v_add_f32_e32 v10, -1.0, v14
	v_sub_f32_e32 v11, v10, v14
	v_add_f32_e32 v11, 1.0, v11
	v_sub_f32_e32 v10, v28, v10
	v_add_f32_e32 v15, v10, v11
	v_frexp_mant_f32_e32 v16, v14
	v_cvt_f64_f32_e32 v[10:11], v14
	v_frexp_exp_i32_f64_e32 v10, v[10:11]
	v_cmp_gt_f32_e32 vcc, s12, v16
	s_mov_b32 s12, 0x3f317218
	s_nop 0
	v_subbrev_co_u32_e32 v22, vcc, 0, v10, vcc
	v_sub_u32_e32 v10, 0, v22
	v_ldexp_f32 v11, v14, v10
	v_add_f32_e32 v14, -1.0, v11
	v_add_f32_e32 v16, 1.0, v11
	v_ldexp_f32 v10, v15, v10
	v_add_f32_e32 v15, 1.0, v14
	v_add_f32_e32 v17, -1.0, v16
	v_sub_f32_e32 v15, v11, v15
	v_sub_f32_e32 v11, v11, v17
	v_add_f32_e32 v15, v10, v15
	v_add_f32_e32 v10, v10, v11
	;; [unrolled: 1-line block ×3, first 2 shown]
	v_rcp_f32_e32 v25, v23
	v_sub_f32_e32 v11, v16, v23
	v_add_f32_e32 v24, v10, v11
	v_add_f32_e32 v11, v14, v15
	v_mul_f32_e32 v27, v11, v25
	v_sub_f32_e32 v10, v14, v11
	v_mul_f32_e32 v14, v23, v27
	v_fma_f32 v16, v27, v23, -v14
	v_fmac_f32_e32 v16, v27, v24
	v_add_f32_e32 v26, v15, v10
	v_add_f32_e32 v10, v14, v16
	v_sub_f32_e32 v15, v11, v10
	v_pk_add_f32 v[20:21], v[10:11], v[14:15] neg_lo:[0,1] neg_hi:[0,1]
	v_mov_b32_e32 v17, v10
	v_pk_add_f32 v[10:11], v[20:21], v[16:17] neg_lo:[0,1] neg_hi:[0,1]
	v_cmp_neq_f32_e32 vcc, s13, v28
	v_add_f32_e32 v11, v26, v11
	v_add_f32_e32 v10, v10, v11
	;; [unrolled: 1-line block ×3, first 2 shown]
	v_mul_f32_e32 v26, v25, v11
	v_mul_f32_e32 v14, v23, v26
	v_fma_f32 v16, v26, v23, -v14
	v_fmac_f32_e32 v16, v26, v24
	v_sub_f32_e32 v15, v15, v11
	v_add_f32_e32 v23, v10, v15
	v_add_f32_e32 v10, v14, v16
	v_sub_f32_e32 v15, v11, v10
	v_pk_add_f32 v[20:21], v[10:11], v[14:15] neg_lo:[0,1] neg_hi:[0,1]
	v_mov_b32_e32 v17, v10
	v_pk_add_f32 v[10:11], v[20:21], v[16:17] neg_lo:[0,1] neg_hi:[0,1]
	v_cvt_f32_i32_e32 v14, v22
	v_add_f32_e32 v11, v23, v11
	v_add_f32_e32 v10, v10, v11
	;; [unrolled: 1-line block ×4, first 2 shown]
	v_sub_f32_e32 v11, v15, v27
	v_mul_f32_e32 v10, v25, v10
	v_sub_f32_e32 v11, v26, v11
	v_add_f32_e32 v10, v11, v10
	v_add_f32_e32 v16, v15, v10
	v_mul_f32_e32 v20, v16, v16
	v_mov_b32_e32 v11, 0x3ecc95a3
	v_sub_f32_e32 v15, v16, v15
	v_fmac_f32_e32 v11, 0x3e9b6dac, v20
	v_sub_f32_e32 v10, v10, v15
	v_fmaak_f32 v11, v20, v11, 0x3f2aaada
	v_ldexp_f32 v21, v10, 1
	v_mul_f32_e32 v15, v16, v20
	v_mov_b32_e32 v10, 0x3f317218
	v_pk_mul_f32 v[10:11], v[14:15], v[10:11]
	v_ldexp_f32 v17, v16, 1
	v_fma_f32 v15, v14, s12, -v10
	v_fmamk_f32 v16, v14, 0xb102e308, v15
	v_pk_add_f32 v[14:15], v[10:11], v[16:17]
	v_mov_b32_e32 v20, v10
	v_sub_f32_e32 v17, v15, v17
	v_sub_f32_e32 v17, v11, v17
	v_add_f32_e32 v21, v21, v17
	v_pk_add_f32 v[10:11], v[14:15], v[10:11] neg_lo:[0,1] neg_hi:[0,1]
	v_pk_add_f32 v[22:23], v[14:15], v[20:21]
	v_mov_b32_e32 v17, v14
	v_mov_b32_e32 v11, v23
	v_pk_add_f32 v[24:25], v[16:17], v[10:11] neg_lo:[0,1] neg_hi:[0,1]
	v_pk_add_f32 v[10:11], v[16:17], v[10:11]
	v_mov_b32_e32 v20, v21
	v_pk_add_f32 v[16:17], v[10:11], v[14:15] op_sel:[1,0] op_sel_hi:[0,1] neg_lo:[0,1] neg_hi:[0,1]
	v_pk_add_f32 v[26:27], v[22:23], v[16:17] op_sel_hi:[1,0] neg_lo:[0,1] neg_hi:[0,1]
	v_mov_b32_e32 v22, v23
	v_mov_b32_e32 v23, v11
	v_pk_mov_b32 v[16:17], v[14:15], v[16:17] op_sel:[1,0]
	v_mov_b32_e32 v21, v14
	v_pk_add_f32 v[16:17], v[22:23], v[16:17] neg_lo:[0,1] neg_hi:[0,1]
	v_mov_b32_e32 v26, v24
	v_pk_add_f32 v[14:15], v[20:21], v[16:17] neg_lo:[0,1] neg_hi:[0,1]
	v_mov_b32_e32 v25, v11
	v_pk_add_f32 v[16:17], v[26:27], v[14:15]
	s_mov_b32 s12, 0x33800000
	v_pk_add_f32 v[20:21], v[16:17], v[16:17] op_sel:[0,1] op_sel_hi:[1,0]
	s_nop 0
	v_pk_add_f32 v[10:11], v[10:11], v[20:21] op_sel:[1,0] op_sel_hi:[0,1]
	v_mov_b32_e32 v17, v10
	v_pk_add_f32 v[22:23], v[16:17], v[24:25] neg_lo:[0,1] neg_hi:[0,1]
	v_mov_b32_e32 v15, v20
	v_sub_f32_e32 v11, v16, v22
	v_pk_add_f32 v[14:15], v[14:15], v[22:23] neg_lo:[0,1] neg_hi:[0,1]
	v_sub_f32_e32 v11, v24, v11
	v_add_f32_e32 v11, v14, v11
	v_add_f32_e32 v11, v11, v15
	;; [unrolled: 1-line block ×3, first 2 shown]
	v_cndmask_b32_e32 v10, v12, v10, vcc
	v_cmp_lt_f32_e64 vcc, |v28|, s12
	s_nop 1
	v_cndmask_b32_e32 v10, v10, v28, vcc
	v_add_f32_e32 v10, v13, v10
	v_cvt_f16_f32_e32 v11, v10
	v_cvt_f32_f16_e32 v12, v11
	v_mov_b32_e32 v10, v11
.LBB416_41:
	s_or_b64 exec, exec, s[10:11]
	v_cvt_f32_f16_sdwa v20, v9 dst_sel:DWORD dst_unused:UNUSED_PAD src0_sel:WORD_1
	v_max_f32_e32 v13, v12, v12
	v_cmp_u_f16_e32 vcc, v11, v11
	v_cmp_u_f16_sdwa s[10:11], v9, v9 src0_sel:WORD_1 src1_sel:WORD_1
	v_min_f32_e32 v14, v13, v20
	v_max_f32_e32 v13, v13, v20
	v_cndmask_b32_e32 v14, v14, v12, vcc
	v_cndmask_b32_e32 v13, v13, v12, vcc
	v_cndmask_b32_e64 v14, v14, v20, s[10:11]
	v_cndmask_b32_e64 v13, v13, v20, s[10:11]
	s_movk_i32 s14, 0x1f8
	v_cmp_neq_f32_e32 vcc, v14, v13
	v_cmp_class_f32_e64 s[12:13], v14, s14
	s_or_b64 s[16:17], vcc, s[12:13]
	s_and_saveexec_b64 s[12:13], s[16:17]
	s_cbranch_execz .LBB416_43
; %bb.42:
	v_sub_f32_e32 v10, v14, v13
	s_mov_b32 s15, 0x3fb8aa3b
	v_mul_f32_e32 v11, 0x3fb8aa3b, v10
	v_fma_f32 v12, v10, s15, -v11
	v_rndne_f32_e32 v14, v11
	v_fmamk_f32 v12, v10, 0x32a5705f, v12
	v_sub_f32_e32 v11, v11, v14
	v_add_f32_e32 v11, v11, v12
	v_exp_f32_e32 v11, v11
	v_cvt_i32_f32_e32 v12, v14
	s_mov_b32 s15, 0xc2ce8ed0
	v_cmp_ngt_f32_e32 vcc, s15, v10
	s_mov_b32 s15, 0x42b17218
	v_ldexp_f32 v11, v11, v12
	v_cndmask_b32_e32 v11, 0, v11, vcc
	v_mov_b32_e32 v12, 0x7f800000
	v_cmp_nlt_f32_e32 vcc, s15, v10
	s_mov_b32 s15, 0x3f2aaaab
	s_mov_b32 s16, 0x7f800000
	v_cndmask_b32_e32 v21, v12, v11, vcc
	v_add_f32_e32 v14, 1.0, v21
	v_add_f32_e32 v10, -1.0, v14
	v_sub_f32_e32 v11, v10, v14
	v_add_f32_e32 v11, 1.0, v11
	v_sub_f32_e32 v10, v21, v10
	v_add_f32_e32 v15, v10, v11
	v_frexp_mant_f32_e32 v16, v14
	v_cvt_f64_f32_e32 v[10:11], v14
	v_frexp_exp_i32_f64_e32 v10, v[10:11]
	v_cmp_gt_f32_e32 vcc, s15, v16
	s_mov_b32 s15, 0x3f317218
	s_nop 0
	v_subbrev_co_u32_e32 v24, vcc, 0, v10, vcc
	v_sub_u32_e32 v10, 0, v24
	v_ldexp_f32 v11, v14, v10
	v_add_f32_e32 v14, -1.0, v11
	v_add_f32_e32 v16, 1.0, v11
	v_ldexp_f32 v10, v15, v10
	v_add_f32_e32 v15, 1.0, v14
	v_add_f32_e32 v17, -1.0, v16
	v_sub_f32_e32 v15, v11, v15
	v_sub_f32_e32 v11, v11, v17
	v_add_f32_e32 v15, v10, v15
	v_add_f32_e32 v10, v10, v11
	;; [unrolled: 1-line block ×3, first 2 shown]
	v_rcp_f32_e32 v27, v25
	v_sub_f32_e32 v11, v16, v25
	v_add_f32_e32 v26, v10, v11
	v_add_f32_e32 v11, v14, v15
	v_mul_f32_e32 v29, v11, v27
	v_sub_f32_e32 v10, v14, v11
	v_mul_f32_e32 v14, v25, v29
	v_fma_f32 v16, v29, v25, -v14
	v_fmac_f32_e32 v16, v29, v26
	v_add_f32_e32 v28, v15, v10
	v_add_f32_e32 v10, v14, v16
	v_sub_f32_e32 v15, v11, v10
	v_pk_add_f32 v[22:23], v[10:11], v[14:15] neg_lo:[0,1] neg_hi:[0,1]
	v_mov_b32_e32 v17, v10
	v_pk_add_f32 v[10:11], v[22:23], v[16:17] neg_lo:[0,1] neg_hi:[0,1]
	v_cmp_neq_f32_e32 vcc, s16, v21
	v_add_f32_e32 v11, v28, v11
	v_add_f32_e32 v10, v10, v11
	;; [unrolled: 1-line block ×3, first 2 shown]
	v_mul_f32_e32 v28, v27, v11
	v_mul_f32_e32 v14, v25, v28
	v_fma_f32 v16, v28, v25, -v14
	v_fmac_f32_e32 v16, v28, v26
	v_sub_f32_e32 v15, v15, v11
	v_add_f32_e32 v25, v10, v15
	v_add_f32_e32 v10, v14, v16
	v_sub_f32_e32 v15, v11, v10
	v_pk_add_f32 v[22:23], v[10:11], v[14:15] neg_lo:[0,1] neg_hi:[0,1]
	v_mov_b32_e32 v17, v10
	v_pk_add_f32 v[10:11], v[22:23], v[16:17] neg_lo:[0,1] neg_hi:[0,1]
	v_cvt_f32_i32_e32 v14, v24
	v_add_f32_e32 v11, v25, v11
	v_add_f32_e32 v10, v10, v11
	;; [unrolled: 1-line block ×4, first 2 shown]
	v_sub_f32_e32 v11, v15, v29
	v_mul_f32_e32 v10, v27, v10
	v_sub_f32_e32 v11, v28, v11
	v_add_f32_e32 v10, v11, v10
	v_add_f32_e32 v16, v15, v10
	v_mul_f32_e32 v22, v16, v16
	v_mov_b32_e32 v11, 0x3ecc95a3
	v_sub_f32_e32 v15, v16, v15
	v_fmac_f32_e32 v11, 0x3e9b6dac, v22
	v_sub_f32_e32 v10, v10, v15
	v_fmaak_f32 v11, v22, v11, 0x3f2aaada
	v_ldexp_f32 v23, v10, 1
	v_mul_f32_e32 v15, v16, v22
	v_mov_b32_e32 v10, 0x3f317218
	v_pk_mul_f32 v[10:11], v[14:15], v[10:11]
	v_ldexp_f32 v17, v16, 1
	v_fma_f32 v15, v14, s15, -v10
	v_fmamk_f32 v16, v14, 0xb102e308, v15
	v_pk_add_f32 v[14:15], v[10:11], v[16:17]
	v_mov_b32_e32 v22, v10
	v_sub_f32_e32 v17, v15, v17
	v_sub_f32_e32 v17, v11, v17
	v_add_f32_e32 v23, v23, v17
	v_pk_add_f32 v[10:11], v[14:15], v[10:11] neg_lo:[0,1] neg_hi:[0,1]
	v_pk_add_f32 v[24:25], v[14:15], v[22:23]
	v_mov_b32_e32 v17, v14
	v_mov_b32_e32 v11, v25
	v_pk_add_f32 v[26:27], v[16:17], v[10:11] neg_lo:[0,1] neg_hi:[0,1]
	v_pk_add_f32 v[10:11], v[16:17], v[10:11]
	v_mov_b32_e32 v22, v23
	v_pk_add_f32 v[16:17], v[10:11], v[14:15] op_sel:[1,0] op_sel_hi:[0,1] neg_lo:[0,1] neg_hi:[0,1]
	v_pk_add_f32 v[28:29], v[24:25], v[16:17] op_sel_hi:[1,0] neg_lo:[0,1] neg_hi:[0,1]
	v_mov_b32_e32 v24, v25
	v_mov_b32_e32 v25, v11
	v_pk_mov_b32 v[16:17], v[14:15], v[16:17] op_sel:[1,0]
	v_mov_b32_e32 v23, v14
	v_pk_add_f32 v[16:17], v[24:25], v[16:17] neg_lo:[0,1] neg_hi:[0,1]
	v_mov_b32_e32 v28, v26
	v_pk_add_f32 v[14:15], v[22:23], v[16:17] neg_lo:[0,1] neg_hi:[0,1]
	v_mov_b32_e32 v27, v11
	v_pk_add_f32 v[16:17], v[28:29], v[14:15]
	s_mov_b32 s15, 0x33800000
	v_pk_add_f32 v[22:23], v[16:17], v[16:17] op_sel:[0,1] op_sel_hi:[1,0]
	s_nop 0
	v_pk_add_f32 v[10:11], v[10:11], v[22:23] op_sel:[1,0] op_sel_hi:[0,1]
	v_mov_b32_e32 v17, v10
	v_pk_add_f32 v[24:25], v[16:17], v[26:27] neg_lo:[0,1] neg_hi:[0,1]
	v_mov_b32_e32 v15, v22
	v_sub_f32_e32 v11, v16, v24
	v_pk_add_f32 v[14:15], v[14:15], v[24:25] neg_lo:[0,1] neg_hi:[0,1]
	v_sub_f32_e32 v11, v26, v11
	v_add_f32_e32 v11, v14, v11
	v_add_f32_e32 v11, v11, v15
	;; [unrolled: 1-line block ×3, first 2 shown]
	v_cndmask_b32_e32 v10, v12, v10, vcc
	v_cmp_lt_f32_e64 vcc, |v21|, s15
	s_nop 1
	v_cndmask_b32_e32 v10, v10, v21, vcc
	v_add_f32_e32 v10, v13, v10
	v_cvt_f16_f32_e32 v11, v10
	v_cvt_f32_f16_e32 v12, v11
	v_mov_b32_e32 v10, v11
.LBB416_43:
	s_or_b64 exec, exec, s[12:13]
	v_cvt_f32_f16_e32 v21, v6
	v_max_f32_e32 v13, v12, v12
	v_cmp_u_f16_e32 vcc, v11, v11
	v_cmp_u_f16_e64 s[12:13], v6, v6
	v_min_f32_e32 v14, v13, v21
	v_max_f32_e32 v13, v13, v21
	v_cndmask_b32_e32 v14, v14, v12, vcc
	v_cndmask_b32_e32 v13, v13, v12, vcc
	v_cndmask_b32_e64 v14, v14, v21, s[12:13]
	v_cndmask_b32_e64 v13, v13, v21, s[12:13]
	v_cmp_neq_f32_e32 vcc, v14, v13
	v_cmp_class_f32_e64 s[14:15], v14, s14
	s_or_b64 s[16:17], vcc, s[14:15]
	s_and_saveexec_b64 s[14:15], s[16:17]
	s_cbranch_execz .LBB416_45
; %bb.44:
	v_sub_f32_e32 v10, v14, v13
	s_mov_b32 s16, 0x3fb8aa3b
	v_mul_f32_e32 v11, 0x3fb8aa3b, v10
	v_fma_f32 v12, v10, s16, -v11
	v_rndne_f32_e32 v14, v11
	v_fmamk_f32 v12, v10, 0x32a5705f, v12
	v_sub_f32_e32 v11, v11, v14
	v_add_f32_e32 v11, v11, v12
	v_exp_f32_e32 v11, v11
	v_cvt_i32_f32_e32 v12, v14
	s_mov_b32 s16, 0xc2ce8ed0
	v_cmp_ngt_f32_e32 vcc, s16, v10
	s_mov_b32 s16, 0x42b17218
	v_ldexp_f32 v11, v11, v12
	v_cndmask_b32_e32 v11, 0, v11, vcc
	v_mov_b32_e32 v12, 0x7f800000
	v_cmp_nlt_f32_e32 vcc, s16, v10
	s_mov_b32 s16, 0x3f2aaaab
	s_mov_b32 s17, 0x7f800000
	v_cndmask_b32_e32 v30, v12, v11, vcc
	v_add_f32_e32 v14, 1.0, v30
	v_add_f32_e32 v10, -1.0, v14
	v_sub_f32_e32 v11, v10, v14
	v_add_f32_e32 v11, 1.0, v11
	v_sub_f32_e32 v10, v30, v10
	v_add_f32_e32 v15, v10, v11
	v_frexp_mant_f32_e32 v16, v14
	v_cvt_f64_f32_e32 v[10:11], v14
	v_frexp_exp_i32_f64_e32 v10, v[10:11]
	v_cmp_gt_f32_e32 vcc, s16, v16
	s_mov_b32 s16, 0x3f317218
	s_nop 0
	v_subbrev_co_u32_e32 v24, vcc, 0, v10, vcc
	v_sub_u32_e32 v10, 0, v24
	v_ldexp_f32 v11, v14, v10
	v_add_f32_e32 v14, -1.0, v11
	v_add_f32_e32 v16, 1.0, v11
	v_ldexp_f32 v10, v15, v10
	v_add_f32_e32 v15, 1.0, v14
	v_add_f32_e32 v17, -1.0, v16
	v_sub_f32_e32 v15, v11, v15
	v_sub_f32_e32 v11, v11, v17
	v_add_f32_e32 v15, v10, v15
	v_add_f32_e32 v10, v10, v11
	v_add_f32_e32 v25, v16, v10
	v_rcp_f32_e32 v27, v25
	v_sub_f32_e32 v11, v16, v25
	v_add_f32_e32 v26, v10, v11
	v_add_f32_e32 v11, v14, v15
	v_mul_f32_e32 v29, v11, v27
	v_sub_f32_e32 v10, v14, v11
	v_mul_f32_e32 v14, v25, v29
	v_fma_f32 v16, v29, v25, -v14
	v_fmac_f32_e32 v16, v29, v26
	v_add_f32_e32 v28, v15, v10
	v_add_f32_e32 v10, v14, v16
	v_sub_f32_e32 v15, v11, v10
	v_pk_add_f32 v[22:23], v[10:11], v[14:15] neg_lo:[0,1] neg_hi:[0,1]
	v_mov_b32_e32 v17, v10
	v_pk_add_f32 v[10:11], v[22:23], v[16:17] neg_lo:[0,1] neg_hi:[0,1]
	v_cmp_neq_f32_e32 vcc, s17, v30
	v_add_f32_e32 v11, v28, v11
	v_add_f32_e32 v10, v10, v11
	;; [unrolled: 1-line block ×3, first 2 shown]
	v_mul_f32_e32 v28, v27, v11
	v_mul_f32_e32 v14, v25, v28
	v_fma_f32 v16, v28, v25, -v14
	v_fmac_f32_e32 v16, v28, v26
	v_sub_f32_e32 v15, v15, v11
	v_add_f32_e32 v25, v10, v15
	v_add_f32_e32 v10, v14, v16
	v_sub_f32_e32 v15, v11, v10
	v_pk_add_f32 v[22:23], v[10:11], v[14:15] neg_lo:[0,1] neg_hi:[0,1]
	v_mov_b32_e32 v17, v10
	v_pk_add_f32 v[10:11], v[22:23], v[16:17] neg_lo:[0,1] neg_hi:[0,1]
	v_cvt_f32_i32_e32 v14, v24
	v_add_f32_e32 v11, v25, v11
	v_add_f32_e32 v10, v10, v11
	;; [unrolled: 1-line block ×4, first 2 shown]
	v_sub_f32_e32 v11, v15, v29
	v_mul_f32_e32 v10, v27, v10
	v_sub_f32_e32 v11, v28, v11
	v_add_f32_e32 v10, v11, v10
	v_add_f32_e32 v16, v15, v10
	v_mul_f32_e32 v22, v16, v16
	v_mov_b32_e32 v11, 0x3ecc95a3
	v_sub_f32_e32 v15, v16, v15
	v_fmac_f32_e32 v11, 0x3e9b6dac, v22
	v_sub_f32_e32 v10, v10, v15
	v_fmaak_f32 v11, v22, v11, 0x3f2aaada
	v_ldexp_f32 v23, v10, 1
	v_mul_f32_e32 v15, v16, v22
	v_mov_b32_e32 v10, 0x3f317218
	v_pk_mul_f32 v[10:11], v[14:15], v[10:11]
	v_ldexp_f32 v17, v16, 1
	v_fma_f32 v15, v14, s16, -v10
	v_fmamk_f32 v16, v14, 0xb102e308, v15
	v_pk_add_f32 v[14:15], v[10:11], v[16:17]
	v_mov_b32_e32 v22, v10
	v_sub_f32_e32 v17, v15, v17
	v_sub_f32_e32 v17, v11, v17
	v_add_f32_e32 v23, v23, v17
	v_pk_add_f32 v[10:11], v[14:15], v[10:11] neg_lo:[0,1] neg_hi:[0,1]
	v_pk_add_f32 v[24:25], v[14:15], v[22:23]
	v_mov_b32_e32 v17, v14
	v_mov_b32_e32 v11, v25
	v_pk_add_f32 v[26:27], v[16:17], v[10:11] neg_lo:[0,1] neg_hi:[0,1]
	v_pk_add_f32 v[10:11], v[16:17], v[10:11]
	v_mov_b32_e32 v22, v23
	v_pk_add_f32 v[16:17], v[10:11], v[14:15] op_sel:[1,0] op_sel_hi:[0,1] neg_lo:[0,1] neg_hi:[0,1]
	v_pk_add_f32 v[28:29], v[24:25], v[16:17] op_sel_hi:[1,0] neg_lo:[0,1] neg_hi:[0,1]
	v_mov_b32_e32 v24, v25
	v_mov_b32_e32 v25, v11
	v_pk_mov_b32 v[16:17], v[14:15], v[16:17] op_sel:[1,0]
	v_mov_b32_e32 v23, v14
	v_pk_add_f32 v[16:17], v[24:25], v[16:17] neg_lo:[0,1] neg_hi:[0,1]
	v_mov_b32_e32 v28, v26
	v_pk_add_f32 v[14:15], v[22:23], v[16:17] neg_lo:[0,1] neg_hi:[0,1]
	v_mov_b32_e32 v27, v11
	v_pk_add_f32 v[16:17], v[28:29], v[14:15]
	s_mov_b32 s16, 0x33800000
	v_pk_add_f32 v[22:23], v[16:17], v[16:17] op_sel:[0,1] op_sel_hi:[1,0]
	s_nop 0
	v_pk_add_f32 v[10:11], v[10:11], v[22:23] op_sel:[1,0] op_sel_hi:[0,1]
	v_mov_b32_e32 v17, v10
	v_pk_add_f32 v[24:25], v[16:17], v[26:27] neg_lo:[0,1] neg_hi:[0,1]
	v_mov_b32_e32 v15, v22
	v_sub_f32_e32 v11, v16, v24
	v_pk_add_f32 v[14:15], v[14:15], v[24:25] neg_lo:[0,1] neg_hi:[0,1]
	v_sub_f32_e32 v11, v26, v11
	v_add_f32_e32 v11, v14, v11
	v_add_f32_e32 v11, v11, v15
	;; [unrolled: 1-line block ×3, first 2 shown]
	v_cndmask_b32_e32 v10, v12, v10, vcc
	v_cmp_lt_f32_e64 vcc, |v30|, s16
	s_nop 1
	v_cndmask_b32_e32 v10, v10, v30, vcc
	v_add_f32_e32 v10, v13, v10
	v_cvt_f16_f32_e32 v11, v10
	v_cvt_f32_f16_e32 v12, v11
	v_mov_b32_e32 v10, v11
.LBB416_45:
	s_or_b64 exec, exec, s[14:15]
	v_cvt_f32_f16_sdwa v22, v6 dst_sel:DWORD dst_unused:UNUSED_PAD src0_sel:WORD_1
	v_max_f32_e32 v13, v12, v12
	v_cmp_u_f16_e32 vcc, v11, v11
	v_cmp_u_f16_sdwa s[14:15], v6, v6 src0_sel:WORD_1 src1_sel:WORD_1
	v_min_f32_e32 v14, v13, v22
	v_max_f32_e32 v13, v13, v22
	v_cndmask_b32_e32 v14, v14, v12, vcc
	v_cndmask_b32_e32 v13, v13, v12, vcc
	v_cndmask_b32_e64 v14, v14, v22, s[14:15]
	v_cndmask_b32_e64 v13, v13, v22, s[14:15]
	s_movk_i32 s18, 0x1f8
	v_cmp_neq_f32_e32 vcc, v14, v13
	v_cmp_class_f32_e64 s[16:17], v14, s18
	s_or_b64 s[20:21], vcc, s[16:17]
	s_and_saveexec_b64 s[16:17], s[20:21]
	s_cbranch_execz .LBB416_47
; %bb.46:
	v_sub_f32_e32 v10, v14, v13
	s_mov_b32 s19, 0x3fb8aa3b
	v_mul_f32_e32 v11, 0x3fb8aa3b, v10
	v_fma_f32 v12, v10, s19, -v11
	v_rndne_f32_e32 v14, v11
	v_fmamk_f32 v12, v10, 0x32a5705f, v12
	v_sub_f32_e32 v11, v11, v14
	v_add_f32_e32 v11, v11, v12
	v_exp_f32_e32 v11, v11
	v_cvt_i32_f32_e32 v12, v14
	s_mov_b32 s19, 0xc2ce8ed0
	v_cmp_ngt_f32_e32 vcc, s19, v10
	s_mov_b32 s19, 0x42b17218
	v_ldexp_f32 v11, v11, v12
	v_cndmask_b32_e32 v11, 0, v11, vcc
	v_mov_b32_e32 v12, 0x7f800000
	v_cmp_nlt_f32_e32 vcc, s19, v10
	s_mov_b32 s19, 0x3f2aaaab
	s_mov_b32 s20, 0x7f800000
	v_cndmask_b32_e32 v23, v12, v11, vcc
	v_add_f32_e32 v14, 1.0, v23
	v_add_f32_e32 v10, -1.0, v14
	v_sub_f32_e32 v11, v10, v14
	v_add_f32_e32 v11, 1.0, v11
	v_sub_f32_e32 v10, v23, v10
	v_add_f32_e32 v15, v10, v11
	v_frexp_mant_f32_e32 v16, v14
	v_cvt_f64_f32_e32 v[10:11], v14
	v_frexp_exp_i32_f64_e32 v10, v[10:11]
	v_cmp_gt_f32_e32 vcc, s19, v16
	s_mov_b32 s19, 0x3f317218
	s_nop 0
	v_subbrev_co_u32_e32 v26, vcc, 0, v10, vcc
	v_sub_u32_e32 v10, 0, v26
	v_ldexp_f32 v11, v14, v10
	v_add_f32_e32 v14, -1.0, v11
	v_add_f32_e32 v16, 1.0, v11
	v_ldexp_f32 v10, v15, v10
	v_add_f32_e32 v15, 1.0, v14
	v_add_f32_e32 v17, -1.0, v16
	v_sub_f32_e32 v15, v11, v15
	v_sub_f32_e32 v11, v11, v17
	v_add_f32_e32 v15, v10, v15
	v_add_f32_e32 v10, v10, v11
	;; [unrolled: 1-line block ×3, first 2 shown]
	v_rcp_f32_e32 v29, v27
	v_sub_f32_e32 v11, v16, v27
	v_add_f32_e32 v28, v10, v11
	v_add_f32_e32 v11, v14, v15
	v_mul_f32_e32 v32, v11, v29
	v_sub_f32_e32 v10, v14, v11
	v_mul_f32_e32 v14, v27, v32
	v_fma_f32 v16, v32, v27, -v14
	v_fmac_f32_e32 v16, v32, v28
	v_add_f32_e32 v30, v15, v10
	v_add_f32_e32 v10, v14, v16
	v_sub_f32_e32 v15, v11, v10
	v_pk_add_f32 v[24:25], v[10:11], v[14:15] neg_lo:[0,1] neg_hi:[0,1]
	v_mov_b32_e32 v17, v10
	v_pk_add_f32 v[10:11], v[24:25], v[16:17] neg_lo:[0,1] neg_hi:[0,1]
	v_cmp_neq_f32_e32 vcc, s20, v23
	v_add_f32_e32 v11, v30, v11
	v_add_f32_e32 v10, v10, v11
	;; [unrolled: 1-line block ×3, first 2 shown]
	v_mul_f32_e32 v30, v29, v11
	v_mul_f32_e32 v14, v27, v30
	v_fma_f32 v16, v30, v27, -v14
	v_fmac_f32_e32 v16, v30, v28
	v_sub_f32_e32 v15, v15, v11
	v_add_f32_e32 v27, v10, v15
	v_add_f32_e32 v10, v14, v16
	v_sub_f32_e32 v15, v11, v10
	v_pk_add_f32 v[24:25], v[10:11], v[14:15] neg_lo:[0,1] neg_hi:[0,1]
	v_mov_b32_e32 v17, v10
	v_pk_add_f32 v[10:11], v[24:25], v[16:17] neg_lo:[0,1] neg_hi:[0,1]
	v_cvt_f32_i32_e32 v14, v26
	v_add_f32_e32 v11, v27, v11
	v_add_f32_e32 v10, v10, v11
	;; [unrolled: 1-line block ×4, first 2 shown]
	v_sub_f32_e32 v11, v15, v32
	v_mul_f32_e32 v10, v29, v10
	v_sub_f32_e32 v11, v30, v11
	v_add_f32_e32 v10, v11, v10
	v_add_f32_e32 v16, v15, v10
	v_mul_f32_e32 v24, v16, v16
	v_mov_b32_e32 v11, 0x3ecc95a3
	v_sub_f32_e32 v15, v16, v15
	v_fmac_f32_e32 v11, 0x3e9b6dac, v24
	v_sub_f32_e32 v10, v10, v15
	v_fmaak_f32 v11, v24, v11, 0x3f2aaada
	v_ldexp_f32 v25, v10, 1
	v_mul_f32_e32 v15, v16, v24
	v_mov_b32_e32 v10, 0x3f317218
	v_pk_mul_f32 v[10:11], v[14:15], v[10:11]
	v_ldexp_f32 v17, v16, 1
	v_fma_f32 v15, v14, s19, -v10
	v_fmamk_f32 v16, v14, 0xb102e308, v15
	v_pk_add_f32 v[14:15], v[10:11], v[16:17]
	v_mov_b32_e32 v24, v10
	v_sub_f32_e32 v17, v15, v17
	v_sub_f32_e32 v17, v11, v17
	v_add_f32_e32 v25, v25, v17
	v_pk_add_f32 v[10:11], v[14:15], v[10:11] neg_lo:[0,1] neg_hi:[0,1]
	v_pk_add_f32 v[26:27], v[14:15], v[24:25]
	v_mov_b32_e32 v17, v14
	v_mov_b32_e32 v11, v27
	v_pk_add_f32 v[28:29], v[16:17], v[10:11] neg_lo:[0,1] neg_hi:[0,1]
	v_pk_add_f32 v[10:11], v[16:17], v[10:11]
	v_mov_b32_e32 v24, v25
	v_pk_add_f32 v[16:17], v[10:11], v[14:15] op_sel:[1,0] op_sel_hi:[0,1] neg_lo:[0,1] neg_hi:[0,1]
	v_pk_add_f32 v[32:33], v[26:27], v[16:17] op_sel_hi:[1,0] neg_lo:[0,1] neg_hi:[0,1]
	v_mov_b32_e32 v26, v27
	v_mov_b32_e32 v27, v11
	v_pk_mov_b32 v[16:17], v[14:15], v[16:17] op_sel:[1,0]
	v_mov_b32_e32 v25, v14
	v_pk_add_f32 v[16:17], v[26:27], v[16:17] neg_lo:[0,1] neg_hi:[0,1]
	v_mov_b32_e32 v32, v28
	v_pk_add_f32 v[14:15], v[24:25], v[16:17] neg_lo:[0,1] neg_hi:[0,1]
	v_mov_b32_e32 v29, v11
	v_pk_add_f32 v[16:17], v[32:33], v[14:15]
	s_mov_b32 s19, 0x33800000
	v_pk_add_f32 v[24:25], v[16:17], v[16:17] op_sel:[0,1] op_sel_hi:[1,0]
	s_nop 0
	v_pk_add_f32 v[10:11], v[10:11], v[24:25] op_sel:[1,0] op_sel_hi:[0,1]
	v_mov_b32_e32 v17, v10
	v_pk_add_f32 v[26:27], v[16:17], v[28:29] neg_lo:[0,1] neg_hi:[0,1]
	v_mov_b32_e32 v15, v24
	v_sub_f32_e32 v11, v16, v26
	v_pk_add_f32 v[14:15], v[14:15], v[26:27] neg_lo:[0,1] neg_hi:[0,1]
	v_sub_f32_e32 v11, v28, v11
	v_add_f32_e32 v11, v14, v11
	v_add_f32_e32 v11, v11, v15
	;; [unrolled: 1-line block ×3, first 2 shown]
	v_cndmask_b32_e32 v10, v12, v10, vcc
	v_cmp_lt_f32_e64 vcc, |v23|, s19
	s_nop 1
	v_cndmask_b32_e32 v10, v10, v23, vcc
	v_add_f32_e32 v10, v13, v10
	v_cvt_f16_f32_e32 v11, v10
	v_cvt_f32_f16_e32 v12, v11
	v_mov_b32_e32 v10, v11
.LBB416_47:
	s_or_b64 exec, exec, s[16:17]
	v_cvt_f32_f16_e32 v23, v7
	v_max_f32_e32 v13, v12, v12
	v_cmp_u_f16_e32 vcc, v11, v11
	v_cmp_u_f16_e64 s[16:17], v7, v7
	v_min_f32_e32 v14, v13, v23
	v_max_f32_e32 v13, v13, v23
	v_cndmask_b32_e32 v14, v14, v12, vcc
	v_cndmask_b32_e32 v13, v13, v12, vcc
	v_cndmask_b32_e64 v14, v14, v23, s[16:17]
	v_cndmask_b32_e64 v13, v13, v23, s[16:17]
	v_cmp_neq_f32_e32 vcc, v14, v13
	v_cmp_class_f32_e64 s[18:19], v14, s18
	s_or_b64 s[20:21], vcc, s[18:19]
	s_and_saveexec_b64 s[18:19], s[20:21]
	s_cbranch_execz .LBB416_49
; %bb.48:
	v_sub_f32_e32 v10, v14, v13
	s_mov_b32 s20, 0x3fb8aa3b
	v_mul_f32_e32 v11, 0x3fb8aa3b, v10
	v_fma_f32 v12, v10, s20, -v11
	v_rndne_f32_e32 v14, v11
	v_fmamk_f32 v12, v10, 0x32a5705f, v12
	v_sub_f32_e32 v11, v11, v14
	v_add_f32_e32 v11, v11, v12
	v_exp_f32_e32 v11, v11
	v_cvt_i32_f32_e32 v12, v14
	s_mov_b32 s20, 0xc2ce8ed0
	v_cmp_ngt_f32_e32 vcc, s20, v10
	s_mov_b32 s20, 0x42b17218
	v_ldexp_f32 v11, v11, v12
	v_cndmask_b32_e32 v11, 0, v11, vcc
	v_mov_b32_e32 v12, 0x7f800000
	v_cmp_nlt_f32_e32 vcc, s20, v10
	s_mov_b32 s20, 0x3f2aaaab
	s_mov_b32 s21, 0x7f800000
	v_cndmask_b32_e32 v30, v12, v11, vcc
	v_add_f32_e32 v14, 1.0, v30
	v_add_f32_e32 v10, -1.0, v14
	v_sub_f32_e32 v11, v10, v14
	v_add_f32_e32 v11, 1.0, v11
	v_sub_f32_e32 v10, v30, v10
	v_add_f32_e32 v15, v10, v11
	v_frexp_mant_f32_e32 v16, v14
	v_cvt_f64_f32_e32 v[10:11], v14
	v_frexp_exp_i32_f64_e32 v10, v[10:11]
	v_cmp_gt_f32_e32 vcc, s20, v16
	s_mov_b32 s20, 0x3f317218
	s_nop 0
	v_subbrev_co_u32_e32 v26, vcc, 0, v10, vcc
	v_sub_u32_e32 v10, 0, v26
	v_ldexp_f32 v11, v14, v10
	v_add_f32_e32 v14, -1.0, v11
	v_add_f32_e32 v16, 1.0, v11
	v_ldexp_f32 v10, v15, v10
	v_add_f32_e32 v15, 1.0, v14
	v_add_f32_e32 v17, -1.0, v16
	v_sub_f32_e32 v15, v11, v15
	v_sub_f32_e32 v11, v11, v17
	v_add_f32_e32 v15, v10, v15
	v_add_f32_e32 v10, v10, v11
	;; [unrolled: 1-line block ×3, first 2 shown]
	v_rcp_f32_e32 v29, v27
	v_sub_f32_e32 v11, v16, v27
	v_add_f32_e32 v28, v10, v11
	v_add_f32_e32 v11, v14, v15
	v_mul_f32_e32 v33, v11, v29
	v_sub_f32_e32 v10, v14, v11
	v_mul_f32_e32 v14, v27, v33
	v_fma_f32 v16, v33, v27, -v14
	v_fmac_f32_e32 v16, v33, v28
	v_add_f32_e32 v32, v15, v10
	v_add_f32_e32 v10, v14, v16
	v_sub_f32_e32 v15, v11, v10
	v_pk_add_f32 v[24:25], v[10:11], v[14:15] neg_lo:[0,1] neg_hi:[0,1]
	v_mov_b32_e32 v17, v10
	v_pk_add_f32 v[10:11], v[24:25], v[16:17] neg_lo:[0,1] neg_hi:[0,1]
	v_cmp_neq_f32_e32 vcc, s21, v30
	v_add_f32_e32 v11, v32, v11
	v_add_f32_e32 v10, v10, v11
	;; [unrolled: 1-line block ×3, first 2 shown]
	v_mul_f32_e32 v32, v29, v11
	v_mul_f32_e32 v14, v27, v32
	v_fma_f32 v16, v32, v27, -v14
	v_fmac_f32_e32 v16, v32, v28
	v_sub_f32_e32 v15, v15, v11
	v_add_f32_e32 v27, v10, v15
	v_add_f32_e32 v10, v14, v16
	v_sub_f32_e32 v15, v11, v10
	v_pk_add_f32 v[24:25], v[10:11], v[14:15] neg_lo:[0,1] neg_hi:[0,1]
	v_mov_b32_e32 v17, v10
	v_pk_add_f32 v[10:11], v[24:25], v[16:17] neg_lo:[0,1] neg_hi:[0,1]
	v_cvt_f32_i32_e32 v14, v26
	v_add_f32_e32 v11, v27, v11
	v_add_f32_e32 v10, v10, v11
	v_add_f32_e32 v10, v15, v10
	v_add_f32_e32 v15, v33, v32
	v_sub_f32_e32 v11, v15, v33
	v_mul_f32_e32 v10, v29, v10
	v_sub_f32_e32 v11, v32, v11
	v_add_f32_e32 v10, v11, v10
	v_add_f32_e32 v16, v15, v10
	v_mul_f32_e32 v24, v16, v16
	v_mov_b32_e32 v11, 0x3ecc95a3
	v_sub_f32_e32 v15, v16, v15
	v_fmac_f32_e32 v11, 0x3e9b6dac, v24
	v_sub_f32_e32 v10, v10, v15
	v_fmaak_f32 v11, v24, v11, 0x3f2aaada
	v_ldexp_f32 v25, v10, 1
	v_mul_f32_e32 v15, v16, v24
	v_mov_b32_e32 v10, 0x3f317218
	v_pk_mul_f32 v[10:11], v[14:15], v[10:11]
	v_ldexp_f32 v17, v16, 1
	v_fma_f32 v15, v14, s20, -v10
	v_fmamk_f32 v16, v14, 0xb102e308, v15
	v_pk_add_f32 v[14:15], v[10:11], v[16:17]
	v_mov_b32_e32 v24, v10
	v_sub_f32_e32 v17, v15, v17
	v_sub_f32_e32 v17, v11, v17
	v_add_f32_e32 v25, v25, v17
	v_pk_add_f32 v[10:11], v[14:15], v[10:11] neg_lo:[0,1] neg_hi:[0,1]
	v_pk_add_f32 v[26:27], v[14:15], v[24:25]
	v_mov_b32_e32 v17, v14
	v_mov_b32_e32 v11, v27
	v_pk_add_f32 v[28:29], v[16:17], v[10:11] neg_lo:[0,1] neg_hi:[0,1]
	v_pk_add_f32 v[10:11], v[16:17], v[10:11]
	v_mov_b32_e32 v24, v25
	v_pk_add_f32 v[16:17], v[10:11], v[14:15] op_sel:[1,0] op_sel_hi:[0,1] neg_lo:[0,1] neg_hi:[0,1]
	v_pk_add_f32 v[32:33], v[26:27], v[16:17] op_sel_hi:[1,0] neg_lo:[0,1] neg_hi:[0,1]
	v_mov_b32_e32 v26, v27
	v_mov_b32_e32 v27, v11
	v_pk_mov_b32 v[16:17], v[14:15], v[16:17] op_sel:[1,0]
	v_mov_b32_e32 v25, v14
	v_pk_add_f32 v[16:17], v[26:27], v[16:17] neg_lo:[0,1] neg_hi:[0,1]
	v_mov_b32_e32 v32, v28
	v_pk_add_f32 v[14:15], v[24:25], v[16:17] neg_lo:[0,1] neg_hi:[0,1]
	v_mov_b32_e32 v29, v11
	v_pk_add_f32 v[16:17], v[32:33], v[14:15]
	s_mov_b32 s20, 0x33800000
	v_pk_add_f32 v[24:25], v[16:17], v[16:17] op_sel:[0,1] op_sel_hi:[1,0]
	s_nop 0
	v_pk_add_f32 v[10:11], v[10:11], v[24:25] op_sel:[1,0] op_sel_hi:[0,1]
	v_mov_b32_e32 v17, v10
	v_pk_add_f32 v[26:27], v[16:17], v[28:29] neg_lo:[0,1] neg_hi:[0,1]
	v_mov_b32_e32 v15, v24
	v_sub_f32_e32 v11, v16, v26
	v_pk_add_f32 v[14:15], v[14:15], v[26:27] neg_lo:[0,1] neg_hi:[0,1]
	v_sub_f32_e32 v11, v28, v11
	v_add_f32_e32 v11, v14, v11
	v_add_f32_e32 v11, v11, v15
	v_add_f32_e32 v10, v10, v11
	v_cndmask_b32_e32 v10, v12, v10, vcc
	v_cmp_lt_f32_e64 vcc, |v30|, s20
	s_nop 1
	v_cndmask_b32_e32 v10, v10, v30, vcc
	v_add_f32_e32 v10, v13, v10
	v_cvt_f16_f32_e32 v11, v10
	v_cvt_f32_f16_e32 v12, v11
	v_mov_b32_e32 v10, v11
.LBB416_49:
	s_or_b64 exec, exec, s[18:19]
	v_cvt_f32_f16_sdwa v24, v7 dst_sel:DWORD dst_unused:UNUSED_PAD src0_sel:WORD_1
	v_max_f32_e32 v13, v12, v12
	v_cmp_u_f16_e32 vcc, v11, v11
	v_cmp_u_f16_sdwa s[18:19], v7, v7 src0_sel:WORD_1 src1_sel:WORD_1
	v_min_f32_e32 v14, v13, v24
	v_max_f32_e32 v13, v13, v24
	v_cndmask_b32_e32 v14, v14, v12, vcc
	v_cndmask_b32_e32 v13, v13, v12, vcc
	v_cndmask_b32_e64 v14, v14, v24, s[18:19]
	v_cndmask_b32_e64 v13, v13, v24, s[18:19]
	s_movk_i32 s22, 0x1f8
	v_cmp_neq_f32_e32 vcc, v14, v13
	v_cmp_class_f32_e64 s[20:21], v14, s22
	s_or_b64 s[24:25], vcc, s[20:21]
	s_and_saveexec_b64 s[20:21], s[24:25]
	s_cbranch_execz .LBB416_51
; %bb.50:
	v_sub_f32_e32 v10, v14, v13
	s_mov_b32 s23, 0x3fb8aa3b
	v_mul_f32_e32 v11, 0x3fb8aa3b, v10
	v_fma_f32 v12, v10, s23, -v11
	v_rndne_f32_e32 v14, v11
	v_fmamk_f32 v12, v10, 0x32a5705f, v12
	v_sub_f32_e32 v11, v11, v14
	v_add_f32_e32 v11, v11, v12
	v_exp_f32_e32 v11, v11
	v_cvt_i32_f32_e32 v12, v14
	s_mov_b32 s23, 0xc2ce8ed0
	v_cmp_ngt_f32_e32 vcc, s23, v10
	s_mov_b32 s23, 0x42b17218
	v_ldexp_f32 v11, v11, v12
	v_cndmask_b32_e32 v11, 0, v11, vcc
	v_mov_b32_e32 v12, 0x7f800000
	v_cmp_nlt_f32_e32 vcc, s23, v10
	s_mov_b32 s23, 0x3f2aaaab
	s_mov_b32 s24, 0x7f800000
	v_cndmask_b32_e32 v25, v12, v11, vcc
	v_add_f32_e32 v14, 1.0, v25
	v_add_f32_e32 v10, -1.0, v14
	v_sub_f32_e32 v11, v10, v14
	v_add_f32_e32 v11, 1.0, v11
	v_sub_f32_e32 v10, v25, v10
	v_add_f32_e32 v15, v10, v11
	v_frexp_mant_f32_e32 v16, v14
	v_cvt_f64_f32_e32 v[10:11], v14
	v_frexp_exp_i32_f64_e32 v10, v[10:11]
	v_cmp_gt_f32_e32 vcc, s23, v16
	s_mov_b32 s23, 0x3f317218
	s_nop 0
	v_subbrev_co_u32_e32 v28, vcc, 0, v10, vcc
	v_sub_u32_e32 v10, 0, v28
	v_ldexp_f32 v11, v14, v10
	v_add_f32_e32 v14, -1.0, v11
	v_add_f32_e32 v16, 1.0, v11
	v_ldexp_f32 v10, v15, v10
	v_add_f32_e32 v15, 1.0, v14
	v_add_f32_e32 v17, -1.0, v16
	v_sub_f32_e32 v15, v11, v15
	v_sub_f32_e32 v11, v11, v17
	v_add_f32_e32 v15, v10, v15
	v_add_f32_e32 v10, v10, v11
	;; [unrolled: 1-line block ×3, first 2 shown]
	v_rcp_f32_e32 v32, v29
	v_sub_f32_e32 v11, v16, v29
	v_add_f32_e32 v30, v10, v11
	v_add_f32_e32 v11, v14, v15
	v_mul_f32_e32 v34, v11, v32
	v_sub_f32_e32 v10, v14, v11
	v_mul_f32_e32 v14, v29, v34
	v_fma_f32 v16, v34, v29, -v14
	v_fmac_f32_e32 v16, v34, v30
	v_add_f32_e32 v33, v15, v10
	v_add_f32_e32 v10, v14, v16
	v_sub_f32_e32 v15, v11, v10
	v_pk_add_f32 v[26:27], v[10:11], v[14:15] neg_lo:[0,1] neg_hi:[0,1]
	v_mov_b32_e32 v17, v10
	v_pk_add_f32 v[10:11], v[26:27], v[16:17] neg_lo:[0,1] neg_hi:[0,1]
	v_cmp_neq_f32_e32 vcc, s24, v25
	v_add_f32_e32 v11, v33, v11
	v_add_f32_e32 v10, v10, v11
	;; [unrolled: 1-line block ×3, first 2 shown]
	v_mul_f32_e32 v33, v32, v11
	v_mul_f32_e32 v14, v29, v33
	v_fma_f32 v16, v33, v29, -v14
	v_fmac_f32_e32 v16, v33, v30
	v_sub_f32_e32 v15, v15, v11
	v_add_f32_e32 v29, v10, v15
	v_add_f32_e32 v10, v14, v16
	v_sub_f32_e32 v15, v11, v10
	v_pk_add_f32 v[26:27], v[10:11], v[14:15] neg_lo:[0,1] neg_hi:[0,1]
	v_mov_b32_e32 v17, v10
	v_pk_add_f32 v[10:11], v[26:27], v[16:17] neg_lo:[0,1] neg_hi:[0,1]
	v_cvt_f32_i32_e32 v14, v28
	v_add_f32_e32 v11, v29, v11
	v_add_f32_e32 v10, v10, v11
	;; [unrolled: 1-line block ×4, first 2 shown]
	v_sub_f32_e32 v11, v15, v34
	v_mul_f32_e32 v10, v32, v10
	v_sub_f32_e32 v11, v33, v11
	v_add_f32_e32 v10, v11, v10
	v_add_f32_e32 v16, v15, v10
	v_mul_f32_e32 v26, v16, v16
	v_mov_b32_e32 v11, 0x3ecc95a3
	v_sub_f32_e32 v15, v16, v15
	v_fmac_f32_e32 v11, 0x3e9b6dac, v26
	v_sub_f32_e32 v10, v10, v15
	v_fmaak_f32 v11, v26, v11, 0x3f2aaada
	v_ldexp_f32 v27, v10, 1
	v_mul_f32_e32 v15, v16, v26
	v_mov_b32_e32 v10, 0x3f317218
	v_pk_mul_f32 v[10:11], v[14:15], v[10:11]
	v_ldexp_f32 v17, v16, 1
	v_fma_f32 v15, v14, s23, -v10
	v_fmamk_f32 v16, v14, 0xb102e308, v15
	v_pk_add_f32 v[14:15], v[10:11], v[16:17]
	v_mov_b32_e32 v26, v10
	v_sub_f32_e32 v17, v15, v17
	v_sub_f32_e32 v17, v11, v17
	v_add_f32_e32 v27, v27, v17
	v_pk_add_f32 v[10:11], v[14:15], v[10:11] neg_lo:[0,1] neg_hi:[0,1]
	v_pk_add_f32 v[28:29], v[14:15], v[26:27]
	v_mov_b32_e32 v17, v14
	v_mov_b32_e32 v11, v29
	v_pk_add_f32 v[32:33], v[16:17], v[10:11] neg_lo:[0,1] neg_hi:[0,1]
	v_pk_add_f32 v[10:11], v[16:17], v[10:11]
	v_mov_b32_e32 v26, v27
	v_pk_add_f32 v[16:17], v[10:11], v[14:15] op_sel:[1,0] op_sel_hi:[0,1] neg_lo:[0,1] neg_hi:[0,1]
	v_pk_add_f32 v[34:35], v[28:29], v[16:17] op_sel_hi:[1,0] neg_lo:[0,1] neg_hi:[0,1]
	v_mov_b32_e32 v28, v29
	v_mov_b32_e32 v29, v11
	v_pk_mov_b32 v[16:17], v[14:15], v[16:17] op_sel:[1,0]
	v_mov_b32_e32 v27, v14
	v_pk_add_f32 v[16:17], v[28:29], v[16:17] neg_lo:[0,1] neg_hi:[0,1]
	v_mov_b32_e32 v34, v32
	v_pk_add_f32 v[14:15], v[26:27], v[16:17] neg_lo:[0,1] neg_hi:[0,1]
	v_mov_b32_e32 v33, v11
	v_pk_add_f32 v[16:17], v[34:35], v[14:15]
	s_mov_b32 s23, 0x33800000
	v_pk_add_f32 v[26:27], v[16:17], v[16:17] op_sel:[0,1] op_sel_hi:[1,0]
	s_nop 0
	v_pk_add_f32 v[10:11], v[10:11], v[26:27] op_sel:[1,0] op_sel_hi:[0,1]
	v_mov_b32_e32 v17, v10
	v_pk_add_f32 v[28:29], v[16:17], v[32:33] neg_lo:[0,1] neg_hi:[0,1]
	v_mov_b32_e32 v15, v26
	v_sub_f32_e32 v11, v16, v28
	v_pk_add_f32 v[14:15], v[14:15], v[28:29] neg_lo:[0,1] neg_hi:[0,1]
	v_sub_f32_e32 v11, v32, v11
	v_add_f32_e32 v11, v14, v11
	v_add_f32_e32 v11, v11, v15
	;; [unrolled: 1-line block ×3, first 2 shown]
	v_cndmask_b32_e32 v10, v12, v10, vcc
	v_cmp_lt_f32_e64 vcc, |v25|, s23
	s_nop 1
	v_cndmask_b32_e32 v10, v10, v25, vcc
	v_add_f32_e32 v10, v13, v10
	v_cvt_f16_f32_e32 v11, v10
	v_cvt_f32_f16_e32 v12, v11
	v_mov_b32_e32 v10, v11
.LBB416_51:
	s_or_b64 exec, exec, s[20:21]
	v_cvt_f32_f16_e32 v25, v4
	v_max_f32_e32 v13, v12, v12
	v_cmp_u_f16_e32 vcc, v11, v11
	v_cmp_u_f16_e64 s[20:21], v4, v4
	v_min_f32_e32 v14, v13, v25
	v_max_f32_e32 v13, v13, v25
	v_cndmask_b32_e32 v14, v14, v12, vcc
	v_cndmask_b32_e32 v13, v13, v12, vcc
	v_cndmask_b32_e64 v14, v14, v25, s[20:21]
	v_cndmask_b32_e64 v13, v13, v25, s[20:21]
	v_cmp_neq_f32_e32 vcc, v14, v13
	v_cmp_class_f32_e64 s[22:23], v14, s22
	s_or_b64 s[24:25], vcc, s[22:23]
	s_and_saveexec_b64 s[22:23], s[24:25]
	s_cbranch_execz .LBB416_53
; %bb.52:
	v_sub_f32_e32 v10, v14, v13
	s_mov_b32 s24, 0x3fb8aa3b
	v_mul_f32_e32 v11, 0x3fb8aa3b, v10
	v_fma_f32 v12, v10, s24, -v11
	v_rndne_f32_e32 v14, v11
	v_fmamk_f32 v12, v10, 0x32a5705f, v12
	v_sub_f32_e32 v11, v11, v14
	v_add_f32_e32 v11, v11, v12
	v_exp_f32_e32 v11, v11
	v_cvt_i32_f32_e32 v12, v14
	s_mov_b32 s24, 0xc2ce8ed0
	v_cmp_ngt_f32_e32 vcc, s24, v10
	s_mov_b32 s24, 0x42b17218
	v_ldexp_f32 v11, v11, v12
	v_cndmask_b32_e32 v11, 0, v11, vcc
	v_mov_b32_e32 v12, 0x7f800000
	v_cmp_nlt_f32_e32 vcc, s24, v10
	s_mov_b32 s24, 0x3f2aaaab
	s_mov_b32 s25, 0x7f800000
	v_cndmask_b32_e32 v30, v12, v11, vcc
	v_add_f32_e32 v14, 1.0, v30
	v_add_f32_e32 v10, -1.0, v14
	v_sub_f32_e32 v11, v10, v14
	v_add_f32_e32 v11, 1.0, v11
	v_sub_f32_e32 v10, v30, v10
	v_add_f32_e32 v15, v10, v11
	v_frexp_mant_f32_e32 v16, v14
	v_cvt_f64_f32_e32 v[10:11], v14
	v_frexp_exp_i32_f64_e32 v10, v[10:11]
	v_cmp_gt_f32_e32 vcc, s24, v16
	s_mov_b32 s24, 0x3f317218
	s_nop 0
	v_subbrev_co_u32_e32 v28, vcc, 0, v10, vcc
	v_sub_u32_e32 v10, 0, v28
	v_ldexp_f32 v11, v14, v10
	v_add_f32_e32 v14, -1.0, v11
	v_add_f32_e32 v16, 1.0, v11
	v_ldexp_f32 v10, v15, v10
	v_add_f32_e32 v15, 1.0, v14
	v_add_f32_e32 v17, -1.0, v16
	v_sub_f32_e32 v15, v11, v15
	v_sub_f32_e32 v11, v11, v17
	v_add_f32_e32 v15, v10, v15
	v_add_f32_e32 v10, v10, v11
	;; [unrolled: 1-line block ×3, first 2 shown]
	v_rcp_f32_e32 v33, v29
	v_sub_f32_e32 v11, v16, v29
	v_add_f32_e32 v32, v10, v11
	v_add_f32_e32 v11, v14, v15
	v_mul_f32_e32 v35, v11, v33
	v_sub_f32_e32 v10, v14, v11
	v_mul_f32_e32 v14, v29, v35
	v_fma_f32 v16, v35, v29, -v14
	v_fmac_f32_e32 v16, v35, v32
	v_add_f32_e32 v34, v15, v10
	v_add_f32_e32 v10, v14, v16
	v_sub_f32_e32 v15, v11, v10
	v_pk_add_f32 v[26:27], v[10:11], v[14:15] neg_lo:[0,1] neg_hi:[0,1]
	v_mov_b32_e32 v17, v10
	v_pk_add_f32 v[10:11], v[26:27], v[16:17] neg_lo:[0,1] neg_hi:[0,1]
	v_cmp_neq_f32_e32 vcc, s25, v30
	v_add_f32_e32 v11, v34, v11
	v_add_f32_e32 v10, v10, v11
	;; [unrolled: 1-line block ×3, first 2 shown]
	v_mul_f32_e32 v34, v33, v11
	v_mul_f32_e32 v14, v29, v34
	v_fma_f32 v16, v34, v29, -v14
	v_fmac_f32_e32 v16, v34, v32
	v_sub_f32_e32 v15, v15, v11
	v_add_f32_e32 v29, v10, v15
	v_add_f32_e32 v10, v14, v16
	v_sub_f32_e32 v15, v11, v10
	v_pk_add_f32 v[26:27], v[10:11], v[14:15] neg_lo:[0,1] neg_hi:[0,1]
	v_mov_b32_e32 v17, v10
	v_pk_add_f32 v[10:11], v[26:27], v[16:17] neg_lo:[0,1] neg_hi:[0,1]
	v_cvt_f32_i32_e32 v14, v28
	v_add_f32_e32 v11, v29, v11
	v_add_f32_e32 v10, v10, v11
	;; [unrolled: 1-line block ×4, first 2 shown]
	v_sub_f32_e32 v11, v15, v35
	v_mul_f32_e32 v10, v33, v10
	v_sub_f32_e32 v11, v34, v11
	v_add_f32_e32 v10, v11, v10
	v_add_f32_e32 v16, v15, v10
	v_mul_f32_e32 v26, v16, v16
	v_mov_b32_e32 v11, 0x3ecc95a3
	v_sub_f32_e32 v15, v16, v15
	v_fmac_f32_e32 v11, 0x3e9b6dac, v26
	v_sub_f32_e32 v10, v10, v15
	v_fmaak_f32 v11, v26, v11, 0x3f2aaada
	v_ldexp_f32 v27, v10, 1
	v_mul_f32_e32 v15, v16, v26
	v_mov_b32_e32 v10, 0x3f317218
	v_pk_mul_f32 v[10:11], v[14:15], v[10:11]
	v_ldexp_f32 v17, v16, 1
	v_fma_f32 v15, v14, s24, -v10
	v_fmamk_f32 v16, v14, 0xb102e308, v15
	v_pk_add_f32 v[14:15], v[10:11], v[16:17]
	v_mov_b32_e32 v26, v10
	v_sub_f32_e32 v17, v15, v17
	v_sub_f32_e32 v17, v11, v17
	v_add_f32_e32 v27, v27, v17
	v_pk_add_f32 v[10:11], v[14:15], v[10:11] neg_lo:[0,1] neg_hi:[0,1]
	v_pk_add_f32 v[28:29], v[14:15], v[26:27]
	v_mov_b32_e32 v17, v14
	v_mov_b32_e32 v11, v29
	v_pk_add_f32 v[32:33], v[16:17], v[10:11] neg_lo:[0,1] neg_hi:[0,1]
	v_pk_add_f32 v[10:11], v[16:17], v[10:11]
	v_mov_b32_e32 v26, v27
	v_pk_add_f32 v[16:17], v[10:11], v[14:15] op_sel:[1,0] op_sel_hi:[0,1] neg_lo:[0,1] neg_hi:[0,1]
	v_pk_add_f32 v[34:35], v[28:29], v[16:17] op_sel_hi:[1,0] neg_lo:[0,1] neg_hi:[0,1]
	v_mov_b32_e32 v28, v29
	v_mov_b32_e32 v29, v11
	v_pk_mov_b32 v[16:17], v[14:15], v[16:17] op_sel:[1,0]
	v_mov_b32_e32 v27, v14
	v_pk_add_f32 v[16:17], v[28:29], v[16:17] neg_lo:[0,1] neg_hi:[0,1]
	v_mov_b32_e32 v34, v32
	v_pk_add_f32 v[14:15], v[26:27], v[16:17] neg_lo:[0,1] neg_hi:[0,1]
	v_mov_b32_e32 v33, v11
	v_pk_add_f32 v[16:17], v[34:35], v[14:15]
	s_mov_b32 s24, 0x33800000
	v_pk_add_f32 v[26:27], v[16:17], v[16:17] op_sel:[0,1] op_sel_hi:[1,0]
	s_nop 0
	v_pk_add_f32 v[10:11], v[10:11], v[26:27] op_sel:[1,0] op_sel_hi:[0,1]
	v_mov_b32_e32 v17, v10
	v_pk_add_f32 v[28:29], v[16:17], v[32:33] neg_lo:[0,1] neg_hi:[0,1]
	v_mov_b32_e32 v15, v26
	v_sub_f32_e32 v11, v16, v28
	v_pk_add_f32 v[14:15], v[14:15], v[28:29] neg_lo:[0,1] neg_hi:[0,1]
	v_sub_f32_e32 v11, v32, v11
	v_add_f32_e32 v11, v14, v11
	v_add_f32_e32 v11, v11, v15
	;; [unrolled: 1-line block ×3, first 2 shown]
	v_cndmask_b32_e32 v10, v12, v10, vcc
	v_cmp_lt_f32_e64 vcc, |v30|, s24
	s_nop 1
	v_cndmask_b32_e32 v10, v10, v30, vcc
	v_add_f32_e32 v10, v13, v10
	v_cvt_f16_f32_e32 v11, v10
	v_cvt_f32_f16_e32 v12, v11
	v_mov_b32_e32 v10, v11
.LBB416_53:
	s_or_b64 exec, exec, s[22:23]
	v_cvt_f32_f16_sdwa v26, v4 dst_sel:DWORD dst_unused:UNUSED_PAD src0_sel:WORD_1
	v_max_f32_e32 v13, v12, v12
	v_cmp_u_f16_e32 vcc, v11, v11
	v_cmp_u_f16_sdwa s[22:23], v4, v4 src0_sel:WORD_1 src1_sel:WORD_1
	v_min_f32_e32 v14, v13, v26
	v_max_f32_e32 v13, v13, v26
	v_cndmask_b32_e32 v14, v14, v12, vcc
	v_cndmask_b32_e32 v13, v13, v12, vcc
	v_cndmask_b32_e64 v14, v14, v26, s[22:23]
	v_cndmask_b32_e64 v13, v13, v26, s[22:23]
	s_movk_i32 s26, 0x1f8
	v_cmp_neq_f32_e32 vcc, v14, v13
	v_cmp_class_f32_e64 s[24:25], v14, s26
	s_or_b64 s[28:29], vcc, s[24:25]
	s_and_saveexec_b64 s[24:25], s[28:29]
	s_cbranch_execz .LBB416_55
; %bb.54:
	v_sub_f32_e32 v10, v14, v13
	s_mov_b32 s27, 0x3fb8aa3b
	v_mul_f32_e32 v11, 0x3fb8aa3b, v10
	v_fma_f32 v12, v10, s27, -v11
	v_rndne_f32_e32 v14, v11
	v_fmamk_f32 v12, v10, 0x32a5705f, v12
	v_sub_f32_e32 v11, v11, v14
	v_add_f32_e32 v11, v11, v12
	v_exp_f32_e32 v11, v11
	v_cvt_i32_f32_e32 v12, v14
	s_mov_b32 s27, 0xc2ce8ed0
	v_cmp_ngt_f32_e32 vcc, s27, v10
	s_mov_b32 s27, 0x42b17218
	v_ldexp_f32 v11, v11, v12
	v_cndmask_b32_e32 v11, 0, v11, vcc
	v_mov_b32_e32 v12, 0x7f800000
	v_cmp_nlt_f32_e32 vcc, s27, v10
	s_mov_b32 s27, 0x3f2aaaab
	s_mov_b32 s28, 0x7f800000
	v_cndmask_b32_e32 v27, v12, v11, vcc
	v_add_f32_e32 v14, 1.0, v27
	v_add_f32_e32 v10, -1.0, v14
	v_sub_f32_e32 v11, v10, v14
	v_add_f32_e32 v11, 1.0, v11
	v_sub_f32_e32 v10, v27, v10
	v_add_f32_e32 v15, v10, v11
	v_frexp_mant_f32_e32 v16, v14
	v_cvt_f64_f32_e32 v[10:11], v14
	v_frexp_exp_i32_f64_e32 v10, v[10:11]
	v_cmp_gt_f32_e32 vcc, s27, v16
	s_mov_b32 s27, 0x3f317218
	s_nop 0
	v_subbrev_co_u32_e32 v30, vcc, 0, v10, vcc
	v_sub_u32_e32 v10, 0, v30
	v_ldexp_f32 v11, v14, v10
	v_add_f32_e32 v14, -1.0, v11
	v_add_f32_e32 v16, 1.0, v11
	v_ldexp_f32 v10, v15, v10
	v_add_f32_e32 v15, 1.0, v14
	v_add_f32_e32 v17, -1.0, v16
	v_sub_f32_e32 v15, v11, v15
	v_sub_f32_e32 v11, v11, v17
	v_add_f32_e32 v15, v10, v15
	v_add_f32_e32 v10, v10, v11
	;; [unrolled: 1-line block ×3, first 2 shown]
	v_rcp_f32_e32 v34, v32
	v_sub_f32_e32 v11, v16, v32
	v_add_f32_e32 v33, v10, v11
	v_add_f32_e32 v11, v14, v15
	v_mul_f32_e32 v36, v11, v34
	v_sub_f32_e32 v10, v14, v11
	v_mul_f32_e32 v14, v32, v36
	v_fma_f32 v16, v36, v32, -v14
	v_fmac_f32_e32 v16, v36, v33
	v_add_f32_e32 v35, v15, v10
	v_add_f32_e32 v10, v14, v16
	v_sub_f32_e32 v15, v11, v10
	v_pk_add_f32 v[28:29], v[10:11], v[14:15] neg_lo:[0,1] neg_hi:[0,1]
	v_mov_b32_e32 v17, v10
	v_pk_add_f32 v[10:11], v[28:29], v[16:17] neg_lo:[0,1] neg_hi:[0,1]
	v_cmp_neq_f32_e32 vcc, s28, v27
	v_add_f32_e32 v11, v35, v11
	v_add_f32_e32 v10, v10, v11
	;; [unrolled: 1-line block ×3, first 2 shown]
	v_mul_f32_e32 v35, v34, v11
	v_mul_f32_e32 v14, v32, v35
	v_fma_f32 v16, v35, v32, -v14
	v_fmac_f32_e32 v16, v35, v33
	v_sub_f32_e32 v15, v15, v11
	v_add_f32_e32 v32, v10, v15
	v_add_f32_e32 v10, v14, v16
	v_sub_f32_e32 v15, v11, v10
	v_pk_add_f32 v[28:29], v[10:11], v[14:15] neg_lo:[0,1] neg_hi:[0,1]
	v_mov_b32_e32 v17, v10
	v_pk_add_f32 v[10:11], v[28:29], v[16:17] neg_lo:[0,1] neg_hi:[0,1]
	v_cvt_f32_i32_e32 v14, v30
	v_add_f32_e32 v11, v32, v11
	v_add_f32_e32 v10, v10, v11
	;; [unrolled: 1-line block ×4, first 2 shown]
	v_sub_f32_e32 v11, v15, v36
	v_mul_f32_e32 v10, v34, v10
	v_sub_f32_e32 v11, v35, v11
	v_add_f32_e32 v10, v11, v10
	v_add_f32_e32 v16, v15, v10
	v_mul_f32_e32 v28, v16, v16
	v_mov_b32_e32 v11, 0x3ecc95a3
	v_sub_f32_e32 v15, v16, v15
	v_fmac_f32_e32 v11, 0x3e9b6dac, v28
	v_sub_f32_e32 v10, v10, v15
	v_fmaak_f32 v11, v28, v11, 0x3f2aaada
	v_ldexp_f32 v29, v10, 1
	v_mul_f32_e32 v15, v16, v28
	v_mov_b32_e32 v10, 0x3f317218
	v_pk_mul_f32 v[10:11], v[14:15], v[10:11]
	v_ldexp_f32 v17, v16, 1
	v_fma_f32 v15, v14, s27, -v10
	v_fmamk_f32 v16, v14, 0xb102e308, v15
	v_pk_add_f32 v[14:15], v[10:11], v[16:17]
	v_mov_b32_e32 v28, v10
	v_sub_f32_e32 v17, v15, v17
	v_sub_f32_e32 v17, v11, v17
	v_add_f32_e32 v29, v29, v17
	v_pk_add_f32 v[10:11], v[14:15], v[10:11] neg_lo:[0,1] neg_hi:[0,1]
	v_pk_add_f32 v[32:33], v[14:15], v[28:29]
	v_mov_b32_e32 v17, v14
	v_mov_b32_e32 v11, v33
	v_pk_add_f32 v[34:35], v[16:17], v[10:11] neg_lo:[0,1] neg_hi:[0,1]
	v_pk_add_f32 v[10:11], v[16:17], v[10:11]
	v_mov_b32_e32 v28, v29
	v_pk_add_f32 v[16:17], v[10:11], v[14:15] op_sel:[1,0] op_sel_hi:[0,1] neg_lo:[0,1] neg_hi:[0,1]
	v_pk_add_f32 v[36:37], v[32:33], v[16:17] op_sel_hi:[1,0] neg_lo:[0,1] neg_hi:[0,1]
	v_mov_b32_e32 v32, v33
	v_mov_b32_e32 v33, v11
	v_pk_mov_b32 v[16:17], v[14:15], v[16:17] op_sel:[1,0]
	v_mov_b32_e32 v29, v14
	v_pk_add_f32 v[16:17], v[32:33], v[16:17] neg_lo:[0,1] neg_hi:[0,1]
	v_mov_b32_e32 v36, v34
	v_pk_add_f32 v[14:15], v[28:29], v[16:17] neg_lo:[0,1] neg_hi:[0,1]
	v_mov_b32_e32 v35, v11
	v_pk_add_f32 v[16:17], v[36:37], v[14:15]
	s_mov_b32 s27, 0x33800000
	v_pk_add_f32 v[28:29], v[16:17], v[16:17] op_sel:[0,1] op_sel_hi:[1,0]
	s_nop 0
	v_pk_add_f32 v[10:11], v[10:11], v[28:29] op_sel:[1,0] op_sel_hi:[0,1]
	v_mov_b32_e32 v17, v10
	v_pk_add_f32 v[32:33], v[16:17], v[34:35] neg_lo:[0,1] neg_hi:[0,1]
	v_mov_b32_e32 v15, v28
	v_sub_f32_e32 v11, v16, v32
	v_pk_add_f32 v[14:15], v[14:15], v[32:33] neg_lo:[0,1] neg_hi:[0,1]
	v_sub_f32_e32 v11, v34, v11
	v_add_f32_e32 v11, v14, v11
	v_add_f32_e32 v11, v11, v15
	;; [unrolled: 1-line block ×3, first 2 shown]
	v_cndmask_b32_e32 v10, v12, v10, vcc
	v_cmp_lt_f32_e64 vcc, |v27|, s27
	s_nop 1
	v_cndmask_b32_e32 v10, v10, v27, vcc
	v_add_f32_e32 v10, v13, v10
	v_cvt_f16_f32_e32 v11, v10
	v_cvt_f32_f16_e32 v12, v11
	v_mov_b32_e32 v10, v11
.LBB416_55:
	s_or_b64 exec, exec, s[24:25]
	v_cvt_f32_f16_e32 v27, v5
	v_max_f32_e32 v13, v12, v12
	v_cmp_u_f16_e32 vcc, v11, v11
	v_cmp_u_f16_e64 s[24:25], v5, v5
	v_min_f32_e32 v14, v13, v27
	v_max_f32_e32 v13, v13, v27
	v_cndmask_b32_e32 v14, v14, v12, vcc
	v_cndmask_b32_e32 v13, v13, v12, vcc
	v_cndmask_b32_e64 v14, v14, v27, s[24:25]
	v_cndmask_b32_e64 v13, v13, v27, s[24:25]
	v_cmp_neq_f32_e32 vcc, v14, v13
	v_cmp_class_f32_e64 s[26:27], v14, s26
	s_or_b64 s[28:29], vcc, s[26:27]
	s_and_saveexec_b64 s[26:27], s[28:29]
	s_cbranch_execz .LBB416_57
; %bb.56:
	v_sub_f32_e32 v10, v14, v13
	s_mov_b32 s28, 0x3fb8aa3b
	v_mul_f32_e32 v11, 0x3fb8aa3b, v10
	v_fma_f32 v12, v10, s28, -v11
	v_rndne_f32_e32 v14, v11
	v_fmamk_f32 v12, v10, 0x32a5705f, v12
	v_sub_f32_e32 v11, v11, v14
	v_add_f32_e32 v11, v11, v12
	v_exp_f32_e32 v11, v11
	v_cvt_i32_f32_e32 v12, v14
	s_mov_b32 s28, 0xc2ce8ed0
	v_cmp_ngt_f32_e32 vcc, s28, v10
	s_mov_b32 s28, 0x42b17218
	v_ldexp_f32 v11, v11, v12
	v_cndmask_b32_e32 v11, 0, v11, vcc
	v_mov_b32_e32 v12, 0x7f800000
	v_cmp_nlt_f32_e32 vcc, s28, v10
	s_mov_b32 s28, 0x3f2aaaab
	s_mov_b32 s29, 0x7f800000
	v_cndmask_b32_e32 v30, v12, v11, vcc
	v_add_f32_e32 v14, 1.0, v30
	v_add_f32_e32 v10, -1.0, v14
	v_sub_f32_e32 v11, v10, v14
	v_add_f32_e32 v11, 1.0, v11
	v_sub_f32_e32 v10, v30, v10
	v_add_f32_e32 v15, v10, v11
	v_frexp_mant_f32_e32 v16, v14
	v_cvt_f64_f32_e32 v[10:11], v14
	v_frexp_exp_i32_f64_e32 v10, v[10:11]
	v_cmp_gt_f32_e32 vcc, s28, v16
	s_mov_b32 s28, 0x3f317218
	s_nop 0
	v_subbrev_co_u32_e32 v32, vcc, 0, v10, vcc
	v_sub_u32_e32 v10, 0, v32
	v_ldexp_f32 v11, v14, v10
	v_add_f32_e32 v14, -1.0, v11
	v_add_f32_e32 v16, 1.0, v11
	v_ldexp_f32 v10, v15, v10
	v_add_f32_e32 v15, 1.0, v14
	v_add_f32_e32 v17, -1.0, v16
	v_sub_f32_e32 v15, v11, v15
	v_sub_f32_e32 v11, v11, v17
	v_add_f32_e32 v15, v10, v15
	v_add_f32_e32 v10, v10, v11
	;; [unrolled: 1-line block ×3, first 2 shown]
	v_rcp_f32_e32 v35, v33
	v_sub_f32_e32 v11, v16, v33
	v_add_f32_e32 v34, v10, v11
	v_add_f32_e32 v11, v14, v15
	v_mul_f32_e32 v37, v11, v35
	v_sub_f32_e32 v10, v14, v11
	v_mul_f32_e32 v14, v33, v37
	v_fma_f32 v16, v37, v33, -v14
	v_fmac_f32_e32 v16, v37, v34
	v_add_f32_e32 v36, v15, v10
	v_add_f32_e32 v10, v14, v16
	v_sub_f32_e32 v15, v11, v10
	v_pk_add_f32 v[28:29], v[10:11], v[14:15] neg_lo:[0,1] neg_hi:[0,1]
	v_mov_b32_e32 v17, v10
	v_pk_add_f32 v[10:11], v[28:29], v[16:17] neg_lo:[0,1] neg_hi:[0,1]
	v_cmp_neq_f32_e32 vcc, s29, v30
	v_add_f32_e32 v11, v36, v11
	v_add_f32_e32 v10, v10, v11
	;; [unrolled: 1-line block ×3, first 2 shown]
	v_mul_f32_e32 v36, v35, v11
	v_mul_f32_e32 v14, v33, v36
	v_fma_f32 v16, v36, v33, -v14
	v_fmac_f32_e32 v16, v36, v34
	v_sub_f32_e32 v15, v15, v11
	v_add_f32_e32 v33, v10, v15
	v_add_f32_e32 v10, v14, v16
	v_sub_f32_e32 v15, v11, v10
	v_pk_add_f32 v[28:29], v[10:11], v[14:15] neg_lo:[0,1] neg_hi:[0,1]
	v_mov_b32_e32 v17, v10
	v_pk_add_f32 v[10:11], v[28:29], v[16:17] neg_lo:[0,1] neg_hi:[0,1]
	v_cvt_f32_i32_e32 v14, v32
	v_add_f32_e32 v11, v33, v11
	v_add_f32_e32 v10, v10, v11
	;; [unrolled: 1-line block ×4, first 2 shown]
	v_sub_f32_e32 v11, v15, v37
	v_mul_f32_e32 v10, v35, v10
	v_sub_f32_e32 v11, v36, v11
	v_add_f32_e32 v10, v11, v10
	v_add_f32_e32 v16, v15, v10
	v_mul_f32_e32 v28, v16, v16
	v_mov_b32_e32 v11, 0x3ecc95a3
	v_sub_f32_e32 v15, v16, v15
	v_fmac_f32_e32 v11, 0x3e9b6dac, v28
	v_sub_f32_e32 v10, v10, v15
	v_fmaak_f32 v11, v28, v11, 0x3f2aaada
	v_ldexp_f32 v29, v10, 1
	v_mul_f32_e32 v15, v16, v28
	v_mov_b32_e32 v10, 0x3f317218
	v_pk_mul_f32 v[10:11], v[14:15], v[10:11]
	v_ldexp_f32 v17, v16, 1
	v_fma_f32 v15, v14, s28, -v10
	v_fmamk_f32 v16, v14, 0xb102e308, v15
	v_pk_add_f32 v[14:15], v[10:11], v[16:17]
	v_mov_b32_e32 v28, v10
	v_sub_f32_e32 v17, v15, v17
	v_sub_f32_e32 v17, v11, v17
	v_add_f32_e32 v29, v29, v17
	v_pk_add_f32 v[10:11], v[14:15], v[10:11] neg_lo:[0,1] neg_hi:[0,1]
	v_pk_add_f32 v[32:33], v[14:15], v[28:29]
	v_mov_b32_e32 v17, v14
	v_mov_b32_e32 v11, v33
	v_pk_add_f32 v[34:35], v[16:17], v[10:11] neg_lo:[0,1] neg_hi:[0,1]
	v_pk_add_f32 v[10:11], v[16:17], v[10:11]
	v_mov_b32_e32 v28, v29
	v_pk_add_f32 v[16:17], v[10:11], v[14:15] op_sel:[1,0] op_sel_hi:[0,1] neg_lo:[0,1] neg_hi:[0,1]
	v_pk_add_f32 v[36:37], v[32:33], v[16:17] op_sel_hi:[1,0] neg_lo:[0,1] neg_hi:[0,1]
	v_mov_b32_e32 v32, v33
	v_mov_b32_e32 v33, v11
	v_pk_mov_b32 v[16:17], v[14:15], v[16:17] op_sel:[1,0]
	v_mov_b32_e32 v29, v14
	v_pk_add_f32 v[16:17], v[32:33], v[16:17] neg_lo:[0,1] neg_hi:[0,1]
	v_mov_b32_e32 v36, v34
	v_pk_add_f32 v[14:15], v[28:29], v[16:17] neg_lo:[0,1] neg_hi:[0,1]
	v_mov_b32_e32 v35, v11
	v_pk_add_f32 v[16:17], v[36:37], v[14:15]
	s_mov_b32 s28, 0x33800000
	v_pk_add_f32 v[28:29], v[16:17], v[16:17] op_sel:[0,1] op_sel_hi:[1,0]
	s_nop 0
	v_pk_add_f32 v[10:11], v[10:11], v[28:29] op_sel:[1,0] op_sel_hi:[0,1]
	v_mov_b32_e32 v17, v10
	v_pk_add_f32 v[32:33], v[16:17], v[34:35] neg_lo:[0,1] neg_hi:[0,1]
	v_mov_b32_e32 v15, v28
	v_sub_f32_e32 v11, v16, v32
	v_pk_add_f32 v[14:15], v[14:15], v[32:33] neg_lo:[0,1] neg_hi:[0,1]
	v_sub_f32_e32 v11, v34, v11
	v_add_f32_e32 v11, v14, v11
	v_add_f32_e32 v11, v11, v15
	v_add_f32_e32 v10, v10, v11
	v_cndmask_b32_e32 v10, v12, v10, vcc
	v_cmp_lt_f32_e64 vcc, |v30|, s28
	s_nop 1
	v_cndmask_b32_e32 v10, v10, v30, vcc
	v_add_f32_e32 v10, v13, v10
	v_cvt_f16_f32_e32 v11, v10
	v_cvt_f32_f16_e32 v12, v11
	v_mov_b32_e32 v10, v11
.LBB416_57:
	s_or_b64 exec, exec, s[26:27]
	v_cvt_f32_f16_sdwa v28, v5 dst_sel:DWORD dst_unused:UNUSED_PAD src0_sel:WORD_1
	v_max_f32_e32 v13, v12, v12
	v_cmp_u_f16_e32 vcc, v11, v11
	v_cmp_u_f16_sdwa s[26:27], v5, v5 src0_sel:WORD_1 src1_sel:WORD_1
	v_min_f32_e32 v14, v13, v28
	v_max_f32_e32 v13, v13, v28
	v_cndmask_b32_e32 v14, v14, v12, vcc
	v_cndmask_b32_e32 v13, v13, v12, vcc
	v_cndmask_b32_e64 v14, v14, v28, s[26:27]
	v_cndmask_b32_e64 v13, v13, v28, s[26:27]
	s_movk_i32 s30, 0x1f8
	v_cmp_neq_f32_e32 vcc, v14, v13
	v_cmp_class_f32_e64 s[28:29], v14, s30
	s_or_b64 s[36:37], vcc, s[28:29]
	s_and_saveexec_b64 s[28:29], s[36:37]
	s_cbranch_execz .LBB416_59
; %bb.58:
	v_sub_f32_e32 v10, v14, v13
	s_mov_b32 s31, 0x3fb8aa3b
	v_mul_f32_e32 v11, 0x3fb8aa3b, v10
	v_fma_f32 v12, v10, s31, -v11
	v_rndne_f32_e32 v14, v11
	v_fmamk_f32 v12, v10, 0x32a5705f, v12
	v_sub_f32_e32 v11, v11, v14
	v_add_f32_e32 v11, v11, v12
	v_exp_f32_e32 v11, v11
	v_cvt_i32_f32_e32 v12, v14
	s_mov_b32 s31, 0xc2ce8ed0
	v_cmp_ngt_f32_e32 vcc, s31, v10
	s_mov_b32 s31, 0x42b17218
	v_ldexp_f32 v11, v11, v12
	v_cndmask_b32_e32 v11, 0, v11, vcc
	v_mov_b32_e32 v12, 0x7f800000
	v_cmp_nlt_f32_e32 vcc, s31, v10
	s_mov_b32 s31, 0x3f2aaaab
	s_mov_b32 s36, 0x7f800000
	v_cndmask_b32_e32 v29, v12, v11, vcc
	v_add_f32_e32 v14, 1.0, v29
	v_add_f32_e32 v10, -1.0, v14
	v_sub_f32_e32 v11, v10, v14
	v_add_f32_e32 v11, 1.0, v11
	v_sub_f32_e32 v10, v29, v10
	v_add_f32_e32 v15, v10, v11
	v_frexp_mant_f32_e32 v16, v14
	v_cvt_f64_f32_e32 v[10:11], v14
	v_frexp_exp_i32_f64_e32 v10, v[10:11]
	v_cmp_gt_f32_e32 vcc, s31, v16
	s_mov_b32 s31, 0x3f317218
	s_nop 0
	v_subbrev_co_u32_e32 v30, vcc, 0, v10, vcc
	v_sub_u32_e32 v10, 0, v30
	v_ldexp_f32 v11, v14, v10
	v_add_f32_e32 v14, -1.0, v11
	v_add_f32_e32 v16, 1.0, v11
	v_ldexp_f32 v10, v15, v10
	v_add_f32_e32 v15, 1.0, v14
	v_add_f32_e32 v17, -1.0, v16
	v_sub_f32_e32 v15, v11, v15
	v_sub_f32_e32 v11, v11, v17
	v_add_f32_e32 v15, v10, v15
	v_add_f32_e32 v10, v10, v11
	;; [unrolled: 1-line block ×3, first 2 shown]
	v_rcp_f32_e32 v36, v34
	v_sub_f32_e32 v11, v16, v34
	v_add_f32_e32 v35, v10, v11
	v_add_f32_e32 v11, v14, v15
	v_mul_f32_e32 v38, v11, v36
	v_sub_f32_e32 v10, v14, v11
	v_mul_f32_e32 v14, v34, v38
	v_fma_f32 v16, v38, v34, -v14
	v_fmac_f32_e32 v16, v38, v35
	v_add_f32_e32 v37, v15, v10
	v_add_f32_e32 v10, v14, v16
	v_sub_f32_e32 v15, v11, v10
	v_pk_add_f32 v[32:33], v[10:11], v[14:15] neg_lo:[0,1] neg_hi:[0,1]
	v_mov_b32_e32 v17, v10
	v_pk_add_f32 v[10:11], v[32:33], v[16:17] neg_lo:[0,1] neg_hi:[0,1]
	v_cmp_neq_f32_e32 vcc, s36, v29
	v_add_f32_e32 v11, v37, v11
	v_add_f32_e32 v10, v10, v11
	v_add_f32_e32 v11, v15, v10
	v_mul_f32_e32 v37, v36, v11
	v_mul_f32_e32 v14, v34, v37
	v_fma_f32 v16, v37, v34, -v14
	v_fmac_f32_e32 v16, v37, v35
	v_sub_f32_e32 v15, v15, v11
	v_add_f32_e32 v34, v10, v15
	v_add_f32_e32 v10, v14, v16
	v_sub_f32_e32 v15, v11, v10
	v_pk_add_f32 v[32:33], v[10:11], v[14:15] neg_lo:[0,1] neg_hi:[0,1]
	v_mov_b32_e32 v17, v10
	v_pk_add_f32 v[10:11], v[32:33], v[16:17] neg_lo:[0,1] neg_hi:[0,1]
	v_cvt_f32_i32_e32 v14, v30
	v_add_f32_e32 v11, v34, v11
	v_add_f32_e32 v10, v10, v11
	;; [unrolled: 1-line block ×4, first 2 shown]
	v_sub_f32_e32 v11, v15, v38
	v_mul_f32_e32 v10, v36, v10
	v_sub_f32_e32 v11, v37, v11
	v_add_f32_e32 v10, v11, v10
	v_add_f32_e32 v16, v15, v10
	v_mul_f32_e32 v32, v16, v16
	v_mov_b32_e32 v11, 0x3ecc95a3
	v_sub_f32_e32 v15, v16, v15
	v_fmac_f32_e32 v11, 0x3e9b6dac, v32
	v_sub_f32_e32 v10, v10, v15
	v_fmaak_f32 v11, v32, v11, 0x3f2aaada
	v_ldexp_f32 v30, v10, 1
	v_mul_f32_e32 v15, v16, v32
	v_mov_b32_e32 v10, 0x3f317218
	v_pk_mul_f32 v[10:11], v[14:15], v[10:11]
	v_ldexp_f32 v17, v16, 1
	v_fma_f32 v15, v14, s31, -v10
	v_fmamk_f32 v16, v14, 0xb102e308, v15
	v_pk_add_f32 v[14:15], v[10:11], v[16:17]
	v_mov_b32_e32 v32, v10
	v_sub_f32_e32 v17, v15, v17
	v_sub_f32_e32 v17, v11, v17
	v_add_f32_e32 v33, v30, v17
	v_pk_add_f32 v[10:11], v[14:15], v[10:11] neg_lo:[0,1] neg_hi:[0,1]
	v_pk_add_f32 v[34:35], v[14:15], v[32:33]
	v_mov_b32_e32 v17, v14
	v_mov_b32_e32 v11, v35
	v_pk_add_f32 v[36:37], v[16:17], v[10:11] neg_lo:[0,1] neg_hi:[0,1]
	v_pk_add_f32 v[10:11], v[16:17], v[10:11]
	v_mov_b32_e32 v32, v33
	v_pk_add_f32 v[16:17], v[10:11], v[14:15] op_sel:[1,0] op_sel_hi:[0,1] neg_lo:[0,1] neg_hi:[0,1]
	v_pk_add_f32 v[38:39], v[34:35], v[16:17] op_sel_hi:[1,0] neg_lo:[0,1] neg_hi:[0,1]
	v_mov_b32_e32 v34, v35
	v_mov_b32_e32 v35, v11
	v_pk_mov_b32 v[16:17], v[14:15], v[16:17] op_sel:[1,0]
	v_mov_b32_e32 v33, v14
	v_pk_add_f32 v[16:17], v[34:35], v[16:17] neg_lo:[0,1] neg_hi:[0,1]
	v_mov_b32_e32 v38, v36
	v_pk_add_f32 v[14:15], v[32:33], v[16:17] neg_lo:[0,1] neg_hi:[0,1]
	v_mov_b32_e32 v37, v11
	v_pk_add_f32 v[16:17], v[38:39], v[14:15]
	s_mov_b32 s31, 0x33800000
	v_pk_add_f32 v[32:33], v[16:17], v[16:17] op_sel:[0,1] op_sel_hi:[1,0]
	s_nop 0
	v_pk_add_f32 v[10:11], v[10:11], v[32:33] op_sel:[1,0] op_sel_hi:[0,1]
	v_mov_b32_e32 v17, v10
	v_pk_add_f32 v[34:35], v[16:17], v[36:37] neg_lo:[0,1] neg_hi:[0,1]
	v_mov_b32_e32 v15, v32
	v_sub_f32_e32 v11, v16, v34
	v_pk_add_f32 v[14:15], v[14:15], v[34:35] neg_lo:[0,1] neg_hi:[0,1]
	v_sub_f32_e32 v11, v36, v11
	v_add_f32_e32 v11, v14, v11
	v_add_f32_e32 v11, v11, v15
	;; [unrolled: 1-line block ×3, first 2 shown]
	v_cndmask_b32_e32 v10, v12, v10, vcc
	v_cmp_lt_f32_e64 vcc, |v29|, s31
	s_nop 1
	v_cndmask_b32_e32 v10, v10, v29, vcc
	v_add_f32_e32 v10, v13, v10
	v_cvt_f16_f32_e32 v11, v10
	v_cvt_f32_f16_e32 v12, v11
	v_mov_b32_e32 v10, v11
.LBB416_59:
	s_or_b64 exec, exec, s[28:29]
	v_cvt_f32_f16_e32 v29, v18
	v_max_f32_e32 v13, v12, v12
	v_cmp_u_f16_e32 vcc, v11, v11
	v_cmp_u_f16_e64 s[28:29], v18, v18
	v_min_f32_e32 v14, v13, v29
	v_max_f32_e32 v13, v13, v29
	v_cndmask_b32_e32 v14, v14, v12, vcc
	v_cndmask_b32_e32 v13, v13, v12, vcc
	v_cndmask_b32_e64 v14, v14, v29, s[28:29]
	v_cndmask_b32_e64 v13, v13, v29, s[28:29]
	v_cmp_neq_f32_e32 vcc, v14, v13
	v_cmp_class_f32_e64 s[30:31], v14, s30
	s_or_b64 s[36:37], vcc, s[30:31]
	s_and_saveexec_b64 s[30:31], s[36:37]
	s_cbranch_execz .LBB416_61
; %bb.60:
	v_sub_f32_e32 v10, v14, v13
	s_mov_b32 s36, 0x3fb8aa3b
	v_mul_f32_e32 v11, 0x3fb8aa3b, v10
	v_fma_f32 v12, v10, s36, -v11
	v_rndne_f32_e32 v14, v11
	v_fmamk_f32 v12, v10, 0x32a5705f, v12
	v_sub_f32_e32 v11, v11, v14
	v_add_f32_e32 v11, v11, v12
	v_exp_f32_e32 v11, v11
	v_cvt_i32_f32_e32 v12, v14
	s_mov_b32 s36, 0xc2ce8ed0
	v_cmp_ngt_f32_e32 vcc, s36, v10
	s_mov_b32 s36, 0x42b17218
	v_ldexp_f32 v11, v11, v12
	v_cndmask_b32_e32 v11, 0, v11, vcc
	v_mov_b32_e32 v12, 0x7f800000
	v_cmp_nlt_f32_e32 vcc, s36, v10
	s_mov_b32 s36, 0x3f2aaaab
	s_mov_b32 s37, 0x7f800000
	v_cndmask_b32_e32 v30, v12, v11, vcc
	v_add_f32_e32 v14, 1.0, v30
	v_add_f32_e32 v10, -1.0, v14
	v_sub_f32_e32 v11, v10, v14
	v_add_f32_e32 v11, 1.0, v11
	v_sub_f32_e32 v10, v30, v10
	v_add_f32_e32 v15, v10, v11
	v_frexp_mant_f32_e32 v16, v14
	v_cvt_f64_f32_e32 v[10:11], v14
	v_frexp_exp_i32_f64_e32 v10, v[10:11]
	v_cmp_gt_f32_e32 vcc, s36, v16
	s_mov_b32 s36, 0x3f317218
	s_nop 0
	v_subbrev_co_u32_e32 v34, vcc, 0, v10, vcc
	v_sub_u32_e32 v10, 0, v34
	v_ldexp_f32 v11, v14, v10
	v_add_f32_e32 v14, -1.0, v11
	v_add_f32_e32 v16, 1.0, v11
	v_ldexp_f32 v10, v15, v10
	v_add_f32_e32 v15, 1.0, v14
	v_add_f32_e32 v17, -1.0, v16
	v_sub_f32_e32 v15, v11, v15
	v_sub_f32_e32 v11, v11, v17
	v_add_f32_e32 v15, v10, v15
	v_add_f32_e32 v10, v10, v11
	;; [unrolled: 1-line block ×3, first 2 shown]
	v_rcp_f32_e32 v37, v35
	v_sub_f32_e32 v11, v16, v35
	v_add_f32_e32 v36, v10, v11
	v_add_f32_e32 v11, v14, v15
	v_mul_f32_e32 v39, v11, v37
	v_sub_f32_e32 v10, v14, v11
	v_mul_f32_e32 v14, v35, v39
	v_fma_f32 v16, v39, v35, -v14
	v_fmac_f32_e32 v16, v39, v36
	v_add_f32_e32 v38, v15, v10
	v_add_f32_e32 v10, v14, v16
	v_sub_f32_e32 v15, v11, v10
	v_pk_add_f32 v[32:33], v[10:11], v[14:15] neg_lo:[0,1] neg_hi:[0,1]
	v_mov_b32_e32 v17, v10
	v_pk_add_f32 v[10:11], v[32:33], v[16:17] neg_lo:[0,1] neg_hi:[0,1]
	v_cmp_neq_f32_e32 vcc, s37, v30
	v_add_f32_e32 v11, v38, v11
	v_add_f32_e32 v10, v10, v11
	;; [unrolled: 1-line block ×3, first 2 shown]
	v_mul_f32_e32 v38, v37, v11
	v_mul_f32_e32 v14, v35, v38
	v_fma_f32 v16, v38, v35, -v14
	v_fmac_f32_e32 v16, v38, v36
	v_sub_f32_e32 v15, v15, v11
	v_add_f32_e32 v35, v10, v15
	v_add_f32_e32 v10, v14, v16
	v_sub_f32_e32 v15, v11, v10
	v_pk_add_f32 v[32:33], v[10:11], v[14:15] neg_lo:[0,1] neg_hi:[0,1]
	v_mov_b32_e32 v17, v10
	v_pk_add_f32 v[10:11], v[32:33], v[16:17] neg_lo:[0,1] neg_hi:[0,1]
	v_cvt_f32_i32_e32 v14, v34
	v_add_f32_e32 v11, v35, v11
	v_add_f32_e32 v10, v10, v11
	;; [unrolled: 1-line block ×4, first 2 shown]
	v_sub_f32_e32 v11, v15, v39
	v_mul_f32_e32 v10, v37, v10
	v_sub_f32_e32 v11, v38, v11
	v_add_f32_e32 v10, v11, v10
	v_add_f32_e32 v16, v15, v10
	v_mul_f32_e32 v32, v16, v16
	v_mov_b32_e32 v11, 0x3ecc95a3
	v_sub_f32_e32 v15, v16, v15
	v_fmac_f32_e32 v11, 0x3e9b6dac, v32
	v_sub_f32_e32 v10, v10, v15
	v_fmaak_f32 v11, v32, v11, 0x3f2aaada
	v_ldexp_f32 v33, v10, 1
	v_mul_f32_e32 v15, v16, v32
	v_mov_b32_e32 v10, 0x3f317218
	v_pk_mul_f32 v[10:11], v[14:15], v[10:11]
	v_ldexp_f32 v17, v16, 1
	v_fma_f32 v15, v14, s36, -v10
	v_fmamk_f32 v16, v14, 0xb102e308, v15
	v_pk_add_f32 v[14:15], v[10:11], v[16:17]
	v_mov_b32_e32 v32, v10
	v_sub_f32_e32 v17, v15, v17
	v_sub_f32_e32 v17, v11, v17
	v_add_f32_e32 v33, v33, v17
	v_pk_add_f32 v[10:11], v[14:15], v[10:11] neg_lo:[0,1] neg_hi:[0,1]
	v_pk_add_f32 v[34:35], v[14:15], v[32:33]
	v_mov_b32_e32 v17, v14
	v_mov_b32_e32 v11, v35
	v_pk_add_f32 v[36:37], v[16:17], v[10:11] neg_lo:[0,1] neg_hi:[0,1]
	v_pk_add_f32 v[10:11], v[16:17], v[10:11]
	v_mov_b32_e32 v32, v33
	v_pk_add_f32 v[16:17], v[10:11], v[14:15] op_sel:[1,0] op_sel_hi:[0,1] neg_lo:[0,1] neg_hi:[0,1]
	v_pk_add_f32 v[38:39], v[34:35], v[16:17] op_sel_hi:[1,0] neg_lo:[0,1] neg_hi:[0,1]
	v_mov_b32_e32 v34, v35
	v_mov_b32_e32 v35, v11
	v_pk_mov_b32 v[16:17], v[14:15], v[16:17] op_sel:[1,0]
	v_mov_b32_e32 v33, v14
	v_pk_add_f32 v[16:17], v[34:35], v[16:17] neg_lo:[0,1] neg_hi:[0,1]
	v_mov_b32_e32 v38, v36
	v_pk_add_f32 v[14:15], v[32:33], v[16:17] neg_lo:[0,1] neg_hi:[0,1]
	v_mov_b32_e32 v37, v11
	v_pk_add_f32 v[16:17], v[38:39], v[14:15]
	s_mov_b32 s36, 0x33800000
	v_pk_add_f32 v[32:33], v[16:17], v[16:17] op_sel:[0,1] op_sel_hi:[1,0]
	s_nop 0
	v_pk_add_f32 v[10:11], v[10:11], v[32:33] op_sel:[1,0] op_sel_hi:[0,1]
	v_mov_b32_e32 v17, v10
	v_pk_add_f32 v[34:35], v[16:17], v[36:37] neg_lo:[0,1] neg_hi:[0,1]
	v_mov_b32_e32 v15, v32
	v_sub_f32_e32 v11, v16, v34
	v_pk_add_f32 v[14:15], v[14:15], v[34:35] neg_lo:[0,1] neg_hi:[0,1]
	v_sub_f32_e32 v11, v36, v11
	v_add_f32_e32 v11, v14, v11
	v_add_f32_e32 v11, v11, v15
	;; [unrolled: 1-line block ×3, first 2 shown]
	v_cndmask_b32_e32 v10, v12, v10, vcc
	v_cmp_lt_f32_e64 vcc, |v30|, s36
	s_nop 1
	v_cndmask_b32_e32 v10, v10, v30, vcc
	v_add_f32_e32 v10, v13, v10
	v_cvt_f16_f32_e32 v11, v10
	v_cvt_f32_f16_e32 v12, v11
	v_mov_b32_e32 v10, v11
.LBB416_61:
	s_or_b64 exec, exec, s[30:31]
	v_cvt_f32_f16_sdwa v30, v18 dst_sel:DWORD dst_unused:UNUSED_PAD src0_sel:WORD_1
	v_max_f32_e32 v14, v12, v12
	v_cmp_u_f16_e32 vcc, v11, v11
	v_cmp_u_f16_sdwa s[30:31], v18, v18 src0_sel:WORD_1 src1_sel:WORD_1
	v_min_f32_e32 v13, v14, v30
	v_cndmask_b32_e32 v11, v13, v12, vcc
	v_cndmask_b32_e64 v13, v11, v30, s[30:31]
	v_max_f32_e32 v11, v14, v30
	v_cndmask_b32_e32 v11, v11, v12, vcc
	v_cndmask_b32_e64 v11, v11, v30, s[30:31]
	s_movk_i32 s36, 0x1f8
	v_cmp_neq_f32_e32 vcc, v13, v11
	v_cmp_class_f32_e64 s[36:37], v13, s36
	s_or_b64 s[38:39], vcc, s[36:37]
	s_and_saveexec_b64 s[36:37], s[38:39]
	s_cbranch_execz .LBB416_63
; %bb.62:
	v_sub_f32_e32 v10, v13, v11
	s_mov_b32 s38, 0x3fb8aa3b
	v_mul_f32_e32 v12, 0x3fb8aa3b, v10
	v_fma_f32 v13, v10, s38, -v12
	v_rndne_f32_e32 v14, v12
	v_fmamk_f32 v13, v10, 0x32a5705f, v13
	v_sub_f32_e32 v12, v12, v14
	v_add_f32_e32 v12, v12, v13
	v_exp_f32_e32 v12, v12
	v_cvt_i32_f32_e32 v13, v14
	s_mov_b32 s38, 0xc2ce8ed0
	v_cmp_ngt_f32_e32 vcc, s38, v10
	s_mov_b32 s38, 0x42b17218
	v_ldexp_f32 v12, v12, v13
	v_cndmask_b32_e32 v12, 0, v12, vcc
	v_mov_b32_e32 v40, 0x7f800000
	v_cmp_nlt_f32_e32 vcc, s38, v10
	s_mov_b32 s38, 0x3f2aaaab
	s_mov_b32 s39, 0x7f800000
	v_cndmask_b32_e32 v10, v40, v12, vcc
	v_add_f32_e32 v14, 1.0, v10
	v_add_f32_e32 v12, -1.0, v14
	v_sub_f32_e32 v13, v12, v14
	v_add_f32_e32 v13, 1.0, v13
	v_sub_f32_e32 v12, v10, v12
	v_add_f32_e32 v15, v12, v13
	v_frexp_mant_f32_e32 v16, v14
	v_cvt_f64_f32_e32 v[12:13], v14
	v_frexp_exp_i32_f64_e32 v12, v[12:13]
	v_cmp_gt_f32_e32 vcc, s38, v16
	s_mov_b32 s38, 0x3f317218
	s_nop 0
	v_subbrev_co_u32_e32 v34, vcc, 0, v12, vcc
	v_sub_u32_e32 v12, 0, v34
	v_ldexp_f32 v13, v14, v12
	v_add_f32_e32 v14, -1.0, v13
	v_add_f32_e32 v16, 1.0, v13
	v_ldexp_f32 v12, v15, v12
	v_add_f32_e32 v15, 1.0, v14
	v_add_f32_e32 v17, -1.0, v16
	v_sub_f32_e32 v15, v13, v15
	v_sub_f32_e32 v13, v13, v17
	v_add_f32_e32 v15, v12, v15
	v_add_f32_e32 v12, v12, v13
	;; [unrolled: 1-line block ×3, first 2 shown]
	v_rcp_f32_e32 v37, v35
	v_sub_f32_e32 v13, v16, v35
	v_add_f32_e32 v36, v12, v13
	v_add_f32_e32 v13, v14, v15
	v_mul_f32_e32 v39, v13, v37
	v_sub_f32_e32 v12, v14, v13
	v_mul_f32_e32 v14, v35, v39
	v_fma_f32 v16, v39, v35, -v14
	v_fmac_f32_e32 v16, v39, v36
	v_add_f32_e32 v38, v15, v12
	v_add_f32_e32 v12, v14, v16
	v_sub_f32_e32 v15, v13, v12
	v_pk_add_f32 v[32:33], v[12:13], v[14:15] neg_lo:[0,1] neg_hi:[0,1]
	v_mov_b32_e32 v17, v12
	v_pk_add_f32 v[12:13], v[32:33], v[16:17] neg_lo:[0,1] neg_hi:[0,1]
	v_cmp_neq_f32_e32 vcc, s39, v10
	v_add_f32_e32 v13, v38, v13
	v_add_f32_e32 v12, v12, v13
	;; [unrolled: 1-line block ×3, first 2 shown]
	v_mul_f32_e32 v38, v37, v13
	v_mul_f32_e32 v14, v35, v38
	v_fma_f32 v16, v38, v35, -v14
	v_fmac_f32_e32 v16, v38, v36
	v_sub_f32_e32 v15, v15, v13
	v_add_f32_e32 v35, v12, v15
	v_add_f32_e32 v12, v14, v16
	v_sub_f32_e32 v15, v13, v12
	v_pk_add_f32 v[32:33], v[12:13], v[14:15] neg_lo:[0,1] neg_hi:[0,1]
	v_mov_b32_e32 v17, v12
	v_pk_add_f32 v[12:13], v[32:33], v[16:17] neg_lo:[0,1] neg_hi:[0,1]
	v_cvt_f32_i32_e32 v14, v34
	v_add_f32_e32 v13, v35, v13
	v_add_f32_e32 v12, v12, v13
	;; [unrolled: 1-line block ×4, first 2 shown]
	v_sub_f32_e32 v13, v15, v39
	v_mul_f32_e32 v12, v37, v12
	v_sub_f32_e32 v13, v38, v13
	v_add_f32_e32 v12, v13, v12
	v_add_f32_e32 v16, v15, v12
	v_mul_f32_e32 v32, v16, v16
	v_mov_b32_e32 v13, 0x3ecc95a3
	v_sub_f32_e32 v15, v16, v15
	v_fmac_f32_e32 v13, 0x3e9b6dac, v32
	v_sub_f32_e32 v12, v12, v15
	v_fmaak_f32 v13, v32, v13, 0x3f2aaada
	v_ldexp_f32 v33, v12, 1
	v_mul_f32_e32 v15, v16, v32
	v_mov_b32_e32 v12, 0x3f317218
	v_pk_mul_f32 v[12:13], v[14:15], v[12:13]
	v_ldexp_f32 v17, v16, 1
	v_fma_f32 v15, v14, s38, -v12
	v_fmamk_f32 v16, v14, 0xb102e308, v15
	v_pk_add_f32 v[14:15], v[12:13], v[16:17]
	v_mov_b32_e32 v32, v12
	v_sub_f32_e32 v17, v15, v17
	v_sub_f32_e32 v17, v13, v17
	v_add_f32_e32 v33, v33, v17
	v_pk_add_f32 v[12:13], v[14:15], v[12:13] neg_lo:[0,1] neg_hi:[0,1]
	v_pk_add_f32 v[34:35], v[14:15], v[32:33]
	v_mov_b32_e32 v17, v14
	v_mov_b32_e32 v13, v35
	v_pk_add_f32 v[36:37], v[16:17], v[12:13] neg_lo:[0,1] neg_hi:[0,1]
	v_pk_add_f32 v[12:13], v[16:17], v[12:13]
	v_mov_b32_e32 v32, v33
	v_pk_add_f32 v[16:17], v[12:13], v[14:15] op_sel:[1,0] op_sel_hi:[0,1] neg_lo:[0,1] neg_hi:[0,1]
	v_pk_add_f32 v[38:39], v[34:35], v[16:17] op_sel_hi:[1,0] neg_lo:[0,1] neg_hi:[0,1]
	v_mov_b32_e32 v34, v35
	v_mov_b32_e32 v35, v13
	v_pk_mov_b32 v[16:17], v[14:15], v[16:17] op_sel:[1,0]
	v_mov_b32_e32 v33, v14
	v_pk_add_f32 v[16:17], v[34:35], v[16:17] neg_lo:[0,1] neg_hi:[0,1]
	v_mov_b32_e32 v38, v36
	v_pk_add_f32 v[14:15], v[32:33], v[16:17] neg_lo:[0,1] neg_hi:[0,1]
	v_mov_b32_e32 v37, v13
	v_pk_add_f32 v[16:17], v[38:39], v[14:15]
	s_mov_b32 s38, 0x33800000
	v_pk_add_f32 v[32:33], v[16:17], v[16:17] op_sel:[0,1] op_sel_hi:[1,0]
	s_nop 0
	v_pk_add_f32 v[12:13], v[12:13], v[32:33] op_sel:[1,0] op_sel_hi:[0,1]
	v_mov_b32_e32 v17, v12
	v_pk_add_f32 v[34:35], v[16:17], v[36:37] neg_lo:[0,1] neg_hi:[0,1]
	v_mov_b32_e32 v15, v32
	v_sub_f32_e32 v13, v16, v34
	v_pk_add_f32 v[14:15], v[14:15], v[34:35] neg_lo:[0,1] neg_hi:[0,1]
	v_sub_f32_e32 v13, v36, v13
	v_add_f32_e32 v13, v14, v13
	v_add_f32_e32 v13, v13, v15
	;; [unrolled: 1-line block ×3, first 2 shown]
	v_cndmask_b32_e32 v12, v40, v12, vcc
	v_cmp_lt_f32_e64 vcc, |v10|, s38
	s_nop 1
	v_cndmask_b32_e32 v10, v12, v10, vcc
	v_add_f32_e32 v10, v11, v10
	v_cvt_f16_f32_e32 v10, v10
.LBB416_63:
	s_or_b64 exec, exec, s[36:37]
	v_mbcnt_lo_u32_b32 v11, -1, 0
	v_mbcnt_hi_u32_b32 v11, -1, v11
	v_and_b32_e32 v12, 15, v11
	v_and_b32_e32 v13, 0xffff, v10
	v_cmp_ne_u32_e32 vcc, 0, v12
	s_nop 0
	v_mov_b32_dpp v14, v13 row_shr:1 row_mask:0xf bank_mask:0xf
	s_and_saveexec_b64 s[38:39], vcc
	s_cbranch_execz .LBB416_67
; %bb.64:
	v_cvt_f32_f16_e32 v15, v14
	v_cvt_f32_f16_e32 v16, v10
	v_cmp_u_f16_e32 vcc, v14, v14
	v_cmp_u_f16_e64 s[36:37], v10, v10
	v_min_f32_e32 v13, v15, v16
	v_max_f32_e32 v10, v15, v16
	v_cndmask_b32_e32 v13, v13, v15, vcc
	v_cndmask_b32_e32 v10, v10, v15, vcc
	v_cndmask_b32_e64 v13, v13, v16, s[36:37]
	v_cndmask_b32_e64 v10, v10, v16, s[36:37]
	s_movk_i32 s36, 0x1f8
	v_cmp_neq_f32_e32 vcc, v13, v10
	v_cmp_class_f32_e64 s[36:37], v13, s36
	s_or_b64 s[54:55], vcc, s[36:37]
	s_and_saveexec_b64 s[36:37], s[54:55]
	s_cbranch_execz .LBB416_66
; %bb.65:
	v_sub_f32_e32 v13, v13, v10
	s_mov_b32 s54, 0x3fb8aa3b
	v_mul_f32_e32 v14, 0x3fb8aa3b, v13
	v_fma_f32 v15, v13, s54, -v14
	v_rndne_f32_e32 v16, v14
	v_fmamk_f32 v15, v13, 0x32a5705f, v15
	v_sub_f32_e32 v14, v14, v16
	v_add_f32_e32 v14, v14, v15
	v_exp_f32_e32 v14, v14
	v_cvt_i32_f32_e32 v15, v16
	s_mov_b32 s54, 0xc2ce8ed0
	v_cmp_ngt_f32_e32 vcc, s54, v13
	s_mov_b32 s54, 0x42b17218
	v_ldexp_f32 v14, v14, v15
	v_cndmask_b32_e32 v14, 0, v14, vcc
	v_mov_b32_e32 v42, 0x7f800000
	v_cmp_nlt_f32_e32 vcc, s54, v13
	s_mov_b32 s54, 0x3f2aaaab
	s_mov_b32 s55, 0x7f800000
	v_cndmask_b32_e32 v13, v42, v14, vcc
	v_add_f32_e32 v16, 1.0, v13
	v_add_f32_e32 v14, -1.0, v16
	v_sub_f32_e32 v15, v14, v16
	v_add_f32_e32 v15, 1.0, v15
	v_sub_f32_e32 v14, v13, v14
	v_add_f32_e32 v17, v14, v15
	v_frexp_mant_f32_e32 v32, v16
	v_cvt_f64_f32_e32 v[14:15], v16
	v_frexp_exp_i32_f64_e32 v14, v[14:15]
	v_cmp_gt_f32_e32 vcc, s54, v32
	s_mov_b32 s54, 0x3f317218
	s_nop 0
	v_subbrev_co_u32_e32 v36, vcc, 0, v14, vcc
	v_sub_u32_e32 v14, 0, v36
	v_ldexp_f32 v15, v16, v14
	v_add_f32_e32 v16, -1.0, v15
	v_add_f32_e32 v32, 1.0, v15
	v_ldexp_f32 v14, v17, v14
	v_add_f32_e32 v17, 1.0, v16
	v_add_f32_e32 v33, -1.0, v32
	v_sub_f32_e32 v17, v15, v17
	v_sub_f32_e32 v15, v15, v33
	v_add_f32_e32 v17, v14, v17
	v_add_f32_e32 v14, v14, v15
	;; [unrolled: 1-line block ×3, first 2 shown]
	v_rcp_f32_e32 v39, v37
	v_sub_f32_e32 v15, v32, v37
	v_add_f32_e32 v38, v14, v15
	v_add_f32_e32 v15, v16, v17
	v_mul_f32_e32 v41, v15, v39
	v_sub_f32_e32 v14, v16, v15
	v_mul_f32_e32 v16, v37, v41
	v_fma_f32 v32, v41, v37, -v16
	v_fmac_f32_e32 v32, v41, v38
	v_add_f32_e32 v40, v17, v14
	v_add_f32_e32 v14, v16, v32
	v_sub_f32_e32 v17, v15, v14
	v_pk_add_f32 v[34:35], v[14:15], v[16:17] neg_lo:[0,1] neg_hi:[0,1]
	v_mov_b32_e32 v33, v14
	v_pk_add_f32 v[14:15], v[34:35], v[32:33] neg_lo:[0,1] neg_hi:[0,1]
	v_cmp_neq_f32_e32 vcc, s55, v13
	v_add_f32_e32 v15, v40, v15
	v_add_f32_e32 v14, v14, v15
	;; [unrolled: 1-line block ×3, first 2 shown]
	v_mul_f32_e32 v40, v39, v15
	v_mul_f32_e32 v16, v37, v40
	v_fma_f32 v32, v40, v37, -v16
	v_fmac_f32_e32 v32, v40, v38
	v_sub_f32_e32 v17, v17, v15
	v_add_f32_e32 v37, v14, v17
	v_add_f32_e32 v14, v16, v32
	v_sub_f32_e32 v17, v15, v14
	v_pk_add_f32 v[34:35], v[14:15], v[16:17] neg_lo:[0,1] neg_hi:[0,1]
	v_mov_b32_e32 v33, v14
	v_pk_add_f32 v[14:15], v[34:35], v[32:33] neg_lo:[0,1] neg_hi:[0,1]
	v_cvt_f32_i32_e32 v16, v36
	v_add_f32_e32 v15, v37, v15
	v_add_f32_e32 v14, v14, v15
	v_add_f32_e32 v14, v17, v14
	v_add_f32_e32 v17, v41, v40
	v_sub_f32_e32 v15, v17, v41
	v_mul_f32_e32 v14, v39, v14
	v_sub_f32_e32 v15, v40, v15
	v_add_f32_e32 v14, v15, v14
	v_add_f32_e32 v32, v17, v14
	v_mul_f32_e32 v34, v32, v32
	v_mov_b32_e32 v15, 0x3ecc95a3
	v_sub_f32_e32 v17, v32, v17
	v_fmac_f32_e32 v15, 0x3e9b6dac, v34
	v_sub_f32_e32 v14, v14, v17
	v_fmaak_f32 v15, v34, v15, 0x3f2aaada
	v_ldexp_f32 v35, v14, 1
	v_mul_f32_e32 v17, v32, v34
	v_mov_b32_e32 v14, 0x3f317218
	v_pk_mul_f32 v[14:15], v[16:17], v[14:15]
	v_ldexp_f32 v33, v32, 1
	v_fma_f32 v17, v16, s54, -v14
	v_fmamk_f32 v32, v16, 0xb102e308, v17
	v_pk_add_f32 v[16:17], v[14:15], v[32:33]
	v_mov_b32_e32 v34, v14
	v_sub_f32_e32 v33, v17, v33
	v_sub_f32_e32 v33, v15, v33
	v_add_f32_e32 v35, v35, v33
	v_pk_add_f32 v[14:15], v[16:17], v[14:15] neg_lo:[0,1] neg_hi:[0,1]
	v_pk_add_f32 v[36:37], v[16:17], v[34:35]
	v_mov_b32_e32 v33, v16
	v_mov_b32_e32 v15, v37
	v_pk_add_f32 v[38:39], v[32:33], v[14:15] neg_lo:[0,1] neg_hi:[0,1]
	v_pk_add_f32 v[14:15], v[32:33], v[14:15]
	v_mov_b32_e32 v34, v35
	v_pk_add_f32 v[32:33], v[14:15], v[16:17] op_sel:[1,0] op_sel_hi:[0,1] neg_lo:[0,1] neg_hi:[0,1]
	v_pk_add_f32 v[40:41], v[36:37], v[32:33] op_sel_hi:[1,0] neg_lo:[0,1] neg_hi:[0,1]
	v_mov_b32_e32 v36, v37
	v_mov_b32_e32 v37, v15
	v_pk_mov_b32 v[32:33], v[16:17], v[32:33] op_sel:[1,0]
	v_mov_b32_e32 v35, v16
	v_pk_add_f32 v[32:33], v[36:37], v[32:33] neg_lo:[0,1] neg_hi:[0,1]
	v_mov_b32_e32 v40, v38
	v_pk_add_f32 v[16:17], v[34:35], v[32:33] neg_lo:[0,1] neg_hi:[0,1]
	v_mov_b32_e32 v39, v15
	v_pk_add_f32 v[32:33], v[40:41], v[16:17]
	s_mov_b32 s54, 0x33800000
	v_pk_add_f32 v[34:35], v[32:33], v[32:33] op_sel:[0,1] op_sel_hi:[1,0]
	s_nop 0
	v_pk_add_f32 v[14:15], v[14:15], v[34:35] op_sel:[1,0] op_sel_hi:[0,1]
	v_mov_b32_e32 v33, v14
	v_pk_add_f32 v[36:37], v[32:33], v[38:39] neg_lo:[0,1] neg_hi:[0,1]
	v_mov_b32_e32 v17, v34
	v_sub_f32_e32 v15, v32, v36
	v_pk_add_f32 v[16:17], v[16:17], v[36:37] neg_lo:[0,1] neg_hi:[0,1]
	v_sub_f32_e32 v15, v38, v15
	v_add_f32_e32 v15, v16, v15
	v_add_f32_e32 v15, v15, v17
	;; [unrolled: 1-line block ×3, first 2 shown]
	v_cndmask_b32_e32 v14, v42, v14, vcc
	v_cmp_lt_f32_e64 vcc, |v13|, s54
	s_nop 1
	v_cndmask_b32_e32 v13, v14, v13, vcc
	v_add_f32_e32 v10, v10, v13
	v_cvt_f16_f32_e32 v14, v10
.LBB416_66:
	s_or_b64 exec, exec, s[36:37]
	v_and_b32_e32 v13, 0xffff, v14
	v_mov_b32_e32 v10, v14
.LBB416_67:
	s_or_b64 exec, exec, s[38:39]
	v_mov_b32_dpp v14, v13 row_shr:2 row_mask:0xf bank_mask:0xf
	v_cmp_lt_u32_e32 vcc, 1, v12
	s_and_saveexec_b64 s[38:39], vcc
	s_cbranch_execz .LBB416_71
; %bb.68:
	v_cvt_f32_f16_e32 v15, v14
	v_cvt_f32_f16_e32 v16, v10
	v_cmp_u_f16_e32 vcc, v14, v14
	v_cmp_u_f16_e64 s[36:37], v10, v10
	v_min_f32_e32 v13, v15, v16
	v_max_f32_e32 v10, v15, v16
	v_cndmask_b32_e32 v13, v13, v15, vcc
	v_cndmask_b32_e32 v10, v10, v15, vcc
	v_cndmask_b32_e64 v13, v13, v16, s[36:37]
	v_cndmask_b32_e64 v10, v10, v16, s[36:37]
	s_movk_i32 s36, 0x1f8
	v_cmp_neq_f32_e32 vcc, v13, v10
	v_cmp_class_f32_e64 s[36:37], v13, s36
	s_or_b64 s[54:55], vcc, s[36:37]
	s_and_saveexec_b64 s[36:37], s[54:55]
	s_cbranch_execz .LBB416_70
; %bb.69:
	v_sub_f32_e32 v13, v13, v10
	s_mov_b32 s54, 0x3fb8aa3b
	v_mul_f32_e32 v14, 0x3fb8aa3b, v13
	v_fma_f32 v15, v13, s54, -v14
	v_rndne_f32_e32 v16, v14
	v_fmamk_f32 v15, v13, 0x32a5705f, v15
	v_sub_f32_e32 v14, v14, v16
	v_add_f32_e32 v14, v14, v15
	v_exp_f32_e32 v14, v14
	v_cvt_i32_f32_e32 v15, v16
	s_mov_b32 s54, 0xc2ce8ed0
	v_cmp_ngt_f32_e32 vcc, s54, v13
	s_mov_b32 s54, 0x42b17218
	v_ldexp_f32 v14, v14, v15
	v_cndmask_b32_e32 v14, 0, v14, vcc
	v_mov_b32_e32 v42, 0x7f800000
	v_cmp_nlt_f32_e32 vcc, s54, v13
	s_mov_b32 s54, 0x3f2aaaab
	s_mov_b32 s55, 0x7f800000
	v_cndmask_b32_e32 v13, v42, v14, vcc
	v_add_f32_e32 v16, 1.0, v13
	v_add_f32_e32 v14, -1.0, v16
	v_sub_f32_e32 v15, v14, v16
	v_add_f32_e32 v15, 1.0, v15
	v_sub_f32_e32 v14, v13, v14
	v_add_f32_e32 v17, v14, v15
	v_frexp_mant_f32_e32 v32, v16
	v_cvt_f64_f32_e32 v[14:15], v16
	v_frexp_exp_i32_f64_e32 v14, v[14:15]
	v_cmp_gt_f32_e32 vcc, s54, v32
	s_mov_b32 s54, 0x3f317218
	s_nop 0
	v_subbrev_co_u32_e32 v36, vcc, 0, v14, vcc
	v_sub_u32_e32 v14, 0, v36
	v_ldexp_f32 v15, v16, v14
	v_add_f32_e32 v16, -1.0, v15
	v_add_f32_e32 v32, 1.0, v15
	v_ldexp_f32 v14, v17, v14
	v_add_f32_e32 v17, 1.0, v16
	v_add_f32_e32 v33, -1.0, v32
	v_sub_f32_e32 v17, v15, v17
	v_sub_f32_e32 v15, v15, v33
	v_add_f32_e32 v17, v14, v17
	v_add_f32_e32 v14, v14, v15
	;; [unrolled: 1-line block ×3, first 2 shown]
	v_rcp_f32_e32 v39, v37
	v_sub_f32_e32 v15, v32, v37
	v_add_f32_e32 v38, v14, v15
	v_add_f32_e32 v15, v16, v17
	v_mul_f32_e32 v41, v15, v39
	v_sub_f32_e32 v14, v16, v15
	v_mul_f32_e32 v16, v37, v41
	v_fma_f32 v32, v41, v37, -v16
	v_fmac_f32_e32 v32, v41, v38
	v_add_f32_e32 v40, v17, v14
	v_add_f32_e32 v14, v16, v32
	v_sub_f32_e32 v17, v15, v14
	v_pk_add_f32 v[34:35], v[14:15], v[16:17] neg_lo:[0,1] neg_hi:[0,1]
	v_mov_b32_e32 v33, v14
	v_pk_add_f32 v[14:15], v[34:35], v[32:33] neg_lo:[0,1] neg_hi:[0,1]
	v_cmp_neq_f32_e32 vcc, s55, v13
	v_add_f32_e32 v15, v40, v15
	v_add_f32_e32 v14, v14, v15
	;; [unrolled: 1-line block ×3, first 2 shown]
	v_mul_f32_e32 v40, v39, v15
	v_mul_f32_e32 v16, v37, v40
	v_fma_f32 v32, v40, v37, -v16
	v_fmac_f32_e32 v32, v40, v38
	v_sub_f32_e32 v17, v17, v15
	v_add_f32_e32 v37, v14, v17
	v_add_f32_e32 v14, v16, v32
	v_sub_f32_e32 v17, v15, v14
	v_pk_add_f32 v[34:35], v[14:15], v[16:17] neg_lo:[0,1] neg_hi:[0,1]
	v_mov_b32_e32 v33, v14
	v_pk_add_f32 v[14:15], v[34:35], v[32:33] neg_lo:[0,1] neg_hi:[0,1]
	v_cvt_f32_i32_e32 v16, v36
	v_add_f32_e32 v15, v37, v15
	v_add_f32_e32 v14, v14, v15
	;; [unrolled: 1-line block ×4, first 2 shown]
	v_sub_f32_e32 v15, v17, v41
	v_mul_f32_e32 v14, v39, v14
	v_sub_f32_e32 v15, v40, v15
	v_add_f32_e32 v14, v15, v14
	v_add_f32_e32 v32, v17, v14
	v_mul_f32_e32 v34, v32, v32
	v_mov_b32_e32 v15, 0x3ecc95a3
	v_sub_f32_e32 v17, v32, v17
	v_fmac_f32_e32 v15, 0x3e9b6dac, v34
	v_sub_f32_e32 v14, v14, v17
	v_fmaak_f32 v15, v34, v15, 0x3f2aaada
	v_ldexp_f32 v35, v14, 1
	v_mul_f32_e32 v17, v32, v34
	v_mov_b32_e32 v14, 0x3f317218
	v_pk_mul_f32 v[14:15], v[16:17], v[14:15]
	v_ldexp_f32 v33, v32, 1
	v_fma_f32 v17, v16, s54, -v14
	v_fmamk_f32 v32, v16, 0xb102e308, v17
	v_pk_add_f32 v[16:17], v[14:15], v[32:33]
	v_mov_b32_e32 v34, v14
	v_sub_f32_e32 v33, v17, v33
	v_sub_f32_e32 v33, v15, v33
	v_add_f32_e32 v35, v35, v33
	v_pk_add_f32 v[14:15], v[16:17], v[14:15] neg_lo:[0,1] neg_hi:[0,1]
	v_pk_add_f32 v[36:37], v[16:17], v[34:35]
	v_mov_b32_e32 v33, v16
	v_mov_b32_e32 v15, v37
	v_pk_add_f32 v[38:39], v[32:33], v[14:15] neg_lo:[0,1] neg_hi:[0,1]
	v_pk_add_f32 v[14:15], v[32:33], v[14:15]
	v_mov_b32_e32 v34, v35
	v_pk_add_f32 v[32:33], v[14:15], v[16:17] op_sel:[1,0] op_sel_hi:[0,1] neg_lo:[0,1] neg_hi:[0,1]
	v_pk_add_f32 v[40:41], v[36:37], v[32:33] op_sel_hi:[1,0] neg_lo:[0,1] neg_hi:[0,1]
	v_mov_b32_e32 v36, v37
	v_mov_b32_e32 v37, v15
	v_pk_mov_b32 v[32:33], v[16:17], v[32:33] op_sel:[1,0]
	v_mov_b32_e32 v35, v16
	v_pk_add_f32 v[32:33], v[36:37], v[32:33] neg_lo:[0,1] neg_hi:[0,1]
	v_mov_b32_e32 v40, v38
	v_pk_add_f32 v[16:17], v[34:35], v[32:33] neg_lo:[0,1] neg_hi:[0,1]
	v_mov_b32_e32 v39, v15
	v_pk_add_f32 v[32:33], v[40:41], v[16:17]
	s_mov_b32 s54, 0x33800000
	v_pk_add_f32 v[34:35], v[32:33], v[32:33] op_sel:[0,1] op_sel_hi:[1,0]
	s_nop 0
	v_pk_add_f32 v[14:15], v[14:15], v[34:35] op_sel:[1,0] op_sel_hi:[0,1]
	v_mov_b32_e32 v33, v14
	v_pk_add_f32 v[36:37], v[32:33], v[38:39] neg_lo:[0,1] neg_hi:[0,1]
	v_mov_b32_e32 v17, v34
	v_sub_f32_e32 v15, v32, v36
	v_pk_add_f32 v[16:17], v[16:17], v[36:37] neg_lo:[0,1] neg_hi:[0,1]
	v_sub_f32_e32 v15, v38, v15
	v_add_f32_e32 v15, v16, v15
	v_add_f32_e32 v15, v15, v17
	;; [unrolled: 1-line block ×3, first 2 shown]
	v_cndmask_b32_e32 v14, v42, v14, vcc
	v_cmp_lt_f32_e64 vcc, |v13|, s54
	s_nop 1
	v_cndmask_b32_e32 v13, v14, v13, vcc
	v_add_f32_e32 v10, v10, v13
	v_cvt_f16_f32_e32 v14, v10
.LBB416_70:
	s_or_b64 exec, exec, s[36:37]
	v_and_b32_e32 v13, 0xffff, v14
	v_mov_b32_e32 v10, v14
.LBB416_71:
	s_or_b64 exec, exec, s[38:39]
	v_mov_b32_dpp v14, v13 row_shr:4 row_mask:0xf bank_mask:0xf
	v_cmp_lt_u32_e32 vcc, 3, v12
	s_and_saveexec_b64 s[38:39], vcc
	s_cbranch_execz .LBB416_75
; %bb.72:
	v_cvt_f32_f16_e32 v15, v14
	v_cvt_f32_f16_e32 v16, v10
	v_cmp_u_f16_e32 vcc, v14, v14
	v_cmp_u_f16_e64 s[36:37], v10, v10
	v_min_f32_e32 v13, v15, v16
	v_max_f32_e32 v10, v15, v16
	v_cndmask_b32_e32 v13, v13, v15, vcc
	v_cndmask_b32_e32 v10, v10, v15, vcc
	v_cndmask_b32_e64 v13, v13, v16, s[36:37]
	v_cndmask_b32_e64 v10, v10, v16, s[36:37]
	s_movk_i32 s36, 0x1f8
	v_cmp_neq_f32_e32 vcc, v13, v10
	v_cmp_class_f32_e64 s[36:37], v13, s36
	s_or_b64 s[54:55], vcc, s[36:37]
	s_and_saveexec_b64 s[36:37], s[54:55]
	s_cbranch_execz .LBB416_74
; %bb.73:
	v_sub_f32_e32 v13, v13, v10
	s_mov_b32 s54, 0x3fb8aa3b
	v_mul_f32_e32 v14, 0x3fb8aa3b, v13
	v_fma_f32 v15, v13, s54, -v14
	v_rndne_f32_e32 v16, v14
	v_fmamk_f32 v15, v13, 0x32a5705f, v15
	v_sub_f32_e32 v14, v14, v16
	v_add_f32_e32 v14, v14, v15
	v_exp_f32_e32 v14, v14
	v_cvt_i32_f32_e32 v15, v16
	s_mov_b32 s54, 0xc2ce8ed0
	v_cmp_ngt_f32_e32 vcc, s54, v13
	s_mov_b32 s54, 0x42b17218
	v_ldexp_f32 v14, v14, v15
	v_cndmask_b32_e32 v14, 0, v14, vcc
	v_mov_b32_e32 v42, 0x7f800000
	v_cmp_nlt_f32_e32 vcc, s54, v13
	s_mov_b32 s54, 0x3f2aaaab
	s_mov_b32 s55, 0x7f800000
	v_cndmask_b32_e32 v13, v42, v14, vcc
	v_add_f32_e32 v16, 1.0, v13
	v_add_f32_e32 v14, -1.0, v16
	v_sub_f32_e32 v15, v14, v16
	v_add_f32_e32 v15, 1.0, v15
	v_sub_f32_e32 v14, v13, v14
	v_add_f32_e32 v17, v14, v15
	v_frexp_mant_f32_e32 v32, v16
	v_cvt_f64_f32_e32 v[14:15], v16
	v_frexp_exp_i32_f64_e32 v14, v[14:15]
	v_cmp_gt_f32_e32 vcc, s54, v32
	s_mov_b32 s54, 0x3f317218
	s_nop 0
	v_subbrev_co_u32_e32 v36, vcc, 0, v14, vcc
	v_sub_u32_e32 v14, 0, v36
	v_ldexp_f32 v15, v16, v14
	v_add_f32_e32 v16, -1.0, v15
	v_add_f32_e32 v32, 1.0, v15
	v_ldexp_f32 v14, v17, v14
	v_add_f32_e32 v17, 1.0, v16
	v_add_f32_e32 v33, -1.0, v32
	v_sub_f32_e32 v17, v15, v17
	v_sub_f32_e32 v15, v15, v33
	v_add_f32_e32 v17, v14, v17
	v_add_f32_e32 v14, v14, v15
	;; [unrolled: 1-line block ×3, first 2 shown]
	v_rcp_f32_e32 v39, v37
	v_sub_f32_e32 v15, v32, v37
	v_add_f32_e32 v38, v14, v15
	v_add_f32_e32 v15, v16, v17
	v_mul_f32_e32 v41, v15, v39
	v_sub_f32_e32 v14, v16, v15
	v_mul_f32_e32 v16, v37, v41
	v_fma_f32 v32, v41, v37, -v16
	v_fmac_f32_e32 v32, v41, v38
	v_add_f32_e32 v40, v17, v14
	v_add_f32_e32 v14, v16, v32
	v_sub_f32_e32 v17, v15, v14
	v_pk_add_f32 v[34:35], v[14:15], v[16:17] neg_lo:[0,1] neg_hi:[0,1]
	v_mov_b32_e32 v33, v14
	v_pk_add_f32 v[14:15], v[34:35], v[32:33] neg_lo:[0,1] neg_hi:[0,1]
	v_cmp_neq_f32_e32 vcc, s55, v13
	v_add_f32_e32 v15, v40, v15
	v_add_f32_e32 v14, v14, v15
	;; [unrolled: 1-line block ×3, first 2 shown]
	v_mul_f32_e32 v40, v39, v15
	v_mul_f32_e32 v16, v37, v40
	v_fma_f32 v32, v40, v37, -v16
	v_fmac_f32_e32 v32, v40, v38
	v_sub_f32_e32 v17, v17, v15
	v_add_f32_e32 v37, v14, v17
	v_add_f32_e32 v14, v16, v32
	v_sub_f32_e32 v17, v15, v14
	v_pk_add_f32 v[34:35], v[14:15], v[16:17] neg_lo:[0,1] neg_hi:[0,1]
	v_mov_b32_e32 v33, v14
	v_pk_add_f32 v[14:15], v[34:35], v[32:33] neg_lo:[0,1] neg_hi:[0,1]
	v_cvt_f32_i32_e32 v16, v36
	v_add_f32_e32 v15, v37, v15
	v_add_f32_e32 v14, v14, v15
	v_add_f32_e32 v14, v17, v14
	v_add_f32_e32 v17, v41, v40
	v_sub_f32_e32 v15, v17, v41
	v_mul_f32_e32 v14, v39, v14
	v_sub_f32_e32 v15, v40, v15
	v_add_f32_e32 v14, v15, v14
	v_add_f32_e32 v32, v17, v14
	v_mul_f32_e32 v34, v32, v32
	v_mov_b32_e32 v15, 0x3ecc95a3
	v_sub_f32_e32 v17, v32, v17
	v_fmac_f32_e32 v15, 0x3e9b6dac, v34
	v_sub_f32_e32 v14, v14, v17
	v_fmaak_f32 v15, v34, v15, 0x3f2aaada
	v_ldexp_f32 v35, v14, 1
	v_mul_f32_e32 v17, v32, v34
	v_mov_b32_e32 v14, 0x3f317218
	v_pk_mul_f32 v[14:15], v[16:17], v[14:15]
	v_ldexp_f32 v33, v32, 1
	v_fma_f32 v17, v16, s54, -v14
	v_fmamk_f32 v32, v16, 0xb102e308, v17
	v_pk_add_f32 v[16:17], v[14:15], v[32:33]
	v_mov_b32_e32 v34, v14
	v_sub_f32_e32 v33, v17, v33
	v_sub_f32_e32 v33, v15, v33
	v_add_f32_e32 v35, v35, v33
	v_pk_add_f32 v[14:15], v[16:17], v[14:15] neg_lo:[0,1] neg_hi:[0,1]
	v_pk_add_f32 v[36:37], v[16:17], v[34:35]
	v_mov_b32_e32 v33, v16
	v_mov_b32_e32 v15, v37
	v_pk_add_f32 v[38:39], v[32:33], v[14:15] neg_lo:[0,1] neg_hi:[0,1]
	v_pk_add_f32 v[14:15], v[32:33], v[14:15]
	v_mov_b32_e32 v34, v35
	v_pk_add_f32 v[32:33], v[14:15], v[16:17] op_sel:[1,0] op_sel_hi:[0,1] neg_lo:[0,1] neg_hi:[0,1]
	v_pk_add_f32 v[40:41], v[36:37], v[32:33] op_sel_hi:[1,0] neg_lo:[0,1] neg_hi:[0,1]
	v_mov_b32_e32 v36, v37
	v_mov_b32_e32 v37, v15
	v_pk_mov_b32 v[32:33], v[16:17], v[32:33] op_sel:[1,0]
	v_mov_b32_e32 v35, v16
	v_pk_add_f32 v[32:33], v[36:37], v[32:33] neg_lo:[0,1] neg_hi:[0,1]
	v_mov_b32_e32 v40, v38
	v_pk_add_f32 v[16:17], v[34:35], v[32:33] neg_lo:[0,1] neg_hi:[0,1]
	v_mov_b32_e32 v39, v15
	v_pk_add_f32 v[32:33], v[40:41], v[16:17]
	s_mov_b32 s54, 0x33800000
	v_pk_add_f32 v[34:35], v[32:33], v[32:33] op_sel:[0,1] op_sel_hi:[1,0]
	s_nop 0
	v_pk_add_f32 v[14:15], v[14:15], v[34:35] op_sel:[1,0] op_sel_hi:[0,1]
	v_mov_b32_e32 v33, v14
	v_pk_add_f32 v[36:37], v[32:33], v[38:39] neg_lo:[0,1] neg_hi:[0,1]
	v_mov_b32_e32 v17, v34
	v_sub_f32_e32 v15, v32, v36
	v_pk_add_f32 v[16:17], v[16:17], v[36:37] neg_lo:[0,1] neg_hi:[0,1]
	v_sub_f32_e32 v15, v38, v15
	v_add_f32_e32 v15, v16, v15
	v_add_f32_e32 v15, v15, v17
	;; [unrolled: 1-line block ×3, first 2 shown]
	v_cndmask_b32_e32 v14, v42, v14, vcc
	v_cmp_lt_f32_e64 vcc, |v13|, s54
	s_nop 1
	v_cndmask_b32_e32 v13, v14, v13, vcc
	v_add_f32_e32 v10, v10, v13
	v_cvt_f16_f32_e32 v14, v10
.LBB416_74:
	s_or_b64 exec, exec, s[36:37]
	v_and_b32_e32 v13, 0xffff, v14
	v_mov_b32_e32 v10, v14
.LBB416_75:
	s_or_b64 exec, exec, s[38:39]
	v_mov_b32_dpp v14, v13 row_shr:8 row_mask:0xf bank_mask:0xf
	v_cmp_lt_u32_e32 vcc, 7, v12
	s_and_saveexec_b64 s[38:39], vcc
	s_cbranch_execz .LBB416_79
; %bb.76:
	v_cvt_f32_f16_e32 v13, v14
	v_cvt_f32_f16_e32 v15, v10
	v_cmp_u_f16_e32 vcc, v14, v14
	v_cmp_u_f16_e64 s[36:37], v10, v10
	v_min_f32_e32 v12, v13, v15
	v_max_f32_e32 v10, v13, v15
	v_cndmask_b32_e32 v12, v12, v13, vcc
	v_cndmask_b32_e32 v10, v10, v13, vcc
	v_cndmask_b32_e64 v12, v12, v15, s[36:37]
	v_cndmask_b32_e64 v10, v10, v15, s[36:37]
	s_movk_i32 s36, 0x1f8
	v_cmp_neq_f32_e32 vcc, v12, v10
	v_cmp_class_f32_e64 s[36:37], v12, s36
	s_or_b64 s[54:55], vcc, s[36:37]
	s_and_saveexec_b64 s[36:37], s[54:55]
	s_cbranch_execz .LBB416_78
; %bb.77:
	v_sub_f32_e32 v12, v12, v10
	s_mov_b32 s54, 0x3fb8aa3b
	v_mul_f32_e32 v13, 0x3fb8aa3b, v12
	v_fma_f32 v14, v12, s54, -v13
	v_rndne_f32_e32 v15, v13
	v_fmamk_f32 v14, v12, 0x32a5705f, v14
	v_sub_f32_e32 v13, v13, v15
	v_add_f32_e32 v13, v13, v14
	v_exp_f32_e32 v13, v13
	v_cvt_i32_f32_e32 v14, v15
	s_mov_b32 s54, 0xc2ce8ed0
	v_cmp_ngt_f32_e32 vcc, s54, v12
	s_mov_b32 s54, 0x42b17218
	v_ldexp_f32 v13, v13, v14
	v_cndmask_b32_e32 v13, 0, v13, vcc
	v_mov_b32_e32 v40, 0x7f800000
	v_cmp_nlt_f32_e32 vcc, s54, v12
	s_mov_b32 s54, 0x3f2aaaab
	s_mov_b32 s55, 0x7f800000
	v_cndmask_b32_e32 v41, v40, v13, vcc
	v_add_f32_e32 v14, 1.0, v41
	v_add_f32_e32 v12, -1.0, v14
	v_sub_f32_e32 v13, v12, v14
	v_add_f32_e32 v13, 1.0, v13
	v_sub_f32_e32 v12, v41, v12
	v_add_f32_e32 v15, v12, v13
	v_frexp_mant_f32_e32 v16, v14
	v_cvt_f64_f32_e32 v[12:13], v14
	v_frexp_exp_i32_f64_e32 v12, v[12:13]
	v_cmp_gt_f32_e32 vcc, s54, v16
	s_mov_b32 s54, 0x3f317218
	s_nop 0
	v_subbrev_co_u32_e32 v34, vcc, 0, v12, vcc
	v_sub_u32_e32 v12, 0, v34
	v_ldexp_f32 v13, v14, v12
	v_add_f32_e32 v14, -1.0, v13
	v_add_f32_e32 v16, 1.0, v13
	v_ldexp_f32 v12, v15, v12
	v_add_f32_e32 v15, 1.0, v14
	v_add_f32_e32 v17, -1.0, v16
	v_sub_f32_e32 v15, v13, v15
	v_sub_f32_e32 v13, v13, v17
	v_add_f32_e32 v15, v12, v15
	v_add_f32_e32 v12, v12, v13
	;; [unrolled: 1-line block ×3, first 2 shown]
	v_rcp_f32_e32 v37, v35
	v_sub_f32_e32 v13, v16, v35
	v_add_f32_e32 v36, v12, v13
	v_add_f32_e32 v13, v14, v15
	v_mul_f32_e32 v39, v13, v37
	v_sub_f32_e32 v12, v14, v13
	v_mul_f32_e32 v14, v35, v39
	v_fma_f32 v16, v39, v35, -v14
	v_fmac_f32_e32 v16, v39, v36
	v_add_f32_e32 v38, v15, v12
	v_add_f32_e32 v12, v14, v16
	v_sub_f32_e32 v15, v13, v12
	v_pk_add_f32 v[32:33], v[12:13], v[14:15] neg_lo:[0,1] neg_hi:[0,1]
	v_mov_b32_e32 v17, v12
	v_pk_add_f32 v[12:13], v[32:33], v[16:17] neg_lo:[0,1] neg_hi:[0,1]
	v_cmp_neq_f32_e32 vcc, s55, v41
	v_add_f32_e32 v13, v38, v13
	v_add_f32_e32 v12, v12, v13
	v_add_f32_e32 v13, v15, v12
	v_mul_f32_e32 v38, v37, v13
	v_mul_f32_e32 v14, v35, v38
	v_fma_f32 v16, v38, v35, -v14
	v_fmac_f32_e32 v16, v38, v36
	v_sub_f32_e32 v15, v15, v13
	v_add_f32_e32 v35, v12, v15
	v_add_f32_e32 v12, v14, v16
	v_sub_f32_e32 v15, v13, v12
	v_pk_add_f32 v[32:33], v[12:13], v[14:15] neg_lo:[0,1] neg_hi:[0,1]
	v_mov_b32_e32 v17, v12
	v_pk_add_f32 v[12:13], v[32:33], v[16:17] neg_lo:[0,1] neg_hi:[0,1]
	v_cvt_f32_i32_e32 v14, v34
	v_add_f32_e32 v13, v35, v13
	v_add_f32_e32 v12, v12, v13
	;; [unrolled: 1-line block ×4, first 2 shown]
	v_sub_f32_e32 v13, v15, v39
	v_mul_f32_e32 v12, v37, v12
	v_sub_f32_e32 v13, v38, v13
	v_add_f32_e32 v12, v13, v12
	v_add_f32_e32 v16, v15, v12
	v_mul_f32_e32 v32, v16, v16
	v_mov_b32_e32 v13, 0x3ecc95a3
	v_sub_f32_e32 v15, v16, v15
	v_fmac_f32_e32 v13, 0x3e9b6dac, v32
	v_sub_f32_e32 v12, v12, v15
	v_fmaak_f32 v13, v32, v13, 0x3f2aaada
	v_ldexp_f32 v33, v12, 1
	v_mul_f32_e32 v15, v16, v32
	v_mov_b32_e32 v12, 0x3f317218
	v_pk_mul_f32 v[12:13], v[14:15], v[12:13]
	v_ldexp_f32 v17, v16, 1
	v_fma_f32 v15, v14, s54, -v12
	v_fmamk_f32 v16, v14, 0xb102e308, v15
	v_pk_add_f32 v[14:15], v[12:13], v[16:17]
	v_mov_b32_e32 v32, v12
	v_sub_f32_e32 v17, v15, v17
	v_sub_f32_e32 v17, v13, v17
	v_add_f32_e32 v33, v33, v17
	v_pk_add_f32 v[12:13], v[14:15], v[12:13] neg_lo:[0,1] neg_hi:[0,1]
	v_pk_add_f32 v[34:35], v[14:15], v[32:33]
	v_mov_b32_e32 v17, v14
	v_mov_b32_e32 v13, v35
	v_pk_add_f32 v[36:37], v[16:17], v[12:13] neg_lo:[0,1] neg_hi:[0,1]
	v_pk_add_f32 v[12:13], v[16:17], v[12:13]
	v_mov_b32_e32 v32, v33
	v_pk_add_f32 v[16:17], v[12:13], v[14:15] op_sel:[1,0] op_sel_hi:[0,1] neg_lo:[0,1] neg_hi:[0,1]
	v_pk_add_f32 v[38:39], v[34:35], v[16:17] op_sel_hi:[1,0] neg_lo:[0,1] neg_hi:[0,1]
	v_mov_b32_e32 v34, v35
	v_mov_b32_e32 v35, v13
	v_pk_mov_b32 v[16:17], v[14:15], v[16:17] op_sel:[1,0]
	v_mov_b32_e32 v33, v14
	v_pk_add_f32 v[16:17], v[34:35], v[16:17] neg_lo:[0,1] neg_hi:[0,1]
	v_mov_b32_e32 v38, v36
	v_pk_add_f32 v[14:15], v[32:33], v[16:17] neg_lo:[0,1] neg_hi:[0,1]
	v_mov_b32_e32 v37, v13
	v_pk_add_f32 v[16:17], v[38:39], v[14:15]
	s_mov_b32 s54, 0x33800000
	v_pk_add_f32 v[32:33], v[16:17], v[16:17] op_sel:[0,1] op_sel_hi:[1,0]
	s_nop 0
	v_pk_add_f32 v[12:13], v[12:13], v[32:33] op_sel:[1,0] op_sel_hi:[0,1]
	v_mov_b32_e32 v17, v12
	v_pk_add_f32 v[34:35], v[16:17], v[36:37] neg_lo:[0,1] neg_hi:[0,1]
	v_mov_b32_e32 v15, v32
	v_sub_f32_e32 v13, v16, v34
	v_pk_add_f32 v[14:15], v[14:15], v[34:35] neg_lo:[0,1] neg_hi:[0,1]
	v_sub_f32_e32 v13, v36, v13
	v_add_f32_e32 v13, v14, v13
	v_add_f32_e32 v13, v13, v15
	v_add_f32_e32 v12, v12, v13
	v_cndmask_b32_e32 v12, v40, v12, vcc
	v_cmp_lt_f32_e64 vcc, |v41|, s54
	s_nop 1
	v_cndmask_b32_e32 v12, v12, v41, vcc
	v_add_f32_e32 v10, v10, v12
	v_cvt_f16_f32_e32 v14, v10
.LBB416_78:
	s_or_b64 exec, exec, s[36:37]
	v_and_b32_e32 v13, 0xffff, v14
	v_mov_b32_e32 v10, v14
.LBB416_79:
	s_or_b64 exec, exec, s[38:39]
	v_and_b32_e32 v14, 16, v11
	v_mov_b32_dpp v12, v13 row_bcast:15 row_mask:0xf bank_mask:0xf
	v_cmp_ne_u32_e32 vcc, 0, v14
	s_and_saveexec_b64 s[38:39], vcc
	s_cbranch_execz .LBB416_83
; %bb.80:
	v_cvt_f32_f16_e32 v14, v12
	v_cvt_f32_f16_e32 v15, v10
	v_cmp_u_f16_e32 vcc, v12, v12
	v_cmp_u_f16_e64 s[36:37], v10, v10
	v_min_f32_e32 v13, v14, v15
	v_max_f32_e32 v10, v14, v15
	v_cndmask_b32_e32 v13, v13, v14, vcc
	v_cndmask_b32_e32 v10, v10, v14, vcc
	v_cndmask_b32_e64 v13, v13, v15, s[36:37]
	v_cndmask_b32_e64 v10, v10, v15, s[36:37]
	s_movk_i32 s36, 0x1f8
	v_cmp_neq_f32_e32 vcc, v13, v10
	v_cmp_class_f32_e64 s[36:37], v13, s36
	s_or_b64 s[54:55], vcc, s[36:37]
	s_and_saveexec_b64 s[36:37], s[54:55]
	s_cbranch_execz .LBB416_82
; %bb.81:
	v_sub_f32_e32 v12, v13, v10
	s_mov_b32 s54, 0x3fb8aa3b
	v_mul_f32_e32 v13, 0x3fb8aa3b, v12
	v_fma_f32 v14, v12, s54, -v13
	v_rndne_f32_e32 v15, v13
	v_fmamk_f32 v14, v12, 0x32a5705f, v14
	v_sub_f32_e32 v13, v13, v15
	v_add_f32_e32 v13, v13, v14
	v_exp_f32_e32 v13, v13
	v_cvt_i32_f32_e32 v14, v15
	s_mov_b32 s54, 0xc2ce8ed0
	v_cmp_ngt_f32_e32 vcc, s54, v12
	s_mov_b32 s54, 0x42b17218
	v_ldexp_f32 v13, v13, v14
	v_cndmask_b32_e32 v13, 0, v13, vcc
	v_mov_b32_e32 v40, 0x7f800000
	v_cmp_nlt_f32_e32 vcc, s54, v12
	s_mov_b32 s54, 0x3f2aaaab
	s_mov_b32 s55, 0x7f800000
	v_cndmask_b32_e32 v41, v40, v13, vcc
	v_add_f32_e32 v14, 1.0, v41
	v_add_f32_e32 v12, -1.0, v14
	v_sub_f32_e32 v13, v12, v14
	v_add_f32_e32 v13, 1.0, v13
	v_sub_f32_e32 v12, v41, v12
	v_add_f32_e32 v15, v12, v13
	v_frexp_mant_f32_e32 v16, v14
	v_cvt_f64_f32_e32 v[12:13], v14
	v_frexp_exp_i32_f64_e32 v12, v[12:13]
	v_cmp_gt_f32_e32 vcc, s54, v16
	s_mov_b32 s54, 0x3f317218
	s_nop 0
	v_subbrev_co_u32_e32 v34, vcc, 0, v12, vcc
	v_sub_u32_e32 v12, 0, v34
	v_ldexp_f32 v13, v14, v12
	v_add_f32_e32 v14, -1.0, v13
	v_add_f32_e32 v16, 1.0, v13
	v_ldexp_f32 v12, v15, v12
	v_add_f32_e32 v15, 1.0, v14
	v_add_f32_e32 v17, -1.0, v16
	v_sub_f32_e32 v15, v13, v15
	v_sub_f32_e32 v13, v13, v17
	v_add_f32_e32 v15, v12, v15
	v_add_f32_e32 v12, v12, v13
	;; [unrolled: 1-line block ×3, first 2 shown]
	v_rcp_f32_e32 v37, v35
	v_sub_f32_e32 v13, v16, v35
	v_add_f32_e32 v36, v12, v13
	v_add_f32_e32 v13, v14, v15
	v_mul_f32_e32 v39, v13, v37
	v_sub_f32_e32 v12, v14, v13
	v_mul_f32_e32 v14, v35, v39
	v_fma_f32 v16, v39, v35, -v14
	v_fmac_f32_e32 v16, v39, v36
	v_add_f32_e32 v38, v15, v12
	v_add_f32_e32 v12, v14, v16
	v_sub_f32_e32 v15, v13, v12
	v_pk_add_f32 v[32:33], v[12:13], v[14:15] neg_lo:[0,1] neg_hi:[0,1]
	v_mov_b32_e32 v17, v12
	v_pk_add_f32 v[12:13], v[32:33], v[16:17] neg_lo:[0,1] neg_hi:[0,1]
	v_cmp_neq_f32_e32 vcc, s55, v41
	v_add_f32_e32 v13, v38, v13
	v_add_f32_e32 v12, v12, v13
	;; [unrolled: 1-line block ×3, first 2 shown]
	v_mul_f32_e32 v38, v37, v13
	v_mul_f32_e32 v14, v35, v38
	v_fma_f32 v16, v38, v35, -v14
	v_fmac_f32_e32 v16, v38, v36
	v_sub_f32_e32 v15, v15, v13
	v_add_f32_e32 v35, v12, v15
	v_add_f32_e32 v12, v14, v16
	v_sub_f32_e32 v15, v13, v12
	v_pk_add_f32 v[32:33], v[12:13], v[14:15] neg_lo:[0,1] neg_hi:[0,1]
	v_mov_b32_e32 v17, v12
	v_pk_add_f32 v[12:13], v[32:33], v[16:17] neg_lo:[0,1] neg_hi:[0,1]
	v_cvt_f32_i32_e32 v14, v34
	v_add_f32_e32 v13, v35, v13
	v_add_f32_e32 v12, v12, v13
	;; [unrolled: 1-line block ×4, first 2 shown]
	v_sub_f32_e32 v13, v15, v39
	v_mul_f32_e32 v12, v37, v12
	v_sub_f32_e32 v13, v38, v13
	v_add_f32_e32 v12, v13, v12
	v_add_f32_e32 v16, v15, v12
	v_mul_f32_e32 v32, v16, v16
	v_mov_b32_e32 v13, 0x3ecc95a3
	v_sub_f32_e32 v15, v16, v15
	v_fmac_f32_e32 v13, 0x3e9b6dac, v32
	v_sub_f32_e32 v12, v12, v15
	v_fmaak_f32 v13, v32, v13, 0x3f2aaada
	v_ldexp_f32 v33, v12, 1
	v_mul_f32_e32 v15, v16, v32
	v_mov_b32_e32 v12, 0x3f317218
	v_pk_mul_f32 v[12:13], v[14:15], v[12:13]
	v_ldexp_f32 v17, v16, 1
	v_fma_f32 v15, v14, s54, -v12
	v_fmamk_f32 v16, v14, 0xb102e308, v15
	v_pk_add_f32 v[14:15], v[12:13], v[16:17]
	v_mov_b32_e32 v32, v12
	v_sub_f32_e32 v17, v15, v17
	v_sub_f32_e32 v17, v13, v17
	v_add_f32_e32 v33, v33, v17
	v_pk_add_f32 v[12:13], v[14:15], v[12:13] neg_lo:[0,1] neg_hi:[0,1]
	v_pk_add_f32 v[34:35], v[14:15], v[32:33]
	v_mov_b32_e32 v17, v14
	v_mov_b32_e32 v13, v35
	v_pk_add_f32 v[36:37], v[16:17], v[12:13] neg_lo:[0,1] neg_hi:[0,1]
	v_pk_add_f32 v[12:13], v[16:17], v[12:13]
	v_mov_b32_e32 v32, v33
	v_pk_add_f32 v[16:17], v[12:13], v[14:15] op_sel:[1,0] op_sel_hi:[0,1] neg_lo:[0,1] neg_hi:[0,1]
	v_pk_add_f32 v[38:39], v[34:35], v[16:17] op_sel_hi:[1,0] neg_lo:[0,1] neg_hi:[0,1]
	v_mov_b32_e32 v34, v35
	v_mov_b32_e32 v35, v13
	v_pk_mov_b32 v[16:17], v[14:15], v[16:17] op_sel:[1,0]
	v_mov_b32_e32 v33, v14
	v_pk_add_f32 v[16:17], v[34:35], v[16:17] neg_lo:[0,1] neg_hi:[0,1]
	v_mov_b32_e32 v38, v36
	v_pk_add_f32 v[14:15], v[32:33], v[16:17] neg_lo:[0,1] neg_hi:[0,1]
	v_mov_b32_e32 v37, v13
	v_pk_add_f32 v[16:17], v[38:39], v[14:15]
	s_mov_b32 s54, 0x33800000
	v_pk_add_f32 v[32:33], v[16:17], v[16:17] op_sel:[0,1] op_sel_hi:[1,0]
	s_nop 0
	v_pk_add_f32 v[12:13], v[12:13], v[32:33] op_sel:[1,0] op_sel_hi:[0,1]
	v_mov_b32_e32 v17, v12
	v_pk_add_f32 v[34:35], v[16:17], v[36:37] neg_lo:[0,1] neg_hi:[0,1]
	v_mov_b32_e32 v15, v32
	v_sub_f32_e32 v13, v16, v34
	v_pk_add_f32 v[14:15], v[14:15], v[34:35] neg_lo:[0,1] neg_hi:[0,1]
	v_sub_f32_e32 v13, v36, v13
	v_add_f32_e32 v13, v14, v13
	v_add_f32_e32 v13, v13, v15
	;; [unrolled: 1-line block ×3, first 2 shown]
	v_cndmask_b32_e32 v12, v40, v12, vcc
	v_cmp_lt_f32_e64 vcc, |v41|, s54
	s_nop 1
	v_cndmask_b32_e32 v12, v12, v41, vcc
	v_add_f32_e32 v10, v10, v12
	v_cvt_f16_f32_e32 v12, v10
.LBB416_82:
	s_or_b64 exec, exec, s[36:37]
	v_and_b32_e32 v13, 0xffff, v12
	v_mov_b32_e32 v10, v12
.LBB416_83:
	s_or_b64 exec, exec, s[38:39]
	v_mov_b32_dpp v12, v13 row_bcast:31 row_mask:0xf bank_mask:0xf
	v_cmp_lt_u32_e32 vcc, 31, v11
	s_and_saveexec_b64 s[38:39], vcc
	s_cbranch_execz .LBB416_87
; %bb.84:
	v_cvt_f32_f16_e32 v14, v12
	v_cvt_f32_f16_e32 v15, v10
	v_cmp_u_f16_e32 vcc, v12, v12
	v_cmp_u_f16_e64 s[36:37], v10, v10
	v_min_f32_e32 v13, v14, v15
	v_max_f32_e32 v10, v14, v15
	v_cndmask_b32_e32 v13, v13, v14, vcc
	v_cndmask_b32_e32 v10, v10, v14, vcc
	v_cndmask_b32_e64 v13, v13, v15, s[36:37]
	v_cndmask_b32_e64 v10, v10, v15, s[36:37]
	s_movk_i32 s36, 0x1f8
	v_cmp_neq_f32_e32 vcc, v13, v10
	v_cmp_class_f32_e64 s[36:37], v13, s36
	s_or_b64 s[54:55], vcc, s[36:37]
	s_and_saveexec_b64 s[36:37], s[54:55]
	s_cbranch_execz .LBB416_86
; %bb.85:
	v_sub_f32_e32 v12, v13, v10
	s_mov_b32 s54, 0x3fb8aa3b
	v_mul_f32_e32 v13, 0x3fb8aa3b, v12
	v_fma_f32 v14, v12, s54, -v13
	v_rndne_f32_e32 v15, v13
	v_fmamk_f32 v14, v12, 0x32a5705f, v14
	v_sub_f32_e32 v13, v13, v15
	v_add_f32_e32 v13, v13, v14
	v_exp_f32_e32 v13, v13
	v_cvt_i32_f32_e32 v14, v15
	s_mov_b32 s54, 0xc2ce8ed0
	v_cmp_ngt_f32_e32 vcc, s54, v12
	s_mov_b32 s54, 0x42b17218
	v_ldexp_f32 v13, v13, v14
	v_cndmask_b32_e32 v13, 0, v13, vcc
	v_mov_b32_e32 v40, 0x7f800000
	v_cmp_nlt_f32_e32 vcc, s54, v12
	s_mov_b32 s54, 0x3f2aaaab
	s_mov_b32 s55, 0x7f800000
	v_cndmask_b32_e32 v41, v40, v13, vcc
	v_add_f32_e32 v14, 1.0, v41
	v_add_f32_e32 v12, -1.0, v14
	v_sub_f32_e32 v13, v12, v14
	v_add_f32_e32 v13, 1.0, v13
	v_sub_f32_e32 v12, v41, v12
	v_add_f32_e32 v15, v12, v13
	v_frexp_mant_f32_e32 v16, v14
	v_cvt_f64_f32_e32 v[12:13], v14
	v_frexp_exp_i32_f64_e32 v12, v[12:13]
	v_cmp_gt_f32_e32 vcc, s54, v16
	s_mov_b32 s54, 0x3f317218
	s_nop 0
	v_subbrev_co_u32_e32 v34, vcc, 0, v12, vcc
	v_sub_u32_e32 v12, 0, v34
	v_ldexp_f32 v13, v14, v12
	v_add_f32_e32 v14, -1.0, v13
	v_add_f32_e32 v16, 1.0, v13
	v_ldexp_f32 v12, v15, v12
	v_add_f32_e32 v15, 1.0, v14
	v_add_f32_e32 v17, -1.0, v16
	v_sub_f32_e32 v15, v13, v15
	v_sub_f32_e32 v13, v13, v17
	v_add_f32_e32 v15, v12, v15
	v_add_f32_e32 v12, v12, v13
	;; [unrolled: 1-line block ×3, first 2 shown]
	v_rcp_f32_e32 v37, v35
	v_sub_f32_e32 v13, v16, v35
	v_add_f32_e32 v36, v12, v13
	v_add_f32_e32 v13, v14, v15
	v_mul_f32_e32 v39, v13, v37
	v_sub_f32_e32 v12, v14, v13
	v_mul_f32_e32 v14, v35, v39
	v_fma_f32 v16, v39, v35, -v14
	v_fmac_f32_e32 v16, v39, v36
	v_add_f32_e32 v38, v15, v12
	v_add_f32_e32 v12, v14, v16
	v_sub_f32_e32 v15, v13, v12
	v_pk_add_f32 v[32:33], v[12:13], v[14:15] neg_lo:[0,1] neg_hi:[0,1]
	v_mov_b32_e32 v17, v12
	v_pk_add_f32 v[12:13], v[32:33], v[16:17] neg_lo:[0,1] neg_hi:[0,1]
	v_cmp_neq_f32_e32 vcc, s55, v41
	v_add_f32_e32 v13, v38, v13
	v_add_f32_e32 v12, v12, v13
	;; [unrolled: 1-line block ×3, first 2 shown]
	v_mul_f32_e32 v38, v37, v13
	v_mul_f32_e32 v14, v35, v38
	v_fma_f32 v16, v38, v35, -v14
	v_fmac_f32_e32 v16, v38, v36
	v_sub_f32_e32 v15, v15, v13
	v_add_f32_e32 v35, v12, v15
	v_add_f32_e32 v12, v14, v16
	v_sub_f32_e32 v15, v13, v12
	v_pk_add_f32 v[32:33], v[12:13], v[14:15] neg_lo:[0,1] neg_hi:[0,1]
	v_mov_b32_e32 v17, v12
	v_pk_add_f32 v[12:13], v[32:33], v[16:17] neg_lo:[0,1] neg_hi:[0,1]
	v_cvt_f32_i32_e32 v14, v34
	v_add_f32_e32 v13, v35, v13
	v_add_f32_e32 v12, v12, v13
	;; [unrolled: 1-line block ×4, first 2 shown]
	v_sub_f32_e32 v13, v15, v39
	v_mul_f32_e32 v12, v37, v12
	v_sub_f32_e32 v13, v38, v13
	v_add_f32_e32 v12, v13, v12
	v_add_f32_e32 v16, v15, v12
	v_mul_f32_e32 v32, v16, v16
	v_mov_b32_e32 v13, 0x3ecc95a3
	v_sub_f32_e32 v15, v16, v15
	v_fmac_f32_e32 v13, 0x3e9b6dac, v32
	v_sub_f32_e32 v12, v12, v15
	v_fmaak_f32 v13, v32, v13, 0x3f2aaada
	v_ldexp_f32 v33, v12, 1
	v_mul_f32_e32 v15, v16, v32
	v_mov_b32_e32 v12, 0x3f317218
	v_pk_mul_f32 v[12:13], v[14:15], v[12:13]
	v_ldexp_f32 v17, v16, 1
	v_fma_f32 v15, v14, s54, -v12
	v_fmamk_f32 v16, v14, 0xb102e308, v15
	v_pk_add_f32 v[14:15], v[12:13], v[16:17]
	v_mov_b32_e32 v32, v12
	v_sub_f32_e32 v17, v15, v17
	v_sub_f32_e32 v17, v13, v17
	v_add_f32_e32 v33, v33, v17
	v_pk_add_f32 v[12:13], v[14:15], v[12:13] neg_lo:[0,1] neg_hi:[0,1]
	v_pk_add_f32 v[34:35], v[14:15], v[32:33]
	v_mov_b32_e32 v17, v14
	v_mov_b32_e32 v13, v35
	v_pk_add_f32 v[36:37], v[16:17], v[12:13] neg_lo:[0,1] neg_hi:[0,1]
	v_pk_add_f32 v[12:13], v[16:17], v[12:13]
	v_mov_b32_e32 v32, v33
	v_pk_add_f32 v[16:17], v[12:13], v[14:15] op_sel:[1,0] op_sel_hi:[0,1] neg_lo:[0,1] neg_hi:[0,1]
	v_pk_add_f32 v[38:39], v[34:35], v[16:17] op_sel_hi:[1,0] neg_lo:[0,1] neg_hi:[0,1]
	v_mov_b32_e32 v34, v35
	v_mov_b32_e32 v35, v13
	v_pk_mov_b32 v[16:17], v[14:15], v[16:17] op_sel:[1,0]
	v_mov_b32_e32 v33, v14
	v_pk_add_f32 v[16:17], v[34:35], v[16:17] neg_lo:[0,1] neg_hi:[0,1]
	v_mov_b32_e32 v38, v36
	v_pk_add_f32 v[14:15], v[32:33], v[16:17] neg_lo:[0,1] neg_hi:[0,1]
	v_mov_b32_e32 v37, v13
	v_pk_add_f32 v[16:17], v[38:39], v[14:15]
	s_mov_b32 s54, 0x33800000
	v_pk_add_f32 v[32:33], v[16:17], v[16:17] op_sel:[0,1] op_sel_hi:[1,0]
	s_nop 0
	v_pk_add_f32 v[12:13], v[12:13], v[32:33] op_sel:[1,0] op_sel_hi:[0,1]
	v_mov_b32_e32 v17, v12
	v_pk_add_f32 v[34:35], v[16:17], v[36:37] neg_lo:[0,1] neg_hi:[0,1]
	v_mov_b32_e32 v15, v32
	v_sub_f32_e32 v13, v16, v34
	v_pk_add_f32 v[14:15], v[14:15], v[34:35] neg_lo:[0,1] neg_hi:[0,1]
	v_sub_f32_e32 v13, v36, v13
	v_add_f32_e32 v13, v14, v13
	v_add_f32_e32 v13, v13, v15
	;; [unrolled: 1-line block ×3, first 2 shown]
	v_cndmask_b32_e32 v12, v40, v12, vcc
	v_cmp_lt_f32_e64 vcc, |v41|, s54
	s_nop 1
	v_cndmask_b32_e32 v12, v12, v41, vcc
	v_add_f32_e32 v10, v10, v12
	v_cvt_f16_f32_e32 v12, v10
.LBB416_86:
	s_or_b64 exec, exec, s[36:37]
	v_mov_b32_e32 v10, v12
.LBB416_87:
	s_or_b64 exec, exec, s[38:39]
	v_or_b32_e32 v13, 63, v0
	v_lshrrev_b32_e32 v12, 6, v0
	v_cmp_eq_u32_e32 vcc, v0, v13
	s_and_saveexec_b64 s[36:37], vcc
; %bb.88:
	v_lshlrev_b32_e32 v13, 1, v12
	ds_write_b16 v13, v10
; %bb.89:
	s_or_b64 exec, exec, s[36:37]
	v_cmp_gt_u32_e32 vcc, 2, v0
	s_waitcnt lgkmcnt(0)
	s_barrier
	s_and_saveexec_b64 s[38:39], vcc
	s_cbranch_execz .LBB416_95
; %bb.90:
	ds_read_u16 v13, v2
	v_and_b32_e32 v15, 1, v11
	v_cmp_eq_u32_e32 vcc, 1, v15
	s_waitcnt lgkmcnt(0)
	v_and_b32_e32 v14, 0xffff, v13
	s_nop 1
	v_mov_b32_dpp v14, v14 row_shr:1 row_mask:0xf bank_mask:0xf
	s_and_saveexec_b64 s[54:55], vcc
	s_cbranch_execz .LBB416_94
; %bb.91:
	v_cvt_f32_f16_e32 v16, v14
	v_cvt_f32_f16_e32 v17, v13
	v_cmp_u_f16_e32 vcc, v14, v14
	v_cmp_u_f16_e64 s[36:37], v13, v13
	v_min_f32_e32 v15, v16, v17
	v_max_f32_e32 v13, v16, v17
	v_cndmask_b32_e32 v15, v15, v16, vcc
	v_cndmask_b32_e32 v13, v13, v16, vcc
	v_cndmask_b32_e64 v15, v15, v17, s[36:37]
	v_cndmask_b32_e64 v13, v13, v17, s[36:37]
	s_movk_i32 s36, 0x1f8
	v_cmp_neq_f32_e32 vcc, v15, v13
	v_cmp_class_f32_e64 s[36:37], v15, s36
	s_or_b64 s[58:59], vcc, s[36:37]
	s_and_saveexec_b64 s[36:37], s[58:59]
	s_cbranch_execz .LBB416_93
; %bb.92:
	v_sub_f32_e32 v14, v15, v13
	s_mov_b32 s58, 0x3fb8aa3b
	v_mul_f32_e32 v15, 0x3fb8aa3b, v14
	v_fma_f32 v16, v14, s58, -v15
	v_rndne_f32_e32 v17, v15
	v_fmamk_f32 v16, v14, 0x32a5705f, v16
	v_sub_f32_e32 v15, v15, v17
	v_add_f32_e32 v15, v15, v16
	v_exp_f32_e32 v15, v15
	v_cvt_i32_f32_e32 v16, v17
	s_mov_b32 s58, 0xc2ce8ed0
	v_cmp_ngt_f32_e32 vcc, s58, v14
	s_mov_b32 s58, 0x42b17218
	v_ldexp_f32 v15, v15, v16
	v_cndmask_b32_e32 v15, 0, v15, vcc
	v_mov_b32_e32 v42, 0x7f800000
	v_cmp_nlt_f32_e32 vcc, s58, v14
	s_mov_b32 s58, 0x3f2aaaab
	s_mov_b32 s59, 0x7f800000
	v_cndmask_b32_e32 v43, v42, v15, vcc
	v_add_f32_e32 v16, 1.0, v43
	v_add_f32_e32 v14, -1.0, v16
	v_sub_f32_e32 v15, v14, v16
	v_add_f32_e32 v15, 1.0, v15
	v_sub_f32_e32 v14, v43, v14
	v_add_f32_e32 v17, v14, v15
	v_frexp_mant_f32_e32 v32, v16
	v_cvt_f64_f32_e32 v[14:15], v16
	v_frexp_exp_i32_f64_e32 v14, v[14:15]
	v_cmp_gt_f32_e32 vcc, s58, v32
	s_mov_b32 s58, 0x3f317218
	s_nop 0
	v_subbrev_co_u32_e32 v36, vcc, 0, v14, vcc
	v_sub_u32_e32 v14, 0, v36
	v_ldexp_f32 v15, v16, v14
	v_add_f32_e32 v16, -1.0, v15
	v_add_f32_e32 v32, 1.0, v15
	v_ldexp_f32 v14, v17, v14
	v_add_f32_e32 v17, 1.0, v16
	v_add_f32_e32 v33, -1.0, v32
	v_sub_f32_e32 v17, v15, v17
	v_sub_f32_e32 v15, v15, v33
	v_add_f32_e32 v17, v14, v17
	v_add_f32_e32 v14, v14, v15
	;; [unrolled: 1-line block ×3, first 2 shown]
	v_rcp_f32_e32 v39, v37
	v_sub_f32_e32 v15, v32, v37
	v_add_f32_e32 v38, v14, v15
	v_add_f32_e32 v15, v16, v17
	v_mul_f32_e32 v41, v15, v39
	v_sub_f32_e32 v14, v16, v15
	v_mul_f32_e32 v16, v37, v41
	v_fma_f32 v32, v41, v37, -v16
	v_fmac_f32_e32 v32, v41, v38
	v_add_f32_e32 v40, v17, v14
	v_add_f32_e32 v14, v16, v32
	v_sub_f32_e32 v17, v15, v14
	v_pk_add_f32 v[34:35], v[14:15], v[16:17] neg_lo:[0,1] neg_hi:[0,1]
	v_mov_b32_e32 v33, v14
	v_pk_add_f32 v[14:15], v[34:35], v[32:33] neg_lo:[0,1] neg_hi:[0,1]
	v_cmp_neq_f32_e32 vcc, s59, v43
	v_add_f32_e32 v15, v40, v15
	v_add_f32_e32 v14, v14, v15
	;; [unrolled: 1-line block ×3, first 2 shown]
	v_mul_f32_e32 v40, v39, v15
	v_mul_f32_e32 v16, v37, v40
	v_fma_f32 v32, v40, v37, -v16
	v_fmac_f32_e32 v32, v40, v38
	v_sub_f32_e32 v17, v17, v15
	v_add_f32_e32 v37, v14, v17
	v_add_f32_e32 v14, v16, v32
	v_sub_f32_e32 v17, v15, v14
	v_pk_add_f32 v[34:35], v[14:15], v[16:17] neg_lo:[0,1] neg_hi:[0,1]
	v_mov_b32_e32 v33, v14
	v_pk_add_f32 v[14:15], v[34:35], v[32:33] neg_lo:[0,1] neg_hi:[0,1]
	v_cvt_f32_i32_e32 v16, v36
	v_add_f32_e32 v15, v37, v15
	v_add_f32_e32 v14, v14, v15
	v_add_f32_e32 v14, v17, v14
	v_add_f32_e32 v17, v41, v40
	v_sub_f32_e32 v15, v17, v41
	v_mul_f32_e32 v14, v39, v14
	v_sub_f32_e32 v15, v40, v15
	v_add_f32_e32 v14, v15, v14
	v_add_f32_e32 v32, v17, v14
	v_mul_f32_e32 v34, v32, v32
	v_mov_b32_e32 v15, 0x3ecc95a3
	v_sub_f32_e32 v17, v32, v17
	v_fmac_f32_e32 v15, 0x3e9b6dac, v34
	v_sub_f32_e32 v14, v14, v17
	v_fmaak_f32 v15, v34, v15, 0x3f2aaada
	v_ldexp_f32 v35, v14, 1
	v_mul_f32_e32 v17, v32, v34
	v_mov_b32_e32 v14, 0x3f317218
	v_pk_mul_f32 v[14:15], v[16:17], v[14:15]
	v_ldexp_f32 v33, v32, 1
	v_fma_f32 v17, v16, s58, -v14
	v_fmamk_f32 v32, v16, 0xb102e308, v17
	v_pk_add_f32 v[16:17], v[14:15], v[32:33]
	v_mov_b32_e32 v34, v14
	v_sub_f32_e32 v33, v17, v33
	v_sub_f32_e32 v33, v15, v33
	v_add_f32_e32 v35, v35, v33
	v_pk_add_f32 v[14:15], v[16:17], v[14:15] neg_lo:[0,1] neg_hi:[0,1]
	v_pk_add_f32 v[36:37], v[16:17], v[34:35]
	v_mov_b32_e32 v33, v16
	v_mov_b32_e32 v15, v37
	v_pk_add_f32 v[38:39], v[32:33], v[14:15] neg_lo:[0,1] neg_hi:[0,1]
	v_pk_add_f32 v[14:15], v[32:33], v[14:15]
	v_mov_b32_e32 v34, v35
	v_pk_add_f32 v[32:33], v[14:15], v[16:17] op_sel:[1,0] op_sel_hi:[0,1] neg_lo:[0,1] neg_hi:[0,1]
	v_pk_add_f32 v[40:41], v[36:37], v[32:33] op_sel_hi:[1,0] neg_lo:[0,1] neg_hi:[0,1]
	v_mov_b32_e32 v36, v37
	v_mov_b32_e32 v37, v15
	v_pk_mov_b32 v[32:33], v[16:17], v[32:33] op_sel:[1,0]
	v_mov_b32_e32 v35, v16
	v_pk_add_f32 v[32:33], v[36:37], v[32:33] neg_lo:[0,1] neg_hi:[0,1]
	v_mov_b32_e32 v40, v38
	v_pk_add_f32 v[16:17], v[34:35], v[32:33] neg_lo:[0,1] neg_hi:[0,1]
	v_mov_b32_e32 v39, v15
	v_pk_add_f32 v[32:33], v[40:41], v[16:17]
	s_mov_b32 s58, 0x33800000
	v_pk_add_f32 v[34:35], v[32:33], v[32:33] op_sel:[0,1] op_sel_hi:[1,0]
	s_nop 0
	v_pk_add_f32 v[14:15], v[14:15], v[34:35] op_sel:[1,0] op_sel_hi:[0,1]
	v_mov_b32_e32 v33, v14
	v_pk_add_f32 v[36:37], v[32:33], v[38:39] neg_lo:[0,1] neg_hi:[0,1]
	v_mov_b32_e32 v17, v34
	v_sub_f32_e32 v15, v32, v36
	v_pk_add_f32 v[16:17], v[16:17], v[36:37] neg_lo:[0,1] neg_hi:[0,1]
	v_sub_f32_e32 v15, v38, v15
	v_add_f32_e32 v15, v16, v15
	v_add_f32_e32 v15, v15, v17
	;; [unrolled: 1-line block ×3, first 2 shown]
	v_cndmask_b32_e32 v14, v42, v14, vcc
	v_cmp_lt_f32_e64 vcc, |v43|, s58
	s_nop 1
	v_cndmask_b32_e32 v14, v14, v43, vcc
	v_add_f32_e32 v13, v13, v14
	v_cvt_f16_f32_e32 v14, v13
.LBB416_93:
	s_or_b64 exec, exec, s[36:37]
	v_mov_b32_e32 v13, v14
.LBB416_94:
	s_or_b64 exec, exec, s[54:55]
	ds_write_b16 v2, v13
.LBB416_95:
	s_or_b64 exec, exec, s[38:39]
	v_cmp_gt_u32_e32 vcc, 64, v0
	v_cmp_lt_u32_e64 s[36:37], 63, v0
	s_waitcnt lgkmcnt(0)
	s_barrier
                                        ; implicit-def: $vgpr32
	s_and_saveexec_b64 s[38:39], s[36:37]
	s_cbranch_execz .LBB416_99
; %bb.96:
	v_lshl_add_u32 v12, v12, 1, -2
	ds_read_u16 v32, v12
	v_cvt_f32_f16_e32 v12, v10
	s_movk_i32 s54, 0x1f8
	s_waitcnt lgkmcnt(0)
	v_cvt_f32_f16_e32 v13, v32
	v_cmp_u_f16_e64 s[36:37], v32, v32
	v_min_f32_e32 v14, v13, v12
	v_max_f32_e32 v15, v13, v12
	v_cndmask_b32_e64 v14, v14, v13, s[36:37]
	v_cndmask_b32_e64 v15, v15, v13, s[36:37]
	v_cmp_u_f16_e64 s[36:37], v10, v10
	v_mov_b32_e32 v10, v32
	s_nop 0
	v_cndmask_b32_e64 v13, v14, v12, s[36:37]
	v_cndmask_b32_e64 v12, v15, v12, s[36:37]
	v_cmp_neq_f32_e64 s[36:37], v13, v12
	v_cmp_class_f32_e64 s[54:55], v13, s54
	s_or_b64 s[36:37], s[36:37], s[54:55]
	s_and_saveexec_b64 s[54:55], s[36:37]
	s_cbranch_execz .LBB416_98
; %bb.97:
	v_sub_f32_e32 v10, v13, v12
	s_mov_b32 s36, 0x3fb8aa3b
	v_mul_f32_e32 v13, 0x3fb8aa3b, v10
	v_fma_f32 v14, v10, s36, -v13
	v_rndne_f32_e32 v15, v13
	v_fmamk_f32 v14, v10, 0x32a5705f, v14
	v_sub_f32_e32 v13, v13, v15
	v_add_f32_e32 v13, v13, v14
	v_exp_f32_e32 v13, v13
	v_cvt_i32_f32_e32 v14, v15
	s_mov_b32 s36, 0xc2ce8ed0
	v_cmp_ngt_f32_e64 s[36:37], s36, v10
	v_mov_b32_e32 v33, 0x7f800000
	v_ldexp_f32 v13, v13, v14
	v_cndmask_b32_e64 v13, 0, v13, s[36:37]
	s_mov_b32 s36, 0x42b17218
	v_cmp_nlt_f32_e64 s[36:37], s36, v10
	s_mov_b32 s58, 0x7f800000
	s_nop 0
	v_cndmask_b32_e64 v10, v33, v13, s[36:37]
	v_add_f32_e32 v13, 1.0, v10
	v_add_f32_e32 v14, -1.0, v13
	v_sub_f32_e32 v15, v14, v13
	v_add_f32_e32 v15, 1.0, v15
	v_sub_f32_e32 v14, v10, v14
	v_add_f32_e32 v16, v14, v15
	v_frexp_mant_f32_e32 v17, v13
	s_mov_b32 s36, 0x3f2aaaab
	v_cvt_f64_f32_e32 v[14:15], v13
	v_frexp_exp_i32_f64_e32 v14, v[14:15]
	v_cmp_gt_f32_e64 s[36:37], s36, v17
	s_nop 1
	v_subbrev_co_u32_e64 v38, s[36:37], 0, v14, s[36:37]
	v_sub_u32_e32 v14, 0, v38
	v_ldexp_f32 v13, v13, v14
	v_ldexp_f32 v14, v16, v14
	v_add_f32_e32 v16, -1.0, v13
	v_add_f32_e32 v15, 1.0, v16
	v_sub_f32_e32 v15, v13, v15
	v_add_f32_e32 v17, v14, v15
	v_add_f32_e32 v15, 1.0, v13
	v_add_f32_e32 v34, -1.0, v15
	v_sub_f32_e32 v13, v13, v34
	v_add_f32_e32 v13, v14, v13
	v_add_f32_e32 v39, v15, v13
	v_rcp_f32_e32 v40, v39
	v_sub_f32_e32 v14, v15, v39
	v_add_f32_e32 v15, v16, v17
	v_add_f32_e32 v13, v13, v14
	v_mul_f32_e32 v42, v15, v40
	v_sub_f32_e32 v14, v16, v15
	v_mul_f32_e32 v16, v39, v42
	v_fma_f32 v34, v42, v39, -v16
	v_fmac_f32_e32 v34, v42, v13
	v_add_f32_e32 v41, v17, v14
	v_add_f32_e32 v14, v16, v34
	v_sub_f32_e32 v17, v15, v14
	v_pk_add_f32 v[36:37], v[14:15], v[16:17] neg_lo:[0,1] neg_hi:[0,1]
	v_mov_b32_e32 v35, v14
	v_pk_add_f32 v[14:15], v[36:37], v[34:35] neg_lo:[0,1] neg_hi:[0,1]
	s_mov_b32 s36, 0x3f317218
	v_add_f32_e32 v15, v41, v15
	v_add_f32_e32 v14, v14, v15
	v_add_f32_e32 v15, v17, v14
	v_mul_f32_e32 v41, v40, v15
	v_mul_f32_e32 v16, v39, v41
	v_fma_f32 v34, v41, v39, -v16
	v_fmac_f32_e32 v34, v41, v13
	v_sub_f32_e32 v13, v17, v15
	v_add_f32_e32 v13, v14, v13
	v_add_f32_e32 v14, v16, v34
	v_sub_f32_e32 v17, v15, v14
	v_pk_add_f32 v[36:37], v[14:15], v[16:17] neg_lo:[0,1] neg_hi:[0,1]
	v_mov_b32_e32 v35, v14
	v_pk_add_f32 v[14:15], v[36:37], v[34:35] neg_lo:[0,1] neg_hi:[0,1]
	v_cvt_f32_i32_e32 v16, v38
	v_add_f32_e32 v13, v13, v15
	v_add_f32_e32 v13, v14, v13
	;; [unrolled: 1-line block ×4, first 2 shown]
	v_sub_f32_e32 v15, v14, v42
	v_mul_f32_e32 v13, v40, v13
	v_sub_f32_e32 v15, v41, v15
	v_add_f32_e32 v13, v15, v13
	v_add_f32_e32 v17, v14, v13
	v_mul_f32_e32 v34, v17, v17
	v_mov_b32_e32 v15, 0x3ecc95a3
	v_fmac_f32_e32 v15, 0x3e9b6dac, v34
	v_sub_f32_e32 v14, v17, v14
	v_fmaak_f32 v15, v34, v15, 0x3f2aaada
	v_sub_f32_e32 v13, v13, v14
	v_ldexp_f32 v35, v17, 1
	v_mul_f32_e32 v17, v17, v34
	v_mov_b32_e32 v14, 0x3f317218
	v_pk_mul_f32 v[14:15], v[16:17], v[14:15]
	v_ldexp_f32 v13, v13, 1
	v_fma_f32 v17, v16, s36, -v14
	v_fmamk_f32 v34, v16, 0xb102e308, v17
	v_pk_add_f32 v[16:17], v[14:15], v[34:35]
	v_mov_b32_e32 v36, v14
	v_sub_f32_e32 v35, v17, v35
	v_sub_f32_e32 v35, v15, v35
	v_add_f32_e32 v37, v13, v35
	v_pk_add_f32 v[14:15], v[16:17], v[14:15] neg_lo:[0,1] neg_hi:[0,1]
	v_pk_add_f32 v[38:39], v[16:17], v[36:37]
	v_mov_b32_e32 v35, v16
	v_mov_b32_e32 v15, v39
	v_pk_add_f32 v[40:41], v[34:35], v[14:15] neg_lo:[0,1] neg_hi:[0,1]
	v_pk_add_f32 v[14:15], v[34:35], v[14:15]
	v_mov_b32_e32 v36, v37
	v_pk_add_f32 v[34:35], v[14:15], v[16:17] op_sel:[1,0] op_sel_hi:[0,1] neg_lo:[0,1] neg_hi:[0,1]
	v_pk_add_f32 v[42:43], v[38:39], v[34:35] op_sel_hi:[1,0] neg_lo:[0,1] neg_hi:[0,1]
	v_mov_b32_e32 v38, v39
	v_mov_b32_e32 v39, v15
	v_pk_mov_b32 v[34:35], v[16:17], v[34:35] op_sel:[1,0]
	v_mov_b32_e32 v37, v16
	v_pk_add_f32 v[34:35], v[38:39], v[34:35] neg_lo:[0,1] neg_hi:[0,1]
	v_mov_b32_e32 v42, v40
	v_pk_add_f32 v[16:17], v[36:37], v[34:35] neg_lo:[0,1] neg_hi:[0,1]
	v_mov_b32_e32 v41, v15
	v_pk_add_f32 v[34:35], v[42:43], v[16:17]
	v_cmp_neq_f32_e64 s[36:37], s58, v10
	v_pk_add_f32 v[36:37], v[34:35], v[34:35] op_sel:[0,1] op_sel_hi:[1,0]
	s_nop 0
	v_pk_add_f32 v[14:15], v[14:15], v[36:37] op_sel:[1,0] op_sel_hi:[0,1]
	v_mov_b32_e32 v35, v14
	v_pk_add_f32 v[38:39], v[34:35], v[40:41] neg_lo:[0,1] neg_hi:[0,1]
	v_mov_b32_e32 v17, v36
	v_sub_f32_e32 v13, v34, v38
	v_pk_add_f32 v[16:17], v[16:17], v[38:39] neg_lo:[0,1] neg_hi:[0,1]
	v_sub_f32_e32 v13, v40, v13
	v_add_f32_e32 v13, v16, v13
	v_add_f32_e32 v13, v13, v17
	;; [unrolled: 1-line block ×3, first 2 shown]
	v_cndmask_b32_e64 v13, v33, v13, s[36:37]
	s_mov_b32 s36, 0x33800000
	v_cmp_lt_f32_e64 s[36:37], |v10|, s36
	s_nop 1
	v_cndmask_b32_e64 v10, v13, v10, s[36:37]
	v_add_f32_e32 v10, v12, v10
	v_cvt_f16_f32_e32 v10, v10
.LBB416_98:
	s_or_b64 exec, exec, s[54:55]
.LBB416_99:
	s_or_b64 exec, exec, s[38:39]
	v_subrev_co_u32_e64 v12, s[36:37], 1, v11
	v_and_b32_e32 v13, 64, v11
	v_cmp_lt_i32_e64 s[38:39], v12, v13
	v_and_b32_e32 v10, 0xffff, v10
	s_nop 0
	v_cndmask_b32_e64 v12, v12, v11, s[38:39]
	v_lshlrev_b32_e32 v12, 2, v12
	ds_bpermute_b32 v33, v12, v10
	s_and_saveexec_b64 s[54:55], vcc
	s_cbranch_execz .LBB416_171
; %bb.100:
	v_mov_b32_e32 v13, 0
	ds_read_u16 v34, v13 offset:2
	s_and_saveexec_b64 s[38:39], s[36:37]
	s_cbranch_execz .LBB416_102
; %bb.101:
	s_add_i32 s58, s61, 64
	s_mov_b32 s59, 0
	s_lshl_b64 s[58:59], s[58:59], 2
	s_add_u32 s58, s56, s58
	s_addc_u32 s59, s57, s59
	s_waitcnt lgkmcnt(0)
	v_or_b32_e32 v10, 0x10000, v34
	global_store_dword v13, v10, s[58:59] sc1
.LBB416_102:
	s_or_b64 exec, exec, s[38:39]
	v_xad_u32 v10, v11, -1, s61
	v_add_u32_e32 v12, 64, v10
	v_lshl_add_u64 v[14:15], v[12:13], 2, s[56:57]
	global_load_dword v52, v[14:15], off sc1
	s_waitcnt vmcnt(0)
	v_lshrrev_b32_e32 v35, 16, v52
	v_cmp_eq_u16_sdwa s[58:59], v35, v13 src0_sel:BYTE_0 src1_sel:DWORD
	s_and_saveexec_b64 s[38:39], s[58:59]
	s_cbranch_execz .LBB416_106
; %bb.103:
	s_mov_b64 s[58:59], 0
	v_mov_b32_e32 v12, 0
.LBB416_104:                            ; =>This Inner Loop Header: Depth=1
	global_load_dword v52, v[14:15], off sc1
	s_waitcnt vmcnt(0)
	v_lshrrev_b32_e32 v35, 16, v52
	v_cmp_ne_u16_sdwa s[62:63], v35, v12 src0_sel:BYTE_0 src1_sel:DWORD
	s_or_b64 s[58:59], s[62:63], s[58:59]
	s_andn2_b64 exec, exec, s[58:59]
	s_cbranch_execnz .LBB416_104
; %bb.105:
	s_or_b64 exec, exec, s[58:59]
.LBB416_106:
	s_or_b64 exec, exec, s[38:39]
	v_and_b32_e32 v36, 63, v11
	v_mov_b32_e32 v12, 2
	v_cmp_ne_u32_e32 vcc, 63, v36
	v_cmp_eq_u16_sdwa s[38:39], v35, v12 src0_sel:BYTE_0 src1_sel:DWORD
	v_lshlrev_b64 v[12:13], v11, -1
	v_addc_co_u32_e32 v15, vcc, 0, v11, vcc
	v_and_b32_e32 v14, s39, v13
	v_lshlrev_b32_e32 v37, 2, v15
	v_and_b32_e32 v15, 0xffff, v52
	v_or_b32_e32 v14, 0x80000000, v14
	ds_bpermute_b32 v16, v37, v15
	v_and_b32_e32 v17, s38, v12
	v_ffbl_b32_e32 v14, v14
	v_add_u32_e32 v14, 32, v14
	v_ffbl_b32_e32 v17, v17
	v_min_u32_e32 v14, v17, v14
	v_cmp_lt_u32_e32 vcc, v36, v14
	s_and_saveexec_b64 s[58:59], vcc
	s_cbranch_execz .LBB416_110
; %bb.107:
	s_waitcnt lgkmcnt(0)
	v_cvt_f32_f16_e32 v15, v16
	v_cvt_f32_f16_e32 v38, v52
	v_cmp_u_f16_e32 vcc, v16, v16
	v_cmp_u_f16_e64 s[38:39], v52, v52
	v_min_f32_e32 v17, v15, v38
	v_max_f32_e32 v39, v15, v38
	v_cndmask_b32_e32 v17, v17, v15, vcc
	v_cndmask_b32_e32 v15, v39, v15, vcc
	v_cndmask_b32_e64 v17, v17, v38, s[38:39]
	v_cndmask_b32_e64 v15, v15, v38, s[38:39]
	s_movk_i32 s38, 0x1f8
	v_cmp_neq_f32_e32 vcc, v17, v15
	v_cmp_class_f32_e64 s[38:39], v17, s38
	s_or_b64 s[62:63], vcc, s[38:39]
	s_and_saveexec_b64 s[38:39], s[62:63]
	s_cbranch_execz .LBB416_109
; %bb.108:
	v_sub_f32_e32 v16, v17, v15
	s_mov_b32 s62, 0x3fb8aa3b
	v_mul_f32_e32 v17, 0x3fb8aa3b, v16
	v_fma_f32 v38, v16, s62, -v17
	v_rndne_f32_e32 v39, v17
	v_fmamk_f32 v38, v16, 0x32a5705f, v38
	v_sub_f32_e32 v17, v17, v39
	v_add_f32_e32 v17, v17, v38
	v_exp_f32_e32 v17, v17
	v_cvt_i32_f32_e32 v38, v39
	s_mov_b32 s62, 0xc2ce8ed0
	v_cmp_ngt_f32_e32 vcc, s62, v16
	s_mov_b32 s62, 0x42b17218
	v_ldexp_f32 v17, v17, v38
	v_cndmask_b32_e32 v17, 0, v17, vcc
	v_mov_b32_e32 v50, 0x7f800000
	v_cmp_nlt_f32_e32 vcc, s62, v16
	s_mov_b32 s62, 0x3f2aaaab
	s_mov_b32 s63, 0x7f800000
	v_cndmask_b32_e32 v51, v50, v17, vcc
	v_add_f32_e32 v38, 1.0, v51
	v_add_f32_e32 v16, -1.0, v38
	v_sub_f32_e32 v17, v16, v38
	v_add_f32_e32 v17, 1.0, v17
	v_sub_f32_e32 v16, v51, v16
	v_add_f32_e32 v39, v16, v17
	v_frexp_mant_f32_e32 v40, v38
	v_cvt_f64_f32_e32 v[16:17], v38
	v_frexp_exp_i32_f64_e32 v16, v[16:17]
	v_cmp_gt_f32_e32 vcc, s62, v40
	s_mov_b32 s62, 0x3f317218
	s_nop 0
	v_subbrev_co_u32_e32 v44, vcc, 0, v16, vcc
	v_sub_u32_e32 v16, 0, v44
	v_ldexp_f32 v17, v38, v16
	v_add_f32_e32 v38, -1.0, v17
	v_add_f32_e32 v40, 1.0, v17
	v_ldexp_f32 v16, v39, v16
	v_add_f32_e32 v39, 1.0, v38
	v_add_f32_e32 v41, -1.0, v40
	v_sub_f32_e32 v39, v17, v39
	v_sub_f32_e32 v17, v17, v41
	v_add_f32_e32 v39, v16, v39
	v_add_f32_e32 v16, v16, v17
	;; [unrolled: 1-line block ×3, first 2 shown]
	v_rcp_f32_e32 v47, v45
	v_sub_f32_e32 v17, v40, v45
	v_add_f32_e32 v46, v16, v17
	v_add_f32_e32 v17, v38, v39
	v_mul_f32_e32 v49, v17, v47
	v_sub_f32_e32 v16, v38, v17
	v_mul_f32_e32 v38, v45, v49
	v_fma_f32 v40, v49, v45, -v38
	v_fmac_f32_e32 v40, v49, v46
	v_add_f32_e32 v48, v39, v16
	v_add_f32_e32 v16, v38, v40
	v_sub_f32_e32 v39, v17, v16
	v_pk_add_f32 v[42:43], v[16:17], v[38:39] neg_lo:[0,1] neg_hi:[0,1]
	v_mov_b32_e32 v41, v16
	v_pk_add_f32 v[16:17], v[42:43], v[40:41] neg_lo:[0,1] neg_hi:[0,1]
	v_cmp_neq_f32_e32 vcc, s63, v51
	v_add_f32_e32 v17, v48, v17
	v_add_f32_e32 v16, v16, v17
	;; [unrolled: 1-line block ×3, first 2 shown]
	v_mul_f32_e32 v48, v47, v17
	v_mul_f32_e32 v38, v45, v48
	v_fma_f32 v40, v48, v45, -v38
	v_fmac_f32_e32 v40, v48, v46
	v_sub_f32_e32 v39, v39, v17
	v_add_f32_e32 v45, v16, v39
	v_add_f32_e32 v16, v38, v40
	v_sub_f32_e32 v39, v17, v16
	v_pk_add_f32 v[42:43], v[16:17], v[38:39] neg_lo:[0,1] neg_hi:[0,1]
	v_mov_b32_e32 v41, v16
	v_pk_add_f32 v[16:17], v[42:43], v[40:41] neg_lo:[0,1] neg_hi:[0,1]
	v_cvt_f32_i32_e32 v38, v44
	v_add_f32_e32 v17, v45, v17
	v_add_f32_e32 v16, v16, v17
	;; [unrolled: 1-line block ×4, first 2 shown]
	v_sub_f32_e32 v17, v39, v49
	v_mul_f32_e32 v16, v47, v16
	v_sub_f32_e32 v17, v48, v17
	v_add_f32_e32 v16, v17, v16
	v_add_f32_e32 v40, v39, v16
	v_mul_f32_e32 v42, v40, v40
	v_mov_b32_e32 v17, 0x3ecc95a3
	v_sub_f32_e32 v39, v40, v39
	v_fmac_f32_e32 v17, 0x3e9b6dac, v42
	v_sub_f32_e32 v16, v16, v39
	v_fmaak_f32 v17, v42, v17, 0x3f2aaada
	v_ldexp_f32 v43, v16, 1
	v_mul_f32_e32 v39, v40, v42
	v_mov_b32_e32 v16, 0x3f317218
	v_pk_mul_f32 v[16:17], v[38:39], v[16:17]
	v_ldexp_f32 v41, v40, 1
	v_fma_f32 v39, v38, s62, -v16
	v_fmamk_f32 v40, v38, 0xb102e308, v39
	v_pk_add_f32 v[38:39], v[16:17], v[40:41]
	v_mov_b32_e32 v42, v16
	v_sub_f32_e32 v41, v39, v41
	v_sub_f32_e32 v41, v17, v41
	v_add_f32_e32 v43, v43, v41
	v_pk_add_f32 v[16:17], v[38:39], v[16:17] neg_lo:[0,1] neg_hi:[0,1]
	v_pk_add_f32 v[44:45], v[38:39], v[42:43]
	v_mov_b32_e32 v41, v38
	v_mov_b32_e32 v17, v45
	v_pk_add_f32 v[46:47], v[40:41], v[16:17] neg_lo:[0,1] neg_hi:[0,1]
	v_pk_add_f32 v[16:17], v[40:41], v[16:17]
	v_mov_b32_e32 v42, v43
	v_pk_add_f32 v[40:41], v[16:17], v[38:39] op_sel:[1,0] op_sel_hi:[0,1] neg_lo:[0,1] neg_hi:[0,1]
	v_pk_add_f32 v[48:49], v[44:45], v[40:41] op_sel_hi:[1,0] neg_lo:[0,1] neg_hi:[0,1]
	v_mov_b32_e32 v44, v45
	v_mov_b32_e32 v45, v17
	v_pk_mov_b32 v[40:41], v[38:39], v[40:41] op_sel:[1,0]
	v_mov_b32_e32 v43, v38
	v_pk_add_f32 v[40:41], v[44:45], v[40:41] neg_lo:[0,1] neg_hi:[0,1]
	v_mov_b32_e32 v48, v46
	v_pk_add_f32 v[38:39], v[42:43], v[40:41] neg_lo:[0,1] neg_hi:[0,1]
	v_mov_b32_e32 v47, v17
	v_pk_add_f32 v[40:41], v[48:49], v[38:39]
	s_mov_b32 s62, 0x33800000
	v_pk_add_f32 v[42:43], v[40:41], v[40:41] op_sel:[0,1] op_sel_hi:[1,0]
	s_nop 0
	v_pk_add_f32 v[16:17], v[16:17], v[42:43] op_sel:[1,0] op_sel_hi:[0,1]
	v_mov_b32_e32 v41, v16
	v_pk_add_f32 v[44:45], v[40:41], v[46:47] neg_lo:[0,1] neg_hi:[0,1]
	v_mov_b32_e32 v39, v42
	v_sub_f32_e32 v17, v40, v44
	v_pk_add_f32 v[38:39], v[38:39], v[44:45] neg_lo:[0,1] neg_hi:[0,1]
	v_sub_f32_e32 v17, v46, v17
	v_add_f32_e32 v17, v38, v17
	v_add_f32_e32 v17, v17, v39
	;; [unrolled: 1-line block ×3, first 2 shown]
	v_cndmask_b32_e32 v16, v50, v16, vcc
	v_cmp_lt_f32_e64 vcc, |v51|, s62
	s_nop 1
	v_cndmask_b32_e32 v16, v16, v51, vcc
	v_add_f32_e32 v15, v15, v16
	v_cvt_f16_f32_e32 v16, v15
.LBB416_109:
	s_or_b64 exec, exec, s[38:39]
	v_and_b32_e32 v15, 0xffff, v16
	v_mov_b32_e32 v52, v16
.LBB416_110:
	s_or_b64 exec, exec, s[58:59]
	v_cmp_gt_u32_e32 vcc, 62, v36
	v_add_u32_e32 v39, 2, v36
	s_waitcnt lgkmcnt(0)
	v_cndmask_b32_e64 v16, 0, 2, vcc
	v_add_lshl_u32 v38, v16, v11, 2
	ds_bpermute_b32 v16, v38, v15
	v_cmp_le_u32_e32 vcc, v39, v14
	s_and_saveexec_b64 s[58:59], vcc
	s_cbranch_execz .LBB416_114
; %bb.111:
	s_waitcnt lgkmcnt(0)
	v_cvt_f32_f16_e32 v15, v16
	v_cvt_f32_f16_e32 v40, v52
	v_cmp_u_f16_e32 vcc, v16, v16
	v_cmp_u_f16_e64 s[38:39], v52, v52
	v_min_f32_e32 v17, v15, v40
	v_max_f32_e32 v41, v15, v40
	v_cndmask_b32_e32 v17, v17, v15, vcc
	v_cndmask_b32_e32 v15, v41, v15, vcc
	v_cndmask_b32_e64 v17, v17, v40, s[38:39]
	v_cndmask_b32_e64 v15, v15, v40, s[38:39]
	s_movk_i32 s38, 0x1f8
	v_cmp_neq_f32_e32 vcc, v17, v15
	v_cmp_class_f32_e64 s[38:39], v17, s38
	s_or_b64 s[62:63], vcc, s[38:39]
	s_and_saveexec_b64 s[38:39], s[62:63]
	s_cbranch_execz .LBB416_113
; %bb.112:
	v_sub_f32_e32 v16, v17, v15
	s_mov_b32 s62, 0x3fb8aa3b
	v_mul_f32_e32 v17, 0x3fb8aa3b, v16
	v_fma_f32 v40, v16, s62, -v17
	v_rndne_f32_e32 v41, v17
	v_fmamk_f32 v40, v16, 0x32a5705f, v40
	v_sub_f32_e32 v17, v17, v41
	v_add_f32_e32 v17, v17, v40
	v_exp_f32_e32 v17, v17
	v_cvt_i32_f32_e32 v40, v41
	s_mov_b32 s62, 0xc2ce8ed0
	v_cmp_ngt_f32_e32 vcc, s62, v16
	s_mov_b32 s62, 0x42b17218
	v_ldexp_f32 v17, v17, v40
	v_cndmask_b32_e32 v17, 0, v17, vcc
	v_mov_b32_e32 v52, 0x7f800000
	v_cmp_nlt_f32_e32 vcc, s62, v16
	s_mov_b32 s62, 0x3f2aaaab
	s_mov_b32 s63, 0x7f800000
	v_cndmask_b32_e32 v53, v52, v17, vcc
	v_add_f32_e32 v40, 1.0, v53
	v_add_f32_e32 v16, -1.0, v40
	v_sub_f32_e32 v17, v16, v40
	v_add_f32_e32 v17, 1.0, v17
	v_sub_f32_e32 v16, v53, v16
	v_add_f32_e32 v41, v16, v17
	v_frexp_mant_f32_e32 v42, v40
	v_cvt_f64_f32_e32 v[16:17], v40
	v_frexp_exp_i32_f64_e32 v16, v[16:17]
	v_cmp_gt_f32_e32 vcc, s62, v42
	s_mov_b32 s62, 0x3f317218
	s_nop 0
	v_subbrev_co_u32_e32 v46, vcc, 0, v16, vcc
	v_sub_u32_e32 v16, 0, v46
	v_ldexp_f32 v17, v40, v16
	v_add_f32_e32 v40, -1.0, v17
	v_add_f32_e32 v42, 1.0, v17
	v_ldexp_f32 v16, v41, v16
	v_add_f32_e32 v41, 1.0, v40
	v_add_f32_e32 v43, -1.0, v42
	v_sub_f32_e32 v41, v17, v41
	v_sub_f32_e32 v17, v17, v43
	v_add_f32_e32 v41, v16, v41
	v_add_f32_e32 v16, v16, v17
	;; [unrolled: 1-line block ×3, first 2 shown]
	v_rcp_f32_e32 v49, v47
	v_sub_f32_e32 v17, v42, v47
	v_add_f32_e32 v48, v16, v17
	v_add_f32_e32 v17, v40, v41
	v_mul_f32_e32 v51, v17, v49
	v_sub_f32_e32 v16, v40, v17
	v_mul_f32_e32 v40, v47, v51
	v_fma_f32 v42, v51, v47, -v40
	v_fmac_f32_e32 v42, v51, v48
	v_add_f32_e32 v50, v41, v16
	v_add_f32_e32 v16, v40, v42
	v_sub_f32_e32 v41, v17, v16
	v_pk_add_f32 v[44:45], v[16:17], v[40:41] neg_lo:[0,1] neg_hi:[0,1]
	v_mov_b32_e32 v43, v16
	v_pk_add_f32 v[16:17], v[44:45], v[42:43] neg_lo:[0,1] neg_hi:[0,1]
	v_cmp_neq_f32_e32 vcc, s63, v53
	v_add_f32_e32 v17, v50, v17
	v_add_f32_e32 v16, v16, v17
	v_add_f32_e32 v17, v41, v16
	v_mul_f32_e32 v50, v49, v17
	v_mul_f32_e32 v40, v47, v50
	v_fma_f32 v42, v50, v47, -v40
	v_fmac_f32_e32 v42, v50, v48
	v_sub_f32_e32 v41, v41, v17
	v_add_f32_e32 v47, v16, v41
	v_add_f32_e32 v16, v40, v42
	v_sub_f32_e32 v41, v17, v16
	v_pk_add_f32 v[44:45], v[16:17], v[40:41] neg_lo:[0,1] neg_hi:[0,1]
	v_mov_b32_e32 v43, v16
	v_pk_add_f32 v[16:17], v[44:45], v[42:43] neg_lo:[0,1] neg_hi:[0,1]
	v_cvt_f32_i32_e32 v40, v46
	v_add_f32_e32 v17, v47, v17
	v_add_f32_e32 v16, v16, v17
	;; [unrolled: 1-line block ×4, first 2 shown]
	v_sub_f32_e32 v17, v41, v51
	v_mul_f32_e32 v16, v49, v16
	v_sub_f32_e32 v17, v50, v17
	v_add_f32_e32 v16, v17, v16
	v_add_f32_e32 v42, v41, v16
	v_mul_f32_e32 v44, v42, v42
	v_mov_b32_e32 v17, 0x3ecc95a3
	v_sub_f32_e32 v41, v42, v41
	v_fmac_f32_e32 v17, 0x3e9b6dac, v44
	v_sub_f32_e32 v16, v16, v41
	v_fmaak_f32 v17, v44, v17, 0x3f2aaada
	v_ldexp_f32 v45, v16, 1
	v_mul_f32_e32 v41, v42, v44
	v_mov_b32_e32 v16, 0x3f317218
	v_pk_mul_f32 v[16:17], v[40:41], v[16:17]
	v_ldexp_f32 v43, v42, 1
	v_fma_f32 v41, v40, s62, -v16
	v_fmamk_f32 v42, v40, 0xb102e308, v41
	v_pk_add_f32 v[40:41], v[16:17], v[42:43]
	v_mov_b32_e32 v44, v16
	v_sub_f32_e32 v43, v41, v43
	v_sub_f32_e32 v43, v17, v43
	v_add_f32_e32 v45, v45, v43
	v_pk_add_f32 v[16:17], v[40:41], v[16:17] neg_lo:[0,1] neg_hi:[0,1]
	v_pk_add_f32 v[46:47], v[40:41], v[44:45]
	v_mov_b32_e32 v43, v40
	v_mov_b32_e32 v17, v47
	v_pk_add_f32 v[48:49], v[42:43], v[16:17] neg_lo:[0,1] neg_hi:[0,1]
	v_pk_add_f32 v[16:17], v[42:43], v[16:17]
	v_mov_b32_e32 v44, v45
	v_pk_add_f32 v[42:43], v[16:17], v[40:41] op_sel:[1,0] op_sel_hi:[0,1] neg_lo:[0,1] neg_hi:[0,1]
	v_pk_add_f32 v[50:51], v[46:47], v[42:43] op_sel_hi:[1,0] neg_lo:[0,1] neg_hi:[0,1]
	v_mov_b32_e32 v46, v47
	v_mov_b32_e32 v47, v17
	v_pk_mov_b32 v[42:43], v[40:41], v[42:43] op_sel:[1,0]
	v_mov_b32_e32 v45, v40
	v_pk_add_f32 v[42:43], v[46:47], v[42:43] neg_lo:[0,1] neg_hi:[0,1]
	v_mov_b32_e32 v50, v48
	v_pk_add_f32 v[40:41], v[44:45], v[42:43] neg_lo:[0,1] neg_hi:[0,1]
	v_mov_b32_e32 v49, v17
	v_pk_add_f32 v[42:43], v[50:51], v[40:41]
	s_mov_b32 s62, 0x33800000
	v_pk_add_f32 v[44:45], v[42:43], v[42:43] op_sel:[0,1] op_sel_hi:[1,0]
	s_nop 0
	v_pk_add_f32 v[16:17], v[16:17], v[44:45] op_sel:[1,0] op_sel_hi:[0,1]
	v_mov_b32_e32 v43, v16
	v_pk_add_f32 v[46:47], v[42:43], v[48:49] neg_lo:[0,1] neg_hi:[0,1]
	v_mov_b32_e32 v41, v44
	v_sub_f32_e32 v17, v42, v46
	v_pk_add_f32 v[40:41], v[40:41], v[46:47] neg_lo:[0,1] neg_hi:[0,1]
	v_sub_f32_e32 v17, v48, v17
	v_add_f32_e32 v17, v40, v17
	v_add_f32_e32 v17, v17, v41
	;; [unrolled: 1-line block ×3, first 2 shown]
	v_cndmask_b32_e32 v16, v52, v16, vcc
	v_cmp_lt_f32_e64 vcc, |v53|, s62
	s_nop 1
	v_cndmask_b32_e32 v16, v16, v53, vcc
	v_add_f32_e32 v15, v15, v16
	v_cvt_f16_f32_e32 v16, v15
.LBB416_113:
	s_or_b64 exec, exec, s[38:39]
	v_and_b32_e32 v15, 0xffff, v16
	v_mov_b32_e32 v52, v16
.LBB416_114:
	s_or_b64 exec, exec, s[58:59]
	v_cmp_gt_u32_e32 vcc, 60, v36
	v_add_u32_e32 v41, 4, v36
	s_waitcnt lgkmcnt(0)
	v_cndmask_b32_e64 v16, 0, 4, vcc
	v_add_lshl_u32 v40, v16, v11, 2
	ds_bpermute_b32 v16, v40, v15
	v_cmp_le_u32_e32 vcc, v41, v14
	s_and_saveexec_b64 s[58:59], vcc
	s_cbranch_execz .LBB416_118
; %bb.115:
	s_waitcnt lgkmcnt(0)
	v_cvt_f32_f16_e32 v15, v16
	v_cvt_f32_f16_e32 v42, v52
	v_cmp_u_f16_e32 vcc, v16, v16
	v_cmp_u_f16_e64 s[38:39], v52, v52
	v_min_f32_e32 v17, v15, v42
	v_max_f32_e32 v43, v15, v42
	v_cndmask_b32_e32 v17, v17, v15, vcc
	v_cndmask_b32_e32 v15, v43, v15, vcc
	v_cndmask_b32_e64 v17, v17, v42, s[38:39]
	v_cndmask_b32_e64 v15, v15, v42, s[38:39]
	s_movk_i32 s38, 0x1f8
	v_cmp_neq_f32_e32 vcc, v17, v15
	v_cmp_class_f32_e64 s[38:39], v17, s38
	s_or_b64 s[62:63], vcc, s[38:39]
	s_and_saveexec_b64 s[38:39], s[62:63]
	s_cbranch_execz .LBB416_117
; %bb.116:
	v_sub_f32_e32 v16, v17, v15
	s_mov_b32 s62, 0x3fb8aa3b
	v_mul_f32_e32 v17, 0x3fb8aa3b, v16
	v_fma_f32 v42, v16, s62, -v17
	v_rndne_f32_e32 v43, v17
	v_fmamk_f32 v42, v16, 0x32a5705f, v42
	v_sub_f32_e32 v17, v17, v43
	v_add_f32_e32 v17, v17, v42
	v_exp_f32_e32 v17, v17
	v_cvt_i32_f32_e32 v42, v43
	s_mov_b32 s62, 0xc2ce8ed0
	v_cmp_ngt_f32_e32 vcc, s62, v16
	s_mov_b32 s62, 0x42b17218
	v_ldexp_f32 v17, v17, v42
	v_cndmask_b32_e32 v17, 0, v17, vcc
	v_mov_b32_e32 v54, 0x7f800000
	v_cmp_nlt_f32_e32 vcc, s62, v16
	s_mov_b32 s62, 0x3f2aaaab
	s_mov_b32 s63, 0x7f800000
	v_cndmask_b32_e32 v55, v54, v17, vcc
	v_add_f32_e32 v42, 1.0, v55
	v_add_f32_e32 v16, -1.0, v42
	v_sub_f32_e32 v17, v16, v42
	v_add_f32_e32 v17, 1.0, v17
	v_sub_f32_e32 v16, v55, v16
	v_add_f32_e32 v43, v16, v17
	v_frexp_mant_f32_e32 v44, v42
	v_cvt_f64_f32_e32 v[16:17], v42
	v_frexp_exp_i32_f64_e32 v16, v[16:17]
	v_cmp_gt_f32_e32 vcc, s62, v44
	s_mov_b32 s62, 0x3f317218
	s_nop 0
	v_subbrev_co_u32_e32 v48, vcc, 0, v16, vcc
	v_sub_u32_e32 v16, 0, v48
	v_ldexp_f32 v17, v42, v16
	v_add_f32_e32 v42, -1.0, v17
	v_add_f32_e32 v44, 1.0, v17
	v_ldexp_f32 v16, v43, v16
	v_add_f32_e32 v43, 1.0, v42
	v_add_f32_e32 v45, -1.0, v44
	v_sub_f32_e32 v43, v17, v43
	v_sub_f32_e32 v17, v17, v45
	v_add_f32_e32 v43, v16, v43
	v_add_f32_e32 v16, v16, v17
	;; [unrolled: 1-line block ×3, first 2 shown]
	v_rcp_f32_e32 v51, v49
	v_sub_f32_e32 v17, v44, v49
	v_add_f32_e32 v50, v16, v17
	v_add_f32_e32 v17, v42, v43
	v_mul_f32_e32 v53, v17, v51
	v_sub_f32_e32 v16, v42, v17
	v_mul_f32_e32 v42, v49, v53
	v_fma_f32 v44, v53, v49, -v42
	v_fmac_f32_e32 v44, v53, v50
	v_add_f32_e32 v52, v43, v16
	v_add_f32_e32 v16, v42, v44
	v_sub_f32_e32 v43, v17, v16
	v_pk_add_f32 v[46:47], v[16:17], v[42:43] neg_lo:[0,1] neg_hi:[0,1]
	v_mov_b32_e32 v45, v16
	v_pk_add_f32 v[16:17], v[46:47], v[44:45] neg_lo:[0,1] neg_hi:[0,1]
	v_cmp_neq_f32_e32 vcc, s63, v55
	v_add_f32_e32 v17, v52, v17
	v_add_f32_e32 v16, v16, v17
	v_add_f32_e32 v17, v43, v16
	v_mul_f32_e32 v52, v51, v17
	v_mul_f32_e32 v42, v49, v52
	v_fma_f32 v44, v52, v49, -v42
	v_fmac_f32_e32 v44, v52, v50
	v_sub_f32_e32 v43, v43, v17
	v_add_f32_e32 v49, v16, v43
	v_add_f32_e32 v16, v42, v44
	v_sub_f32_e32 v43, v17, v16
	v_pk_add_f32 v[46:47], v[16:17], v[42:43] neg_lo:[0,1] neg_hi:[0,1]
	v_mov_b32_e32 v45, v16
	v_pk_add_f32 v[16:17], v[46:47], v[44:45] neg_lo:[0,1] neg_hi:[0,1]
	v_cvt_f32_i32_e32 v42, v48
	v_add_f32_e32 v17, v49, v17
	v_add_f32_e32 v16, v16, v17
	;; [unrolled: 1-line block ×4, first 2 shown]
	v_sub_f32_e32 v17, v43, v53
	v_mul_f32_e32 v16, v51, v16
	v_sub_f32_e32 v17, v52, v17
	v_add_f32_e32 v16, v17, v16
	v_add_f32_e32 v44, v43, v16
	v_mul_f32_e32 v46, v44, v44
	v_mov_b32_e32 v17, 0x3ecc95a3
	v_sub_f32_e32 v43, v44, v43
	v_fmac_f32_e32 v17, 0x3e9b6dac, v46
	v_sub_f32_e32 v16, v16, v43
	v_fmaak_f32 v17, v46, v17, 0x3f2aaada
	v_ldexp_f32 v47, v16, 1
	v_mul_f32_e32 v43, v44, v46
	v_mov_b32_e32 v16, 0x3f317218
	v_pk_mul_f32 v[16:17], v[42:43], v[16:17]
	v_ldexp_f32 v45, v44, 1
	v_fma_f32 v43, v42, s62, -v16
	v_fmamk_f32 v44, v42, 0xb102e308, v43
	v_pk_add_f32 v[42:43], v[16:17], v[44:45]
	v_mov_b32_e32 v46, v16
	v_sub_f32_e32 v45, v43, v45
	v_sub_f32_e32 v45, v17, v45
	v_add_f32_e32 v47, v47, v45
	v_pk_add_f32 v[16:17], v[42:43], v[16:17] neg_lo:[0,1] neg_hi:[0,1]
	v_pk_add_f32 v[48:49], v[42:43], v[46:47]
	v_mov_b32_e32 v45, v42
	v_mov_b32_e32 v17, v49
	v_pk_add_f32 v[50:51], v[44:45], v[16:17] neg_lo:[0,1] neg_hi:[0,1]
	v_pk_add_f32 v[16:17], v[44:45], v[16:17]
	v_mov_b32_e32 v46, v47
	v_pk_add_f32 v[44:45], v[16:17], v[42:43] op_sel:[1,0] op_sel_hi:[0,1] neg_lo:[0,1] neg_hi:[0,1]
	v_pk_add_f32 v[52:53], v[48:49], v[44:45] op_sel_hi:[1,0] neg_lo:[0,1] neg_hi:[0,1]
	v_mov_b32_e32 v48, v49
	v_mov_b32_e32 v49, v17
	v_pk_mov_b32 v[44:45], v[42:43], v[44:45] op_sel:[1,0]
	v_mov_b32_e32 v47, v42
	v_pk_add_f32 v[44:45], v[48:49], v[44:45] neg_lo:[0,1] neg_hi:[0,1]
	v_mov_b32_e32 v52, v50
	v_pk_add_f32 v[42:43], v[46:47], v[44:45] neg_lo:[0,1] neg_hi:[0,1]
	v_mov_b32_e32 v51, v17
	v_pk_add_f32 v[44:45], v[52:53], v[42:43]
	s_mov_b32 s62, 0x33800000
	v_pk_add_f32 v[46:47], v[44:45], v[44:45] op_sel:[0,1] op_sel_hi:[1,0]
	s_nop 0
	v_pk_add_f32 v[16:17], v[16:17], v[46:47] op_sel:[1,0] op_sel_hi:[0,1]
	v_mov_b32_e32 v45, v16
	v_pk_add_f32 v[48:49], v[44:45], v[50:51] neg_lo:[0,1] neg_hi:[0,1]
	v_mov_b32_e32 v43, v46
	v_sub_f32_e32 v17, v44, v48
	v_pk_add_f32 v[42:43], v[42:43], v[48:49] neg_lo:[0,1] neg_hi:[0,1]
	v_sub_f32_e32 v17, v50, v17
	v_add_f32_e32 v17, v42, v17
	v_add_f32_e32 v17, v17, v43
	;; [unrolled: 1-line block ×3, first 2 shown]
	v_cndmask_b32_e32 v16, v54, v16, vcc
	v_cmp_lt_f32_e64 vcc, |v55|, s62
	s_nop 1
	v_cndmask_b32_e32 v16, v16, v55, vcc
	v_add_f32_e32 v15, v15, v16
	v_cvt_f16_f32_e32 v16, v15
.LBB416_117:
	s_or_b64 exec, exec, s[38:39]
	v_and_b32_e32 v15, 0xffff, v16
	v_mov_b32_e32 v52, v16
.LBB416_118:
	s_or_b64 exec, exec, s[58:59]
	v_cmp_gt_u32_e32 vcc, 56, v36
	v_add_u32_e32 v43, 8, v36
	s_waitcnt lgkmcnt(0)
	v_cndmask_b32_e64 v16, 0, 8, vcc
	v_add_lshl_u32 v42, v16, v11, 2
	ds_bpermute_b32 v16, v42, v15
	v_cmp_le_u32_e32 vcc, v43, v14
	s_and_saveexec_b64 s[58:59], vcc
	s_cbranch_execz .LBB416_122
; %bb.119:
	s_waitcnt lgkmcnt(0)
	v_cvt_f32_f16_e32 v15, v16
	v_cvt_f32_f16_e32 v44, v52
	v_cmp_u_f16_e32 vcc, v16, v16
	v_cmp_u_f16_e64 s[38:39], v52, v52
	v_min_f32_e32 v17, v15, v44
	v_max_f32_e32 v45, v15, v44
	v_cndmask_b32_e32 v17, v17, v15, vcc
	v_cndmask_b32_e32 v15, v45, v15, vcc
	v_cndmask_b32_e64 v17, v17, v44, s[38:39]
	v_cndmask_b32_e64 v15, v15, v44, s[38:39]
	s_movk_i32 s38, 0x1f8
	v_cmp_neq_f32_e32 vcc, v17, v15
	v_cmp_class_f32_e64 s[38:39], v17, s38
	s_or_b64 s[62:63], vcc, s[38:39]
	s_and_saveexec_b64 s[38:39], s[62:63]
	s_cbranch_execz .LBB416_121
; %bb.120:
	v_sub_f32_e32 v16, v17, v15
	s_mov_b32 s62, 0x3fb8aa3b
	v_mul_f32_e32 v17, 0x3fb8aa3b, v16
	v_fma_f32 v44, v16, s62, -v17
	v_rndne_f32_e32 v45, v17
	v_fmamk_f32 v44, v16, 0x32a5705f, v44
	v_sub_f32_e32 v17, v17, v45
	v_add_f32_e32 v17, v17, v44
	v_exp_f32_e32 v17, v17
	v_cvt_i32_f32_e32 v44, v45
	s_mov_b32 s62, 0xc2ce8ed0
	v_cmp_ngt_f32_e32 vcc, s62, v16
	s_mov_b32 s62, 0x42b17218
	v_ldexp_f32 v17, v17, v44
	v_cndmask_b32_e32 v17, 0, v17, vcc
	v_mov_b32_e32 v56, 0x7f800000
	v_cmp_nlt_f32_e32 vcc, s62, v16
	s_mov_b32 s62, 0x3f2aaaab
	s_mov_b32 s63, 0x7f800000
	v_cndmask_b32_e32 v57, v56, v17, vcc
	v_add_f32_e32 v44, 1.0, v57
	v_add_f32_e32 v16, -1.0, v44
	v_sub_f32_e32 v17, v16, v44
	v_add_f32_e32 v17, 1.0, v17
	v_sub_f32_e32 v16, v57, v16
	v_add_f32_e32 v45, v16, v17
	v_frexp_mant_f32_e32 v46, v44
	v_cvt_f64_f32_e32 v[16:17], v44
	v_frexp_exp_i32_f64_e32 v16, v[16:17]
	v_cmp_gt_f32_e32 vcc, s62, v46
	s_mov_b32 s62, 0x3f317218
	s_nop 0
	v_subbrev_co_u32_e32 v50, vcc, 0, v16, vcc
	v_sub_u32_e32 v16, 0, v50
	v_ldexp_f32 v17, v44, v16
	v_add_f32_e32 v44, -1.0, v17
	v_add_f32_e32 v46, 1.0, v17
	v_ldexp_f32 v16, v45, v16
	v_add_f32_e32 v45, 1.0, v44
	v_add_f32_e32 v47, -1.0, v46
	v_sub_f32_e32 v45, v17, v45
	v_sub_f32_e32 v17, v17, v47
	v_add_f32_e32 v45, v16, v45
	v_add_f32_e32 v16, v16, v17
	;; [unrolled: 1-line block ×3, first 2 shown]
	v_rcp_f32_e32 v53, v51
	v_sub_f32_e32 v17, v46, v51
	v_add_f32_e32 v52, v16, v17
	v_add_f32_e32 v17, v44, v45
	v_mul_f32_e32 v55, v17, v53
	v_sub_f32_e32 v16, v44, v17
	v_mul_f32_e32 v44, v51, v55
	v_fma_f32 v46, v55, v51, -v44
	v_fmac_f32_e32 v46, v55, v52
	v_add_f32_e32 v54, v45, v16
	v_add_f32_e32 v16, v44, v46
	v_sub_f32_e32 v45, v17, v16
	v_pk_add_f32 v[48:49], v[16:17], v[44:45] neg_lo:[0,1] neg_hi:[0,1]
	v_mov_b32_e32 v47, v16
	v_pk_add_f32 v[16:17], v[48:49], v[46:47] neg_lo:[0,1] neg_hi:[0,1]
	v_cmp_neq_f32_e32 vcc, s63, v57
	v_add_f32_e32 v17, v54, v17
	v_add_f32_e32 v16, v16, v17
	v_add_f32_e32 v17, v45, v16
	v_mul_f32_e32 v54, v53, v17
	v_mul_f32_e32 v44, v51, v54
	v_fma_f32 v46, v54, v51, -v44
	v_fmac_f32_e32 v46, v54, v52
	v_sub_f32_e32 v45, v45, v17
	v_add_f32_e32 v51, v16, v45
	v_add_f32_e32 v16, v44, v46
	v_sub_f32_e32 v45, v17, v16
	v_pk_add_f32 v[48:49], v[16:17], v[44:45] neg_lo:[0,1] neg_hi:[0,1]
	v_mov_b32_e32 v47, v16
	v_pk_add_f32 v[16:17], v[48:49], v[46:47] neg_lo:[0,1] neg_hi:[0,1]
	v_cvt_f32_i32_e32 v44, v50
	v_add_f32_e32 v17, v51, v17
	v_add_f32_e32 v16, v16, v17
	;; [unrolled: 1-line block ×4, first 2 shown]
	v_sub_f32_e32 v17, v45, v55
	v_mul_f32_e32 v16, v53, v16
	v_sub_f32_e32 v17, v54, v17
	v_add_f32_e32 v16, v17, v16
	v_add_f32_e32 v46, v45, v16
	v_mul_f32_e32 v48, v46, v46
	v_mov_b32_e32 v17, 0x3ecc95a3
	v_sub_f32_e32 v45, v46, v45
	v_fmac_f32_e32 v17, 0x3e9b6dac, v48
	v_sub_f32_e32 v16, v16, v45
	v_fmaak_f32 v17, v48, v17, 0x3f2aaada
	v_ldexp_f32 v49, v16, 1
	v_mul_f32_e32 v45, v46, v48
	v_mov_b32_e32 v16, 0x3f317218
	v_pk_mul_f32 v[16:17], v[44:45], v[16:17]
	v_ldexp_f32 v47, v46, 1
	v_fma_f32 v45, v44, s62, -v16
	v_fmamk_f32 v46, v44, 0xb102e308, v45
	v_pk_add_f32 v[44:45], v[16:17], v[46:47]
	v_mov_b32_e32 v48, v16
	v_sub_f32_e32 v47, v45, v47
	v_sub_f32_e32 v47, v17, v47
	v_add_f32_e32 v49, v49, v47
	v_pk_add_f32 v[16:17], v[44:45], v[16:17] neg_lo:[0,1] neg_hi:[0,1]
	v_pk_add_f32 v[50:51], v[44:45], v[48:49]
	v_mov_b32_e32 v47, v44
	v_mov_b32_e32 v17, v51
	v_pk_add_f32 v[52:53], v[46:47], v[16:17] neg_lo:[0,1] neg_hi:[0,1]
	v_pk_add_f32 v[16:17], v[46:47], v[16:17]
	v_mov_b32_e32 v48, v49
	v_pk_add_f32 v[46:47], v[16:17], v[44:45] op_sel:[1,0] op_sel_hi:[0,1] neg_lo:[0,1] neg_hi:[0,1]
	v_pk_add_f32 v[54:55], v[50:51], v[46:47] op_sel_hi:[1,0] neg_lo:[0,1] neg_hi:[0,1]
	v_mov_b32_e32 v50, v51
	v_mov_b32_e32 v51, v17
	v_pk_mov_b32 v[46:47], v[44:45], v[46:47] op_sel:[1,0]
	v_mov_b32_e32 v49, v44
	v_pk_add_f32 v[46:47], v[50:51], v[46:47] neg_lo:[0,1] neg_hi:[0,1]
	v_mov_b32_e32 v54, v52
	v_pk_add_f32 v[44:45], v[48:49], v[46:47] neg_lo:[0,1] neg_hi:[0,1]
	v_mov_b32_e32 v53, v17
	v_pk_add_f32 v[46:47], v[54:55], v[44:45]
	s_mov_b32 s62, 0x33800000
	v_pk_add_f32 v[48:49], v[46:47], v[46:47] op_sel:[0,1] op_sel_hi:[1,0]
	s_nop 0
	v_pk_add_f32 v[16:17], v[16:17], v[48:49] op_sel:[1,0] op_sel_hi:[0,1]
	v_mov_b32_e32 v47, v16
	v_pk_add_f32 v[50:51], v[46:47], v[52:53] neg_lo:[0,1] neg_hi:[0,1]
	v_mov_b32_e32 v45, v48
	v_sub_f32_e32 v17, v46, v50
	v_pk_add_f32 v[44:45], v[44:45], v[50:51] neg_lo:[0,1] neg_hi:[0,1]
	v_sub_f32_e32 v17, v52, v17
	v_add_f32_e32 v17, v44, v17
	v_add_f32_e32 v17, v17, v45
	;; [unrolled: 1-line block ×3, first 2 shown]
	v_cndmask_b32_e32 v16, v56, v16, vcc
	v_cmp_lt_f32_e64 vcc, |v57|, s62
	s_nop 1
	v_cndmask_b32_e32 v16, v16, v57, vcc
	v_add_f32_e32 v15, v15, v16
	v_cvt_f16_f32_e32 v16, v15
.LBB416_121:
	s_or_b64 exec, exec, s[38:39]
	v_and_b32_e32 v15, 0xffff, v16
	v_mov_b32_e32 v52, v16
.LBB416_122:
	s_or_b64 exec, exec, s[58:59]
	v_cmp_gt_u32_e32 vcc, 48, v36
	v_add_u32_e32 v45, 16, v36
	s_waitcnt lgkmcnt(0)
	v_cndmask_b32_e64 v16, 0, 16, vcc
	v_add_lshl_u32 v44, v16, v11, 2
	ds_bpermute_b32 v16, v44, v15
	v_cmp_le_u32_e32 vcc, v45, v14
	s_and_saveexec_b64 s[58:59], vcc
	s_cbranch_execz .LBB416_126
; %bb.123:
	s_waitcnt lgkmcnt(0)
	v_cvt_f32_f16_e32 v15, v16
	v_cvt_f32_f16_e32 v46, v52
	v_cmp_u_f16_e32 vcc, v16, v16
	v_cmp_u_f16_e64 s[38:39], v52, v52
	v_min_f32_e32 v17, v15, v46
	v_max_f32_e32 v47, v15, v46
	v_cndmask_b32_e32 v17, v17, v15, vcc
	v_cndmask_b32_e32 v15, v47, v15, vcc
	v_cndmask_b32_e64 v17, v17, v46, s[38:39]
	v_cndmask_b32_e64 v15, v15, v46, s[38:39]
	s_movk_i32 s38, 0x1f8
	v_cmp_neq_f32_e32 vcc, v17, v15
	v_cmp_class_f32_e64 s[38:39], v17, s38
	s_or_b64 s[62:63], vcc, s[38:39]
	s_and_saveexec_b64 s[38:39], s[62:63]
	s_cbranch_execz .LBB416_125
; %bb.124:
	v_sub_f32_e32 v16, v17, v15
	s_mov_b32 s62, 0x3fb8aa3b
	v_mul_f32_e32 v17, 0x3fb8aa3b, v16
	v_fma_f32 v46, v16, s62, -v17
	v_rndne_f32_e32 v47, v17
	v_fmamk_f32 v46, v16, 0x32a5705f, v46
	v_sub_f32_e32 v17, v17, v47
	v_add_f32_e32 v17, v17, v46
	v_exp_f32_e32 v17, v17
	v_cvt_i32_f32_e32 v46, v47
	s_mov_b32 s62, 0xc2ce8ed0
	v_cmp_ngt_f32_e32 vcc, s62, v16
	s_mov_b32 s62, 0x42b17218
	v_ldexp_f32 v17, v17, v46
	v_cndmask_b32_e32 v17, 0, v17, vcc
	v_mov_b32_e32 v58, 0x7f800000
	v_cmp_nlt_f32_e32 vcc, s62, v16
	s_mov_b32 s62, 0x3f2aaaab
	s_mov_b32 s63, 0x7f800000
	v_cndmask_b32_e32 v59, v58, v17, vcc
	v_add_f32_e32 v46, 1.0, v59
	v_add_f32_e32 v16, -1.0, v46
	v_sub_f32_e32 v17, v16, v46
	v_add_f32_e32 v17, 1.0, v17
	v_sub_f32_e32 v16, v59, v16
	v_add_f32_e32 v47, v16, v17
	v_frexp_mant_f32_e32 v48, v46
	v_cvt_f64_f32_e32 v[16:17], v46
	v_frexp_exp_i32_f64_e32 v16, v[16:17]
	v_cmp_gt_f32_e32 vcc, s62, v48
	s_mov_b32 s62, 0x3f317218
	s_nop 0
	v_subbrev_co_u32_e32 v52, vcc, 0, v16, vcc
	v_sub_u32_e32 v16, 0, v52
	v_ldexp_f32 v17, v46, v16
	v_add_f32_e32 v46, -1.0, v17
	v_add_f32_e32 v48, 1.0, v17
	v_ldexp_f32 v16, v47, v16
	v_add_f32_e32 v47, 1.0, v46
	v_add_f32_e32 v49, -1.0, v48
	v_sub_f32_e32 v47, v17, v47
	v_sub_f32_e32 v17, v17, v49
	v_add_f32_e32 v47, v16, v47
	v_add_f32_e32 v16, v16, v17
	;; [unrolled: 1-line block ×3, first 2 shown]
	v_rcp_f32_e32 v55, v53
	v_sub_f32_e32 v17, v48, v53
	v_add_f32_e32 v54, v16, v17
	v_add_f32_e32 v17, v46, v47
	v_mul_f32_e32 v57, v17, v55
	v_sub_f32_e32 v16, v46, v17
	v_mul_f32_e32 v46, v53, v57
	v_fma_f32 v48, v57, v53, -v46
	v_fmac_f32_e32 v48, v57, v54
	v_add_f32_e32 v56, v47, v16
	v_add_f32_e32 v16, v46, v48
	v_sub_f32_e32 v47, v17, v16
	v_pk_add_f32 v[50:51], v[16:17], v[46:47] neg_lo:[0,1] neg_hi:[0,1]
	v_mov_b32_e32 v49, v16
	v_pk_add_f32 v[16:17], v[50:51], v[48:49] neg_lo:[0,1] neg_hi:[0,1]
	v_cmp_neq_f32_e32 vcc, s63, v59
	v_add_f32_e32 v17, v56, v17
	v_add_f32_e32 v16, v16, v17
	;; [unrolled: 1-line block ×3, first 2 shown]
	v_mul_f32_e32 v56, v55, v17
	v_mul_f32_e32 v46, v53, v56
	v_fma_f32 v48, v56, v53, -v46
	v_fmac_f32_e32 v48, v56, v54
	v_sub_f32_e32 v47, v47, v17
	v_add_f32_e32 v53, v16, v47
	v_add_f32_e32 v16, v46, v48
	v_sub_f32_e32 v47, v17, v16
	v_pk_add_f32 v[50:51], v[16:17], v[46:47] neg_lo:[0,1] neg_hi:[0,1]
	v_mov_b32_e32 v49, v16
	v_pk_add_f32 v[16:17], v[50:51], v[48:49] neg_lo:[0,1] neg_hi:[0,1]
	v_cvt_f32_i32_e32 v46, v52
	v_add_f32_e32 v17, v53, v17
	v_add_f32_e32 v16, v16, v17
	;; [unrolled: 1-line block ×4, first 2 shown]
	v_sub_f32_e32 v17, v47, v57
	v_mul_f32_e32 v16, v55, v16
	v_sub_f32_e32 v17, v56, v17
	v_add_f32_e32 v16, v17, v16
	v_add_f32_e32 v48, v47, v16
	v_mul_f32_e32 v50, v48, v48
	v_mov_b32_e32 v17, 0x3ecc95a3
	v_sub_f32_e32 v47, v48, v47
	v_fmac_f32_e32 v17, 0x3e9b6dac, v50
	v_sub_f32_e32 v16, v16, v47
	v_fmaak_f32 v17, v50, v17, 0x3f2aaada
	v_ldexp_f32 v51, v16, 1
	v_mul_f32_e32 v47, v48, v50
	v_mov_b32_e32 v16, 0x3f317218
	v_pk_mul_f32 v[16:17], v[46:47], v[16:17]
	v_ldexp_f32 v49, v48, 1
	v_fma_f32 v47, v46, s62, -v16
	v_fmamk_f32 v48, v46, 0xb102e308, v47
	v_pk_add_f32 v[46:47], v[16:17], v[48:49]
	v_mov_b32_e32 v50, v16
	v_sub_f32_e32 v49, v47, v49
	v_sub_f32_e32 v49, v17, v49
	v_add_f32_e32 v51, v51, v49
	v_pk_add_f32 v[16:17], v[46:47], v[16:17] neg_lo:[0,1] neg_hi:[0,1]
	v_pk_add_f32 v[52:53], v[46:47], v[50:51]
	v_mov_b32_e32 v49, v46
	v_mov_b32_e32 v17, v53
	v_pk_add_f32 v[54:55], v[48:49], v[16:17] neg_lo:[0,1] neg_hi:[0,1]
	v_pk_add_f32 v[16:17], v[48:49], v[16:17]
	v_mov_b32_e32 v50, v51
	v_pk_add_f32 v[48:49], v[16:17], v[46:47] op_sel:[1,0] op_sel_hi:[0,1] neg_lo:[0,1] neg_hi:[0,1]
	v_pk_add_f32 v[56:57], v[52:53], v[48:49] op_sel_hi:[1,0] neg_lo:[0,1] neg_hi:[0,1]
	v_mov_b32_e32 v52, v53
	v_mov_b32_e32 v53, v17
	v_pk_mov_b32 v[48:49], v[46:47], v[48:49] op_sel:[1,0]
	v_mov_b32_e32 v51, v46
	v_pk_add_f32 v[48:49], v[52:53], v[48:49] neg_lo:[0,1] neg_hi:[0,1]
	v_mov_b32_e32 v56, v54
	v_pk_add_f32 v[46:47], v[50:51], v[48:49] neg_lo:[0,1] neg_hi:[0,1]
	v_mov_b32_e32 v55, v17
	v_pk_add_f32 v[48:49], v[56:57], v[46:47]
	s_mov_b32 s62, 0x33800000
	v_pk_add_f32 v[50:51], v[48:49], v[48:49] op_sel:[0,1] op_sel_hi:[1,0]
	s_nop 0
	v_pk_add_f32 v[16:17], v[16:17], v[50:51] op_sel:[1,0] op_sel_hi:[0,1]
	v_mov_b32_e32 v49, v16
	v_pk_add_f32 v[52:53], v[48:49], v[54:55] neg_lo:[0,1] neg_hi:[0,1]
	v_mov_b32_e32 v47, v50
	v_sub_f32_e32 v17, v48, v52
	v_pk_add_f32 v[46:47], v[46:47], v[52:53] neg_lo:[0,1] neg_hi:[0,1]
	v_sub_f32_e32 v17, v54, v17
	v_add_f32_e32 v17, v46, v17
	v_add_f32_e32 v17, v17, v47
	v_add_f32_e32 v16, v16, v17
	v_cndmask_b32_e32 v16, v58, v16, vcc
	v_cmp_lt_f32_e64 vcc, |v59|, s62
	s_nop 1
	v_cndmask_b32_e32 v16, v16, v59, vcc
	v_add_f32_e32 v15, v15, v16
	v_cvt_f16_f32_e32 v16, v15
.LBB416_125:
	s_or_b64 exec, exec, s[38:39]
	v_and_b32_e32 v15, 0xffff, v16
	v_mov_b32_e32 v52, v16
.LBB416_126:
	s_or_b64 exec, exec, s[58:59]
	s_waitcnt lgkmcnt(0)
	v_mov_b32_e32 v16, 0x80
	v_lshl_or_b32 v46, v11, 2, v16
	ds_bpermute_b32 v15, v46, v15
	v_add_u32_e32 v48, 32, v36
	v_cmp_le_u32_e32 vcc, v48, v14
	s_and_saveexec_b64 s[58:59], vcc
	s_cbranch_execz .LBB416_130
; %bb.127:
	s_waitcnt lgkmcnt(0)
	v_cvt_f32_f16_e32 v11, v15
	v_cvt_f32_f16_e32 v16, v52
	v_cmp_u_f16_e32 vcc, v15, v15
	v_cmp_u_f16_e64 s[38:39], v52, v52
	v_min_f32_e32 v14, v11, v16
	v_max_f32_e32 v17, v11, v16
	v_cndmask_b32_e32 v14, v14, v11, vcc
	v_cndmask_b32_e32 v11, v17, v11, vcc
	v_cndmask_b32_e64 v14, v14, v16, s[38:39]
	v_cndmask_b32_e64 v11, v11, v16, s[38:39]
	s_movk_i32 s38, 0x1f8
	v_cmp_neq_f32_e32 vcc, v14, v11
	v_cmp_class_f32_e64 s[38:39], v14, s38
	s_or_b64 s[62:63], vcc, s[38:39]
	s_and_saveexec_b64 s[38:39], s[62:63]
	s_cbranch_execz .LBB416_129
; %bb.128:
	v_sub_f32_e32 v14, v14, v11
	s_mov_b32 s62, 0x3fb8aa3b
	v_mul_f32_e32 v15, 0x3fb8aa3b, v14
	v_fma_f32 v16, v14, s62, -v15
	v_rndne_f32_e32 v17, v15
	v_fmamk_f32 v16, v14, 0x32a5705f, v16
	v_sub_f32_e32 v15, v15, v17
	v_add_f32_e32 v15, v15, v16
	v_exp_f32_e32 v15, v15
	v_cvt_i32_f32_e32 v16, v17
	s_mov_b32 s62, 0xc2ce8ed0
	v_cmp_ngt_f32_e32 vcc, s62, v14
	s_mov_b32 s62, 0x42b17218
	v_ldexp_f32 v15, v15, v16
	v_cndmask_b32_e32 v15, 0, v15, vcc
	v_mov_b32_e32 v47, 0x7f800000
	v_cmp_nlt_f32_e32 vcc, s62, v14
	s_mov_b32 s62, 0x3f2aaaab
	s_mov_b32 s63, 0x7f800000
	v_cndmask_b32_e32 v49, v47, v15, vcc
	v_add_f32_e32 v16, 1.0, v49
	v_add_f32_e32 v14, -1.0, v16
	v_sub_f32_e32 v15, v14, v16
	v_add_f32_e32 v15, 1.0, v15
	v_sub_f32_e32 v14, v49, v14
	v_add_f32_e32 v17, v14, v15
	v_frexp_mant_f32_e32 v50, v16
	v_cvt_f64_f32_e32 v[14:15], v16
	v_frexp_exp_i32_f64_e32 v14, v[14:15]
	v_cmp_gt_f32_e32 vcc, s62, v50
	s_mov_b32 s62, 0x3f317218
	s_nop 0
	v_subbrev_co_u32_e32 v54, vcc, 0, v14, vcc
	v_sub_u32_e32 v14, 0, v54
	v_ldexp_f32 v15, v16, v14
	v_add_f32_e32 v16, -1.0, v15
	v_add_f32_e32 v50, 1.0, v15
	v_ldexp_f32 v14, v17, v14
	v_add_f32_e32 v17, 1.0, v16
	v_add_f32_e32 v51, -1.0, v50
	v_sub_f32_e32 v17, v15, v17
	v_sub_f32_e32 v15, v15, v51
	v_add_f32_e32 v17, v14, v17
	v_add_f32_e32 v14, v14, v15
	;; [unrolled: 1-line block ×3, first 2 shown]
	v_rcp_f32_e32 v57, v55
	v_sub_f32_e32 v15, v50, v55
	v_add_f32_e32 v56, v14, v15
	v_add_f32_e32 v15, v16, v17
	v_mul_f32_e32 v59, v15, v57
	v_sub_f32_e32 v14, v16, v15
	v_mul_f32_e32 v16, v55, v59
	v_fma_f32 v50, v59, v55, -v16
	v_fmac_f32_e32 v50, v59, v56
	v_add_f32_e32 v58, v17, v14
	v_add_f32_e32 v14, v16, v50
	v_sub_f32_e32 v17, v15, v14
	v_pk_add_f32 v[52:53], v[14:15], v[16:17] neg_lo:[0,1] neg_hi:[0,1]
	v_mov_b32_e32 v51, v14
	v_pk_add_f32 v[14:15], v[52:53], v[50:51] neg_lo:[0,1] neg_hi:[0,1]
	v_cmp_neq_f32_e32 vcc, s63, v49
	v_add_f32_e32 v15, v58, v15
	v_add_f32_e32 v14, v14, v15
	;; [unrolled: 1-line block ×3, first 2 shown]
	v_mul_f32_e32 v58, v57, v15
	v_mul_f32_e32 v16, v55, v58
	v_fma_f32 v50, v58, v55, -v16
	v_fmac_f32_e32 v50, v58, v56
	v_sub_f32_e32 v17, v17, v15
	v_add_f32_e32 v55, v14, v17
	v_add_f32_e32 v14, v16, v50
	v_sub_f32_e32 v17, v15, v14
	v_pk_add_f32 v[52:53], v[14:15], v[16:17] neg_lo:[0,1] neg_hi:[0,1]
	v_mov_b32_e32 v51, v14
	v_pk_add_f32 v[14:15], v[52:53], v[50:51] neg_lo:[0,1] neg_hi:[0,1]
	v_cvt_f32_i32_e32 v16, v54
	v_add_f32_e32 v15, v55, v15
	v_add_f32_e32 v14, v14, v15
	;; [unrolled: 1-line block ×4, first 2 shown]
	v_sub_f32_e32 v15, v17, v59
	v_mul_f32_e32 v14, v57, v14
	v_sub_f32_e32 v15, v58, v15
	v_add_f32_e32 v14, v15, v14
	v_add_f32_e32 v50, v17, v14
	v_mul_f32_e32 v52, v50, v50
	v_mov_b32_e32 v15, 0x3ecc95a3
	v_sub_f32_e32 v17, v50, v17
	v_fmac_f32_e32 v15, 0x3e9b6dac, v52
	v_sub_f32_e32 v14, v14, v17
	v_fmaak_f32 v15, v52, v15, 0x3f2aaada
	v_ldexp_f32 v53, v14, 1
	v_mul_f32_e32 v17, v50, v52
	v_mov_b32_e32 v14, 0x3f317218
	v_pk_mul_f32 v[14:15], v[16:17], v[14:15]
	v_ldexp_f32 v51, v50, 1
	v_fma_f32 v17, v16, s62, -v14
	v_fmamk_f32 v50, v16, 0xb102e308, v17
	v_pk_add_f32 v[16:17], v[14:15], v[50:51]
	v_mov_b32_e32 v52, v14
	v_sub_f32_e32 v51, v17, v51
	v_sub_f32_e32 v51, v15, v51
	v_add_f32_e32 v53, v53, v51
	v_pk_add_f32 v[14:15], v[16:17], v[14:15] neg_lo:[0,1] neg_hi:[0,1]
	v_pk_add_f32 v[54:55], v[16:17], v[52:53]
	v_mov_b32_e32 v51, v16
	v_mov_b32_e32 v15, v55
	v_pk_add_f32 v[56:57], v[50:51], v[14:15] neg_lo:[0,1] neg_hi:[0,1]
	v_pk_add_f32 v[14:15], v[50:51], v[14:15]
	v_mov_b32_e32 v52, v53
	v_pk_add_f32 v[50:51], v[14:15], v[16:17] op_sel:[1,0] op_sel_hi:[0,1] neg_lo:[0,1] neg_hi:[0,1]
	v_pk_add_f32 v[58:59], v[54:55], v[50:51] op_sel_hi:[1,0] neg_lo:[0,1] neg_hi:[0,1]
	v_mov_b32_e32 v54, v55
	v_mov_b32_e32 v55, v15
	v_pk_mov_b32 v[50:51], v[16:17], v[50:51] op_sel:[1,0]
	v_mov_b32_e32 v53, v16
	v_pk_add_f32 v[50:51], v[54:55], v[50:51] neg_lo:[0,1] neg_hi:[0,1]
	v_mov_b32_e32 v58, v56
	v_pk_add_f32 v[16:17], v[52:53], v[50:51] neg_lo:[0,1] neg_hi:[0,1]
	v_mov_b32_e32 v57, v15
	v_pk_add_f32 v[50:51], v[58:59], v[16:17]
	s_mov_b32 s62, 0x33800000
	v_pk_add_f32 v[52:53], v[50:51], v[50:51] op_sel:[0,1] op_sel_hi:[1,0]
	s_nop 0
	v_pk_add_f32 v[14:15], v[14:15], v[52:53] op_sel:[1,0] op_sel_hi:[0,1]
	v_mov_b32_e32 v51, v14
	v_pk_add_f32 v[54:55], v[50:51], v[56:57] neg_lo:[0,1] neg_hi:[0,1]
	v_mov_b32_e32 v17, v52
	v_sub_f32_e32 v15, v50, v54
	v_pk_add_f32 v[16:17], v[16:17], v[54:55] neg_lo:[0,1] neg_hi:[0,1]
	v_sub_f32_e32 v15, v56, v15
	v_add_f32_e32 v15, v16, v15
	v_add_f32_e32 v15, v15, v17
	;; [unrolled: 1-line block ×3, first 2 shown]
	v_cndmask_b32_e32 v14, v47, v14, vcc
	v_cmp_lt_f32_e64 vcc, |v49|, s62
	s_nop 1
	v_cndmask_b32_e32 v14, v14, v49, vcc
	v_add_f32_e32 v11, v11, v14
	v_cvt_f16_f32_e32 v15, v11
.LBB416_129:
	s_or_b64 exec, exec, s[38:39]
	v_mov_b32_e32 v52, v15
.LBB416_130:
	s_or_b64 exec, exec, s[58:59]
                                        ; implicit-def: $vgpr14
	v_mov_b32_e32 v11, 0
	s_movk_i32 s62, 0x1f8
	s_mov_b32 s63, 0x3fb8aa3b
	s_mov_b32 s64, 0xc2ce8ed0
	;; [unrolled: 1-line block ×5, first 2 shown]
	v_mov_b32_e32 v49, 0x3ecc95a3
	s_mov_b32 s68, 0x3f317218
	s_mov_b32 s69, 0x33800000
	v_mov_b32_e32 v50, 2
	v_mov_b32_e32 v51, 0x7f800000
	;; [unrolled: 1-line block ×3, first 2 shown]
	s_branch .LBB416_133
.LBB416_131:                            ;   in Loop: Header=BB416_133 Depth=1
	s_or_b64 exec, exec, s[38:39]
	v_subrev_u32_e32 v10, 64, v10
	s_mov_b64 s[38:39], 0
.LBB416_132:                            ;   in Loop: Header=BB416_133 Depth=1
	s_and_b64 vcc, exec, s[38:39]
	s_cbranch_vccnz .LBB416_165
.LBB416_133:                            ; =>This Loop Header: Depth=1
                                        ;     Child Loop BB416_136 Depth 2
	v_cmp_ne_u16_sdwa s[38:39], v35, v50 src0_sel:BYTE_0 src1_sel:DWORD
	v_mov_b32_e32 v47, v52
	s_cmp_lg_u64 s[38:39], exec
	s_mov_b64 s[38:39], -1
                                        ; implicit-def: $vgpr52
                                        ; implicit-def: $vgpr35
	s_cbranch_scc1 .LBB416_132
; %bb.134:                              ;   in Loop: Header=BB416_133 Depth=1
	v_lshl_add_u64 v[16:17], v[10:11], 2, s[56:57]
	global_load_dword v52, v[16:17], off sc1
	s_waitcnt vmcnt(0)
	v_lshrrev_b32_e32 v35, 16, v52
	v_cmp_eq_u16_sdwa s[58:59], v35, v11 src0_sel:BYTE_0 src1_sel:DWORD
	s_and_saveexec_b64 s[38:39], s[58:59]
	s_cbranch_execz .LBB416_138
; %bb.135:                              ;   in Loop: Header=BB416_133 Depth=1
	s_mov_b64 s[58:59], 0
.LBB416_136:                            ;   Parent Loop BB416_133 Depth=1
                                        ; =>  This Inner Loop Header: Depth=2
	global_load_dword v52, v[16:17], off sc1
	s_waitcnt vmcnt(0)
	v_lshrrev_b32_e32 v35, 16, v52
	v_cmp_ne_u16_sdwa s[70:71], v35, v11 src0_sel:BYTE_0 src1_sel:DWORD
	s_or_b64 s[58:59], s[70:71], s[58:59]
	s_andn2_b64 exec, exec, s[58:59]
	s_cbranch_execnz .LBB416_136
; %bb.137:                              ;   in Loop: Header=BB416_133 Depth=1
	s_or_b64 exec, exec, s[58:59]
.LBB416_138:                            ;   in Loop: Header=BB416_133 Depth=1
	s_or_b64 exec, exec, s[38:39]
	v_cmp_eq_u16_sdwa s[38:39], v35, v50 src0_sel:BYTE_0 src1_sel:DWORD
	s_waitcnt lgkmcnt(0)
	s_nop 0
	v_and_b32_e32 v15, s39, v13
	v_or_b32_e32 v15, 0x80000000, v15
	v_ffbl_b32_e32 v17, v15
	v_and_b32_e32 v15, 0xffff, v52
	ds_bpermute_b32 v53, v37, v15
	v_and_b32_e32 v16, s38, v12
	v_add_u32_e32 v17, 32, v17
	v_ffbl_b32_e32 v16, v16
	v_min_u32_e32 v16, v16, v17
	v_cmp_lt_u32_e32 vcc, v36, v16
	s_and_saveexec_b64 s[58:59], vcc
	s_cbranch_execz .LBB416_142
; %bb.139:                              ;   in Loop: Header=BB416_133 Depth=1
	s_waitcnt lgkmcnt(0)
	v_cvt_f32_f16_e32 v17, v53
	v_cvt_f32_f16_e32 v54, v52
	v_cmp_u_f16_e32 vcc, v53, v53
	v_cmp_u_f16_e64 s[38:39], v52, v52
	v_min_f32_e32 v15, v17, v54
	v_max_f32_e32 v52, v17, v54
	v_cndmask_b32_e32 v15, v15, v17, vcc
	v_cndmask_b32_e32 v17, v52, v17, vcc
	v_cndmask_b32_e64 v15, v15, v54, s[38:39]
	v_cndmask_b32_e64 v17, v17, v54, s[38:39]
	v_cmp_neq_f32_e32 vcc, v15, v17
	v_cmp_class_f32_e64 s[38:39], v15, s62
	s_or_b64 s[70:71], vcc, s[38:39]
	s_and_saveexec_b64 s[38:39], s[70:71]
	s_cbranch_execz .LBB416_141
; %bb.140:                              ;   in Loop: Header=BB416_133 Depth=1
	v_sub_f32_e32 v15, v15, v17
	v_mul_f32_e32 v52, 0x3fb8aa3b, v15
	v_fma_f32 v53, v15, s63, -v52
	v_rndne_f32_e32 v54, v52
	v_fmac_f32_e32 v53, 0x32a5705f, v15
	v_sub_f32_e32 v52, v52, v54
	v_add_f32_e32 v52, v52, v53
	v_cvt_i32_f32_e32 v53, v54
	v_exp_f32_e32 v52, v52
	v_cmp_ngt_f32_e32 vcc, s64, v15
	v_ldexp_f32 v52, v52, v53
	s_nop 0
	v_cndmask_b32_e32 v52, 0, v52, vcc
	v_cmp_nlt_f32_e32 vcc, s65, v15
	s_nop 1
	v_cndmask_b32_e32 v66, v51, v52, vcc
	v_add_f32_e32 v15, 1.0, v66
	v_add_f32_e32 v52, -1.0, v15
	v_sub_f32_e32 v53, v52, v15
	v_add_f32_e32 v53, 1.0, v53
	v_sub_f32_e32 v52, v66, v52
	v_add_f32_e32 v54, v52, v53
	v_frexp_mant_f32_e32 v55, v15
	v_cvt_f64_f32_e32 v[52:53], v15
	v_frexp_exp_i32_f64_e32 v52, v[52:53]
	v_cmp_gt_f32_e32 vcc, s67, v55
	s_nop 1
	v_subbrev_co_u32_e32 v60, vcc, 0, v52, vcc
	v_sub_u32_e32 v52, 0, v60
	v_ldexp_f32 v15, v15, v52
	v_ldexp_f32 v52, v54, v52
	v_add_f32_e32 v54, -1.0, v15
	v_add_f32_e32 v53, 1.0, v54
	v_sub_f32_e32 v53, v15, v53
	v_add_f32_e32 v55, v52, v53
	v_add_f32_e32 v53, 1.0, v15
	v_add_f32_e32 v56, -1.0, v53
	v_sub_f32_e32 v15, v15, v56
	v_add_f32_e32 v15, v52, v15
	v_add_f32_e32 v61, v53, v15
	v_rcp_f32_e32 v62, v61
	v_sub_f32_e32 v52, v53, v61
	v_add_f32_e32 v53, v54, v55
	v_add_f32_e32 v15, v15, v52
	v_mul_f32_e32 v64, v53, v62
	v_sub_f32_e32 v52, v54, v53
	v_mul_f32_e32 v54, v61, v64
	v_fma_f32 v56, v64, v61, -v54
	v_fmac_f32_e32 v56, v64, v15
	v_add_f32_e32 v63, v55, v52
	v_add_f32_e32 v52, v54, v56
	v_sub_f32_e32 v55, v53, v52
	v_pk_add_f32 v[58:59], v[52:53], v[54:55] neg_lo:[0,1] neg_hi:[0,1]
	v_mov_b32_e32 v57, v52
	v_pk_add_f32 v[52:53], v[58:59], v[56:57] neg_lo:[0,1] neg_hi:[0,1]
	v_cmp_neq_f32_e32 vcc, s66, v66
	v_add_f32_e32 v53, v63, v53
	v_add_f32_e32 v52, v52, v53
	v_add_f32_e32 v53, v55, v52
	v_mul_f32_e32 v63, v62, v53
	v_mul_f32_e32 v54, v61, v63
	v_fma_f32 v56, v63, v61, -v54
	v_fmac_f32_e32 v56, v63, v15
	v_sub_f32_e32 v15, v55, v53
	v_add_f32_e32 v15, v52, v15
	v_add_f32_e32 v52, v54, v56
	v_sub_f32_e32 v55, v53, v52
	v_pk_add_f32 v[58:59], v[52:53], v[54:55] neg_lo:[0,1] neg_hi:[0,1]
	v_mov_b32_e32 v57, v52
	v_pk_add_f32 v[52:53], v[58:59], v[56:57] neg_lo:[0,1] neg_hi:[0,1]
	s_nop 0
	v_add_f32_e32 v15, v15, v53
	v_add_f32_e32 v15, v52, v15
	;; [unrolled: 1-line block ×4, first 2 shown]
	v_sub_f32_e32 v52, v53, v64
	v_mul_f32_e32 v15, v62, v15
	v_sub_f32_e32 v52, v63, v52
	v_add_f32_e32 v54, v52, v15
	v_add_f32_e32 v56, v53, v54
	v_cvt_f32_i32_e32 v52, v60
	v_mul_f32_e32 v57, v56, v56
	v_sub_f32_e32 v53, v56, v53
	v_fmamk_f32 v15, v57, 0x3e9b6dac, v49
	v_sub_f32_e32 v53, v54, v53
	v_fmaak_f32 v15, v57, v15, 0x3f2aaada
	v_ldexp_f32 v58, v53, 1
	v_mul_f32_e32 v53, v56, v57
	v_ldexp_f32 v55, v56, 1
	v_pk_mul_f32 v[56:57], v[52:53], v[14:15]
	s_nop 0
	v_fma_f32 v54, v52, s68, -v56
	v_fmac_f32_e32 v54, 0xb102e308, v52
	v_pk_add_f32 v[52:53], v[56:57], v[54:55]
	s_nop 0
	v_sub_f32_e32 v15, v53, v55
	v_sub_f32_e32 v15, v57, v15
	v_add_f32_e32 v59, v58, v15
	v_mov_b32_e32 v58, v56
	v_pk_add_f32 v[56:57], v[52:53], v[56:57] neg_lo:[0,1] neg_hi:[0,1]
	v_pk_add_f32 v[60:61], v[52:53], v[58:59]
	v_mov_b32_e32 v55, v52
	v_mov_b32_e32 v57, v61
	v_pk_add_f32 v[62:63], v[54:55], v[56:57] neg_lo:[0,1] neg_hi:[0,1]
	v_pk_add_f32 v[54:55], v[54:55], v[56:57]
	v_mov_b32_e32 v58, v59
	v_pk_add_f32 v[56:57], v[54:55], v[52:53] op_sel:[1,0] op_sel_hi:[0,1] neg_lo:[0,1] neg_hi:[0,1]
	v_pk_add_f32 v[64:65], v[60:61], v[56:57] op_sel_hi:[1,0] neg_lo:[0,1] neg_hi:[0,1]
	v_mov_b32_e32 v60, v61
	v_mov_b32_e32 v61, v55
	v_pk_mov_b32 v[56:57], v[52:53], v[56:57] op_sel:[1,0]
	v_mov_b32_e32 v59, v52
	v_pk_add_f32 v[56:57], v[60:61], v[56:57] neg_lo:[0,1] neg_hi:[0,1]
	v_mov_b32_e32 v64, v62
	v_pk_add_f32 v[52:53], v[58:59], v[56:57] neg_lo:[0,1] neg_hi:[0,1]
	v_mov_b32_e32 v63, v55
	v_pk_add_f32 v[56:57], v[64:65], v[52:53]
	s_nop 0
	v_pk_add_f32 v[58:59], v[56:57], v[56:57] op_sel:[0,1] op_sel_hi:[1,0]
	s_nop 0
	v_pk_add_f32 v[54:55], v[54:55], v[58:59] op_sel:[1,0] op_sel_hi:[0,1]
	v_mov_b32_e32 v57, v54
	v_pk_add_f32 v[60:61], v[56:57], v[62:63] neg_lo:[0,1] neg_hi:[0,1]
	v_mov_b32_e32 v53, v58
	v_sub_f32_e32 v15, v56, v60
	v_pk_add_f32 v[52:53], v[52:53], v[60:61] neg_lo:[0,1] neg_hi:[0,1]
	v_sub_f32_e32 v15, v62, v15
	v_add_f32_e32 v15, v52, v15
	v_add_f32_e32 v15, v15, v53
	;; [unrolled: 1-line block ×3, first 2 shown]
	v_cndmask_b32_e32 v15, v51, v15, vcc
	v_cmp_lt_f32_e64 vcc, |v66|, s69
	s_nop 1
	v_cndmask_b32_e32 v15, v15, v66, vcc
	v_add_f32_e32 v15, v17, v15
	v_cvt_f16_f32_e32 v53, v15
.LBB416_141:                            ;   in Loop: Header=BB416_133 Depth=1
	s_or_b64 exec, exec, s[38:39]
	v_and_b32_e32 v15, 0xffff, v53
	v_mov_b32_e32 v52, v53
.LBB416_142:                            ;   in Loop: Header=BB416_133 Depth=1
	s_or_b64 exec, exec, s[58:59]
	s_waitcnt lgkmcnt(0)
	ds_bpermute_b32 v53, v38, v15
	v_cmp_le_u32_e32 vcc, v39, v16
	s_and_saveexec_b64 s[58:59], vcc
	s_cbranch_execz .LBB416_146
; %bb.143:                              ;   in Loop: Header=BB416_133 Depth=1
	s_waitcnt lgkmcnt(0)
	v_cvt_f32_f16_e32 v17, v53
	v_cvt_f32_f16_e32 v54, v52
	v_cmp_u_f16_e32 vcc, v53, v53
	v_cmp_u_f16_e64 s[38:39], v52, v52
	v_min_f32_e32 v15, v17, v54
	v_max_f32_e32 v52, v17, v54
	v_cndmask_b32_e32 v15, v15, v17, vcc
	v_cndmask_b32_e32 v17, v52, v17, vcc
	v_cndmask_b32_e64 v15, v15, v54, s[38:39]
	v_cndmask_b32_e64 v17, v17, v54, s[38:39]
	v_cmp_neq_f32_e32 vcc, v15, v17
	v_cmp_class_f32_e64 s[38:39], v15, s62
	s_or_b64 s[70:71], vcc, s[38:39]
	s_and_saveexec_b64 s[38:39], s[70:71]
	s_cbranch_execz .LBB416_145
; %bb.144:                              ;   in Loop: Header=BB416_133 Depth=1
	v_sub_f32_e32 v15, v15, v17
	v_mul_f32_e32 v52, 0x3fb8aa3b, v15
	v_fma_f32 v53, v15, s63, -v52
	v_rndne_f32_e32 v54, v52
	v_fmac_f32_e32 v53, 0x32a5705f, v15
	v_sub_f32_e32 v52, v52, v54
	v_add_f32_e32 v52, v52, v53
	v_cvt_i32_f32_e32 v53, v54
	v_exp_f32_e32 v52, v52
	v_cmp_ngt_f32_e32 vcc, s64, v15
	v_ldexp_f32 v52, v52, v53
	s_nop 0
	v_cndmask_b32_e32 v52, 0, v52, vcc
	v_cmp_nlt_f32_e32 vcc, s65, v15
	s_nop 1
	v_cndmask_b32_e32 v66, v51, v52, vcc
	v_add_f32_e32 v15, 1.0, v66
	v_add_f32_e32 v52, -1.0, v15
	v_sub_f32_e32 v53, v52, v15
	v_add_f32_e32 v53, 1.0, v53
	v_sub_f32_e32 v52, v66, v52
	v_add_f32_e32 v54, v52, v53
	v_frexp_mant_f32_e32 v55, v15
	v_cvt_f64_f32_e32 v[52:53], v15
	v_frexp_exp_i32_f64_e32 v52, v[52:53]
	v_cmp_gt_f32_e32 vcc, s67, v55
	s_nop 1
	v_subbrev_co_u32_e32 v60, vcc, 0, v52, vcc
	v_sub_u32_e32 v52, 0, v60
	v_ldexp_f32 v15, v15, v52
	v_ldexp_f32 v52, v54, v52
	v_add_f32_e32 v54, -1.0, v15
	v_add_f32_e32 v53, 1.0, v54
	v_sub_f32_e32 v53, v15, v53
	v_add_f32_e32 v55, v52, v53
	v_add_f32_e32 v53, 1.0, v15
	v_add_f32_e32 v56, -1.0, v53
	v_sub_f32_e32 v15, v15, v56
	v_add_f32_e32 v15, v52, v15
	v_add_f32_e32 v61, v53, v15
	v_rcp_f32_e32 v62, v61
	v_sub_f32_e32 v52, v53, v61
	v_add_f32_e32 v53, v54, v55
	v_add_f32_e32 v15, v15, v52
	v_mul_f32_e32 v64, v53, v62
	v_sub_f32_e32 v52, v54, v53
	v_mul_f32_e32 v54, v61, v64
	v_fma_f32 v56, v64, v61, -v54
	v_fmac_f32_e32 v56, v64, v15
	v_add_f32_e32 v63, v55, v52
	v_add_f32_e32 v52, v54, v56
	v_sub_f32_e32 v55, v53, v52
	v_pk_add_f32 v[58:59], v[52:53], v[54:55] neg_lo:[0,1] neg_hi:[0,1]
	v_mov_b32_e32 v57, v52
	v_pk_add_f32 v[52:53], v[58:59], v[56:57] neg_lo:[0,1] neg_hi:[0,1]
	v_cmp_neq_f32_e32 vcc, s66, v66
	v_add_f32_e32 v53, v63, v53
	v_add_f32_e32 v52, v52, v53
	;; [unrolled: 1-line block ×3, first 2 shown]
	v_mul_f32_e32 v63, v62, v53
	v_mul_f32_e32 v54, v61, v63
	v_fma_f32 v56, v63, v61, -v54
	v_fmac_f32_e32 v56, v63, v15
	v_sub_f32_e32 v15, v55, v53
	v_add_f32_e32 v15, v52, v15
	v_add_f32_e32 v52, v54, v56
	v_sub_f32_e32 v55, v53, v52
	v_pk_add_f32 v[58:59], v[52:53], v[54:55] neg_lo:[0,1] neg_hi:[0,1]
	v_mov_b32_e32 v57, v52
	v_pk_add_f32 v[52:53], v[58:59], v[56:57] neg_lo:[0,1] neg_hi:[0,1]
	s_nop 0
	v_add_f32_e32 v15, v15, v53
	v_add_f32_e32 v15, v52, v15
	;; [unrolled: 1-line block ×4, first 2 shown]
	v_sub_f32_e32 v52, v53, v64
	v_mul_f32_e32 v15, v62, v15
	v_sub_f32_e32 v52, v63, v52
	v_add_f32_e32 v54, v52, v15
	v_add_f32_e32 v56, v53, v54
	v_cvt_f32_i32_e32 v52, v60
	v_mul_f32_e32 v57, v56, v56
	v_sub_f32_e32 v53, v56, v53
	v_fmamk_f32 v15, v57, 0x3e9b6dac, v49
	v_sub_f32_e32 v53, v54, v53
	v_fmaak_f32 v15, v57, v15, 0x3f2aaada
	v_ldexp_f32 v58, v53, 1
	v_mul_f32_e32 v53, v56, v57
	v_ldexp_f32 v55, v56, 1
	v_pk_mul_f32 v[56:57], v[52:53], v[14:15]
	s_nop 0
	v_fma_f32 v54, v52, s68, -v56
	v_fmac_f32_e32 v54, 0xb102e308, v52
	v_pk_add_f32 v[52:53], v[56:57], v[54:55]
	s_nop 0
	v_sub_f32_e32 v15, v53, v55
	v_sub_f32_e32 v15, v57, v15
	v_add_f32_e32 v59, v58, v15
	v_mov_b32_e32 v58, v56
	v_pk_add_f32 v[56:57], v[52:53], v[56:57] neg_lo:[0,1] neg_hi:[0,1]
	v_pk_add_f32 v[60:61], v[52:53], v[58:59]
	v_mov_b32_e32 v55, v52
	v_mov_b32_e32 v57, v61
	v_pk_add_f32 v[62:63], v[54:55], v[56:57] neg_lo:[0,1] neg_hi:[0,1]
	v_pk_add_f32 v[54:55], v[54:55], v[56:57]
	v_mov_b32_e32 v58, v59
	v_pk_add_f32 v[56:57], v[54:55], v[52:53] op_sel:[1,0] op_sel_hi:[0,1] neg_lo:[0,1] neg_hi:[0,1]
	v_pk_add_f32 v[64:65], v[60:61], v[56:57] op_sel_hi:[1,0] neg_lo:[0,1] neg_hi:[0,1]
	v_mov_b32_e32 v60, v61
	v_mov_b32_e32 v61, v55
	v_pk_mov_b32 v[56:57], v[52:53], v[56:57] op_sel:[1,0]
	v_mov_b32_e32 v59, v52
	v_pk_add_f32 v[56:57], v[60:61], v[56:57] neg_lo:[0,1] neg_hi:[0,1]
	v_mov_b32_e32 v64, v62
	v_pk_add_f32 v[52:53], v[58:59], v[56:57] neg_lo:[0,1] neg_hi:[0,1]
	v_mov_b32_e32 v63, v55
	v_pk_add_f32 v[56:57], v[64:65], v[52:53]
	s_nop 0
	v_pk_add_f32 v[58:59], v[56:57], v[56:57] op_sel:[0,1] op_sel_hi:[1,0]
	s_nop 0
	v_pk_add_f32 v[54:55], v[54:55], v[58:59] op_sel:[1,0] op_sel_hi:[0,1]
	v_mov_b32_e32 v57, v54
	v_pk_add_f32 v[60:61], v[56:57], v[62:63] neg_lo:[0,1] neg_hi:[0,1]
	v_mov_b32_e32 v53, v58
	v_sub_f32_e32 v15, v56, v60
	v_pk_add_f32 v[52:53], v[52:53], v[60:61] neg_lo:[0,1] neg_hi:[0,1]
	v_sub_f32_e32 v15, v62, v15
	v_add_f32_e32 v15, v52, v15
	v_add_f32_e32 v15, v15, v53
	;; [unrolled: 1-line block ×3, first 2 shown]
	v_cndmask_b32_e32 v15, v51, v15, vcc
	v_cmp_lt_f32_e64 vcc, |v66|, s69
	s_nop 1
	v_cndmask_b32_e32 v15, v15, v66, vcc
	v_add_f32_e32 v15, v17, v15
	v_cvt_f16_f32_e32 v53, v15
.LBB416_145:                            ;   in Loop: Header=BB416_133 Depth=1
	s_or_b64 exec, exec, s[38:39]
	v_and_b32_e32 v15, 0xffff, v53
	v_mov_b32_e32 v52, v53
.LBB416_146:                            ;   in Loop: Header=BB416_133 Depth=1
	s_or_b64 exec, exec, s[58:59]
	s_waitcnt lgkmcnt(0)
	ds_bpermute_b32 v53, v40, v15
	v_cmp_le_u32_e32 vcc, v41, v16
	s_and_saveexec_b64 s[58:59], vcc
	s_cbranch_execz .LBB416_150
; %bb.147:                              ;   in Loop: Header=BB416_133 Depth=1
	s_waitcnt lgkmcnt(0)
	v_cvt_f32_f16_e32 v17, v53
	v_cvt_f32_f16_e32 v54, v52
	v_cmp_u_f16_e32 vcc, v53, v53
	v_cmp_u_f16_e64 s[38:39], v52, v52
	v_min_f32_e32 v15, v17, v54
	v_max_f32_e32 v52, v17, v54
	v_cndmask_b32_e32 v15, v15, v17, vcc
	v_cndmask_b32_e32 v17, v52, v17, vcc
	v_cndmask_b32_e64 v15, v15, v54, s[38:39]
	v_cndmask_b32_e64 v17, v17, v54, s[38:39]
	v_cmp_neq_f32_e32 vcc, v15, v17
	v_cmp_class_f32_e64 s[38:39], v15, s62
	s_or_b64 s[70:71], vcc, s[38:39]
	s_and_saveexec_b64 s[38:39], s[70:71]
	s_cbranch_execz .LBB416_149
; %bb.148:                              ;   in Loop: Header=BB416_133 Depth=1
	v_sub_f32_e32 v15, v15, v17
	v_mul_f32_e32 v52, 0x3fb8aa3b, v15
	v_fma_f32 v53, v15, s63, -v52
	v_rndne_f32_e32 v54, v52
	v_fmac_f32_e32 v53, 0x32a5705f, v15
	v_sub_f32_e32 v52, v52, v54
	v_add_f32_e32 v52, v52, v53
	v_cvt_i32_f32_e32 v53, v54
	v_exp_f32_e32 v52, v52
	v_cmp_ngt_f32_e32 vcc, s64, v15
	v_ldexp_f32 v52, v52, v53
	s_nop 0
	v_cndmask_b32_e32 v52, 0, v52, vcc
	v_cmp_nlt_f32_e32 vcc, s65, v15
	s_nop 1
	v_cndmask_b32_e32 v66, v51, v52, vcc
	v_add_f32_e32 v15, 1.0, v66
	v_add_f32_e32 v52, -1.0, v15
	v_sub_f32_e32 v53, v52, v15
	v_add_f32_e32 v53, 1.0, v53
	v_sub_f32_e32 v52, v66, v52
	v_add_f32_e32 v54, v52, v53
	v_frexp_mant_f32_e32 v55, v15
	v_cvt_f64_f32_e32 v[52:53], v15
	v_frexp_exp_i32_f64_e32 v52, v[52:53]
	v_cmp_gt_f32_e32 vcc, s67, v55
	s_nop 1
	v_subbrev_co_u32_e32 v60, vcc, 0, v52, vcc
	v_sub_u32_e32 v52, 0, v60
	v_ldexp_f32 v15, v15, v52
	v_ldexp_f32 v52, v54, v52
	v_add_f32_e32 v54, -1.0, v15
	v_add_f32_e32 v53, 1.0, v54
	v_sub_f32_e32 v53, v15, v53
	v_add_f32_e32 v55, v52, v53
	v_add_f32_e32 v53, 1.0, v15
	v_add_f32_e32 v56, -1.0, v53
	v_sub_f32_e32 v15, v15, v56
	v_add_f32_e32 v15, v52, v15
	v_add_f32_e32 v61, v53, v15
	v_rcp_f32_e32 v62, v61
	v_sub_f32_e32 v52, v53, v61
	v_add_f32_e32 v53, v54, v55
	v_add_f32_e32 v15, v15, v52
	v_mul_f32_e32 v64, v53, v62
	v_sub_f32_e32 v52, v54, v53
	v_mul_f32_e32 v54, v61, v64
	v_fma_f32 v56, v64, v61, -v54
	v_fmac_f32_e32 v56, v64, v15
	v_add_f32_e32 v63, v55, v52
	v_add_f32_e32 v52, v54, v56
	v_sub_f32_e32 v55, v53, v52
	v_pk_add_f32 v[58:59], v[52:53], v[54:55] neg_lo:[0,1] neg_hi:[0,1]
	v_mov_b32_e32 v57, v52
	v_pk_add_f32 v[52:53], v[58:59], v[56:57] neg_lo:[0,1] neg_hi:[0,1]
	v_cmp_neq_f32_e32 vcc, s66, v66
	v_add_f32_e32 v53, v63, v53
	v_add_f32_e32 v52, v52, v53
	;; [unrolled: 1-line block ×3, first 2 shown]
	v_mul_f32_e32 v63, v62, v53
	v_mul_f32_e32 v54, v61, v63
	v_fma_f32 v56, v63, v61, -v54
	v_fmac_f32_e32 v56, v63, v15
	v_sub_f32_e32 v15, v55, v53
	v_add_f32_e32 v15, v52, v15
	v_add_f32_e32 v52, v54, v56
	v_sub_f32_e32 v55, v53, v52
	v_pk_add_f32 v[58:59], v[52:53], v[54:55] neg_lo:[0,1] neg_hi:[0,1]
	v_mov_b32_e32 v57, v52
	v_pk_add_f32 v[52:53], v[58:59], v[56:57] neg_lo:[0,1] neg_hi:[0,1]
	s_nop 0
	v_add_f32_e32 v15, v15, v53
	v_add_f32_e32 v15, v52, v15
	;; [unrolled: 1-line block ×4, first 2 shown]
	v_sub_f32_e32 v52, v53, v64
	v_mul_f32_e32 v15, v62, v15
	v_sub_f32_e32 v52, v63, v52
	v_add_f32_e32 v54, v52, v15
	v_add_f32_e32 v56, v53, v54
	v_cvt_f32_i32_e32 v52, v60
	v_mul_f32_e32 v57, v56, v56
	v_sub_f32_e32 v53, v56, v53
	v_fmamk_f32 v15, v57, 0x3e9b6dac, v49
	v_sub_f32_e32 v53, v54, v53
	v_fmaak_f32 v15, v57, v15, 0x3f2aaada
	v_ldexp_f32 v58, v53, 1
	v_mul_f32_e32 v53, v56, v57
	v_ldexp_f32 v55, v56, 1
	v_pk_mul_f32 v[56:57], v[52:53], v[14:15]
	s_nop 0
	v_fma_f32 v54, v52, s68, -v56
	v_fmac_f32_e32 v54, 0xb102e308, v52
	v_pk_add_f32 v[52:53], v[56:57], v[54:55]
	s_nop 0
	v_sub_f32_e32 v15, v53, v55
	v_sub_f32_e32 v15, v57, v15
	v_add_f32_e32 v59, v58, v15
	v_mov_b32_e32 v58, v56
	v_pk_add_f32 v[56:57], v[52:53], v[56:57] neg_lo:[0,1] neg_hi:[0,1]
	v_pk_add_f32 v[60:61], v[52:53], v[58:59]
	v_mov_b32_e32 v55, v52
	v_mov_b32_e32 v57, v61
	v_pk_add_f32 v[62:63], v[54:55], v[56:57] neg_lo:[0,1] neg_hi:[0,1]
	v_pk_add_f32 v[54:55], v[54:55], v[56:57]
	v_mov_b32_e32 v58, v59
	v_pk_add_f32 v[56:57], v[54:55], v[52:53] op_sel:[1,0] op_sel_hi:[0,1] neg_lo:[0,1] neg_hi:[0,1]
	v_pk_add_f32 v[64:65], v[60:61], v[56:57] op_sel_hi:[1,0] neg_lo:[0,1] neg_hi:[0,1]
	v_mov_b32_e32 v60, v61
	v_mov_b32_e32 v61, v55
	v_pk_mov_b32 v[56:57], v[52:53], v[56:57] op_sel:[1,0]
	v_mov_b32_e32 v59, v52
	v_pk_add_f32 v[56:57], v[60:61], v[56:57] neg_lo:[0,1] neg_hi:[0,1]
	v_mov_b32_e32 v64, v62
	v_pk_add_f32 v[52:53], v[58:59], v[56:57] neg_lo:[0,1] neg_hi:[0,1]
	v_mov_b32_e32 v63, v55
	v_pk_add_f32 v[56:57], v[64:65], v[52:53]
	s_nop 0
	v_pk_add_f32 v[58:59], v[56:57], v[56:57] op_sel:[0,1] op_sel_hi:[1,0]
	s_nop 0
	v_pk_add_f32 v[54:55], v[54:55], v[58:59] op_sel:[1,0] op_sel_hi:[0,1]
	v_mov_b32_e32 v57, v54
	v_pk_add_f32 v[60:61], v[56:57], v[62:63] neg_lo:[0,1] neg_hi:[0,1]
	v_mov_b32_e32 v53, v58
	v_sub_f32_e32 v15, v56, v60
	v_pk_add_f32 v[52:53], v[52:53], v[60:61] neg_lo:[0,1] neg_hi:[0,1]
	v_sub_f32_e32 v15, v62, v15
	v_add_f32_e32 v15, v52, v15
	v_add_f32_e32 v15, v15, v53
	;; [unrolled: 1-line block ×3, first 2 shown]
	v_cndmask_b32_e32 v15, v51, v15, vcc
	v_cmp_lt_f32_e64 vcc, |v66|, s69
	s_nop 1
	v_cndmask_b32_e32 v15, v15, v66, vcc
	v_add_f32_e32 v15, v17, v15
	v_cvt_f16_f32_e32 v53, v15
.LBB416_149:                            ;   in Loop: Header=BB416_133 Depth=1
	s_or_b64 exec, exec, s[38:39]
	v_and_b32_e32 v15, 0xffff, v53
	v_mov_b32_e32 v52, v53
.LBB416_150:                            ;   in Loop: Header=BB416_133 Depth=1
	s_or_b64 exec, exec, s[58:59]
	s_waitcnt lgkmcnt(0)
	ds_bpermute_b32 v53, v42, v15
	v_cmp_le_u32_e32 vcc, v43, v16
	s_and_saveexec_b64 s[58:59], vcc
	s_cbranch_execz .LBB416_154
; %bb.151:                              ;   in Loop: Header=BB416_133 Depth=1
	s_waitcnt lgkmcnt(0)
	v_cvt_f32_f16_e32 v17, v53
	v_cvt_f32_f16_e32 v54, v52
	v_cmp_u_f16_e32 vcc, v53, v53
	v_cmp_u_f16_e64 s[38:39], v52, v52
	v_min_f32_e32 v15, v17, v54
	v_max_f32_e32 v52, v17, v54
	v_cndmask_b32_e32 v15, v15, v17, vcc
	v_cndmask_b32_e32 v17, v52, v17, vcc
	v_cndmask_b32_e64 v15, v15, v54, s[38:39]
	v_cndmask_b32_e64 v17, v17, v54, s[38:39]
	v_cmp_neq_f32_e32 vcc, v15, v17
	v_cmp_class_f32_e64 s[38:39], v15, s62
	s_or_b64 s[70:71], vcc, s[38:39]
	s_and_saveexec_b64 s[38:39], s[70:71]
	s_cbranch_execz .LBB416_153
; %bb.152:                              ;   in Loop: Header=BB416_133 Depth=1
	v_sub_f32_e32 v15, v15, v17
	v_mul_f32_e32 v52, 0x3fb8aa3b, v15
	v_fma_f32 v53, v15, s63, -v52
	v_rndne_f32_e32 v54, v52
	v_fmac_f32_e32 v53, 0x32a5705f, v15
	v_sub_f32_e32 v52, v52, v54
	v_add_f32_e32 v52, v52, v53
	v_cvt_i32_f32_e32 v53, v54
	v_exp_f32_e32 v52, v52
	v_cmp_ngt_f32_e32 vcc, s64, v15
	v_ldexp_f32 v52, v52, v53
	s_nop 0
	v_cndmask_b32_e32 v52, 0, v52, vcc
	v_cmp_nlt_f32_e32 vcc, s65, v15
	s_nop 1
	v_cndmask_b32_e32 v66, v51, v52, vcc
	v_add_f32_e32 v15, 1.0, v66
	v_add_f32_e32 v52, -1.0, v15
	v_sub_f32_e32 v53, v52, v15
	v_add_f32_e32 v53, 1.0, v53
	v_sub_f32_e32 v52, v66, v52
	v_add_f32_e32 v54, v52, v53
	v_frexp_mant_f32_e32 v55, v15
	v_cvt_f64_f32_e32 v[52:53], v15
	v_frexp_exp_i32_f64_e32 v52, v[52:53]
	v_cmp_gt_f32_e32 vcc, s67, v55
	s_nop 1
	v_subbrev_co_u32_e32 v60, vcc, 0, v52, vcc
	v_sub_u32_e32 v52, 0, v60
	v_ldexp_f32 v15, v15, v52
	v_ldexp_f32 v52, v54, v52
	v_add_f32_e32 v54, -1.0, v15
	v_add_f32_e32 v53, 1.0, v54
	v_sub_f32_e32 v53, v15, v53
	v_add_f32_e32 v55, v52, v53
	v_add_f32_e32 v53, 1.0, v15
	v_add_f32_e32 v56, -1.0, v53
	v_sub_f32_e32 v15, v15, v56
	v_add_f32_e32 v15, v52, v15
	v_add_f32_e32 v61, v53, v15
	v_rcp_f32_e32 v62, v61
	v_sub_f32_e32 v52, v53, v61
	v_add_f32_e32 v53, v54, v55
	v_add_f32_e32 v15, v15, v52
	v_mul_f32_e32 v64, v53, v62
	v_sub_f32_e32 v52, v54, v53
	v_mul_f32_e32 v54, v61, v64
	v_fma_f32 v56, v64, v61, -v54
	v_fmac_f32_e32 v56, v64, v15
	v_add_f32_e32 v63, v55, v52
	v_add_f32_e32 v52, v54, v56
	v_sub_f32_e32 v55, v53, v52
	v_pk_add_f32 v[58:59], v[52:53], v[54:55] neg_lo:[0,1] neg_hi:[0,1]
	v_mov_b32_e32 v57, v52
	v_pk_add_f32 v[52:53], v[58:59], v[56:57] neg_lo:[0,1] neg_hi:[0,1]
	v_cmp_neq_f32_e32 vcc, s66, v66
	v_add_f32_e32 v53, v63, v53
	v_add_f32_e32 v52, v52, v53
	;; [unrolled: 1-line block ×3, first 2 shown]
	v_mul_f32_e32 v63, v62, v53
	v_mul_f32_e32 v54, v61, v63
	v_fma_f32 v56, v63, v61, -v54
	v_fmac_f32_e32 v56, v63, v15
	v_sub_f32_e32 v15, v55, v53
	v_add_f32_e32 v15, v52, v15
	v_add_f32_e32 v52, v54, v56
	v_sub_f32_e32 v55, v53, v52
	v_pk_add_f32 v[58:59], v[52:53], v[54:55] neg_lo:[0,1] neg_hi:[0,1]
	v_mov_b32_e32 v57, v52
	v_pk_add_f32 v[52:53], v[58:59], v[56:57] neg_lo:[0,1] neg_hi:[0,1]
	s_nop 0
	v_add_f32_e32 v15, v15, v53
	v_add_f32_e32 v15, v52, v15
	;; [unrolled: 1-line block ×4, first 2 shown]
	v_sub_f32_e32 v52, v53, v64
	v_mul_f32_e32 v15, v62, v15
	v_sub_f32_e32 v52, v63, v52
	v_add_f32_e32 v54, v52, v15
	v_add_f32_e32 v56, v53, v54
	v_cvt_f32_i32_e32 v52, v60
	v_mul_f32_e32 v57, v56, v56
	v_sub_f32_e32 v53, v56, v53
	v_fmamk_f32 v15, v57, 0x3e9b6dac, v49
	v_sub_f32_e32 v53, v54, v53
	v_fmaak_f32 v15, v57, v15, 0x3f2aaada
	v_ldexp_f32 v58, v53, 1
	v_mul_f32_e32 v53, v56, v57
	v_ldexp_f32 v55, v56, 1
	v_pk_mul_f32 v[56:57], v[52:53], v[14:15]
	s_nop 0
	v_fma_f32 v54, v52, s68, -v56
	v_fmac_f32_e32 v54, 0xb102e308, v52
	v_pk_add_f32 v[52:53], v[56:57], v[54:55]
	s_nop 0
	v_sub_f32_e32 v15, v53, v55
	v_sub_f32_e32 v15, v57, v15
	v_add_f32_e32 v59, v58, v15
	v_mov_b32_e32 v58, v56
	v_pk_add_f32 v[56:57], v[52:53], v[56:57] neg_lo:[0,1] neg_hi:[0,1]
	v_pk_add_f32 v[60:61], v[52:53], v[58:59]
	v_mov_b32_e32 v55, v52
	v_mov_b32_e32 v57, v61
	v_pk_add_f32 v[62:63], v[54:55], v[56:57] neg_lo:[0,1] neg_hi:[0,1]
	v_pk_add_f32 v[54:55], v[54:55], v[56:57]
	v_mov_b32_e32 v58, v59
	v_pk_add_f32 v[56:57], v[54:55], v[52:53] op_sel:[1,0] op_sel_hi:[0,1] neg_lo:[0,1] neg_hi:[0,1]
	v_pk_add_f32 v[64:65], v[60:61], v[56:57] op_sel_hi:[1,0] neg_lo:[0,1] neg_hi:[0,1]
	v_mov_b32_e32 v60, v61
	v_mov_b32_e32 v61, v55
	v_pk_mov_b32 v[56:57], v[52:53], v[56:57] op_sel:[1,0]
	v_mov_b32_e32 v59, v52
	v_pk_add_f32 v[56:57], v[60:61], v[56:57] neg_lo:[0,1] neg_hi:[0,1]
	v_mov_b32_e32 v64, v62
	v_pk_add_f32 v[52:53], v[58:59], v[56:57] neg_lo:[0,1] neg_hi:[0,1]
	v_mov_b32_e32 v63, v55
	v_pk_add_f32 v[56:57], v[64:65], v[52:53]
	s_nop 0
	v_pk_add_f32 v[58:59], v[56:57], v[56:57] op_sel:[0,1] op_sel_hi:[1,0]
	s_nop 0
	v_pk_add_f32 v[54:55], v[54:55], v[58:59] op_sel:[1,0] op_sel_hi:[0,1]
	v_mov_b32_e32 v57, v54
	v_pk_add_f32 v[60:61], v[56:57], v[62:63] neg_lo:[0,1] neg_hi:[0,1]
	v_mov_b32_e32 v53, v58
	v_sub_f32_e32 v15, v56, v60
	v_pk_add_f32 v[52:53], v[52:53], v[60:61] neg_lo:[0,1] neg_hi:[0,1]
	v_sub_f32_e32 v15, v62, v15
	v_add_f32_e32 v15, v52, v15
	v_add_f32_e32 v15, v15, v53
	;; [unrolled: 1-line block ×3, first 2 shown]
	v_cndmask_b32_e32 v15, v51, v15, vcc
	v_cmp_lt_f32_e64 vcc, |v66|, s69
	s_nop 1
	v_cndmask_b32_e32 v15, v15, v66, vcc
	v_add_f32_e32 v15, v17, v15
	v_cvt_f16_f32_e32 v53, v15
.LBB416_153:                            ;   in Loop: Header=BB416_133 Depth=1
	s_or_b64 exec, exec, s[38:39]
	v_and_b32_e32 v15, 0xffff, v53
	v_mov_b32_e32 v52, v53
.LBB416_154:                            ;   in Loop: Header=BB416_133 Depth=1
	s_or_b64 exec, exec, s[58:59]
	s_waitcnt lgkmcnt(0)
	ds_bpermute_b32 v53, v44, v15
	v_cmp_le_u32_e32 vcc, v45, v16
	s_and_saveexec_b64 s[58:59], vcc
	s_cbranch_execz .LBB416_158
; %bb.155:                              ;   in Loop: Header=BB416_133 Depth=1
	s_waitcnt lgkmcnt(0)
	v_cvt_f32_f16_e32 v17, v53
	v_cvt_f32_f16_e32 v54, v52
	v_cmp_u_f16_e32 vcc, v53, v53
	v_cmp_u_f16_e64 s[38:39], v52, v52
	v_min_f32_e32 v15, v17, v54
	v_max_f32_e32 v52, v17, v54
	v_cndmask_b32_e32 v15, v15, v17, vcc
	v_cndmask_b32_e32 v17, v52, v17, vcc
	v_cndmask_b32_e64 v15, v15, v54, s[38:39]
	v_cndmask_b32_e64 v17, v17, v54, s[38:39]
	v_cmp_neq_f32_e32 vcc, v15, v17
	v_cmp_class_f32_e64 s[38:39], v15, s62
	s_or_b64 s[70:71], vcc, s[38:39]
	s_and_saveexec_b64 s[38:39], s[70:71]
	s_cbranch_execz .LBB416_157
; %bb.156:                              ;   in Loop: Header=BB416_133 Depth=1
	v_sub_f32_e32 v15, v15, v17
	v_mul_f32_e32 v52, 0x3fb8aa3b, v15
	v_fma_f32 v53, v15, s63, -v52
	v_rndne_f32_e32 v54, v52
	v_fmac_f32_e32 v53, 0x32a5705f, v15
	v_sub_f32_e32 v52, v52, v54
	v_add_f32_e32 v52, v52, v53
	v_cvt_i32_f32_e32 v53, v54
	v_exp_f32_e32 v52, v52
	v_cmp_ngt_f32_e32 vcc, s64, v15
	v_ldexp_f32 v52, v52, v53
	s_nop 0
	v_cndmask_b32_e32 v52, 0, v52, vcc
	v_cmp_nlt_f32_e32 vcc, s65, v15
	s_nop 1
	v_cndmask_b32_e32 v66, v51, v52, vcc
	v_add_f32_e32 v15, 1.0, v66
	v_add_f32_e32 v52, -1.0, v15
	v_sub_f32_e32 v53, v52, v15
	v_add_f32_e32 v53, 1.0, v53
	v_sub_f32_e32 v52, v66, v52
	v_add_f32_e32 v54, v52, v53
	v_frexp_mant_f32_e32 v55, v15
	v_cvt_f64_f32_e32 v[52:53], v15
	v_frexp_exp_i32_f64_e32 v52, v[52:53]
	v_cmp_gt_f32_e32 vcc, s67, v55
	s_nop 1
	v_subbrev_co_u32_e32 v60, vcc, 0, v52, vcc
	v_sub_u32_e32 v52, 0, v60
	v_ldexp_f32 v15, v15, v52
	v_ldexp_f32 v52, v54, v52
	v_add_f32_e32 v54, -1.0, v15
	v_add_f32_e32 v53, 1.0, v54
	v_sub_f32_e32 v53, v15, v53
	v_add_f32_e32 v55, v52, v53
	v_add_f32_e32 v53, 1.0, v15
	v_add_f32_e32 v56, -1.0, v53
	v_sub_f32_e32 v15, v15, v56
	v_add_f32_e32 v15, v52, v15
	v_add_f32_e32 v61, v53, v15
	v_rcp_f32_e32 v62, v61
	v_sub_f32_e32 v52, v53, v61
	v_add_f32_e32 v53, v54, v55
	v_add_f32_e32 v15, v15, v52
	v_mul_f32_e32 v64, v53, v62
	v_sub_f32_e32 v52, v54, v53
	v_mul_f32_e32 v54, v61, v64
	v_fma_f32 v56, v64, v61, -v54
	v_fmac_f32_e32 v56, v64, v15
	v_add_f32_e32 v63, v55, v52
	v_add_f32_e32 v52, v54, v56
	v_sub_f32_e32 v55, v53, v52
	v_pk_add_f32 v[58:59], v[52:53], v[54:55] neg_lo:[0,1] neg_hi:[0,1]
	v_mov_b32_e32 v57, v52
	v_pk_add_f32 v[52:53], v[58:59], v[56:57] neg_lo:[0,1] neg_hi:[0,1]
	v_cmp_neq_f32_e32 vcc, s66, v66
	v_add_f32_e32 v53, v63, v53
	v_add_f32_e32 v52, v52, v53
	;; [unrolled: 1-line block ×3, first 2 shown]
	v_mul_f32_e32 v63, v62, v53
	v_mul_f32_e32 v54, v61, v63
	v_fma_f32 v56, v63, v61, -v54
	v_fmac_f32_e32 v56, v63, v15
	v_sub_f32_e32 v15, v55, v53
	v_add_f32_e32 v15, v52, v15
	v_add_f32_e32 v52, v54, v56
	v_sub_f32_e32 v55, v53, v52
	v_pk_add_f32 v[58:59], v[52:53], v[54:55] neg_lo:[0,1] neg_hi:[0,1]
	v_mov_b32_e32 v57, v52
	v_pk_add_f32 v[52:53], v[58:59], v[56:57] neg_lo:[0,1] neg_hi:[0,1]
	s_nop 0
	v_add_f32_e32 v15, v15, v53
	v_add_f32_e32 v15, v52, v15
	v_add_f32_e32 v53, v64, v63
	v_add_f32_e32 v15, v55, v15
	v_sub_f32_e32 v52, v53, v64
	v_mul_f32_e32 v15, v62, v15
	v_sub_f32_e32 v52, v63, v52
	v_add_f32_e32 v54, v52, v15
	v_add_f32_e32 v56, v53, v54
	v_cvt_f32_i32_e32 v52, v60
	v_mul_f32_e32 v57, v56, v56
	v_sub_f32_e32 v53, v56, v53
	v_fmamk_f32 v15, v57, 0x3e9b6dac, v49
	v_sub_f32_e32 v53, v54, v53
	v_fmaak_f32 v15, v57, v15, 0x3f2aaada
	v_ldexp_f32 v58, v53, 1
	v_mul_f32_e32 v53, v56, v57
	v_ldexp_f32 v55, v56, 1
	v_pk_mul_f32 v[56:57], v[52:53], v[14:15]
	s_nop 0
	v_fma_f32 v54, v52, s68, -v56
	v_fmac_f32_e32 v54, 0xb102e308, v52
	v_pk_add_f32 v[52:53], v[56:57], v[54:55]
	s_nop 0
	v_sub_f32_e32 v15, v53, v55
	v_sub_f32_e32 v15, v57, v15
	v_add_f32_e32 v59, v58, v15
	v_mov_b32_e32 v58, v56
	v_pk_add_f32 v[56:57], v[52:53], v[56:57] neg_lo:[0,1] neg_hi:[0,1]
	v_pk_add_f32 v[60:61], v[52:53], v[58:59]
	v_mov_b32_e32 v55, v52
	v_mov_b32_e32 v57, v61
	v_pk_add_f32 v[62:63], v[54:55], v[56:57] neg_lo:[0,1] neg_hi:[0,1]
	v_pk_add_f32 v[54:55], v[54:55], v[56:57]
	v_mov_b32_e32 v58, v59
	v_pk_add_f32 v[56:57], v[54:55], v[52:53] op_sel:[1,0] op_sel_hi:[0,1] neg_lo:[0,1] neg_hi:[0,1]
	v_pk_add_f32 v[64:65], v[60:61], v[56:57] op_sel_hi:[1,0] neg_lo:[0,1] neg_hi:[0,1]
	v_mov_b32_e32 v60, v61
	v_mov_b32_e32 v61, v55
	v_pk_mov_b32 v[56:57], v[52:53], v[56:57] op_sel:[1,0]
	v_mov_b32_e32 v59, v52
	v_pk_add_f32 v[56:57], v[60:61], v[56:57] neg_lo:[0,1] neg_hi:[0,1]
	v_mov_b32_e32 v64, v62
	v_pk_add_f32 v[52:53], v[58:59], v[56:57] neg_lo:[0,1] neg_hi:[0,1]
	v_mov_b32_e32 v63, v55
	v_pk_add_f32 v[56:57], v[64:65], v[52:53]
	s_nop 0
	v_pk_add_f32 v[58:59], v[56:57], v[56:57] op_sel:[0,1] op_sel_hi:[1,0]
	s_nop 0
	v_pk_add_f32 v[54:55], v[54:55], v[58:59] op_sel:[1,0] op_sel_hi:[0,1]
	v_mov_b32_e32 v57, v54
	v_pk_add_f32 v[60:61], v[56:57], v[62:63] neg_lo:[0,1] neg_hi:[0,1]
	v_mov_b32_e32 v53, v58
	v_sub_f32_e32 v15, v56, v60
	v_pk_add_f32 v[52:53], v[52:53], v[60:61] neg_lo:[0,1] neg_hi:[0,1]
	v_sub_f32_e32 v15, v62, v15
	v_add_f32_e32 v15, v52, v15
	v_add_f32_e32 v15, v15, v53
	;; [unrolled: 1-line block ×3, first 2 shown]
	v_cndmask_b32_e32 v15, v51, v15, vcc
	v_cmp_lt_f32_e64 vcc, |v66|, s69
	s_nop 1
	v_cndmask_b32_e32 v15, v15, v66, vcc
	v_add_f32_e32 v15, v17, v15
	v_cvt_f16_f32_e32 v53, v15
.LBB416_157:                            ;   in Loop: Header=BB416_133 Depth=1
	s_or_b64 exec, exec, s[38:39]
	v_and_b32_e32 v15, 0xffff, v53
	v_mov_b32_e32 v52, v53
.LBB416_158:                            ;   in Loop: Header=BB416_133 Depth=1
	s_or_b64 exec, exec, s[58:59]
	ds_bpermute_b32 v15, v46, v15
	v_cmp_le_u32_e32 vcc, v48, v16
	s_and_saveexec_b64 s[58:59], vcc
	s_cbranch_execz .LBB416_162
; %bb.159:                              ;   in Loop: Header=BB416_133 Depth=1
	s_waitcnt lgkmcnt(0)
	v_cvt_f32_f16_e32 v16, v15
	v_cvt_f32_f16_e32 v53, v52
	v_cmp_u_f16_e32 vcc, v15, v15
	v_cmp_u_f16_e64 s[38:39], v52, v52
	v_min_f32_e32 v17, v16, v53
	v_max_f32_e32 v52, v16, v53
	v_cndmask_b32_e32 v17, v17, v16, vcc
	v_cndmask_b32_e32 v16, v52, v16, vcc
	v_cndmask_b32_e64 v17, v17, v53, s[38:39]
	v_cndmask_b32_e64 v16, v16, v53, s[38:39]
	v_cmp_neq_f32_e32 vcc, v17, v16
	v_cmp_class_f32_e64 s[38:39], v17, s62
	s_or_b64 s[70:71], vcc, s[38:39]
	s_and_saveexec_b64 s[38:39], s[70:71]
	s_cbranch_execz .LBB416_161
; %bb.160:                              ;   in Loop: Header=BB416_133 Depth=1
	v_sub_f32_e32 v15, v17, v16
	v_mul_f32_e32 v17, 0x3fb8aa3b, v15
	v_fma_f32 v52, v15, s63, -v17
	v_rndne_f32_e32 v53, v17
	v_fmac_f32_e32 v52, 0x32a5705f, v15
	v_sub_f32_e32 v17, v17, v53
	v_add_f32_e32 v17, v17, v52
	v_cvt_i32_f32_e32 v52, v53
	v_exp_f32_e32 v17, v17
	v_cmp_ngt_f32_e32 vcc, s64, v15
	v_ldexp_f32 v17, v17, v52
	s_nop 0
	v_cndmask_b32_e32 v17, 0, v17, vcc
	v_cmp_nlt_f32_e32 vcc, s65, v15
	s_nop 1
	v_cndmask_b32_e32 v17, v51, v17, vcc
	v_add_f32_e32 v15, 1.0, v17
	v_add_f32_e32 v52, -1.0, v15
	v_sub_f32_e32 v53, v52, v15
	v_add_f32_e32 v53, 1.0, v53
	v_sub_f32_e32 v52, v17, v52
	v_add_f32_e32 v54, v52, v53
	v_frexp_mant_f32_e32 v55, v15
	v_cvt_f64_f32_e32 v[52:53], v15
	v_frexp_exp_i32_f64_e32 v52, v[52:53]
	v_cmp_gt_f32_e32 vcc, s67, v55
	s_nop 1
	v_subbrev_co_u32_e32 v60, vcc, 0, v52, vcc
	v_sub_u32_e32 v52, 0, v60
	v_ldexp_f32 v15, v15, v52
	v_ldexp_f32 v52, v54, v52
	v_add_f32_e32 v54, -1.0, v15
	v_add_f32_e32 v53, 1.0, v54
	v_sub_f32_e32 v53, v15, v53
	v_add_f32_e32 v55, v52, v53
	v_add_f32_e32 v53, 1.0, v15
	v_add_f32_e32 v56, -1.0, v53
	v_sub_f32_e32 v15, v15, v56
	v_add_f32_e32 v15, v52, v15
	v_add_f32_e32 v61, v53, v15
	v_rcp_f32_e32 v62, v61
	v_sub_f32_e32 v52, v53, v61
	v_add_f32_e32 v53, v54, v55
	v_add_f32_e32 v15, v15, v52
	v_mul_f32_e32 v64, v53, v62
	v_sub_f32_e32 v52, v54, v53
	v_mul_f32_e32 v54, v61, v64
	v_fma_f32 v56, v64, v61, -v54
	v_fmac_f32_e32 v56, v64, v15
	v_add_f32_e32 v63, v55, v52
	v_add_f32_e32 v52, v54, v56
	v_sub_f32_e32 v55, v53, v52
	v_pk_add_f32 v[58:59], v[52:53], v[54:55] neg_lo:[0,1] neg_hi:[0,1]
	v_mov_b32_e32 v57, v52
	v_pk_add_f32 v[52:53], v[58:59], v[56:57] neg_lo:[0,1] neg_hi:[0,1]
	v_cmp_neq_f32_e32 vcc, s66, v17
	v_add_f32_e32 v53, v63, v53
	v_add_f32_e32 v52, v52, v53
	;; [unrolled: 1-line block ×3, first 2 shown]
	v_mul_f32_e32 v63, v62, v53
	v_mul_f32_e32 v54, v61, v63
	v_fma_f32 v56, v63, v61, -v54
	v_fmac_f32_e32 v56, v63, v15
	v_sub_f32_e32 v15, v55, v53
	v_add_f32_e32 v15, v52, v15
	v_add_f32_e32 v52, v54, v56
	v_sub_f32_e32 v55, v53, v52
	v_pk_add_f32 v[58:59], v[52:53], v[54:55] neg_lo:[0,1] neg_hi:[0,1]
	v_mov_b32_e32 v57, v52
	v_pk_add_f32 v[52:53], v[58:59], v[56:57] neg_lo:[0,1] neg_hi:[0,1]
	s_nop 0
	v_add_f32_e32 v15, v15, v53
	v_add_f32_e32 v15, v52, v15
	;; [unrolled: 1-line block ×4, first 2 shown]
	v_sub_f32_e32 v52, v53, v64
	v_mul_f32_e32 v15, v62, v15
	v_sub_f32_e32 v52, v63, v52
	v_add_f32_e32 v54, v52, v15
	v_add_f32_e32 v56, v53, v54
	v_cvt_f32_i32_e32 v52, v60
	v_mul_f32_e32 v57, v56, v56
	v_sub_f32_e32 v53, v56, v53
	v_fmamk_f32 v15, v57, 0x3e9b6dac, v49
	v_sub_f32_e32 v53, v54, v53
	v_fmaak_f32 v15, v57, v15, 0x3f2aaada
	v_ldexp_f32 v58, v53, 1
	v_mul_f32_e32 v53, v56, v57
	v_ldexp_f32 v55, v56, 1
	v_pk_mul_f32 v[56:57], v[52:53], v[14:15]
	s_nop 0
	v_fma_f32 v54, v52, s68, -v56
	v_fmac_f32_e32 v54, 0xb102e308, v52
	v_pk_add_f32 v[52:53], v[56:57], v[54:55]
	s_nop 0
	v_sub_f32_e32 v15, v53, v55
	v_sub_f32_e32 v15, v57, v15
	v_add_f32_e32 v59, v58, v15
	v_mov_b32_e32 v58, v56
	v_pk_add_f32 v[56:57], v[52:53], v[56:57] neg_lo:[0,1] neg_hi:[0,1]
	v_pk_add_f32 v[60:61], v[52:53], v[58:59]
	v_mov_b32_e32 v55, v52
	v_mov_b32_e32 v57, v61
	v_pk_add_f32 v[62:63], v[54:55], v[56:57] neg_lo:[0,1] neg_hi:[0,1]
	v_pk_add_f32 v[54:55], v[54:55], v[56:57]
	v_mov_b32_e32 v58, v59
	v_pk_add_f32 v[56:57], v[54:55], v[52:53] op_sel:[1,0] op_sel_hi:[0,1] neg_lo:[0,1] neg_hi:[0,1]
	v_pk_add_f32 v[64:65], v[60:61], v[56:57] op_sel_hi:[1,0] neg_lo:[0,1] neg_hi:[0,1]
	v_mov_b32_e32 v60, v61
	v_mov_b32_e32 v61, v55
	v_pk_mov_b32 v[56:57], v[52:53], v[56:57] op_sel:[1,0]
	v_mov_b32_e32 v59, v52
	v_pk_add_f32 v[56:57], v[60:61], v[56:57] neg_lo:[0,1] neg_hi:[0,1]
	v_mov_b32_e32 v64, v62
	v_pk_add_f32 v[52:53], v[58:59], v[56:57] neg_lo:[0,1] neg_hi:[0,1]
	v_mov_b32_e32 v63, v55
	v_pk_add_f32 v[56:57], v[64:65], v[52:53]
	s_nop 0
	v_pk_add_f32 v[58:59], v[56:57], v[56:57] op_sel:[0,1] op_sel_hi:[1,0]
	s_nop 0
	v_pk_add_f32 v[54:55], v[54:55], v[58:59] op_sel:[1,0] op_sel_hi:[0,1]
	v_mov_b32_e32 v57, v54
	v_pk_add_f32 v[60:61], v[56:57], v[62:63] neg_lo:[0,1] neg_hi:[0,1]
	v_mov_b32_e32 v53, v58
	v_sub_f32_e32 v15, v56, v60
	v_pk_add_f32 v[52:53], v[52:53], v[60:61] neg_lo:[0,1] neg_hi:[0,1]
	v_sub_f32_e32 v15, v62, v15
	v_add_f32_e32 v15, v52, v15
	v_add_f32_e32 v15, v15, v53
	v_add_f32_e32 v15, v54, v15
	v_cndmask_b32_e32 v15, v51, v15, vcc
	v_cmp_lt_f32_e64 vcc, |v17|, s69
	s_nop 1
	v_cndmask_b32_e32 v15, v15, v17, vcc
	v_add_f32_e32 v15, v16, v15
	v_cvt_f16_f32_e32 v15, v15
.LBB416_161:                            ;   in Loop: Header=BB416_133 Depth=1
	s_or_b64 exec, exec, s[38:39]
	v_mov_b32_e32 v52, v15
.LBB416_162:                            ;   in Loop: Header=BB416_133 Depth=1
	s_or_b64 exec, exec, s[58:59]
	v_cvt_f32_f16_e32 v16, v52
	v_cvt_f32_f16_e32 v17, v47
	v_cmp_u_f16_e32 vcc, v52, v52
	v_cmp_u_f16_e64 s[38:39], v47, v47
	s_waitcnt lgkmcnt(0)
	v_min_f32_e32 v15, v16, v17
	v_max_f32_e32 v53, v16, v17
	v_cndmask_b32_e32 v15, v15, v16, vcc
	v_cndmask_b32_e32 v16, v53, v16, vcc
	v_cndmask_b32_e64 v15, v15, v17, s[38:39]
	v_cndmask_b32_e64 v16, v16, v17, s[38:39]
	v_cmp_neq_f32_e32 vcc, v15, v16
	v_cmp_class_f32_e64 s[38:39], v15, s62
	s_or_b64 s[38:39], vcc, s[38:39]
	s_and_saveexec_b64 s[58:59], s[38:39]
	s_xor_b64 s[38:39], exec, s[58:59]
	s_cbranch_execz .LBB416_131
; %bb.163:                              ;   in Loop: Header=BB416_133 Depth=1
	v_sub_f32_e32 v15, v15, v16
	v_mul_f32_e32 v17, 0x3fb8aa3b, v15
	v_fma_f32 v52, v15, s63, -v17
	v_rndne_f32_e32 v53, v17
	v_fmac_f32_e32 v52, 0x32a5705f, v15
	v_sub_f32_e32 v17, v17, v53
	v_add_f32_e32 v17, v17, v52
	v_cvt_i32_f32_e32 v52, v53
	v_exp_f32_e32 v17, v17
	v_cmp_ngt_f32_e32 vcc, s64, v15
	v_ldexp_f32 v17, v17, v52
	s_nop 0
	v_cndmask_b32_e32 v17, 0, v17, vcc
	v_cmp_nlt_f32_e32 vcc, s65, v15
	s_nop 1
	v_cndmask_b32_e32 v17, v51, v17, vcc
	v_add_f32_e32 v15, 1.0, v17
	v_add_f32_e32 v52, -1.0, v15
	v_sub_f32_e32 v53, v52, v15
	v_add_f32_e32 v53, 1.0, v53
	v_sub_f32_e32 v52, v17, v52
	v_add_f32_e32 v54, v52, v53
	v_frexp_mant_f32_e32 v55, v15
	v_cvt_f64_f32_e32 v[52:53], v15
	v_frexp_exp_i32_f64_e32 v52, v[52:53]
	v_cmp_gt_f32_e32 vcc, s67, v55
	s_nop 1
	v_subbrev_co_u32_e32 v52, vcc, 0, v52, vcc
	v_sub_u32_e32 v53, 0, v52
	v_ldexp_f32 v15, v15, v53
	v_ldexp_f32 v53, v54, v53
	v_add_f32_e32 v54, -1.0, v15
	v_add_f32_e32 v57, 1.0, v15
	v_add_f32_e32 v55, 1.0, v54
	v_add_f32_e32 v58, -1.0, v57
	v_sub_f32_e32 v55, v15, v55
	v_sub_f32_e32 v15, v15, v58
	v_add_f32_e32 v15, v53, v15
	v_add_f32_e32 v55, v53, v55
	;; [unrolled: 1-line block ×3, first 2 shown]
	v_rcp_f32_e32 v58, v53
	v_add_f32_e32 v56, v54, v55
	v_sub_f32_e32 v54, v54, v56
	v_add_f32_e32 v54, v55, v54
	v_sub_f32_e32 v55, v57, v53
	v_add_f32_e32 v15, v15, v55
	v_mul_f32_e32 v55, v56, v58
	v_mul_f32_e32 v57, v53, v55
	v_fma_f32 v59, v55, v53, -v57
	v_fmac_f32_e32 v59, v55, v15
	v_add_f32_e32 v60, v57, v59
	v_sub_f32_e32 v61, v56, v60
	v_sub_f32_e32 v56, v56, v61
	;; [unrolled: 1-line block ×4, first 2 shown]
	v_add_f32_e32 v54, v54, v56
	v_sub_f32_e32 v56, v57, v59
	v_add_f32_e32 v54, v56, v54
	v_add_f32_e32 v56, v61, v54
	v_mul_f32_e32 v57, v58, v56
	v_mul_f32_e32 v59, v53, v57
	v_fma_f32 v53, v57, v53, -v59
	v_fmac_f32_e32 v53, v57, v15
	v_sub_f32_e32 v15, v61, v56
	v_add_f32_e32 v15, v54, v15
	v_add_f32_e32 v54, v59, v53
	v_sub_f32_e32 v60, v56, v54
	v_sub_f32_e32 v56, v56, v60
	;; [unrolled: 1-line block ×4, first 2 shown]
	v_add_f32_e32 v15, v15, v54
	v_sub_f32_e32 v53, v59, v53
	v_add_f32_e32 v15, v53, v15
	v_add_f32_e32 v53, v55, v57
	;; [unrolled: 1-line block ×3, first 2 shown]
	v_sub_f32_e32 v54, v53, v55
	v_mul_f32_e32 v15, v58, v15
	v_sub_f32_e32 v54, v57, v54
	v_add_f32_e32 v54, v54, v15
	v_add_f32_e32 v56, v53, v54
	v_cvt_f32_i32_e32 v52, v52
	v_mul_f32_e32 v57, v56, v56
	v_sub_f32_e32 v53, v56, v53
	v_fmamk_f32 v15, v57, 0x3e9b6dac, v49
	v_sub_f32_e32 v53, v54, v53
	v_fmaak_f32 v15, v57, v15, 0x3f2aaada
	v_ldexp_f32 v58, v53, 1
	v_mul_f32_e32 v53, v56, v57
	v_ldexp_f32 v55, v56, 1
	v_pk_mul_f32 v[56:57], v[52:53], v[14:15]
	v_cmp_neq_f32_e32 vcc, s66, v17
	v_fma_f32 v54, v52, s68, -v56
	v_fmac_f32_e32 v54, 0xb102e308, v52
	v_pk_add_f32 v[52:53], v[56:57], v[54:55]
	s_nop 0
	v_sub_f32_e32 v15, v53, v55
	v_sub_f32_e32 v15, v57, v15
	v_add_f32_e32 v59, v58, v15
	v_mov_b32_e32 v58, v56
	v_pk_add_f32 v[56:57], v[52:53], v[56:57] neg_lo:[0,1] neg_hi:[0,1]
	v_pk_add_f32 v[60:61], v[52:53], v[58:59]
	v_mov_b32_e32 v55, v52
	v_mov_b32_e32 v57, v61
	v_pk_add_f32 v[62:63], v[54:55], v[56:57] neg_lo:[0,1] neg_hi:[0,1]
	v_pk_add_f32 v[54:55], v[54:55], v[56:57]
	v_mov_b32_e32 v58, v59
	v_pk_add_f32 v[56:57], v[54:55], v[52:53] op_sel:[1,0] op_sel_hi:[0,1] neg_lo:[0,1] neg_hi:[0,1]
	v_pk_add_f32 v[64:65], v[60:61], v[56:57] op_sel_hi:[1,0] neg_lo:[0,1] neg_hi:[0,1]
	v_mov_b32_e32 v60, v61
	v_mov_b32_e32 v61, v55
	v_pk_mov_b32 v[56:57], v[52:53], v[56:57] op_sel:[1,0]
	v_mov_b32_e32 v59, v52
	v_pk_add_f32 v[56:57], v[60:61], v[56:57] neg_lo:[0,1] neg_hi:[0,1]
	v_mov_b32_e32 v64, v62
	v_pk_add_f32 v[52:53], v[58:59], v[56:57] neg_lo:[0,1] neg_hi:[0,1]
	v_mov_b32_e32 v63, v55
	v_pk_add_f32 v[56:57], v[64:65], v[52:53]
	s_nop 0
	v_pk_add_f32 v[58:59], v[56:57], v[56:57] op_sel:[0,1] op_sel_hi:[1,0]
	s_nop 0
	v_pk_add_f32 v[54:55], v[54:55], v[58:59] op_sel:[1,0] op_sel_hi:[0,1]
	v_mov_b32_e32 v57, v54
	v_pk_add_f32 v[60:61], v[56:57], v[62:63] neg_lo:[0,1] neg_hi:[0,1]
	v_mov_b32_e32 v53, v58
	v_sub_f32_e32 v15, v56, v60
	v_pk_add_f32 v[52:53], v[52:53], v[60:61] neg_lo:[0,1] neg_hi:[0,1]
	v_sub_f32_e32 v15, v62, v15
	v_add_f32_e32 v15, v52, v15
	v_add_f32_e32 v15, v15, v53
	;; [unrolled: 1-line block ×3, first 2 shown]
	v_cndmask_b32_e32 v15, v51, v15, vcc
	v_cmp_lt_f32_e64 vcc, |v17|, s69
	s_nop 1
	v_cndmask_b32_e32 v15, v15, v17, vcc
	v_add_f32_e32 v15, v16, v15
	v_cvt_f16_f32_e32 v52, v15
	s_branch .LBB416_131
.LBB416_164:
                                        ; implicit-def: $vgpr10
                                        ; implicit-def: $vgpr11
                                        ; implicit-def: $vgpr31
                                        ; implicit-def: $vgpr13
                                        ; implicit-def: $vgpr20
                                        ; implicit-def: $vgpr14
                                        ; implicit-def: $vgpr21
                                        ; implicit-def: $vgpr15
                                        ; implicit-def: $vgpr22
                                        ; implicit-def: $vgpr16
                                        ; implicit-def: $vgpr23
                                        ; implicit-def: $vgpr17
                                        ; implicit-def: $vgpr24
                                        ; implicit-def: $vgpr12
	s_cbranch_execnz .LBB416_204
	s_branch .LBB416_303
.LBB416_165:
	s_and_saveexec_b64 s[58:59], s[36:37]
	s_cbranch_execz .LBB416_169
; %bb.166:
	v_cvt_f32_f16_e32 v10, v47
	v_cvt_f32_f16_e32 v11, v34
	v_cmp_u_f16_e32 vcc, v47, v47
	v_cmp_u_f16_e64 s[38:39], v34, v34
	v_min_f32_e32 v12, v10, v11
	v_max_f32_e32 v13, v10, v11
	v_cndmask_b32_e32 v12, v12, v10, vcc
	v_cndmask_b32_e32 v10, v13, v10, vcc
	v_cndmask_b32_e64 v12, v12, v11, s[38:39]
	v_cndmask_b32_e64 v10, v10, v11, s[38:39]
	s_movk_i32 s38, 0x1f8
	v_cmp_neq_f32_e32 vcc, v12, v10
	v_cmp_class_f32_e64 s[38:39], v12, s38
	s_or_b64 s[62:63], vcc, s[38:39]
	v_mov_b32_e32 v11, v47
	s_and_saveexec_b64 s[38:39], s[62:63]
	s_cbranch_execz .LBB416_168
; %bb.167:
	v_sub_f32_e32 v11, v12, v10
	s_mov_b32 s62, 0x3fb8aa3b
	v_mul_f32_e32 v12, 0x3fb8aa3b, v11
	v_fma_f32 v13, v11, s62, -v12
	v_rndne_f32_e32 v14, v12
	v_fmamk_f32 v13, v11, 0x32a5705f, v13
	v_sub_f32_e32 v12, v12, v14
	v_add_f32_e32 v12, v12, v13
	v_exp_f32_e32 v12, v12
	v_cvt_i32_f32_e32 v13, v14
	s_mov_b32 s62, 0xc2ce8ed0
	v_cmp_ngt_f32_e32 vcc, s62, v11
	s_mov_b32 s62, 0x42b17218
	v_ldexp_f32 v12, v12, v13
	v_cndmask_b32_e32 v12, 0, v12, vcc
	v_mov_b32_e32 v42, 0x7f800000
	v_cmp_nlt_f32_e32 vcc, s62, v11
	s_mov_b32 s62, 0x3f2aaaab
	s_mov_b32 s63, 0x7f800000
	v_cndmask_b32_e32 v11, v42, v12, vcc
	v_add_f32_e32 v14, 1.0, v11
	v_add_f32_e32 v12, -1.0, v14
	v_sub_f32_e32 v13, v12, v14
	v_add_f32_e32 v13, 1.0, v13
	v_sub_f32_e32 v12, v11, v12
	s_waitcnt lgkmcnt(0)
	v_add_f32_e32 v15, v12, v13
	v_frexp_mant_f32_e32 v16, v14
	v_cvt_f64_f32_e32 v[12:13], v14
	v_frexp_exp_i32_f64_e32 v12, v[12:13]
	v_cmp_gt_f32_e32 vcc, s62, v16
	s_mov_b32 s62, 0x3f317218
	s_nop 0
	v_subbrev_co_u32_e32 v36, vcc, 0, v12, vcc
	v_sub_u32_e32 v12, 0, v36
	v_ldexp_f32 v13, v14, v12
	v_add_f32_e32 v14, -1.0, v13
	v_add_f32_e32 v16, 1.0, v13
	v_ldexp_f32 v12, v15, v12
	v_add_f32_e32 v15, 1.0, v14
	v_add_f32_e32 v17, -1.0, v16
	v_sub_f32_e32 v15, v13, v15
	v_sub_f32_e32 v13, v13, v17
	v_add_f32_e32 v15, v12, v15
	v_add_f32_e32 v12, v12, v13
	;; [unrolled: 1-line block ×3, first 2 shown]
	v_rcp_f32_e32 v39, v37
	v_sub_f32_e32 v13, v16, v37
	v_add_f32_e32 v38, v12, v13
	v_add_f32_e32 v13, v14, v15
	v_mul_f32_e32 v41, v13, v39
	v_sub_f32_e32 v12, v14, v13
	v_mul_f32_e32 v14, v37, v41
	v_fma_f32 v16, v41, v37, -v14
	v_fmac_f32_e32 v16, v41, v38
	v_add_f32_e32 v40, v15, v12
	v_add_f32_e32 v12, v14, v16
	v_sub_f32_e32 v15, v13, v12
	v_pk_add_f32 v[34:35], v[12:13], v[14:15] neg_lo:[0,1] neg_hi:[0,1]
	v_mov_b32_e32 v17, v12
	v_pk_add_f32 v[12:13], v[34:35], v[16:17] neg_lo:[0,1] neg_hi:[0,1]
	v_cmp_neq_f32_e32 vcc, s63, v11
	v_add_f32_e32 v13, v40, v13
	v_add_f32_e32 v12, v12, v13
	;; [unrolled: 1-line block ×3, first 2 shown]
	v_mul_f32_e32 v40, v39, v13
	v_mul_f32_e32 v14, v37, v40
	v_fma_f32 v16, v40, v37, -v14
	v_fmac_f32_e32 v16, v40, v38
	v_sub_f32_e32 v15, v15, v13
	v_add_f32_e32 v37, v12, v15
	v_add_f32_e32 v12, v14, v16
	v_sub_f32_e32 v15, v13, v12
	v_pk_add_f32 v[34:35], v[12:13], v[14:15] neg_lo:[0,1] neg_hi:[0,1]
	v_mov_b32_e32 v17, v12
	v_pk_add_f32 v[12:13], v[34:35], v[16:17] neg_lo:[0,1] neg_hi:[0,1]
	v_cvt_f32_i32_e32 v14, v36
	v_add_f32_e32 v13, v37, v13
	v_add_f32_e32 v12, v12, v13
	;; [unrolled: 1-line block ×4, first 2 shown]
	v_sub_f32_e32 v13, v15, v41
	v_mul_f32_e32 v12, v39, v12
	v_sub_f32_e32 v13, v40, v13
	v_add_f32_e32 v12, v13, v12
	v_add_f32_e32 v16, v15, v12
	v_mul_f32_e32 v34, v16, v16
	v_mov_b32_e32 v13, 0x3ecc95a3
	v_sub_f32_e32 v15, v16, v15
	v_fmac_f32_e32 v13, 0x3e9b6dac, v34
	v_sub_f32_e32 v12, v12, v15
	v_fmaak_f32 v13, v34, v13, 0x3f2aaada
	v_ldexp_f32 v35, v12, 1
	v_mul_f32_e32 v15, v16, v34
	v_mov_b32_e32 v12, 0x3f317218
	v_pk_mul_f32 v[12:13], v[14:15], v[12:13]
	v_ldexp_f32 v17, v16, 1
	v_fma_f32 v15, v14, s62, -v12
	v_fmamk_f32 v16, v14, 0xb102e308, v15
	v_pk_add_f32 v[14:15], v[12:13], v[16:17]
	v_mov_b32_e32 v34, v12
	v_sub_f32_e32 v17, v15, v17
	v_sub_f32_e32 v17, v13, v17
	v_add_f32_e32 v35, v35, v17
	v_pk_add_f32 v[12:13], v[14:15], v[12:13] neg_lo:[0,1] neg_hi:[0,1]
	v_pk_add_f32 v[36:37], v[14:15], v[34:35]
	v_mov_b32_e32 v17, v14
	v_mov_b32_e32 v13, v37
	v_pk_add_f32 v[38:39], v[16:17], v[12:13] neg_lo:[0,1] neg_hi:[0,1]
	v_pk_add_f32 v[12:13], v[16:17], v[12:13]
	v_mov_b32_e32 v34, v35
	v_pk_add_f32 v[16:17], v[12:13], v[14:15] op_sel:[1,0] op_sel_hi:[0,1] neg_lo:[0,1] neg_hi:[0,1]
	v_pk_add_f32 v[40:41], v[36:37], v[16:17] op_sel_hi:[1,0] neg_lo:[0,1] neg_hi:[0,1]
	v_mov_b32_e32 v36, v37
	v_mov_b32_e32 v37, v13
	v_pk_mov_b32 v[16:17], v[14:15], v[16:17] op_sel:[1,0]
	v_mov_b32_e32 v35, v14
	v_pk_add_f32 v[16:17], v[36:37], v[16:17] neg_lo:[0,1] neg_hi:[0,1]
	v_mov_b32_e32 v40, v38
	v_pk_add_f32 v[14:15], v[34:35], v[16:17] neg_lo:[0,1] neg_hi:[0,1]
	v_mov_b32_e32 v39, v13
	v_pk_add_f32 v[16:17], v[40:41], v[14:15]
	s_mov_b32 s62, 0x33800000
	v_pk_add_f32 v[34:35], v[16:17], v[16:17] op_sel:[0,1] op_sel_hi:[1,0]
	s_nop 0
	v_pk_add_f32 v[12:13], v[12:13], v[34:35] op_sel:[1,0] op_sel_hi:[0,1]
	v_mov_b32_e32 v17, v12
	v_pk_add_f32 v[36:37], v[16:17], v[38:39] neg_lo:[0,1] neg_hi:[0,1]
	v_mov_b32_e32 v15, v34
	v_sub_f32_e32 v13, v16, v36
	v_pk_add_f32 v[14:15], v[14:15], v[36:37] neg_lo:[0,1] neg_hi:[0,1]
	v_sub_f32_e32 v13, v38, v13
	v_add_f32_e32 v13, v14, v13
	v_add_f32_e32 v13, v13, v15
	;; [unrolled: 1-line block ×3, first 2 shown]
	v_cndmask_b32_e32 v12, v42, v12, vcc
	v_cmp_lt_f32_e64 vcc, |v11|, s62
	s_nop 1
	v_cndmask_b32_e32 v11, v12, v11, vcc
	v_add_f32_e32 v10, v10, v11
	v_cvt_f16_f32_e32 v11, v10
.LBB416_168:
	s_or_b64 exec, exec, s[38:39]
	s_add_i32 s38, s61, 64
	s_mov_b32 s39, 0
	s_lshl_b64 s[38:39], s[38:39], 2
	s_add_u32 s38, s56, s38
	s_mov_b32 s61, 0x20000
	s_addc_u32 s39, s57, s39
	v_mov_b32_e32 v10, 0
	v_or_b32_sdwa v11, v11, s61 dst_sel:DWORD dst_unused:UNUSED_PAD src0_sel:WORD_0 src1_sel:DWORD
	global_store_dword v10, v11, s[38:39] sc1
.LBB416_169:
	s_or_b64 exec, exec, s[58:59]
	s_and_b64 exec, exec, s[4:5]
; %bb.170:
	v_mov_b32_e32 v10, 0
	ds_write_b16 v10, v47 offset:2
.LBB416_171:
	s_or_b64 exec, exec, s[54:55]
	v_mov_b32_e32 v10, 0
	s_waitcnt lgkmcnt(0)
	s_barrier
	ds_read_u16 v10, v10 offset:2
	v_mov_b32_e32 v13, v8
	s_and_saveexec_b64 s[38:39], s[2:3]
	s_cbranch_execz .LBB416_175
; %bb.172:
	v_cndmask_b32_e64 v13, v33, v32, s[36:37]
	v_cvt_f32_f16_e32 v12, v13
	v_max_f32_e32 v11, v31, v31
	v_cmp_u_f16_e32 vcc, v13, v13
	v_min_f32_e32 v14, v12, v11
	v_max_f32_e32 v11, v12, v11
	v_cndmask_b32_e32 v14, v14, v12, vcc
	v_cndmask_b32_e32 v11, v11, v12, vcc
	v_cndmask_b32_e64 v14, v14, v31, s[34:35]
	v_cndmask_b32_e64 v11, v11, v31, s[34:35]
	s_movk_i32 s34, 0x1f8
	v_cmp_neq_f32_e32 vcc, v14, v11
	v_cmp_class_f32_e64 s[34:35], v14, s34
	s_or_b64 s[36:37], vcc, s[34:35]
	s_and_saveexec_b64 s[34:35], s[36:37]
	s_cbranch_execz .LBB416_174
; %bb.173:
	v_sub_f32_e32 v12, v14, v11
	s_mov_b32 s36, 0x3fb8aa3b
	v_mul_f32_e32 v13, 0x3fb8aa3b, v12
	v_fma_f32 v14, v12, s36, -v13
	v_rndne_f32_e32 v15, v13
	v_fmamk_f32 v14, v12, 0x32a5705f, v14
	v_sub_f32_e32 v13, v13, v15
	v_add_f32_e32 v13, v13, v14
	v_exp_f32_e32 v13, v13
	v_cvt_i32_f32_e32 v14, v15
	s_mov_b32 s36, 0xc2ce8ed0
	v_cmp_ngt_f32_e32 vcc, s36, v12
	s_mov_b32 s36, 0x42b17218
	v_ldexp_f32 v13, v13, v14
	v_cndmask_b32_e32 v13, 0, v13, vcc
	v_mov_b32_e32 v31, 0x7f800000
	v_cmp_nlt_f32_e32 vcc, s36, v12
	s_mov_b32 s36, 0x3f2aaaab
	s_mov_b32 s37, 0x7f800000
	v_cndmask_b32_e32 v40, v31, v13, vcc
	v_add_f32_e32 v14, 1.0, v40
	v_add_f32_e32 v12, -1.0, v14
	v_sub_f32_e32 v13, v12, v14
	v_add_f32_e32 v13, 1.0, v13
	v_sub_f32_e32 v12, v40, v12
	v_add_f32_e32 v15, v12, v13
	v_frexp_mant_f32_e32 v16, v14
	v_cvt_f64_f32_e32 v[12:13], v14
	v_frexp_exp_i32_f64_e32 v12, v[12:13]
	v_cmp_gt_f32_e32 vcc, s36, v16
	s_mov_b32 s36, 0x3f317218
	s_nop 0
	v_subbrev_co_u32_e32 v34, vcc, 0, v12, vcc
	v_sub_u32_e32 v12, 0, v34
	v_ldexp_f32 v13, v14, v12
	v_add_f32_e32 v14, -1.0, v13
	v_add_f32_e32 v16, 1.0, v13
	v_ldexp_f32 v12, v15, v12
	v_add_f32_e32 v15, 1.0, v14
	v_add_f32_e32 v17, -1.0, v16
	v_sub_f32_e32 v15, v13, v15
	v_sub_f32_e32 v13, v13, v17
	v_add_f32_e32 v15, v12, v15
	v_add_f32_e32 v12, v12, v13
	;; [unrolled: 1-line block ×3, first 2 shown]
	v_rcp_f32_e32 v37, v35
	v_sub_f32_e32 v13, v16, v35
	v_add_f32_e32 v36, v12, v13
	v_add_f32_e32 v13, v14, v15
	v_mul_f32_e32 v39, v13, v37
	v_sub_f32_e32 v12, v14, v13
	v_mul_f32_e32 v14, v35, v39
	v_fma_f32 v16, v39, v35, -v14
	v_fmac_f32_e32 v16, v39, v36
	v_add_f32_e32 v38, v15, v12
	v_add_f32_e32 v12, v14, v16
	v_sub_f32_e32 v15, v13, v12
	v_pk_add_f32 v[32:33], v[12:13], v[14:15] neg_lo:[0,1] neg_hi:[0,1]
	v_mov_b32_e32 v17, v12
	v_pk_add_f32 v[12:13], v[32:33], v[16:17] neg_lo:[0,1] neg_hi:[0,1]
	v_cmp_neq_f32_e32 vcc, s37, v40
	v_add_f32_e32 v13, v38, v13
	v_add_f32_e32 v12, v12, v13
	v_add_f32_e32 v13, v15, v12
	v_mul_f32_e32 v38, v37, v13
	v_mul_f32_e32 v14, v35, v38
	v_fma_f32 v16, v38, v35, -v14
	v_fmac_f32_e32 v16, v38, v36
	v_sub_f32_e32 v15, v15, v13
	v_add_f32_e32 v35, v12, v15
	v_add_f32_e32 v12, v14, v16
	v_sub_f32_e32 v15, v13, v12
	v_pk_add_f32 v[32:33], v[12:13], v[14:15] neg_lo:[0,1] neg_hi:[0,1]
	v_mov_b32_e32 v17, v12
	v_pk_add_f32 v[12:13], v[32:33], v[16:17] neg_lo:[0,1] neg_hi:[0,1]
	v_cvt_f32_i32_e32 v14, v34
	v_add_f32_e32 v13, v35, v13
	v_add_f32_e32 v12, v12, v13
	;; [unrolled: 1-line block ×4, first 2 shown]
	v_sub_f32_e32 v13, v15, v39
	v_mul_f32_e32 v12, v37, v12
	v_sub_f32_e32 v13, v38, v13
	v_add_f32_e32 v12, v13, v12
	v_add_f32_e32 v16, v15, v12
	v_mul_f32_e32 v32, v16, v16
	v_mov_b32_e32 v13, 0x3ecc95a3
	v_sub_f32_e32 v15, v16, v15
	v_fmac_f32_e32 v13, 0x3e9b6dac, v32
	v_sub_f32_e32 v12, v12, v15
	v_fmaak_f32 v13, v32, v13, 0x3f2aaada
	v_ldexp_f32 v33, v12, 1
	v_mul_f32_e32 v15, v16, v32
	v_mov_b32_e32 v12, 0x3f317218
	v_pk_mul_f32 v[12:13], v[14:15], v[12:13]
	v_ldexp_f32 v17, v16, 1
	v_fma_f32 v15, v14, s36, -v12
	v_fmamk_f32 v16, v14, 0xb102e308, v15
	v_pk_add_f32 v[14:15], v[12:13], v[16:17]
	v_mov_b32_e32 v32, v12
	v_sub_f32_e32 v17, v15, v17
	v_sub_f32_e32 v17, v13, v17
	v_add_f32_e32 v33, v33, v17
	v_pk_add_f32 v[12:13], v[14:15], v[12:13] neg_lo:[0,1] neg_hi:[0,1]
	v_pk_add_f32 v[34:35], v[14:15], v[32:33]
	v_mov_b32_e32 v17, v14
	v_mov_b32_e32 v13, v35
	v_pk_add_f32 v[36:37], v[16:17], v[12:13] neg_lo:[0,1] neg_hi:[0,1]
	v_pk_add_f32 v[12:13], v[16:17], v[12:13]
	v_mov_b32_e32 v32, v33
	v_pk_add_f32 v[16:17], v[12:13], v[14:15] op_sel:[1,0] op_sel_hi:[0,1] neg_lo:[0,1] neg_hi:[0,1]
	v_pk_add_f32 v[38:39], v[34:35], v[16:17] op_sel_hi:[1,0] neg_lo:[0,1] neg_hi:[0,1]
	v_mov_b32_e32 v34, v35
	v_mov_b32_e32 v35, v13
	v_pk_mov_b32 v[16:17], v[14:15], v[16:17] op_sel:[1,0]
	v_mov_b32_e32 v33, v14
	v_pk_add_f32 v[16:17], v[34:35], v[16:17] neg_lo:[0,1] neg_hi:[0,1]
	v_mov_b32_e32 v38, v36
	v_pk_add_f32 v[14:15], v[32:33], v[16:17] neg_lo:[0,1] neg_hi:[0,1]
	v_mov_b32_e32 v37, v13
	v_pk_add_f32 v[16:17], v[38:39], v[14:15]
	s_mov_b32 s36, 0x33800000
	v_pk_add_f32 v[32:33], v[16:17], v[16:17] op_sel:[0,1] op_sel_hi:[1,0]
	s_nop 0
	v_pk_add_f32 v[12:13], v[12:13], v[32:33] op_sel:[1,0] op_sel_hi:[0,1]
	v_mov_b32_e32 v17, v12
	v_pk_add_f32 v[34:35], v[16:17], v[36:37] neg_lo:[0,1] neg_hi:[0,1]
	v_mov_b32_e32 v15, v32
	v_sub_f32_e32 v13, v16, v34
	v_pk_add_f32 v[14:15], v[14:15], v[34:35] neg_lo:[0,1] neg_hi:[0,1]
	v_sub_f32_e32 v13, v36, v13
	v_add_f32_e32 v13, v14, v13
	v_add_f32_e32 v13, v13, v15
	;; [unrolled: 1-line block ×3, first 2 shown]
	v_cndmask_b32_e32 v12, v31, v12, vcc
	v_cmp_lt_f32_e64 vcc, |v40|, s36
	s_nop 1
	v_cndmask_b32_e32 v12, v12, v40, vcc
	v_add_f32_e32 v11, v11, v12
	v_cvt_f16_f32_e32 v13, v11
	v_cvt_f32_f16_e32 v12, v13
.LBB416_174:
	s_or_b64 exec, exec, s[34:35]
	v_mov_b32_e32 v31, v12
.LBB416_175:
	s_or_b64 exec, exec, s[38:39]
	s_waitcnt lgkmcnt(0)
	v_cvt_f32_f16_e32 v12, v10
	v_max_f32_e32 v11, v31, v31
	v_cmp_u_f16_e32 vcc, v10, v10
	v_cmp_u_f16_e64 s[34:35], v13, v13
	v_min_f32_e32 v14, v12, v11
	v_max_f32_e32 v11, v12, v11
	v_cndmask_b32_e32 v14, v14, v12, vcc
	v_cndmask_b32_e32 v11, v11, v12, vcc
	v_cndmask_b32_e64 v13, v14, v31, s[34:35]
	v_cndmask_b32_e64 v11, v11, v31, s[34:35]
	s_movk_i32 s36, 0x1f8
	v_cmp_neq_f32_e32 vcc, v13, v11
	v_cmp_class_f32_e64 s[34:35], v13, s36
	s_or_b64 s[38:39], vcc, s[34:35]
	s_and_saveexec_b64 s[34:35], s[38:39]
	s_cbranch_execz .LBB416_177
; %bb.176:
	v_sub_f32_e32 v10, v13, v11
	s_mov_b32 s37, 0x3fb8aa3b
	v_mul_f32_e32 v12, 0x3fb8aa3b, v10
	v_fma_f32 v13, v10, s37, -v12
	v_rndne_f32_e32 v14, v12
	v_fmamk_f32 v13, v10, 0x32a5705f, v13
	v_sub_f32_e32 v12, v12, v14
	v_add_f32_e32 v12, v12, v13
	v_exp_f32_e32 v12, v12
	v_cvt_i32_f32_e32 v13, v14
	s_mov_b32 s37, 0xc2ce8ed0
	v_cmp_ngt_f32_e32 vcc, s37, v10
	s_mov_b32 s37, 0x42b17218
	v_ldexp_f32 v12, v12, v13
	v_cndmask_b32_e32 v12, 0, v12, vcc
	v_mov_b32_e32 v31, 0x7f800000
	v_cmp_nlt_f32_e32 vcc, s37, v10
	s_mov_b32 s37, 0x3f2aaaab
	s_mov_b32 s38, 0x7f800000
	v_cndmask_b32_e32 v10, v31, v12, vcc
	v_add_f32_e32 v14, 1.0, v10
	v_add_f32_e32 v12, -1.0, v14
	v_sub_f32_e32 v13, v12, v14
	v_add_f32_e32 v13, 1.0, v13
	v_sub_f32_e32 v12, v10, v12
	v_add_f32_e32 v15, v12, v13
	v_frexp_mant_f32_e32 v16, v14
	v_cvt_f64_f32_e32 v[12:13], v14
	v_frexp_exp_i32_f64_e32 v12, v[12:13]
	v_cmp_gt_f32_e32 vcc, s37, v16
	s_mov_b32 s37, 0x3f317218
	s_nop 0
	v_subbrev_co_u32_e32 v34, vcc, 0, v12, vcc
	v_sub_u32_e32 v12, 0, v34
	v_ldexp_f32 v13, v14, v12
	v_add_f32_e32 v14, -1.0, v13
	v_add_f32_e32 v16, 1.0, v13
	v_ldexp_f32 v12, v15, v12
	v_add_f32_e32 v15, 1.0, v14
	v_add_f32_e32 v17, -1.0, v16
	v_sub_f32_e32 v15, v13, v15
	v_sub_f32_e32 v13, v13, v17
	v_add_f32_e32 v15, v12, v15
	v_add_f32_e32 v12, v12, v13
	;; [unrolled: 1-line block ×3, first 2 shown]
	v_rcp_f32_e32 v37, v35
	v_sub_f32_e32 v13, v16, v35
	v_add_f32_e32 v36, v12, v13
	v_add_f32_e32 v13, v14, v15
	v_mul_f32_e32 v39, v13, v37
	v_sub_f32_e32 v12, v14, v13
	v_mul_f32_e32 v14, v35, v39
	v_fma_f32 v16, v39, v35, -v14
	v_fmac_f32_e32 v16, v39, v36
	v_add_f32_e32 v38, v15, v12
	v_add_f32_e32 v12, v14, v16
	v_sub_f32_e32 v15, v13, v12
	v_pk_add_f32 v[32:33], v[12:13], v[14:15] neg_lo:[0,1] neg_hi:[0,1]
	v_mov_b32_e32 v17, v12
	v_pk_add_f32 v[12:13], v[32:33], v[16:17] neg_lo:[0,1] neg_hi:[0,1]
	v_cmp_neq_f32_e32 vcc, s38, v10
	v_add_f32_e32 v13, v38, v13
	v_add_f32_e32 v12, v12, v13
	;; [unrolled: 1-line block ×3, first 2 shown]
	v_mul_f32_e32 v38, v37, v13
	v_mul_f32_e32 v14, v35, v38
	v_fma_f32 v16, v38, v35, -v14
	v_fmac_f32_e32 v16, v38, v36
	v_sub_f32_e32 v15, v15, v13
	v_add_f32_e32 v35, v12, v15
	v_add_f32_e32 v12, v14, v16
	v_sub_f32_e32 v15, v13, v12
	v_pk_add_f32 v[32:33], v[12:13], v[14:15] neg_lo:[0,1] neg_hi:[0,1]
	v_mov_b32_e32 v17, v12
	v_pk_add_f32 v[12:13], v[32:33], v[16:17] neg_lo:[0,1] neg_hi:[0,1]
	v_cvt_f32_i32_e32 v14, v34
	v_add_f32_e32 v13, v35, v13
	v_add_f32_e32 v12, v12, v13
	;; [unrolled: 1-line block ×4, first 2 shown]
	v_sub_f32_e32 v13, v15, v39
	v_mul_f32_e32 v12, v37, v12
	v_sub_f32_e32 v13, v38, v13
	v_add_f32_e32 v12, v13, v12
	v_add_f32_e32 v16, v15, v12
	v_mul_f32_e32 v32, v16, v16
	v_mov_b32_e32 v13, 0x3ecc95a3
	v_sub_f32_e32 v15, v16, v15
	v_fmac_f32_e32 v13, 0x3e9b6dac, v32
	v_sub_f32_e32 v12, v12, v15
	v_fmaak_f32 v13, v32, v13, 0x3f2aaada
	v_ldexp_f32 v33, v12, 1
	v_mul_f32_e32 v15, v16, v32
	v_mov_b32_e32 v12, 0x3f317218
	v_pk_mul_f32 v[12:13], v[14:15], v[12:13]
	v_ldexp_f32 v17, v16, 1
	v_fma_f32 v15, v14, s37, -v12
	v_fmamk_f32 v16, v14, 0xb102e308, v15
	v_pk_add_f32 v[14:15], v[12:13], v[16:17]
	v_mov_b32_e32 v32, v12
	v_sub_f32_e32 v17, v15, v17
	v_sub_f32_e32 v17, v13, v17
	v_add_f32_e32 v33, v33, v17
	v_pk_add_f32 v[12:13], v[14:15], v[12:13] neg_lo:[0,1] neg_hi:[0,1]
	v_pk_add_f32 v[34:35], v[14:15], v[32:33]
	v_mov_b32_e32 v17, v14
	v_mov_b32_e32 v13, v35
	v_pk_add_f32 v[36:37], v[16:17], v[12:13] neg_lo:[0,1] neg_hi:[0,1]
	v_pk_add_f32 v[12:13], v[16:17], v[12:13]
	v_mov_b32_e32 v32, v33
	v_pk_add_f32 v[16:17], v[12:13], v[14:15] op_sel:[1,0] op_sel_hi:[0,1] neg_lo:[0,1] neg_hi:[0,1]
	v_pk_add_f32 v[38:39], v[34:35], v[16:17] op_sel_hi:[1,0] neg_lo:[0,1] neg_hi:[0,1]
	v_mov_b32_e32 v34, v35
	v_mov_b32_e32 v35, v13
	v_pk_mov_b32 v[16:17], v[14:15], v[16:17] op_sel:[1,0]
	v_mov_b32_e32 v33, v14
	v_pk_add_f32 v[16:17], v[34:35], v[16:17] neg_lo:[0,1] neg_hi:[0,1]
	v_mov_b32_e32 v38, v36
	v_pk_add_f32 v[14:15], v[32:33], v[16:17] neg_lo:[0,1] neg_hi:[0,1]
	v_mov_b32_e32 v37, v13
	v_pk_add_f32 v[16:17], v[38:39], v[14:15]
	s_mov_b32 s37, 0x33800000
	v_pk_add_f32 v[32:33], v[16:17], v[16:17] op_sel:[0,1] op_sel_hi:[1,0]
	s_nop 0
	v_pk_add_f32 v[12:13], v[12:13], v[32:33] op_sel:[1,0] op_sel_hi:[0,1]
	v_mov_b32_e32 v17, v12
	v_pk_add_f32 v[34:35], v[16:17], v[36:37] neg_lo:[0,1] neg_hi:[0,1]
	v_mov_b32_e32 v15, v32
	v_sub_f32_e32 v13, v16, v34
	v_pk_add_f32 v[14:15], v[14:15], v[34:35] neg_lo:[0,1] neg_hi:[0,1]
	v_sub_f32_e32 v13, v36, v13
	v_add_f32_e32 v13, v14, v13
	v_add_f32_e32 v13, v13, v15
	v_add_f32_e32 v12, v12, v13
	v_cndmask_b32_e32 v12, v31, v12, vcc
	v_cmp_lt_f32_e64 vcc, |v10|, s37
	s_nop 1
	v_cndmask_b32_e32 v10, v12, v10, vcc
	v_add_f32_e32 v10, v11, v10
	v_cvt_f16_f32_e32 v10, v10
	v_cvt_f32_f16_e32 v12, v10
.LBB416_177:
	s_or_b64 exec, exec, s[34:35]
	v_max_f32_e32 v11, v3, v3
	v_max_f32_e32 v13, v12, v12
	v_min_f32_e32 v14, v13, v11
	v_cmp_u_f16_e32 vcc, v10, v10
	v_max_f32_e32 v11, v13, v11
	v_mov_b32_e32 v32, v10
	v_cndmask_b32_e32 v14, v14, v12, vcc
	v_cndmask_b32_e32 v11, v11, v12, vcc
	v_cndmask_b32_e64 v14, v14, v3, s[6:7]
	v_cndmask_b32_e64 v13, v11, v3, s[6:7]
	v_cmp_neq_f32_e32 vcc, v14, v13
	v_cmp_class_f32_e64 s[6:7], v14, s36
	s_or_b64 s[34:35], vcc, s[6:7]
	v_mov_b32_e32 v11, v10
	s_and_saveexec_b64 s[6:7], s[34:35]
	s_cbranch_execz .LBB416_179
; %bb.178:
	v_sub_f32_e32 v11, v14, v13
	s_mov_b32 s34, 0x3fb8aa3b
	v_mul_f32_e32 v12, 0x3fb8aa3b, v11
	v_fma_f32 v14, v11, s34, -v12
	v_rndne_f32_e32 v15, v12
	v_fmamk_f32 v14, v11, 0x32a5705f, v14
	v_sub_f32_e32 v12, v12, v15
	v_add_f32_e32 v12, v12, v14
	v_exp_f32_e32 v12, v12
	v_cvt_i32_f32_e32 v14, v15
	s_mov_b32 s34, 0xc2ce8ed0
	v_cmp_ngt_f32_e32 vcc, s34, v11
	s_mov_b32 s34, 0x42b17218
	v_ldexp_f32 v12, v12, v14
	v_cndmask_b32_e32 v12, 0, v12, vcc
	v_mov_b32_e32 v31, 0x7f800000
	v_cmp_nlt_f32_e32 vcc, s34, v11
	s_mov_b32 s34, 0x3f2aaaab
	s_mov_b32 s35, 0x7f800000
	v_cndmask_b32_e32 v11, v31, v12, vcc
	v_add_f32_e32 v12, 1.0, v11
	v_add_f32_e32 v14, -1.0, v12
	v_sub_f32_e32 v15, v14, v12
	v_add_f32_e32 v15, 1.0, v15
	v_sub_f32_e32 v14, v11, v14
	v_add_f32_e32 v16, v14, v15
	v_frexp_mant_f32_e32 v17, v12
	v_cvt_f64_f32_e32 v[14:15], v12
	v_frexp_exp_i32_f64_e32 v14, v[14:15]
	v_cmp_gt_f32_e32 vcc, s34, v17
	s_mov_b32 s34, 0x3f317218
	s_nop 0
	v_subbrev_co_u32_e32 v36, vcc, 0, v14, vcc
	v_sub_u32_e32 v14, 0, v36
	v_ldexp_f32 v12, v12, v14
	v_ldexp_f32 v14, v16, v14
	v_add_f32_e32 v16, -1.0, v12
	v_add_f32_e32 v15, 1.0, v16
	v_sub_f32_e32 v15, v12, v15
	v_add_f32_e32 v17, v14, v15
	v_add_f32_e32 v15, 1.0, v12
	v_add_f32_e32 v32, -1.0, v15
	v_sub_f32_e32 v12, v12, v32
	v_add_f32_e32 v12, v14, v12
	v_add_f32_e32 v37, v15, v12
	v_rcp_f32_e32 v38, v37
	v_sub_f32_e32 v14, v15, v37
	v_add_f32_e32 v15, v16, v17
	v_add_f32_e32 v12, v12, v14
	v_mul_f32_e32 v40, v15, v38
	v_sub_f32_e32 v14, v16, v15
	v_mul_f32_e32 v16, v37, v40
	v_fma_f32 v32, v40, v37, -v16
	v_fmac_f32_e32 v32, v40, v12
	v_add_f32_e32 v39, v17, v14
	v_add_f32_e32 v14, v16, v32
	v_sub_f32_e32 v17, v15, v14
	v_pk_add_f32 v[34:35], v[14:15], v[16:17] neg_lo:[0,1] neg_hi:[0,1]
	v_mov_b32_e32 v33, v14
	v_pk_add_f32 v[14:15], v[34:35], v[32:33] neg_lo:[0,1] neg_hi:[0,1]
	v_cmp_neq_f32_e32 vcc, s35, v11
	v_add_f32_e32 v15, v39, v15
	v_add_f32_e32 v14, v14, v15
	;; [unrolled: 1-line block ×3, first 2 shown]
	v_mul_f32_e32 v39, v38, v15
	v_mul_f32_e32 v16, v37, v39
	v_fma_f32 v32, v39, v37, -v16
	v_fmac_f32_e32 v32, v39, v12
	v_sub_f32_e32 v12, v17, v15
	v_add_f32_e32 v12, v14, v12
	v_add_f32_e32 v14, v16, v32
	v_sub_f32_e32 v17, v15, v14
	v_pk_add_f32 v[34:35], v[14:15], v[16:17] neg_lo:[0,1] neg_hi:[0,1]
	v_mov_b32_e32 v33, v14
	v_pk_add_f32 v[14:15], v[34:35], v[32:33] neg_lo:[0,1] neg_hi:[0,1]
	v_cvt_f32_i32_e32 v16, v36
	v_add_f32_e32 v12, v12, v15
	v_add_f32_e32 v12, v14, v12
	;; [unrolled: 1-line block ×4, first 2 shown]
	v_sub_f32_e32 v15, v14, v40
	v_mul_f32_e32 v12, v38, v12
	v_sub_f32_e32 v15, v39, v15
	v_add_f32_e32 v12, v15, v12
	v_add_f32_e32 v17, v14, v12
	v_mul_f32_e32 v32, v17, v17
	v_mov_b32_e32 v15, 0x3ecc95a3
	v_fmac_f32_e32 v15, 0x3e9b6dac, v32
	v_sub_f32_e32 v14, v17, v14
	v_fmaak_f32 v15, v32, v15, 0x3f2aaada
	v_sub_f32_e32 v12, v12, v14
	v_ldexp_f32 v33, v17, 1
	v_mul_f32_e32 v17, v17, v32
	v_mov_b32_e32 v14, 0x3f317218
	v_pk_mul_f32 v[14:15], v[16:17], v[14:15]
	v_ldexp_f32 v12, v12, 1
	v_fma_f32 v17, v16, s34, -v14
	v_fmamk_f32 v32, v16, 0xb102e308, v17
	v_pk_add_f32 v[16:17], v[14:15], v[32:33]
	v_mov_b32_e32 v34, v14
	v_sub_f32_e32 v33, v17, v33
	v_sub_f32_e32 v33, v15, v33
	v_add_f32_e32 v35, v12, v33
	v_pk_add_f32 v[14:15], v[16:17], v[14:15] neg_lo:[0,1] neg_hi:[0,1]
	v_pk_add_f32 v[36:37], v[16:17], v[34:35]
	v_mov_b32_e32 v33, v16
	v_mov_b32_e32 v15, v37
	v_pk_add_f32 v[38:39], v[32:33], v[14:15] neg_lo:[0,1] neg_hi:[0,1]
	v_pk_add_f32 v[14:15], v[32:33], v[14:15]
	v_mov_b32_e32 v34, v35
	v_pk_add_f32 v[32:33], v[14:15], v[16:17] op_sel:[1,0] op_sel_hi:[0,1] neg_lo:[0,1] neg_hi:[0,1]
	v_pk_add_f32 v[40:41], v[36:37], v[32:33] op_sel_hi:[1,0] neg_lo:[0,1] neg_hi:[0,1]
	v_mov_b32_e32 v36, v37
	v_mov_b32_e32 v37, v15
	v_pk_mov_b32 v[32:33], v[16:17], v[32:33] op_sel:[1,0]
	v_mov_b32_e32 v35, v16
	v_pk_add_f32 v[32:33], v[36:37], v[32:33] neg_lo:[0,1] neg_hi:[0,1]
	v_mov_b32_e32 v40, v38
	v_pk_add_f32 v[16:17], v[34:35], v[32:33] neg_lo:[0,1] neg_hi:[0,1]
	v_mov_b32_e32 v39, v15
	v_pk_add_f32 v[32:33], v[40:41], v[16:17]
	s_mov_b32 s34, 0x33800000
	v_pk_add_f32 v[34:35], v[32:33], v[32:33] op_sel:[0,1] op_sel_hi:[1,0]
	s_nop 0
	v_pk_add_f32 v[14:15], v[14:15], v[34:35] op_sel:[1,0] op_sel_hi:[0,1]
	v_mov_b32_e32 v33, v14
	v_pk_add_f32 v[36:37], v[32:33], v[38:39] neg_lo:[0,1] neg_hi:[0,1]
	v_mov_b32_e32 v17, v34
	v_sub_f32_e32 v12, v32, v36
	v_pk_add_f32 v[16:17], v[16:17], v[36:37] neg_lo:[0,1] neg_hi:[0,1]
	v_sub_f32_e32 v12, v38, v12
	v_add_f32_e32 v12, v16, v12
	v_add_f32_e32 v12, v12, v17
	;; [unrolled: 1-line block ×3, first 2 shown]
	v_cndmask_b32_e32 v12, v31, v12, vcc
	v_cmp_lt_f32_e64 vcc, |v11|, s34
	s_nop 1
	v_cndmask_b32_e32 v11, v12, v11, vcc
	v_add_f32_e32 v11, v13, v11
	v_cvt_f16_f32_e32 v32, v11
	v_cvt_f32_f16_e32 v12, v32
	v_mov_b32_e32 v11, v32
.LBB416_179:
	s_or_b64 exec, exec, s[6:7]
	v_max_f32_e32 v13, v19, v19
	v_max_f32_e32 v15, v12, v12
	v_min_f32_e32 v14, v15, v13
	v_cmp_u_f16_e32 vcc, v32, v32
	v_max_f32_e32 v13, v15, v13
	v_mov_b32_e32 v31, v11
	v_cndmask_b32_e32 v14, v14, v12, vcc
	v_cndmask_b32_e32 v13, v13, v12, vcc
	v_cndmask_b32_e64 v14, v14, v19, s[8:9]
	v_cndmask_b32_e64 v13, v13, v19, s[8:9]
	s_movk_i32 s8, 0x1f8
	v_cmp_neq_f32_e32 vcc, v14, v13
	v_cmp_class_f32_e64 s[6:7], v14, s8
	s_or_b64 s[34:35], vcc, s[6:7]
	s_and_saveexec_b64 s[6:7], s[34:35]
	s_cbranch_execz .LBB416_181
; %bb.180:
	v_sub_f32_e32 v12, v14, v13
	s_mov_b32 s9, 0x3fb8aa3b
	v_mul_f32_e32 v14, 0x3fb8aa3b, v12
	v_fma_f32 v15, v12, s9, -v14
	v_rndne_f32_e32 v16, v14
	v_fmamk_f32 v15, v12, 0x32a5705f, v15
	v_sub_f32_e32 v14, v14, v16
	v_add_f32_e32 v14, v14, v15
	v_exp_f32_e32 v14, v14
	v_cvt_i32_f32_e32 v15, v16
	s_mov_b32 s9, 0xc2ce8ed0
	v_cmp_ngt_f32_e32 vcc, s9, v12
	s_mov_b32 s9, 0x42b17218
	v_ldexp_f32 v14, v14, v15
	v_cndmask_b32_e32 v14, 0, v14, vcc
	v_mov_b32_e32 v19, 0x7f800000
	v_cmp_nlt_f32_e32 vcc, s9, v12
	s_mov_b32 s9, 0x3f2aaaab
	s_mov_b32 s34, 0x7f800000
	v_cndmask_b32_e32 v12, v19, v14, vcc
	v_add_f32_e32 v16, 1.0, v12
	v_add_f32_e32 v14, -1.0, v16
	v_sub_f32_e32 v15, v14, v16
	v_add_f32_e32 v15, 1.0, v15
	v_sub_f32_e32 v14, v12, v14
	v_add_f32_e32 v17, v14, v15
	v_frexp_mant_f32_e32 v31, v16
	v_cvt_f64_f32_e32 v[14:15], v16
	v_frexp_exp_i32_f64_e32 v14, v[14:15]
	v_cmp_gt_f32_e32 vcc, s9, v31
	s_mov_b32 s9, 0x3f317218
	s_nop 0
	v_subbrev_co_u32_e32 v31, vcc, 0, v14, vcc
	v_sub_u32_e32 v14, 0, v31
	v_ldexp_f32 v15, v16, v14
	v_add_f32_e32 v16, -1.0, v15
	v_add_f32_e32 v32, 1.0, v15
	v_ldexp_f32 v14, v17, v14
	v_add_f32_e32 v17, 1.0, v16
	v_add_f32_e32 v33, -1.0, v32
	v_sub_f32_e32 v17, v15, v17
	v_sub_f32_e32 v15, v15, v33
	v_add_f32_e32 v17, v14, v17
	v_add_f32_e32 v14, v14, v15
	;; [unrolled: 1-line block ×3, first 2 shown]
	v_rcp_f32_e32 v38, v36
	v_sub_f32_e32 v15, v32, v36
	v_add_f32_e32 v37, v14, v15
	v_add_f32_e32 v15, v16, v17
	v_mul_f32_e32 v40, v15, v38
	v_sub_f32_e32 v14, v16, v15
	v_mul_f32_e32 v16, v36, v40
	v_fma_f32 v32, v40, v36, -v16
	v_fmac_f32_e32 v32, v40, v37
	v_add_f32_e32 v39, v17, v14
	v_add_f32_e32 v14, v16, v32
	v_sub_f32_e32 v17, v15, v14
	v_pk_add_f32 v[34:35], v[14:15], v[16:17] neg_lo:[0,1] neg_hi:[0,1]
	v_mov_b32_e32 v33, v14
	v_pk_add_f32 v[14:15], v[34:35], v[32:33] neg_lo:[0,1] neg_hi:[0,1]
	v_cmp_neq_f32_e32 vcc, s34, v12
	v_add_f32_e32 v15, v39, v15
	v_add_f32_e32 v14, v14, v15
	;; [unrolled: 1-line block ×3, first 2 shown]
	v_mul_f32_e32 v39, v38, v15
	v_mul_f32_e32 v16, v36, v39
	v_fma_f32 v32, v39, v36, -v16
	v_fmac_f32_e32 v32, v39, v37
	v_sub_f32_e32 v17, v17, v15
	v_add_f32_e32 v36, v14, v17
	v_add_f32_e32 v14, v16, v32
	v_sub_f32_e32 v17, v15, v14
	v_pk_add_f32 v[34:35], v[14:15], v[16:17] neg_lo:[0,1] neg_hi:[0,1]
	v_mov_b32_e32 v33, v14
	v_pk_add_f32 v[14:15], v[34:35], v[32:33] neg_lo:[0,1] neg_hi:[0,1]
	v_cvt_f32_i32_e32 v16, v31
	v_add_f32_e32 v15, v36, v15
	v_add_f32_e32 v14, v14, v15
	;; [unrolled: 1-line block ×4, first 2 shown]
	v_sub_f32_e32 v15, v17, v40
	v_mul_f32_e32 v14, v38, v14
	v_sub_f32_e32 v15, v39, v15
	v_add_f32_e32 v14, v15, v14
	v_add_f32_e32 v32, v17, v14
	v_mul_f32_e32 v34, v32, v32
	v_mov_b32_e32 v15, 0x3ecc95a3
	v_sub_f32_e32 v17, v32, v17
	v_fmac_f32_e32 v15, 0x3e9b6dac, v34
	v_sub_f32_e32 v14, v14, v17
	v_fmaak_f32 v15, v34, v15, 0x3f2aaada
	v_ldexp_f32 v31, v14, 1
	v_mul_f32_e32 v17, v32, v34
	v_mov_b32_e32 v14, 0x3f317218
	v_pk_mul_f32 v[14:15], v[16:17], v[14:15]
	v_ldexp_f32 v33, v32, 1
	v_fma_f32 v17, v16, s9, -v14
	v_fmamk_f32 v32, v16, 0xb102e308, v17
	v_pk_add_f32 v[16:17], v[14:15], v[32:33]
	v_mov_b32_e32 v34, v14
	v_sub_f32_e32 v33, v17, v33
	v_sub_f32_e32 v33, v15, v33
	v_add_f32_e32 v35, v31, v33
	v_pk_add_f32 v[14:15], v[16:17], v[14:15] neg_lo:[0,1] neg_hi:[0,1]
	v_pk_add_f32 v[36:37], v[16:17], v[34:35]
	v_mov_b32_e32 v33, v16
	v_mov_b32_e32 v15, v37
	v_pk_add_f32 v[38:39], v[32:33], v[14:15] neg_lo:[0,1] neg_hi:[0,1]
	v_pk_add_f32 v[14:15], v[32:33], v[14:15]
	v_mov_b32_e32 v34, v35
	v_pk_add_f32 v[32:33], v[14:15], v[16:17] op_sel:[1,0] op_sel_hi:[0,1] neg_lo:[0,1] neg_hi:[0,1]
	v_pk_add_f32 v[40:41], v[36:37], v[32:33] op_sel_hi:[1,0] neg_lo:[0,1] neg_hi:[0,1]
	v_mov_b32_e32 v36, v37
	v_mov_b32_e32 v37, v15
	v_pk_mov_b32 v[32:33], v[16:17], v[32:33] op_sel:[1,0]
	v_mov_b32_e32 v35, v16
	v_pk_add_f32 v[32:33], v[36:37], v[32:33] neg_lo:[0,1] neg_hi:[0,1]
	v_mov_b32_e32 v40, v38
	v_pk_add_f32 v[16:17], v[34:35], v[32:33] neg_lo:[0,1] neg_hi:[0,1]
	v_mov_b32_e32 v39, v15
	v_pk_add_f32 v[32:33], v[40:41], v[16:17]
	s_mov_b32 s9, 0x33800000
	v_pk_add_f32 v[34:35], v[32:33], v[32:33] op_sel:[0,1] op_sel_hi:[1,0]
	s_nop 0
	v_pk_add_f32 v[14:15], v[14:15], v[34:35] op_sel:[1,0] op_sel_hi:[0,1]
	v_mov_b32_e32 v33, v14
	v_pk_add_f32 v[36:37], v[32:33], v[38:39] neg_lo:[0,1] neg_hi:[0,1]
	v_mov_b32_e32 v17, v34
	v_sub_f32_e32 v15, v32, v36
	v_pk_add_f32 v[16:17], v[16:17], v[36:37] neg_lo:[0,1] neg_hi:[0,1]
	v_sub_f32_e32 v15, v38, v15
	v_add_f32_e32 v15, v16, v15
	v_add_f32_e32 v15, v15, v17
	;; [unrolled: 1-line block ×3, first 2 shown]
	v_cndmask_b32_e32 v14, v19, v14, vcc
	v_cmp_lt_f32_e64 vcc, |v12|, s9
	s_nop 1
	v_cndmask_b32_e32 v12, v14, v12, vcc
	v_add_f32_e32 v12, v13, v12
	v_cvt_f16_f32_e32 v32, v12
	v_cvt_f32_f16_e32 v12, v32
	v_mov_b32_e32 v31, v32
.LBB416_181:
	s_or_b64 exec, exec, s[6:7]
	v_max_f32_e32 v13, v20, v20
	v_max_f32_e32 v14, v12, v12
	v_min_f32_e32 v15, v14, v13
	v_cmp_u_f16_e32 vcc, v32, v32
	v_max_f32_e32 v13, v14, v13
	s_nop 0
	v_cndmask_b32_e32 v15, v15, v12, vcc
	v_cndmask_b32_e32 v13, v13, v12, vcc
	v_cndmask_b32_e64 v15, v15, v20, s[10:11]
	v_cndmask_b32_e64 v14, v13, v20, s[10:11]
	v_cmp_neq_f32_e32 vcc, v15, v14
	v_cmp_class_f32_e64 s[6:7], v15, s8
	s_or_b64 s[8:9], vcc, s[6:7]
	v_mov_b32_e32 v13, v31
	s_and_saveexec_b64 s[6:7], s[8:9]
	s_cbranch_execz .LBB416_183
; %bb.182:
	v_sub_f32_e32 v12, v15, v14
	s_mov_b32 s8, 0x3fb8aa3b
	v_mul_f32_e32 v13, 0x3fb8aa3b, v12
	v_fma_f32 v15, v12, s8, -v13
	v_rndne_f32_e32 v16, v13
	v_fmamk_f32 v15, v12, 0x32a5705f, v15
	v_sub_f32_e32 v13, v13, v16
	v_add_f32_e32 v13, v13, v15
	v_exp_f32_e32 v13, v13
	v_cvt_i32_f32_e32 v15, v16
	s_mov_b32 s8, 0xc2ce8ed0
	v_cmp_ngt_f32_e32 vcc, s8, v12
	s_mov_b32 s8, 0x42b17218
	v_ldexp_f32 v13, v13, v15
	v_cndmask_b32_e32 v13, 0, v13, vcc
	v_mov_b32_e32 v15, 0x7f800000
	v_cmp_nlt_f32_e32 vcc, s8, v12
	s_mov_b32 s8, 0x3f2aaaab
	s_mov_b32 s9, 0x7f800000
	v_cndmask_b32_e32 v19, v15, v13, vcc
	v_add_f32_e32 v16, 1.0, v19
	v_add_f32_e32 v12, -1.0, v16
	v_sub_f32_e32 v13, v12, v16
	v_add_f32_e32 v13, 1.0, v13
	v_sub_f32_e32 v12, v19, v12
	v_add_f32_e32 v17, v12, v13
	v_frexp_mant_f32_e32 v20, v16
	v_cvt_f64_f32_e32 v[12:13], v16
	v_frexp_exp_i32_f64_e32 v12, v[12:13]
	v_cmp_gt_f32_e32 vcc, s8, v20
	s_mov_b32 s8, 0x3f317218
	s_nop 0
	v_subbrev_co_u32_e32 v20, vcc, 0, v12, vcc
	v_sub_u32_e32 v12, 0, v20
	v_ldexp_f32 v13, v16, v12
	v_add_f32_e32 v16, -1.0, v13
	v_add_f32_e32 v32, 1.0, v13
	v_ldexp_f32 v12, v17, v12
	v_add_f32_e32 v17, 1.0, v16
	v_add_f32_e32 v33, -1.0, v32
	v_sub_f32_e32 v17, v13, v17
	v_sub_f32_e32 v13, v13, v33
	v_add_f32_e32 v17, v12, v17
	v_add_f32_e32 v12, v12, v13
	;; [unrolled: 1-line block ×3, first 2 shown]
	v_rcp_f32_e32 v38, v36
	v_sub_f32_e32 v13, v32, v36
	v_add_f32_e32 v37, v12, v13
	v_add_f32_e32 v13, v16, v17
	v_mul_f32_e32 v40, v13, v38
	v_sub_f32_e32 v12, v16, v13
	v_mul_f32_e32 v16, v36, v40
	v_fma_f32 v32, v40, v36, -v16
	v_fmac_f32_e32 v32, v40, v37
	v_add_f32_e32 v39, v17, v12
	v_add_f32_e32 v12, v16, v32
	v_sub_f32_e32 v17, v13, v12
	v_pk_add_f32 v[34:35], v[12:13], v[16:17] neg_lo:[0,1] neg_hi:[0,1]
	v_mov_b32_e32 v33, v12
	v_pk_add_f32 v[12:13], v[34:35], v[32:33] neg_lo:[0,1] neg_hi:[0,1]
	v_cmp_neq_f32_e32 vcc, s9, v19
	v_add_f32_e32 v13, v39, v13
	v_add_f32_e32 v12, v12, v13
	;; [unrolled: 1-line block ×3, first 2 shown]
	v_mul_f32_e32 v39, v38, v13
	v_mul_f32_e32 v16, v36, v39
	v_fma_f32 v32, v39, v36, -v16
	v_fmac_f32_e32 v32, v39, v37
	v_sub_f32_e32 v17, v17, v13
	v_add_f32_e32 v36, v12, v17
	v_add_f32_e32 v12, v16, v32
	v_sub_f32_e32 v17, v13, v12
	v_pk_add_f32 v[34:35], v[12:13], v[16:17] neg_lo:[0,1] neg_hi:[0,1]
	v_mov_b32_e32 v33, v12
	v_pk_add_f32 v[12:13], v[34:35], v[32:33] neg_lo:[0,1] neg_hi:[0,1]
	v_cvt_f32_i32_e32 v16, v20
	v_add_f32_e32 v13, v36, v13
	v_add_f32_e32 v12, v12, v13
	;; [unrolled: 1-line block ×4, first 2 shown]
	v_sub_f32_e32 v13, v17, v40
	v_mul_f32_e32 v12, v38, v12
	v_sub_f32_e32 v13, v39, v13
	v_add_f32_e32 v12, v13, v12
	v_add_f32_e32 v32, v17, v12
	v_mul_f32_e32 v34, v32, v32
	v_mov_b32_e32 v13, 0x3ecc95a3
	v_sub_f32_e32 v17, v32, v17
	v_fmac_f32_e32 v13, 0x3e9b6dac, v34
	v_sub_f32_e32 v12, v12, v17
	v_fmaak_f32 v13, v34, v13, 0x3f2aaada
	v_ldexp_f32 v20, v12, 1
	v_mul_f32_e32 v17, v32, v34
	v_mov_b32_e32 v12, 0x3f317218
	v_pk_mul_f32 v[12:13], v[16:17], v[12:13]
	v_ldexp_f32 v33, v32, 1
	v_fma_f32 v17, v16, s8, -v12
	v_fmamk_f32 v32, v16, 0xb102e308, v17
	v_pk_add_f32 v[16:17], v[12:13], v[32:33]
	v_mov_b32_e32 v34, v12
	v_sub_f32_e32 v33, v17, v33
	v_sub_f32_e32 v33, v13, v33
	v_add_f32_e32 v35, v20, v33
	v_pk_add_f32 v[12:13], v[16:17], v[12:13] neg_lo:[0,1] neg_hi:[0,1]
	v_pk_add_f32 v[36:37], v[16:17], v[34:35]
	v_mov_b32_e32 v33, v16
	v_mov_b32_e32 v13, v37
	v_pk_add_f32 v[38:39], v[32:33], v[12:13] neg_lo:[0,1] neg_hi:[0,1]
	v_pk_add_f32 v[12:13], v[32:33], v[12:13]
	v_mov_b32_e32 v34, v35
	v_pk_add_f32 v[32:33], v[12:13], v[16:17] op_sel:[1,0] op_sel_hi:[0,1] neg_lo:[0,1] neg_hi:[0,1]
	v_pk_add_f32 v[40:41], v[36:37], v[32:33] op_sel_hi:[1,0] neg_lo:[0,1] neg_hi:[0,1]
	v_mov_b32_e32 v36, v37
	v_mov_b32_e32 v37, v13
	v_pk_mov_b32 v[32:33], v[16:17], v[32:33] op_sel:[1,0]
	v_mov_b32_e32 v35, v16
	v_pk_add_f32 v[32:33], v[36:37], v[32:33] neg_lo:[0,1] neg_hi:[0,1]
	v_mov_b32_e32 v40, v38
	v_pk_add_f32 v[16:17], v[34:35], v[32:33] neg_lo:[0,1] neg_hi:[0,1]
	v_mov_b32_e32 v39, v13
	v_pk_add_f32 v[32:33], v[40:41], v[16:17]
	s_mov_b32 s8, 0x33800000
	v_pk_add_f32 v[34:35], v[32:33], v[32:33] op_sel:[0,1] op_sel_hi:[1,0]
	s_nop 0
	v_pk_add_f32 v[12:13], v[12:13], v[34:35] op_sel:[1,0] op_sel_hi:[0,1]
	v_mov_b32_e32 v33, v12
	v_pk_add_f32 v[36:37], v[32:33], v[38:39] neg_lo:[0,1] neg_hi:[0,1]
	v_mov_b32_e32 v17, v34
	v_sub_f32_e32 v13, v32, v36
	v_pk_add_f32 v[16:17], v[16:17], v[36:37] neg_lo:[0,1] neg_hi:[0,1]
	v_sub_f32_e32 v13, v38, v13
	v_add_f32_e32 v13, v16, v13
	v_add_f32_e32 v13, v13, v17
	;; [unrolled: 1-line block ×3, first 2 shown]
	v_cndmask_b32_e32 v12, v15, v12, vcc
	v_cmp_lt_f32_e64 vcc, |v19|, s8
	s_nop 1
	v_cndmask_b32_e32 v12, v12, v19, vcc
	v_add_f32_e32 v12, v14, v12
	v_cvt_f16_f32_e32 v32, v12
	v_cvt_f32_f16_e32 v12, v32
	v_mov_b32_e32 v13, v32
.LBB416_183:
	s_or_b64 exec, exec, s[6:7]
	v_max_f32_e32 v14, v21, v21
	v_max_f32_e32 v16, v12, v12
	v_min_f32_e32 v15, v16, v14
	v_cmp_u_f16_e32 vcc, v32, v32
	v_max_f32_e32 v14, v16, v14
	s_movk_i32 s8, 0x1f8
	v_cndmask_b32_e32 v15, v15, v12, vcc
	v_cndmask_b32_e32 v14, v14, v12, vcc
	v_cndmask_b32_e64 v15, v15, v21, s[12:13]
	v_cndmask_b32_e64 v14, v14, v21, s[12:13]
	v_cmp_neq_f32_e32 vcc, v15, v14
	v_cmp_class_f32_e64 s[6:7], v15, s8
	s_or_b64 s[10:11], vcc, s[6:7]
	v_mov_b32_e32 v20, v13
	s_and_saveexec_b64 s[6:7], s[10:11]
	s_cbranch_execz .LBB416_185
; %bb.184:
	v_sub_f32_e32 v12, v15, v14
	s_mov_b32 s9, 0x3fb8aa3b
	v_mul_f32_e32 v15, 0x3fb8aa3b, v12
	v_fma_f32 v16, v12, s9, -v15
	v_rndne_f32_e32 v17, v15
	v_fmamk_f32 v16, v12, 0x32a5705f, v16
	v_sub_f32_e32 v15, v15, v17
	v_add_f32_e32 v15, v15, v16
	v_exp_f32_e32 v15, v15
	v_cvt_i32_f32_e32 v16, v17
	s_mov_b32 s9, 0xc2ce8ed0
	v_cmp_ngt_f32_e32 vcc, s9, v12
	s_mov_b32 s9, 0x42b17218
	v_ldexp_f32 v15, v15, v16
	v_cndmask_b32_e32 v15, 0, v15, vcc
	v_mov_b32_e32 v19, 0x7f800000
	v_cmp_nlt_f32_e32 vcc, s9, v12
	s_mov_b32 s9, 0x3f2aaaab
	s_mov_b32 s10, 0x7f800000
	v_cndmask_b32_e32 v12, v19, v15, vcc
	v_add_f32_e32 v15, 1.0, v12
	v_add_f32_e32 v16, -1.0, v15
	v_sub_f32_e32 v17, v16, v15
	v_add_f32_e32 v17, 1.0, v17
	v_sub_f32_e32 v16, v12, v16
	v_add_f32_e32 v20, v16, v17
	v_frexp_mant_f32_e32 v21, v15
	v_cvt_f64_f32_e32 v[16:17], v15
	v_frexp_exp_i32_f64_e32 v16, v[16:17]
	v_cmp_gt_f32_e32 vcc, s9, v21
	s_mov_b32 s9, 0x3f317218
	s_nop 0
	v_subbrev_co_u32_e32 v36, vcc, 0, v16, vcc
	v_sub_u32_e32 v16, 0, v36
	v_ldexp_f32 v15, v15, v16
	v_ldexp_f32 v16, v20, v16
	v_add_f32_e32 v20, -1.0, v15
	v_add_f32_e32 v17, 1.0, v20
	v_sub_f32_e32 v17, v15, v17
	v_add_f32_e32 v21, v16, v17
	v_add_f32_e32 v17, 1.0, v15
	v_add_f32_e32 v32, -1.0, v17
	v_sub_f32_e32 v15, v15, v32
	v_add_f32_e32 v15, v16, v15
	v_add_f32_e32 v37, v17, v15
	v_rcp_f32_e32 v38, v37
	v_sub_f32_e32 v16, v17, v37
	v_add_f32_e32 v17, v20, v21
	v_add_f32_e32 v15, v15, v16
	v_mul_f32_e32 v40, v17, v38
	v_sub_f32_e32 v16, v20, v17
	v_mul_f32_e32 v20, v37, v40
	v_fma_f32 v32, v40, v37, -v20
	v_fmac_f32_e32 v32, v40, v15
	v_add_f32_e32 v39, v21, v16
	v_add_f32_e32 v16, v20, v32
	v_sub_f32_e32 v21, v17, v16
	v_pk_add_f32 v[34:35], v[16:17], v[20:21] neg_lo:[0,1] neg_hi:[0,1]
	v_mov_b32_e32 v33, v16
	v_pk_add_f32 v[16:17], v[34:35], v[32:33] neg_lo:[0,1] neg_hi:[0,1]
	v_cmp_neq_f32_e32 vcc, s10, v12
	v_add_f32_e32 v17, v39, v17
	v_add_f32_e32 v16, v16, v17
	;; [unrolled: 1-line block ×3, first 2 shown]
	v_mul_f32_e32 v39, v38, v17
	v_mul_f32_e32 v20, v37, v39
	v_fma_f32 v32, v39, v37, -v20
	v_fmac_f32_e32 v32, v39, v15
	v_sub_f32_e32 v15, v21, v17
	v_add_f32_e32 v15, v16, v15
	v_add_f32_e32 v16, v20, v32
	v_sub_f32_e32 v21, v17, v16
	v_pk_add_f32 v[34:35], v[16:17], v[20:21] neg_lo:[0,1] neg_hi:[0,1]
	v_mov_b32_e32 v33, v16
	v_pk_add_f32 v[16:17], v[34:35], v[32:33] neg_lo:[0,1] neg_hi:[0,1]
	v_cvt_f32_i32_e32 v20, v36
	v_add_f32_e32 v15, v15, v17
	v_add_f32_e32 v15, v16, v15
	;; [unrolled: 1-line block ×4, first 2 shown]
	v_sub_f32_e32 v17, v16, v40
	v_mul_f32_e32 v15, v38, v15
	v_sub_f32_e32 v17, v39, v17
	v_add_f32_e32 v15, v17, v15
	v_add_f32_e32 v21, v16, v15
	v_mul_f32_e32 v32, v21, v21
	v_mov_b32_e32 v17, 0x3ecc95a3
	v_fmac_f32_e32 v17, 0x3e9b6dac, v32
	v_sub_f32_e32 v16, v21, v16
	v_fmaak_f32 v17, v32, v17, 0x3f2aaada
	v_sub_f32_e32 v15, v15, v16
	v_ldexp_f32 v33, v21, 1
	v_mul_f32_e32 v21, v21, v32
	v_mov_b32_e32 v16, 0x3f317218
	v_pk_mul_f32 v[16:17], v[20:21], v[16:17]
	v_ldexp_f32 v15, v15, 1
	v_fma_f32 v21, v20, s9, -v16
	v_fmamk_f32 v32, v20, 0xb102e308, v21
	v_pk_add_f32 v[20:21], v[16:17], v[32:33]
	v_mov_b32_e32 v34, v16
	v_sub_f32_e32 v33, v21, v33
	v_sub_f32_e32 v33, v17, v33
	v_add_f32_e32 v35, v15, v33
	v_pk_add_f32 v[16:17], v[20:21], v[16:17] neg_lo:[0,1] neg_hi:[0,1]
	v_pk_add_f32 v[36:37], v[20:21], v[34:35]
	v_mov_b32_e32 v33, v20
	v_mov_b32_e32 v17, v37
	v_pk_add_f32 v[38:39], v[32:33], v[16:17] neg_lo:[0,1] neg_hi:[0,1]
	v_pk_add_f32 v[16:17], v[32:33], v[16:17]
	v_mov_b32_e32 v34, v35
	v_pk_add_f32 v[32:33], v[16:17], v[20:21] op_sel:[1,0] op_sel_hi:[0,1] neg_lo:[0,1] neg_hi:[0,1]
	v_pk_add_f32 v[40:41], v[36:37], v[32:33] op_sel_hi:[1,0] neg_lo:[0,1] neg_hi:[0,1]
	v_mov_b32_e32 v36, v37
	v_mov_b32_e32 v37, v17
	v_pk_mov_b32 v[32:33], v[20:21], v[32:33] op_sel:[1,0]
	v_mov_b32_e32 v35, v20
	v_pk_add_f32 v[32:33], v[36:37], v[32:33] neg_lo:[0,1] neg_hi:[0,1]
	v_mov_b32_e32 v40, v38
	v_pk_add_f32 v[20:21], v[34:35], v[32:33] neg_lo:[0,1] neg_hi:[0,1]
	v_mov_b32_e32 v39, v17
	v_pk_add_f32 v[32:33], v[40:41], v[20:21]
	s_mov_b32 s9, 0x33800000
	v_pk_add_f32 v[34:35], v[32:33], v[32:33] op_sel:[0,1] op_sel_hi:[1,0]
	s_nop 0
	v_pk_add_f32 v[16:17], v[16:17], v[34:35] op_sel:[1,0] op_sel_hi:[0,1]
	v_mov_b32_e32 v33, v16
	v_pk_add_f32 v[36:37], v[32:33], v[38:39] neg_lo:[0,1] neg_hi:[0,1]
	v_mov_b32_e32 v21, v34
	v_sub_f32_e32 v15, v32, v36
	v_pk_add_f32 v[20:21], v[20:21], v[36:37] neg_lo:[0,1] neg_hi:[0,1]
	v_sub_f32_e32 v15, v38, v15
	v_add_f32_e32 v15, v20, v15
	v_add_f32_e32 v15, v15, v21
	;; [unrolled: 1-line block ×3, first 2 shown]
	v_cndmask_b32_e32 v15, v19, v15, vcc
	v_cmp_lt_f32_e64 vcc, |v12|, s9
	s_nop 1
	v_cndmask_b32_e32 v12, v15, v12, vcc
	v_add_f32_e32 v12, v14, v12
	v_cvt_f16_f32_e32 v32, v12
	v_cvt_f32_f16_e32 v12, v32
	v_mov_b32_e32 v20, v32
.LBB416_185:
	s_or_b64 exec, exec, s[6:7]
	v_max_f32_e32 v14, v22, v22
	v_max_f32_e32 v15, v12, v12
	v_min_f32_e32 v16, v15, v14
	v_cmp_u_f16_e32 vcc, v32, v32
	v_max_f32_e32 v14, v15, v14
	s_nop 0
	v_cndmask_b32_e32 v16, v16, v12, vcc
	v_cndmask_b32_e32 v14, v14, v12, vcc
	v_cndmask_b32_e64 v16, v16, v22, s[14:15]
	v_cndmask_b32_e64 v15, v14, v22, s[14:15]
	v_cmp_neq_f32_e32 vcc, v16, v15
	v_cmp_class_f32_e64 s[6:7], v16, s8
	s_or_b64 s[8:9], vcc, s[6:7]
	v_mov_b32_e32 v14, v20
	s_and_saveexec_b64 s[6:7], s[8:9]
	s_cbranch_execz .LBB416_187
; %bb.186:
	v_sub_f32_e32 v12, v16, v15
	s_mov_b32 s8, 0x3fb8aa3b
	v_mul_f32_e32 v14, 0x3fb8aa3b, v12
	v_fma_f32 v16, v12, s8, -v14
	v_rndne_f32_e32 v17, v14
	v_fmamk_f32 v16, v12, 0x32a5705f, v16
	v_sub_f32_e32 v14, v14, v17
	v_add_f32_e32 v14, v14, v16
	v_exp_f32_e32 v14, v14
	v_cvt_i32_f32_e32 v16, v17
	s_mov_b32 s8, 0xc2ce8ed0
	v_cmp_ngt_f32_e32 vcc, s8, v12
	s_mov_b32 s8, 0x42b17218
	v_ldexp_f32 v14, v14, v16
	v_cndmask_b32_e32 v14, 0, v14, vcc
	v_mov_b32_e32 v19, 0x7f800000
	v_cmp_nlt_f32_e32 vcc, s8, v12
	s_mov_b32 s8, 0x3f2aaaab
	s_mov_b32 s9, 0x7f800000
	v_cndmask_b32_e32 v12, v19, v14, vcc
	v_add_f32_e32 v14, 1.0, v12
	v_add_f32_e32 v16, -1.0, v14
	v_sub_f32_e32 v17, v16, v14
	v_add_f32_e32 v17, 1.0, v17
	v_sub_f32_e32 v16, v12, v16
	v_add_f32_e32 v21, v16, v17
	v_frexp_mant_f32_e32 v22, v14
	v_cvt_f64_f32_e32 v[16:17], v14
	v_frexp_exp_i32_f64_e32 v16, v[16:17]
	v_cmp_gt_f32_e32 vcc, s8, v22
	s_mov_b32 s8, 0x3f317218
	s_nop 0
	v_subbrev_co_u32_e32 v22, vcc, 0, v16, vcc
	v_sub_u32_e32 v16, 0, v22
	v_ldexp_f32 v14, v14, v16
	v_ldexp_f32 v16, v21, v16
	v_add_f32_e32 v21, -1.0, v14
	v_add_f32_e32 v17, 1.0, v21
	v_sub_f32_e32 v17, v14, v17
	v_add_f32_e32 v32, v16, v17
	v_add_f32_e32 v17, 1.0, v14
	v_add_f32_e32 v33, -1.0, v17
	v_sub_f32_e32 v14, v14, v33
	v_add_f32_e32 v14, v16, v14
	v_add_f32_e32 v38, v17, v14
	v_rcp_f32_e32 v39, v38
	v_sub_f32_e32 v16, v17, v38
	v_add_f32_e32 v17, v21, v32
	v_add_f32_e32 v14, v14, v16
	v_sub_f32_e32 v16, v21, v17
	v_mul_f32_e32 v40, v17, v39
	v_add_f32_e32 v21, v32, v16
	v_mul_f32_e32 v32, v38, v40
	v_fma_f32 v34, v40, v38, -v32
	v_fmac_f32_e32 v34, v40, v14
	v_add_f32_e32 v16, v32, v34
	v_sub_f32_e32 v33, v17, v16
	v_pk_add_f32 v[36:37], v[16:17], v[32:33] neg_lo:[0,1] neg_hi:[0,1]
	v_mov_b32_e32 v35, v16
	v_pk_add_f32 v[16:17], v[36:37], v[34:35] neg_lo:[0,1] neg_hi:[0,1]
	v_cmp_neq_f32_e32 vcc, s9, v12
	v_add_f32_e32 v17, v21, v17
	v_add_f32_e32 v16, v16, v17
	;; [unrolled: 1-line block ×3, first 2 shown]
	v_mul_f32_e32 v21, v39, v17
	v_mul_f32_e32 v32, v38, v21
	v_fma_f32 v34, v21, v38, -v32
	v_fmac_f32_e32 v34, v21, v14
	v_sub_f32_e32 v14, v33, v17
	v_add_f32_e32 v14, v16, v14
	v_add_f32_e32 v16, v32, v34
	v_sub_f32_e32 v33, v17, v16
	v_pk_add_f32 v[36:37], v[16:17], v[32:33] neg_lo:[0,1] neg_hi:[0,1]
	v_mov_b32_e32 v35, v16
	v_pk_add_f32 v[16:17], v[36:37], v[34:35] neg_lo:[0,1] neg_hi:[0,1]
	v_cvt_f32_i32_e32 v32, v22
	v_add_f32_e32 v14, v14, v17
	v_add_f32_e32 v14, v16, v14
	;; [unrolled: 1-line block ×4, first 2 shown]
	v_sub_f32_e32 v17, v16, v40
	v_mul_f32_e32 v14, v39, v14
	v_sub_f32_e32 v17, v21, v17
	v_add_f32_e32 v14, v17, v14
	v_add_f32_e32 v21, v16, v14
	v_mul_f32_e32 v33, v21, v21
	v_mov_b32_e32 v17, 0x3ecc95a3
	v_fmac_f32_e32 v17, 0x3e9b6dac, v33
	v_sub_f32_e32 v16, v21, v16
	v_fmaak_f32 v17, v33, v17, 0x3f2aaada
	v_sub_f32_e32 v14, v14, v16
	v_mul_f32_e32 v33, v21, v33
	v_mov_b32_e32 v16, 0x3f317218
	v_pk_mul_f32 v[16:17], v[32:33], v[16:17]
	v_ldexp_f32 v35, v21, 1
	v_fma_f32 v21, v32, s8, -v16
	v_fmamk_f32 v34, v32, 0xb102e308, v21
	v_pk_add_f32 v[32:33], v[16:17], v[34:35]
	v_ldexp_f32 v14, v14, 1
	v_sub_f32_e32 v21, v33, v35
	v_sub_f32_e32 v21, v17, v21
	v_add_f32_e32 v37, v14, v21
	v_mov_b32_e32 v36, v16
	v_pk_add_f32 v[16:17], v[32:33], v[16:17] neg_lo:[0,1] neg_hi:[0,1]
	v_pk_add_f32 v[38:39], v[32:33], v[36:37]
	v_mov_b32_e32 v35, v32
	v_mov_b32_e32 v17, v39
	v_pk_add_f32 v[40:41], v[34:35], v[16:17] neg_lo:[0,1] neg_hi:[0,1]
	v_pk_add_f32 v[16:17], v[34:35], v[16:17]
	v_mov_b32_e32 v36, v37
	v_pk_add_f32 v[34:35], v[16:17], v[32:33] op_sel:[1,0] op_sel_hi:[0,1] neg_lo:[0,1] neg_hi:[0,1]
	v_pk_add_f32 v[42:43], v[38:39], v[34:35] op_sel_hi:[1,0] neg_lo:[0,1] neg_hi:[0,1]
	v_mov_b32_e32 v38, v39
	v_mov_b32_e32 v39, v17
	v_pk_mov_b32 v[34:35], v[32:33], v[34:35] op_sel:[1,0]
	v_mov_b32_e32 v37, v32
	v_pk_add_f32 v[34:35], v[38:39], v[34:35] neg_lo:[0,1] neg_hi:[0,1]
	v_mov_b32_e32 v42, v40
	v_pk_add_f32 v[32:33], v[36:37], v[34:35] neg_lo:[0,1] neg_hi:[0,1]
	v_mov_b32_e32 v41, v17
	v_pk_add_f32 v[34:35], v[42:43], v[32:33]
	s_mov_b32 s8, 0x33800000
	v_pk_add_f32 v[36:37], v[34:35], v[34:35] op_sel:[0,1] op_sel_hi:[1,0]
	s_nop 0
	v_pk_add_f32 v[16:17], v[16:17], v[36:37] op_sel:[1,0] op_sel_hi:[0,1]
	v_mov_b32_e32 v35, v16
	v_pk_add_f32 v[38:39], v[34:35], v[40:41] neg_lo:[0,1] neg_hi:[0,1]
	v_mov_b32_e32 v33, v36
	v_sub_f32_e32 v14, v34, v38
	v_pk_add_f32 v[32:33], v[32:33], v[38:39] neg_lo:[0,1] neg_hi:[0,1]
	v_sub_f32_e32 v14, v40, v14
	v_add_f32_e32 v14, v32, v14
	v_add_f32_e32 v14, v14, v33
	;; [unrolled: 1-line block ×3, first 2 shown]
	v_cndmask_b32_e32 v14, v19, v14, vcc
	v_cmp_lt_f32_e64 vcc, |v12|, s8
	s_nop 1
	v_cndmask_b32_e32 v12, v14, v12, vcc
	v_add_f32_e32 v12, v15, v12
	v_cvt_f16_f32_e32 v32, v12
	v_cvt_f32_f16_e32 v12, v32
	v_mov_b32_e32 v14, v32
.LBB416_187:
	s_or_b64 exec, exec, s[6:7]
	v_max_f32_e32 v15, v23, v23
	v_max_f32_e32 v17, v12, v12
	v_min_f32_e32 v16, v17, v15
	v_cmp_u_f16_e32 vcc, v32, v32
	v_max_f32_e32 v15, v17, v15
	s_movk_i32 s8, 0x1f8
	v_cndmask_b32_e32 v16, v16, v12, vcc
	v_cndmask_b32_e32 v15, v15, v12, vcc
	v_cndmask_b32_e64 v16, v16, v23, s[16:17]
	v_cndmask_b32_e64 v15, v15, v23, s[16:17]
	v_cmp_neq_f32_e32 vcc, v16, v15
	v_cmp_class_f32_e64 s[6:7], v16, s8
	s_or_b64 s[10:11], vcc, s[6:7]
	v_mov_b32_e32 v21, v14
	s_and_saveexec_b64 s[6:7], s[10:11]
	s_cbranch_execz .LBB416_189
; %bb.188:
	v_sub_f32_e32 v12, v16, v15
	s_mov_b32 s9, 0x3fb8aa3b
	v_mul_f32_e32 v16, 0x3fb8aa3b, v12
	v_fma_f32 v17, v12, s9, -v16
	v_rndne_f32_e32 v19, v16
	v_fmamk_f32 v17, v12, 0x32a5705f, v17
	v_sub_f32_e32 v16, v16, v19
	v_add_f32_e32 v16, v16, v17
	v_exp_f32_e32 v16, v16
	v_cvt_i32_f32_e32 v17, v19
	s_mov_b32 s9, 0xc2ce8ed0
	v_cmp_ngt_f32_e32 vcc, s9, v12
	s_mov_b32 s9, 0x42b17218
	v_ldexp_f32 v16, v16, v17
	v_cndmask_b32_e32 v16, 0, v16, vcc
	v_mov_b32_e32 v19, 0x7f800000
	v_cmp_nlt_f32_e32 vcc, s9, v12
	s_mov_b32 s9, 0x3f2aaaab
	s_mov_b32 s10, 0x7f800000
	v_cndmask_b32_e32 v12, v19, v16, vcc
	v_add_f32_e32 v21, 1.0, v12
	v_add_f32_e32 v16, -1.0, v21
	v_sub_f32_e32 v17, v16, v21
	v_add_f32_e32 v17, 1.0, v17
	v_sub_f32_e32 v16, v12, v16
	v_add_f32_e32 v22, v16, v17
	v_frexp_mant_f32_e32 v23, v21
	v_cvt_f64_f32_e32 v[16:17], v21
	v_frexp_exp_i32_f64_e32 v16, v[16:17]
	v_cmp_gt_f32_e32 vcc, s9, v23
	s_mov_b32 s9, 0x3f317218
	s_nop 0
	v_subbrev_co_u32_e32 v36, vcc, 0, v16, vcc
	v_sub_u32_e32 v16, 0, v36
	v_ldexp_f32 v17, v21, v16
	v_add_f32_e32 v21, -1.0, v17
	v_add_f32_e32 v23, 1.0, v17
	v_ldexp_f32 v16, v22, v16
	v_add_f32_e32 v22, 1.0, v21
	v_add_f32_e32 v32, -1.0, v23
	v_sub_f32_e32 v22, v17, v22
	v_sub_f32_e32 v17, v17, v32
	v_add_f32_e32 v22, v16, v22
	v_add_f32_e32 v16, v16, v17
	;; [unrolled: 1-line block ×3, first 2 shown]
	v_rcp_f32_e32 v39, v37
	v_sub_f32_e32 v17, v23, v37
	v_add_f32_e32 v38, v16, v17
	v_add_f32_e32 v17, v21, v22
	v_sub_f32_e32 v16, v21, v17
	v_mul_f32_e32 v40, v17, v39
	v_add_f32_e32 v21, v22, v16
	v_mul_f32_e32 v22, v37, v40
	v_fma_f32 v32, v40, v37, -v22
	v_fmac_f32_e32 v32, v40, v38
	v_add_f32_e32 v16, v22, v32
	v_sub_f32_e32 v23, v17, v16
	v_pk_add_f32 v[34:35], v[16:17], v[22:23] neg_lo:[0,1] neg_hi:[0,1]
	v_mov_b32_e32 v33, v16
	v_pk_add_f32 v[16:17], v[34:35], v[32:33] neg_lo:[0,1] neg_hi:[0,1]
	v_cmp_neq_f32_e32 vcc, s10, v12
	v_add_f32_e32 v17, v21, v17
	v_add_f32_e32 v16, v16, v17
	;; [unrolled: 1-line block ×3, first 2 shown]
	v_mul_f32_e32 v21, v39, v17
	v_mul_f32_e32 v22, v37, v21
	v_fma_f32 v32, v21, v37, -v22
	v_fmac_f32_e32 v32, v21, v38
	v_sub_f32_e32 v23, v23, v17
	v_add_f32_e32 v37, v16, v23
	v_add_f32_e32 v16, v22, v32
	v_sub_f32_e32 v23, v17, v16
	v_pk_add_f32 v[34:35], v[16:17], v[22:23] neg_lo:[0,1] neg_hi:[0,1]
	v_mov_b32_e32 v33, v16
	v_pk_add_f32 v[16:17], v[34:35], v[32:33] neg_lo:[0,1] neg_hi:[0,1]
	v_cvt_f32_i32_e32 v22, v36
	v_add_f32_e32 v17, v37, v17
	v_add_f32_e32 v16, v16, v17
	;; [unrolled: 1-line block ×4, first 2 shown]
	v_sub_f32_e32 v17, v23, v40
	v_mul_f32_e32 v16, v39, v16
	v_sub_f32_e32 v17, v21, v17
	v_add_f32_e32 v16, v17, v16
	v_add_f32_e32 v21, v23, v16
	v_mul_f32_e32 v32, v21, v21
	v_mov_b32_e32 v17, 0x3ecc95a3
	v_sub_f32_e32 v23, v21, v23
	v_fmac_f32_e32 v17, 0x3e9b6dac, v32
	v_sub_f32_e32 v16, v16, v23
	v_fmaak_f32 v17, v32, v17, 0x3f2aaada
	v_ldexp_f32 v34, v16, 1
	v_mul_f32_e32 v23, v21, v32
	v_mov_b32_e32 v16, 0x3f317218
	v_pk_mul_f32 v[16:17], v[22:23], v[16:17]
	v_ldexp_f32 v33, v21, 1
	v_fma_f32 v21, v22, s9, -v16
	v_fmamk_f32 v32, v22, 0xb102e308, v21
	v_pk_add_f32 v[22:23], v[16:17], v[32:33]
	s_mov_b32 s9, 0x33800000
	v_sub_f32_e32 v21, v23, v33
	v_sub_f32_e32 v21, v17, v21
	v_add_f32_e32 v35, v34, v21
	v_mov_b32_e32 v34, v16
	v_pk_add_f32 v[16:17], v[22:23], v[16:17] neg_lo:[0,1] neg_hi:[0,1]
	v_pk_add_f32 v[36:37], v[22:23], v[34:35]
	v_mov_b32_e32 v33, v22
	v_mov_b32_e32 v17, v37
	v_pk_add_f32 v[38:39], v[32:33], v[16:17] neg_lo:[0,1] neg_hi:[0,1]
	v_pk_add_f32 v[16:17], v[32:33], v[16:17]
	v_mov_b32_e32 v34, v35
	v_pk_add_f32 v[32:33], v[16:17], v[22:23] op_sel:[1,0] op_sel_hi:[0,1] neg_lo:[0,1] neg_hi:[0,1]
	v_pk_add_f32 v[40:41], v[36:37], v[32:33] op_sel_hi:[1,0] neg_lo:[0,1] neg_hi:[0,1]
	v_mov_b32_e32 v36, v37
	v_mov_b32_e32 v37, v17
	v_pk_mov_b32 v[32:33], v[22:23], v[32:33] op_sel:[1,0]
	v_mov_b32_e32 v35, v22
	v_pk_add_f32 v[32:33], v[36:37], v[32:33] neg_lo:[0,1] neg_hi:[0,1]
	v_mov_b32_e32 v40, v38
	v_pk_add_f32 v[22:23], v[34:35], v[32:33] neg_lo:[0,1] neg_hi:[0,1]
	v_mov_b32_e32 v39, v17
	v_pk_add_f32 v[32:33], v[40:41], v[22:23]
	s_nop 0
	v_pk_add_f32 v[34:35], v[32:33], v[32:33] op_sel:[0,1] op_sel_hi:[1,0]
	s_nop 0
	v_pk_add_f32 v[16:17], v[16:17], v[34:35] op_sel:[1,0] op_sel_hi:[0,1]
	v_mov_b32_e32 v33, v16
	v_pk_add_f32 v[36:37], v[32:33], v[38:39] neg_lo:[0,1] neg_hi:[0,1]
	v_mov_b32_e32 v23, v34
	v_sub_f32_e32 v17, v32, v36
	v_pk_add_f32 v[22:23], v[22:23], v[36:37] neg_lo:[0,1] neg_hi:[0,1]
	v_sub_f32_e32 v17, v38, v17
	v_add_f32_e32 v17, v22, v17
	v_add_f32_e32 v17, v17, v23
	;; [unrolled: 1-line block ×3, first 2 shown]
	v_cndmask_b32_e32 v16, v19, v16, vcc
	v_cmp_lt_f32_e64 vcc, |v12|, s9
	s_nop 1
	v_cndmask_b32_e32 v12, v16, v12, vcc
	v_add_f32_e32 v12, v15, v12
	v_cvt_f16_f32_e32 v32, v12
	v_cvt_f32_f16_e32 v12, v32
	v_mov_b32_e32 v21, v32
.LBB416_189:
	s_or_b64 exec, exec, s[6:7]
	v_max_f32_e32 v15, v24, v24
	v_max_f32_e32 v16, v12, v12
	v_min_f32_e32 v17, v16, v15
	v_cmp_u_f16_e32 vcc, v32, v32
	v_max_f32_e32 v15, v16, v15
	s_nop 0
	v_cndmask_b32_e32 v17, v17, v12, vcc
	v_cndmask_b32_e32 v15, v15, v12, vcc
	v_cndmask_b32_e64 v17, v17, v24, s[18:19]
	v_cndmask_b32_e64 v16, v15, v24, s[18:19]
	v_cmp_neq_f32_e32 vcc, v17, v16
	v_cmp_class_f32_e64 s[6:7], v17, s8
	s_or_b64 s[8:9], vcc, s[6:7]
	v_mov_b32_e32 v15, v21
	s_and_saveexec_b64 s[6:7], s[8:9]
	s_cbranch_execz .LBB416_191
; %bb.190:
	v_sub_f32_e32 v12, v17, v16
	s_mov_b32 s8, 0x3fb8aa3b
	v_mul_f32_e32 v15, 0x3fb8aa3b, v12
	v_fma_f32 v17, v12, s8, -v15
	v_rndne_f32_e32 v19, v15
	v_fmamk_f32 v17, v12, 0x32a5705f, v17
	v_sub_f32_e32 v15, v15, v19
	v_add_f32_e32 v15, v15, v17
	v_exp_f32_e32 v15, v15
	v_cvt_i32_f32_e32 v17, v19
	s_mov_b32 s8, 0xc2ce8ed0
	v_cmp_ngt_f32_e32 vcc, s8, v12
	s_mov_b32 s8, 0x42b17218
	v_ldexp_f32 v15, v15, v17
	v_cndmask_b32_e32 v15, 0, v15, vcc
	v_mov_b32_e32 v17, 0x7f800000
	v_cmp_nlt_f32_e32 vcc, s8, v12
	s_mov_b32 s8, 0x3f2aaaab
	s_mov_b32 s9, 0x7f800000
	v_cndmask_b32_e32 v12, v17, v15, vcc
	v_add_f32_e32 v15, 1.0, v12
	v_add_f32_e32 v19, -1.0, v15
	v_sub_f32_e32 v22, v19, v15
	v_add_f32_e32 v22, 1.0, v22
	v_sub_f32_e32 v19, v12, v19
	v_add_f32_e32 v19, v19, v22
	v_frexp_mant_f32_e32 v24, v15
	v_cvt_f64_f32_e32 v[22:23], v15
	v_frexp_exp_i32_f64_e32 v22, v[22:23]
	v_cmp_gt_f32_e32 vcc, s8, v24
	s_mov_b32 s8, 0x3f317218
	s_nop 0
	v_subbrev_co_u32_e32 v24, vcc, 0, v22, vcc
	v_sub_u32_e32 v22, 0, v24
	v_ldexp_f32 v15, v15, v22
	v_ldexp_f32 v19, v19, v22
	v_add_f32_e32 v22, -1.0, v15
	v_add_f32_e32 v23, 1.0, v22
	v_sub_f32_e32 v23, v15, v23
	v_add_f32_e32 v32, v19, v23
	v_add_f32_e32 v23, 1.0, v15
	v_add_f32_e32 v33, -1.0, v23
	v_sub_f32_e32 v15, v15, v33
	v_add_f32_e32 v15, v19, v15
	v_add_f32_e32 v19, v23, v15
	v_rcp_f32_e32 v38, v19
	v_sub_f32_e32 v23, v23, v19
	v_add_f32_e32 v15, v15, v23
	v_add_f32_e32 v23, v22, v32
	v_sub_f32_e32 v22, v22, v23
	v_mul_f32_e32 v40, v23, v38
	v_add_f32_e32 v39, v32, v22
	v_mul_f32_e32 v32, v19, v40
	v_fma_f32 v34, v40, v19, -v32
	v_fmac_f32_e32 v34, v40, v15
	v_add_f32_e32 v22, v32, v34
	v_sub_f32_e32 v33, v23, v22
	v_pk_add_f32 v[36:37], v[22:23], v[32:33] neg_lo:[0,1] neg_hi:[0,1]
	v_mov_b32_e32 v35, v22
	v_pk_add_f32 v[22:23], v[36:37], v[34:35] neg_lo:[0,1] neg_hi:[0,1]
	v_cmp_neq_f32_e32 vcc, s9, v12
	v_add_f32_e32 v23, v39, v23
	v_add_f32_e32 v22, v22, v23
	;; [unrolled: 1-line block ×3, first 2 shown]
	v_mul_f32_e32 v39, v38, v23
	v_mul_f32_e32 v32, v19, v39
	v_fma_f32 v34, v39, v19, -v32
	v_fmac_f32_e32 v34, v39, v15
	v_sub_f32_e32 v15, v33, v23
	v_add_f32_e32 v15, v22, v15
	v_add_f32_e32 v22, v32, v34
	v_sub_f32_e32 v33, v23, v22
	v_pk_add_f32 v[36:37], v[22:23], v[32:33] neg_lo:[0,1] neg_hi:[0,1]
	v_mov_b32_e32 v35, v22
	v_pk_add_f32 v[22:23], v[36:37], v[34:35] neg_lo:[0,1] neg_hi:[0,1]
	v_add_f32_e32 v19, v40, v39
	v_add_f32_e32 v15, v15, v23
	;; [unrolled: 1-line block ×4, first 2 shown]
	v_sub_f32_e32 v22, v19, v40
	v_mul_f32_e32 v15, v38, v15
	v_sub_f32_e32 v22, v39, v22
	v_add_f32_e32 v15, v22, v15
	v_add_f32_e32 v22, v19, v15
	v_cvt_f32_i32_e32 v32, v24
	v_mul_f32_e32 v33, v22, v22
	v_mov_b32_e32 v23, 0x3ecc95a3
	v_fmac_f32_e32 v23, 0x3e9b6dac, v33
	v_fmaak_f32 v23, v33, v23, 0x3f2aaada
	v_sub_f32_e32 v19, v22, v19
	v_ldexp_f32 v35, v22, 1
	v_mul_f32_e32 v33, v22, v33
	v_mov_b32_e32 v22, 0x3f317218
	v_pk_mul_f32 v[22:23], v[32:33], v[22:23]
	v_sub_f32_e32 v15, v15, v19
	v_fma_f32 v19, v32, s8, -v22
	v_fmamk_f32 v34, v32, 0xb102e308, v19
	v_pk_add_f32 v[32:33], v[22:23], v[34:35]
	v_ldexp_f32 v15, v15, 1
	v_sub_f32_e32 v19, v33, v35
	v_sub_f32_e32 v19, v23, v19
	v_add_f32_e32 v37, v15, v19
	v_mov_b32_e32 v36, v22
	v_pk_add_f32 v[22:23], v[32:33], v[22:23] neg_lo:[0,1] neg_hi:[0,1]
	v_pk_add_f32 v[38:39], v[32:33], v[36:37]
	v_mov_b32_e32 v35, v32
	v_mov_b32_e32 v23, v39
	v_pk_add_f32 v[40:41], v[34:35], v[22:23] neg_lo:[0,1] neg_hi:[0,1]
	v_pk_add_f32 v[22:23], v[34:35], v[22:23]
	v_mov_b32_e32 v36, v37
	v_pk_add_f32 v[34:35], v[22:23], v[32:33] op_sel:[1,0] op_sel_hi:[0,1] neg_lo:[0,1] neg_hi:[0,1]
	v_pk_add_f32 v[42:43], v[38:39], v[34:35] op_sel_hi:[1,0] neg_lo:[0,1] neg_hi:[0,1]
	v_mov_b32_e32 v38, v39
	v_mov_b32_e32 v39, v23
	v_pk_mov_b32 v[34:35], v[32:33], v[34:35] op_sel:[1,0]
	v_mov_b32_e32 v37, v32
	v_pk_add_f32 v[34:35], v[38:39], v[34:35] neg_lo:[0,1] neg_hi:[0,1]
	v_mov_b32_e32 v42, v40
	v_pk_add_f32 v[32:33], v[36:37], v[34:35] neg_lo:[0,1] neg_hi:[0,1]
	v_mov_b32_e32 v41, v23
	v_pk_add_f32 v[34:35], v[42:43], v[32:33]
	s_mov_b32 s8, 0x33800000
	v_pk_add_f32 v[36:37], v[34:35], v[34:35] op_sel:[0,1] op_sel_hi:[1,0]
	s_nop 0
	v_pk_add_f32 v[22:23], v[22:23], v[36:37] op_sel:[1,0] op_sel_hi:[0,1]
	v_mov_b32_e32 v35, v22
	v_pk_add_f32 v[38:39], v[34:35], v[40:41] neg_lo:[0,1] neg_hi:[0,1]
	v_mov_b32_e32 v33, v36
	v_sub_f32_e32 v15, v34, v38
	v_pk_add_f32 v[32:33], v[32:33], v[38:39] neg_lo:[0,1] neg_hi:[0,1]
	v_sub_f32_e32 v15, v40, v15
	v_add_f32_e32 v15, v32, v15
	v_add_f32_e32 v15, v15, v33
	;; [unrolled: 1-line block ×3, first 2 shown]
	v_cndmask_b32_e32 v15, v17, v15, vcc
	v_cmp_lt_f32_e64 vcc, |v12|, s8
	s_nop 1
	v_cndmask_b32_e32 v12, v15, v12, vcc
	v_add_f32_e32 v12, v16, v12
	v_cvt_f16_f32_e32 v32, v12
	v_cvt_f32_f16_e32 v12, v32
	v_mov_b32_e32 v15, v32
.LBB416_191:
	s_or_b64 exec, exec, s[6:7]
	v_max_f32_e32 v16, v25, v25
	v_max_f32_e32 v19, v12, v12
	v_min_f32_e32 v17, v19, v16
	v_cmp_u_f16_e32 vcc, v32, v32
	v_max_f32_e32 v16, v19, v16
	s_movk_i32 s8, 0x1f8
	v_cndmask_b32_e32 v17, v17, v12, vcc
	v_cndmask_b32_e32 v16, v16, v12, vcc
	v_cndmask_b32_e64 v17, v17, v25, s[20:21]
	v_cndmask_b32_e64 v16, v16, v25, s[20:21]
	v_cmp_neq_f32_e32 vcc, v17, v16
	v_cmp_class_f32_e64 s[6:7], v17, s8
	s_or_b64 s[10:11], vcc, s[6:7]
	v_mov_b32_e32 v22, v15
	s_and_saveexec_b64 s[6:7], s[10:11]
	s_cbranch_execz .LBB416_193
; %bb.192:
	v_sub_f32_e32 v12, v17, v16
	s_mov_b32 s9, 0x3fb8aa3b
	v_mul_f32_e32 v17, 0x3fb8aa3b, v12
	v_fma_f32 v19, v12, s9, -v17
	v_rndne_f32_e32 v22, v17
	v_fmamk_f32 v19, v12, 0x32a5705f, v19
	v_sub_f32_e32 v17, v17, v22
	v_add_f32_e32 v17, v17, v19
	v_exp_f32_e32 v17, v17
	v_cvt_i32_f32_e32 v19, v22
	s_mov_b32 s9, 0xc2ce8ed0
	v_cmp_ngt_f32_e32 vcc, s9, v12
	s_mov_b32 s9, 0x42b17218
	v_ldexp_f32 v17, v17, v19
	v_cndmask_b32_e32 v17, 0, v17, vcc
	v_mov_b32_e32 v19, 0x7f800000
	v_cmp_nlt_f32_e32 vcc, s9, v12
	s_mov_b32 s9, 0x3f2aaaab
	s_mov_b32 s10, 0x7f800000
	v_cndmask_b32_e32 v12, v19, v17, vcc
	v_add_f32_e32 v17, 1.0, v12
	v_add_f32_e32 v22, -1.0, v17
	v_sub_f32_e32 v23, v22, v17
	v_add_f32_e32 v23, 1.0, v23
	v_sub_f32_e32 v22, v12, v22
	v_add_f32_e32 v24, v22, v23
	v_frexp_mant_f32_e32 v25, v17
	v_cvt_f64_f32_e32 v[22:23], v17
	v_frexp_exp_i32_f64_e32 v22, v[22:23]
	v_cmp_gt_f32_e32 vcc, s9, v25
	s_mov_b32 s9, 0x3f317218
	s_nop 0
	v_subbrev_co_u32_e32 v36, vcc, 0, v22, vcc
	v_sub_u32_e32 v22, 0, v36
	v_ldexp_f32 v17, v17, v22
	v_ldexp_f32 v22, v24, v22
	v_add_f32_e32 v24, -1.0, v17
	v_add_f32_e32 v23, 1.0, v24
	v_sub_f32_e32 v23, v17, v23
	v_add_f32_e32 v25, v22, v23
	v_add_f32_e32 v23, 1.0, v17
	v_add_f32_e32 v32, -1.0, v23
	v_sub_f32_e32 v17, v17, v32
	v_add_f32_e32 v17, v22, v17
	v_add_f32_e32 v37, v23, v17
	v_rcp_f32_e32 v38, v37
	v_sub_f32_e32 v22, v23, v37
	v_add_f32_e32 v23, v24, v25
	v_add_f32_e32 v17, v17, v22
	v_mul_f32_e32 v40, v23, v38
	v_sub_f32_e32 v22, v24, v23
	v_mul_f32_e32 v24, v37, v40
	v_fma_f32 v32, v40, v37, -v24
	v_fmac_f32_e32 v32, v40, v17
	v_add_f32_e32 v39, v25, v22
	v_add_f32_e32 v22, v24, v32
	v_sub_f32_e32 v25, v23, v22
	v_pk_add_f32 v[34:35], v[22:23], v[24:25] neg_lo:[0,1] neg_hi:[0,1]
	v_mov_b32_e32 v33, v22
	v_pk_add_f32 v[22:23], v[34:35], v[32:33] neg_lo:[0,1] neg_hi:[0,1]
	v_cmp_neq_f32_e32 vcc, s10, v12
	v_add_f32_e32 v23, v39, v23
	v_add_f32_e32 v22, v22, v23
	;; [unrolled: 1-line block ×3, first 2 shown]
	v_mul_f32_e32 v39, v38, v23
	v_mul_f32_e32 v24, v37, v39
	v_fma_f32 v32, v39, v37, -v24
	v_fmac_f32_e32 v32, v39, v17
	v_sub_f32_e32 v17, v25, v23
	v_add_f32_e32 v17, v22, v17
	v_add_f32_e32 v22, v24, v32
	v_sub_f32_e32 v25, v23, v22
	v_pk_add_f32 v[34:35], v[22:23], v[24:25] neg_lo:[0,1] neg_hi:[0,1]
	v_mov_b32_e32 v33, v22
	v_pk_add_f32 v[22:23], v[34:35], v[32:33] neg_lo:[0,1] neg_hi:[0,1]
	v_cvt_f32_i32_e32 v24, v36
	v_add_f32_e32 v17, v17, v23
	v_add_f32_e32 v17, v22, v17
	;; [unrolled: 1-line block ×4, first 2 shown]
	v_sub_f32_e32 v23, v22, v40
	v_mul_f32_e32 v17, v38, v17
	v_sub_f32_e32 v23, v39, v23
	v_add_f32_e32 v17, v23, v17
	v_add_f32_e32 v25, v22, v17
	v_mul_f32_e32 v32, v25, v25
	v_mov_b32_e32 v23, 0x3ecc95a3
	v_fmac_f32_e32 v23, 0x3e9b6dac, v32
	v_sub_f32_e32 v22, v25, v22
	v_fmaak_f32 v23, v32, v23, 0x3f2aaada
	v_sub_f32_e32 v17, v17, v22
	v_ldexp_f32 v33, v25, 1
	v_mul_f32_e32 v25, v25, v32
	v_mov_b32_e32 v22, 0x3f317218
	v_pk_mul_f32 v[22:23], v[24:25], v[22:23]
	v_ldexp_f32 v17, v17, 1
	v_fma_f32 v25, v24, s9, -v22
	v_fmamk_f32 v32, v24, 0xb102e308, v25
	v_pk_add_f32 v[24:25], v[22:23], v[32:33]
	v_mov_b32_e32 v34, v22
	v_sub_f32_e32 v33, v25, v33
	v_sub_f32_e32 v33, v23, v33
	v_add_f32_e32 v35, v17, v33
	v_pk_add_f32 v[22:23], v[24:25], v[22:23] neg_lo:[0,1] neg_hi:[0,1]
	v_pk_add_f32 v[36:37], v[24:25], v[34:35]
	v_mov_b32_e32 v33, v24
	v_mov_b32_e32 v23, v37
	v_pk_add_f32 v[38:39], v[32:33], v[22:23] neg_lo:[0,1] neg_hi:[0,1]
	v_pk_add_f32 v[22:23], v[32:33], v[22:23]
	v_mov_b32_e32 v34, v35
	v_pk_add_f32 v[32:33], v[22:23], v[24:25] op_sel:[1,0] op_sel_hi:[0,1] neg_lo:[0,1] neg_hi:[0,1]
	v_pk_add_f32 v[40:41], v[36:37], v[32:33] op_sel_hi:[1,0] neg_lo:[0,1] neg_hi:[0,1]
	v_mov_b32_e32 v36, v37
	v_mov_b32_e32 v37, v23
	v_pk_mov_b32 v[32:33], v[24:25], v[32:33] op_sel:[1,0]
	v_mov_b32_e32 v35, v24
	v_pk_add_f32 v[32:33], v[36:37], v[32:33] neg_lo:[0,1] neg_hi:[0,1]
	v_mov_b32_e32 v40, v38
	v_pk_add_f32 v[24:25], v[34:35], v[32:33] neg_lo:[0,1] neg_hi:[0,1]
	v_mov_b32_e32 v39, v23
	v_pk_add_f32 v[32:33], v[40:41], v[24:25]
	s_mov_b32 s9, 0x33800000
	v_pk_add_f32 v[34:35], v[32:33], v[32:33] op_sel:[0,1] op_sel_hi:[1,0]
	s_nop 0
	v_pk_add_f32 v[22:23], v[22:23], v[34:35] op_sel:[1,0] op_sel_hi:[0,1]
	v_mov_b32_e32 v33, v22
	v_pk_add_f32 v[36:37], v[32:33], v[38:39] neg_lo:[0,1] neg_hi:[0,1]
	v_mov_b32_e32 v25, v34
	v_sub_f32_e32 v17, v32, v36
	v_pk_add_f32 v[24:25], v[24:25], v[36:37] neg_lo:[0,1] neg_hi:[0,1]
	v_sub_f32_e32 v17, v38, v17
	v_add_f32_e32 v17, v24, v17
	v_add_f32_e32 v17, v17, v25
	;; [unrolled: 1-line block ×3, first 2 shown]
	v_cndmask_b32_e32 v17, v19, v17, vcc
	v_cmp_lt_f32_e64 vcc, |v12|, s9
	s_nop 1
	v_cndmask_b32_e32 v12, v17, v12, vcc
	v_add_f32_e32 v12, v16, v12
	v_cvt_f16_f32_e32 v32, v12
	v_cvt_f32_f16_e32 v12, v32
	v_mov_b32_e32 v22, v32
.LBB416_193:
	s_or_b64 exec, exec, s[6:7]
	v_max_f32_e32 v16, v26, v26
	v_max_f32_e32 v17, v12, v12
	v_min_f32_e32 v19, v17, v16
	v_cmp_u_f16_e32 vcc, v32, v32
	v_max_f32_e32 v16, v17, v16
	s_nop 0
	v_cndmask_b32_e32 v19, v19, v12, vcc
	v_cndmask_b32_e32 v16, v16, v12, vcc
	v_cndmask_b32_e64 v19, v19, v26, s[22:23]
	v_cndmask_b32_e64 v17, v16, v26, s[22:23]
	v_cmp_neq_f32_e32 vcc, v19, v17
	v_cmp_class_f32_e64 s[6:7], v19, s8
	s_or_b64 s[8:9], vcc, s[6:7]
	v_mov_b32_e32 v16, v22
	s_and_saveexec_b64 s[6:7], s[8:9]
	s_cbranch_execz .LBB416_195
; %bb.194:
	v_sub_f32_e32 v12, v19, v17
	s_mov_b32 s8, 0x3fb8aa3b
	v_mul_f32_e32 v16, 0x3fb8aa3b, v12
	v_fma_f32 v19, v12, s8, -v16
	v_rndne_f32_e32 v23, v16
	v_fmamk_f32 v19, v12, 0x32a5705f, v19
	v_sub_f32_e32 v16, v16, v23
	v_add_f32_e32 v16, v16, v19
	v_exp_f32_e32 v16, v16
	v_cvt_i32_f32_e32 v19, v23
	s_mov_b32 s8, 0xc2ce8ed0
	v_cmp_ngt_f32_e32 vcc, s8, v12
	s_mov_b32 s8, 0x42b17218
	v_ldexp_f32 v16, v16, v19
	v_cndmask_b32_e32 v16, 0, v16, vcc
	v_mov_b32_e32 v19, 0x7f800000
	v_cmp_nlt_f32_e32 vcc, s8, v12
	s_mov_b32 s8, 0x3f2aaaab
	s_mov_b32 s9, 0x7f800000
	v_cndmask_b32_e32 v12, v19, v16, vcc
	v_add_f32_e32 v16, 1.0, v12
	v_add_f32_e32 v23, -1.0, v16
	v_sub_f32_e32 v24, v23, v16
	v_add_f32_e32 v24, 1.0, v24
	v_sub_f32_e32 v23, v12, v23
	v_add_f32_e32 v23, v23, v24
	v_frexp_mant_f32_e32 v26, v16
	v_cvt_f64_f32_e32 v[24:25], v16
	v_frexp_exp_i32_f64_e32 v24, v[24:25]
	v_cmp_gt_f32_e32 vcc, s8, v26
	s_mov_b32 s8, 0x3f317218
	s_nop 0
	v_subbrev_co_u32_e32 v26, vcc, 0, v24, vcc
	v_sub_u32_e32 v24, 0, v26
	v_ldexp_f32 v16, v16, v24
	v_ldexp_f32 v23, v23, v24
	v_add_f32_e32 v24, -1.0, v16
	v_add_f32_e32 v25, 1.0, v24
	v_sub_f32_e32 v25, v16, v25
	v_add_f32_e32 v32, v23, v25
	v_add_f32_e32 v25, 1.0, v16
	v_add_f32_e32 v33, -1.0, v25
	v_sub_f32_e32 v16, v16, v33
	v_add_f32_e32 v16, v23, v16
	v_add_f32_e32 v23, v25, v16
	v_rcp_f32_e32 v38, v23
	v_sub_f32_e32 v25, v25, v23
	v_add_f32_e32 v16, v16, v25
	v_add_f32_e32 v25, v24, v32
	v_sub_f32_e32 v24, v24, v25
	v_mul_f32_e32 v40, v25, v38
	v_add_f32_e32 v39, v32, v24
	v_mul_f32_e32 v32, v23, v40
	v_fma_f32 v34, v40, v23, -v32
	v_fmac_f32_e32 v34, v40, v16
	v_add_f32_e32 v24, v32, v34
	v_sub_f32_e32 v33, v25, v24
	v_pk_add_f32 v[36:37], v[24:25], v[32:33] neg_lo:[0,1] neg_hi:[0,1]
	v_mov_b32_e32 v35, v24
	v_pk_add_f32 v[24:25], v[36:37], v[34:35] neg_lo:[0,1] neg_hi:[0,1]
	v_cmp_neq_f32_e32 vcc, s9, v12
	v_add_f32_e32 v25, v39, v25
	v_add_f32_e32 v24, v24, v25
	;; [unrolled: 1-line block ×3, first 2 shown]
	v_mul_f32_e32 v39, v38, v25
	v_mul_f32_e32 v32, v23, v39
	v_fma_f32 v34, v39, v23, -v32
	v_fmac_f32_e32 v34, v39, v16
	v_sub_f32_e32 v16, v33, v25
	v_add_f32_e32 v16, v24, v16
	v_add_f32_e32 v24, v32, v34
	v_sub_f32_e32 v33, v25, v24
	v_pk_add_f32 v[36:37], v[24:25], v[32:33] neg_lo:[0,1] neg_hi:[0,1]
	v_mov_b32_e32 v35, v24
	v_pk_add_f32 v[24:25], v[36:37], v[34:35] neg_lo:[0,1] neg_hi:[0,1]
	v_add_f32_e32 v23, v40, v39
	v_add_f32_e32 v16, v16, v25
	v_add_f32_e32 v16, v24, v16
	v_add_f32_e32 v16, v33, v16
	v_sub_f32_e32 v24, v23, v40
	v_mul_f32_e32 v16, v38, v16
	v_sub_f32_e32 v24, v39, v24
	v_add_f32_e32 v16, v24, v16
	v_add_f32_e32 v24, v23, v16
	v_cvt_f32_i32_e32 v32, v26
	v_mul_f32_e32 v33, v24, v24
	v_mov_b32_e32 v25, 0x3ecc95a3
	v_fmac_f32_e32 v25, 0x3e9b6dac, v33
	v_fmaak_f32 v25, v33, v25, 0x3f2aaada
	v_sub_f32_e32 v23, v24, v23
	v_ldexp_f32 v35, v24, 1
	v_mul_f32_e32 v33, v24, v33
	v_mov_b32_e32 v24, 0x3f317218
	v_pk_mul_f32 v[24:25], v[32:33], v[24:25]
	v_sub_f32_e32 v16, v16, v23
	v_fma_f32 v23, v32, s8, -v24
	v_fmamk_f32 v34, v32, 0xb102e308, v23
	v_pk_add_f32 v[32:33], v[24:25], v[34:35]
	v_ldexp_f32 v16, v16, 1
	v_sub_f32_e32 v23, v33, v35
	v_sub_f32_e32 v23, v25, v23
	v_add_f32_e32 v37, v16, v23
	v_mov_b32_e32 v36, v24
	v_pk_add_f32 v[24:25], v[32:33], v[24:25] neg_lo:[0,1] neg_hi:[0,1]
	v_pk_add_f32 v[38:39], v[32:33], v[36:37]
	v_mov_b32_e32 v35, v32
	v_mov_b32_e32 v25, v39
	v_pk_add_f32 v[40:41], v[34:35], v[24:25] neg_lo:[0,1] neg_hi:[0,1]
	v_pk_add_f32 v[24:25], v[34:35], v[24:25]
	v_mov_b32_e32 v36, v37
	v_pk_add_f32 v[34:35], v[24:25], v[32:33] op_sel:[1,0] op_sel_hi:[0,1] neg_lo:[0,1] neg_hi:[0,1]
	v_pk_add_f32 v[42:43], v[38:39], v[34:35] op_sel_hi:[1,0] neg_lo:[0,1] neg_hi:[0,1]
	v_mov_b32_e32 v38, v39
	v_mov_b32_e32 v39, v25
	v_pk_mov_b32 v[34:35], v[32:33], v[34:35] op_sel:[1,0]
	v_mov_b32_e32 v37, v32
	v_pk_add_f32 v[34:35], v[38:39], v[34:35] neg_lo:[0,1] neg_hi:[0,1]
	v_mov_b32_e32 v42, v40
	v_pk_add_f32 v[32:33], v[36:37], v[34:35] neg_lo:[0,1] neg_hi:[0,1]
	v_mov_b32_e32 v41, v25
	v_pk_add_f32 v[34:35], v[42:43], v[32:33]
	s_mov_b32 s8, 0x33800000
	v_pk_add_f32 v[36:37], v[34:35], v[34:35] op_sel:[0,1] op_sel_hi:[1,0]
	s_nop 0
	v_pk_add_f32 v[24:25], v[24:25], v[36:37] op_sel:[1,0] op_sel_hi:[0,1]
	v_mov_b32_e32 v35, v24
	v_pk_add_f32 v[38:39], v[34:35], v[40:41] neg_lo:[0,1] neg_hi:[0,1]
	v_mov_b32_e32 v33, v36
	v_sub_f32_e32 v16, v34, v38
	v_pk_add_f32 v[32:33], v[32:33], v[38:39] neg_lo:[0,1] neg_hi:[0,1]
	v_sub_f32_e32 v16, v40, v16
	v_add_f32_e32 v16, v32, v16
	v_add_f32_e32 v16, v16, v33
	;; [unrolled: 1-line block ×3, first 2 shown]
	v_cndmask_b32_e32 v16, v19, v16, vcc
	v_cmp_lt_f32_e64 vcc, |v12|, s8
	s_nop 1
	v_cndmask_b32_e32 v12, v16, v12, vcc
	v_add_f32_e32 v12, v17, v12
	v_cvt_f16_f32_e32 v32, v12
	v_cvt_f32_f16_e32 v12, v32
	v_mov_b32_e32 v16, v32
.LBB416_195:
	s_or_b64 exec, exec, s[6:7]
	v_max_f32_e32 v17, v27, v27
	v_max_f32_e32 v23, v12, v12
	v_min_f32_e32 v19, v23, v17
	v_cmp_u_f16_e32 vcc, v32, v32
	v_max_f32_e32 v17, v23, v17
	s_movk_i32 s8, 0x1f8
	v_cndmask_b32_e32 v19, v19, v12, vcc
	v_cndmask_b32_e32 v17, v17, v12, vcc
	v_cndmask_b32_e64 v19, v19, v27, s[24:25]
	v_cndmask_b32_e64 v17, v17, v27, s[24:25]
	v_cmp_neq_f32_e32 vcc, v19, v17
	v_cmp_class_f32_e64 s[6:7], v19, s8
	s_or_b64 s[10:11], vcc, s[6:7]
	v_mov_b32_e32 v23, v16
	s_and_saveexec_b64 s[6:7], s[10:11]
	s_cbranch_execz .LBB416_197
; %bb.196:
	v_sub_f32_e32 v12, v19, v17
	s_mov_b32 s9, 0x3fb8aa3b
	v_mul_f32_e32 v19, 0x3fb8aa3b, v12
	v_fma_f32 v23, v12, s9, -v19
	v_rndne_f32_e32 v24, v19
	v_fmamk_f32 v23, v12, 0x32a5705f, v23
	v_sub_f32_e32 v19, v19, v24
	v_add_f32_e32 v19, v19, v23
	v_exp_f32_e32 v19, v19
	v_cvt_i32_f32_e32 v23, v24
	s_mov_b32 s9, 0xc2ce8ed0
	v_cmp_ngt_f32_e32 vcc, s9, v12
	s_mov_b32 s9, 0x42b17218
	v_ldexp_f32 v19, v19, v23
	v_cndmask_b32_e32 v19, 0, v19, vcc
	v_mov_b32_e32 v23, 0x7f800000
	v_cmp_nlt_f32_e32 vcc, s9, v12
	s_mov_b32 s9, 0x3f2aaaab
	s_mov_b32 s10, 0x7f800000
	v_cndmask_b32_e32 v12, v23, v19, vcc
	v_add_f32_e32 v19, 1.0, v12
	v_add_f32_e32 v24, -1.0, v19
	v_sub_f32_e32 v25, v24, v19
	v_add_f32_e32 v25, 1.0, v25
	v_sub_f32_e32 v24, v12, v24
	v_add_f32_e32 v26, v24, v25
	v_frexp_mant_f32_e32 v27, v19
	v_cvt_f64_f32_e32 v[24:25], v19
	v_frexp_exp_i32_f64_e32 v24, v[24:25]
	v_cmp_gt_f32_e32 vcc, s9, v27
	s_mov_b32 s9, 0x3f317218
	s_nop 0
	v_subbrev_co_u32_e32 v36, vcc, 0, v24, vcc
	v_sub_u32_e32 v24, 0, v36
	v_ldexp_f32 v19, v19, v24
	v_ldexp_f32 v24, v26, v24
	v_add_f32_e32 v26, -1.0, v19
	v_add_f32_e32 v25, 1.0, v26
	v_sub_f32_e32 v25, v19, v25
	v_add_f32_e32 v27, v24, v25
	v_add_f32_e32 v25, 1.0, v19
	v_add_f32_e32 v32, -1.0, v25
	v_sub_f32_e32 v19, v19, v32
	v_add_f32_e32 v19, v24, v19
	v_add_f32_e32 v37, v25, v19
	v_rcp_f32_e32 v38, v37
	v_sub_f32_e32 v24, v25, v37
	v_add_f32_e32 v25, v26, v27
	v_add_f32_e32 v19, v19, v24
	v_mul_f32_e32 v40, v25, v38
	v_sub_f32_e32 v24, v26, v25
	v_mul_f32_e32 v26, v37, v40
	v_fma_f32 v32, v40, v37, -v26
	v_fmac_f32_e32 v32, v40, v19
	v_add_f32_e32 v39, v27, v24
	v_add_f32_e32 v24, v26, v32
	v_sub_f32_e32 v27, v25, v24
	v_pk_add_f32 v[34:35], v[24:25], v[26:27] neg_lo:[0,1] neg_hi:[0,1]
	v_mov_b32_e32 v33, v24
	v_pk_add_f32 v[24:25], v[34:35], v[32:33] neg_lo:[0,1] neg_hi:[0,1]
	v_cmp_neq_f32_e32 vcc, s10, v12
	v_add_f32_e32 v25, v39, v25
	v_add_f32_e32 v24, v24, v25
	;; [unrolled: 1-line block ×3, first 2 shown]
	v_mul_f32_e32 v39, v38, v25
	v_mul_f32_e32 v26, v37, v39
	v_fma_f32 v32, v39, v37, -v26
	v_fmac_f32_e32 v32, v39, v19
	v_sub_f32_e32 v19, v27, v25
	v_add_f32_e32 v19, v24, v19
	v_add_f32_e32 v24, v26, v32
	v_sub_f32_e32 v27, v25, v24
	v_pk_add_f32 v[34:35], v[24:25], v[26:27] neg_lo:[0,1] neg_hi:[0,1]
	v_mov_b32_e32 v33, v24
	v_pk_add_f32 v[24:25], v[34:35], v[32:33] neg_lo:[0,1] neg_hi:[0,1]
	v_cvt_f32_i32_e32 v26, v36
	v_add_f32_e32 v19, v19, v25
	v_add_f32_e32 v19, v24, v19
	;; [unrolled: 1-line block ×4, first 2 shown]
	v_sub_f32_e32 v25, v24, v40
	v_mul_f32_e32 v19, v38, v19
	v_sub_f32_e32 v25, v39, v25
	v_add_f32_e32 v19, v25, v19
	v_add_f32_e32 v27, v24, v19
	v_mul_f32_e32 v32, v27, v27
	v_mov_b32_e32 v25, 0x3ecc95a3
	v_fmac_f32_e32 v25, 0x3e9b6dac, v32
	v_sub_f32_e32 v24, v27, v24
	v_fmaak_f32 v25, v32, v25, 0x3f2aaada
	v_sub_f32_e32 v19, v19, v24
	v_ldexp_f32 v33, v27, 1
	v_mul_f32_e32 v27, v27, v32
	v_mov_b32_e32 v24, 0x3f317218
	v_pk_mul_f32 v[24:25], v[26:27], v[24:25]
	v_ldexp_f32 v19, v19, 1
	v_fma_f32 v27, v26, s9, -v24
	v_fmamk_f32 v32, v26, 0xb102e308, v27
	v_pk_add_f32 v[26:27], v[24:25], v[32:33]
	v_mov_b32_e32 v34, v24
	v_sub_f32_e32 v33, v27, v33
	v_sub_f32_e32 v33, v25, v33
	v_add_f32_e32 v35, v19, v33
	v_pk_add_f32 v[24:25], v[26:27], v[24:25] neg_lo:[0,1] neg_hi:[0,1]
	v_pk_add_f32 v[36:37], v[26:27], v[34:35]
	v_mov_b32_e32 v33, v26
	v_mov_b32_e32 v25, v37
	v_pk_add_f32 v[38:39], v[32:33], v[24:25] neg_lo:[0,1] neg_hi:[0,1]
	v_pk_add_f32 v[24:25], v[32:33], v[24:25]
	v_mov_b32_e32 v34, v35
	v_pk_add_f32 v[32:33], v[24:25], v[26:27] op_sel:[1,0] op_sel_hi:[0,1] neg_lo:[0,1] neg_hi:[0,1]
	v_pk_add_f32 v[40:41], v[36:37], v[32:33] op_sel_hi:[1,0] neg_lo:[0,1] neg_hi:[0,1]
	v_mov_b32_e32 v36, v37
	v_mov_b32_e32 v37, v25
	v_pk_mov_b32 v[32:33], v[26:27], v[32:33] op_sel:[1,0]
	v_mov_b32_e32 v35, v26
	v_pk_add_f32 v[32:33], v[36:37], v[32:33] neg_lo:[0,1] neg_hi:[0,1]
	v_mov_b32_e32 v40, v38
	v_pk_add_f32 v[26:27], v[34:35], v[32:33] neg_lo:[0,1] neg_hi:[0,1]
	v_mov_b32_e32 v39, v25
	v_pk_add_f32 v[32:33], v[40:41], v[26:27]
	s_mov_b32 s9, 0x33800000
	v_pk_add_f32 v[34:35], v[32:33], v[32:33] op_sel:[0,1] op_sel_hi:[1,0]
	s_nop 0
	v_pk_add_f32 v[24:25], v[24:25], v[34:35] op_sel:[1,0] op_sel_hi:[0,1]
	v_mov_b32_e32 v33, v24
	v_pk_add_f32 v[36:37], v[32:33], v[38:39] neg_lo:[0,1] neg_hi:[0,1]
	v_mov_b32_e32 v27, v34
	v_sub_f32_e32 v19, v32, v36
	v_pk_add_f32 v[26:27], v[26:27], v[36:37] neg_lo:[0,1] neg_hi:[0,1]
	v_sub_f32_e32 v19, v38, v19
	v_add_f32_e32 v19, v26, v19
	v_add_f32_e32 v19, v19, v27
	;; [unrolled: 1-line block ×3, first 2 shown]
	v_cndmask_b32_e32 v19, v23, v19, vcc
	v_cmp_lt_f32_e64 vcc, |v12|, s9
	s_nop 1
	v_cndmask_b32_e32 v12, v19, v12, vcc
	v_add_f32_e32 v12, v17, v12
	v_cvt_f16_f32_e32 v32, v12
	v_cvt_f32_f16_e32 v12, v32
	v_mov_b32_e32 v23, v32
.LBB416_197:
	s_or_b64 exec, exec, s[6:7]
	v_max_f32_e32 v17, v28, v28
	v_max_f32_e32 v19, v12, v12
	v_min_f32_e32 v24, v19, v17
	v_cmp_u_f16_e32 vcc, v32, v32
	v_max_f32_e32 v17, v19, v17
	s_nop 0
	v_cndmask_b32_e32 v24, v24, v12, vcc
	v_cndmask_b32_e32 v17, v17, v12, vcc
	v_cndmask_b32_e64 v24, v24, v28, s[26:27]
	v_cndmask_b32_e64 v19, v17, v28, s[26:27]
	v_cmp_neq_f32_e32 vcc, v24, v19
	v_cmp_class_f32_e64 s[6:7], v24, s8
	s_or_b64 s[8:9], vcc, s[6:7]
	v_mov_b32_e32 v17, v23
	s_and_saveexec_b64 s[6:7], s[8:9]
	s_cbranch_execz .LBB416_199
; %bb.198:
	v_sub_f32_e32 v12, v24, v19
	s_mov_b32 s8, 0x3fb8aa3b
	v_mul_f32_e32 v17, 0x3fb8aa3b, v12
	v_fma_f32 v24, v12, s8, -v17
	v_rndne_f32_e32 v25, v17
	v_fmamk_f32 v24, v12, 0x32a5705f, v24
	v_sub_f32_e32 v17, v17, v25
	v_add_f32_e32 v17, v17, v24
	v_exp_f32_e32 v17, v17
	v_cvt_i32_f32_e32 v24, v25
	s_mov_b32 s8, 0xc2ce8ed0
	v_cmp_ngt_f32_e32 vcc, s8, v12
	s_mov_b32 s8, 0x42b17218
	v_ldexp_f32 v17, v17, v24
	v_cndmask_b32_e32 v17, 0, v17, vcc
	v_mov_b32_e32 v28, 0x7f800000
	v_cmp_nlt_f32_e32 vcc, s8, v12
	s_mov_b32 s8, 0x3f2aaaab
	s_mov_b32 s9, 0x7f800000
	v_cndmask_b32_e32 v12, v28, v17, vcc
	v_add_f32_e32 v17, 1.0, v12
	v_add_f32_e32 v24, -1.0, v17
	v_sub_f32_e32 v25, v24, v17
	v_add_f32_e32 v25, 1.0, v25
	v_sub_f32_e32 v24, v12, v24
	v_add_f32_e32 v26, v24, v25
	v_frexp_mant_f32_e32 v27, v17
	v_cvt_f64_f32_e32 v[24:25], v17
	v_frexp_exp_i32_f64_e32 v24, v[24:25]
	v_cmp_gt_f32_e32 vcc, s8, v27
	s_mov_b32 s8, 0x3f317218
	s_nop 0
	v_subbrev_co_u32_e32 v36, vcc, 0, v24, vcc
	v_sub_u32_e32 v24, 0, v36
	v_ldexp_f32 v17, v17, v24
	v_ldexp_f32 v24, v26, v24
	v_add_f32_e32 v26, -1.0, v17
	v_add_f32_e32 v25, 1.0, v26
	v_sub_f32_e32 v25, v17, v25
	v_add_f32_e32 v27, v24, v25
	v_add_f32_e32 v25, 1.0, v17
	v_add_f32_e32 v32, -1.0, v25
	v_sub_f32_e32 v17, v17, v32
	v_add_f32_e32 v17, v24, v17
	v_add_f32_e32 v37, v25, v17
	v_rcp_f32_e32 v38, v37
	v_sub_f32_e32 v24, v25, v37
	v_add_f32_e32 v25, v26, v27
	v_add_f32_e32 v17, v17, v24
	v_mul_f32_e32 v40, v25, v38
	v_sub_f32_e32 v24, v26, v25
	v_mul_f32_e32 v26, v37, v40
	v_fma_f32 v32, v40, v37, -v26
	v_fmac_f32_e32 v32, v40, v17
	v_add_f32_e32 v39, v27, v24
	v_add_f32_e32 v24, v26, v32
	v_sub_f32_e32 v27, v25, v24
	v_pk_add_f32 v[34:35], v[24:25], v[26:27] neg_lo:[0,1] neg_hi:[0,1]
	v_mov_b32_e32 v33, v24
	v_pk_add_f32 v[24:25], v[34:35], v[32:33] neg_lo:[0,1] neg_hi:[0,1]
	v_cmp_neq_f32_e32 vcc, s9, v12
	v_add_f32_e32 v25, v39, v25
	v_add_f32_e32 v24, v24, v25
	;; [unrolled: 1-line block ×3, first 2 shown]
	v_mul_f32_e32 v39, v38, v25
	v_mul_f32_e32 v26, v37, v39
	v_fma_f32 v32, v39, v37, -v26
	v_fmac_f32_e32 v32, v39, v17
	v_sub_f32_e32 v17, v27, v25
	v_add_f32_e32 v17, v24, v17
	v_add_f32_e32 v24, v26, v32
	v_sub_f32_e32 v27, v25, v24
	v_pk_add_f32 v[34:35], v[24:25], v[26:27] neg_lo:[0,1] neg_hi:[0,1]
	v_mov_b32_e32 v33, v24
	v_pk_add_f32 v[24:25], v[34:35], v[32:33] neg_lo:[0,1] neg_hi:[0,1]
	v_cvt_f32_i32_e32 v26, v36
	v_add_f32_e32 v17, v17, v25
	v_add_f32_e32 v17, v24, v17
	;; [unrolled: 1-line block ×4, first 2 shown]
	v_sub_f32_e32 v25, v24, v40
	v_mul_f32_e32 v17, v38, v17
	v_sub_f32_e32 v25, v39, v25
	v_add_f32_e32 v17, v25, v17
	v_add_f32_e32 v27, v24, v17
	v_mul_f32_e32 v32, v27, v27
	v_mov_b32_e32 v25, 0x3ecc95a3
	v_fmac_f32_e32 v25, 0x3e9b6dac, v32
	v_sub_f32_e32 v24, v27, v24
	v_fmaak_f32 v25, v32, v25, 0x3f2aaada
	v_sub_f32_e32 v17, v17, v24
	v_ldexp_f32 v33, v27, 1
	v_mul_f32_e32 v27, v27, v32
	v_mov_b32_e32 v24, 0x3f317218
	v_pk_mul_f32 v[24:25], v[26:27], v[24:25]
	v_ldexp_f32 v17, v17, 1
	v_fma_f32 v27, v26, s8, -v24
	v_fmamk_f32 v32, v26, 0xb102e308, v27
	v_pk_add_f32 v[26:27], v[24:25], v[32:33]
	v_mov_b32_e32 v34, v24
	v_sub_f32_e32 v33, v27, v33
	v_sub_f32_e32 v33, v25, v33
	v_add_f32_e32 v35, v17, v33
	v_pk_add_f32 v[24:25], v[26:27], v[24:25] neg_lo:[0,1] neg_hi:[0,1]
	v_pk_add_f32 v[36:37], v[26:27], v[34:35]
	v_mov_b32_e32 v33, v26
	v_mov_b32_e32 v25, v37
	v_pk_add_f32 v[38:39], v[32:33], v[24:25] neg_lo:[0,1] neg_hi:[0,1]
	v_pk_add_f32 v[24:25], v[32:33], v[24:25]
	v_mov_b32_e32 v34, v35
	v_pk_add_f32 v[32:33], v[24:25], v[26:27] op_sel:[1,0] op_sel_hi:[0,1] neg_lo:[0,1] neg_hi:[0,1]
	v_pk_add_f32 v[40:41], v[36:37], v[32:33] op_sel_hi:[1,0] neg_lo:[0,1] neg_hi:[0,1]
	v_mov_b32_e32 v36, v37
	v_mov_b32_e32 v37, v25
	v_pk_mov_b32 v[32:33], v[26:27], v[32:33] op_sel:[1,0]
	v_mov_b32_e32 v35, v26
	v_pk_add_f32 v[32:33], v[36:37], v[32:33] neg_lo:[0,1] neg_hi:[0,1]
	v_mov_b32_e32 v40, v38
	v_pk_add_f32 v[26:27], v[34:35], v[32:33] neg_lo:[0,1] neg_hi:[0,1]
	v_mov_b32_e32 v39, v25
	v_pk_add_f32 v[32:33], v[40:41], v[26:27]
	s_mov_b32 s8, 0x33800000
	v_pk_add_f32 v[34:35], v[32:33], v[32:33] op_sel:[0,1] op_sel_hi:[1,0]
	s_nop 0
	v_pk_add_f32 v[24:25], v[24:25], v[34:35] op_sel:[1,0] op_sel_hi:[0,1]
	v_mov_b32_e32 v33, v24
	v_pk_add_f32 v[36:37], v[32:33], v[38:39] neg_lo:[0,1] neg_hi:[0,1]
	v_mov_b32_e32 v27, v34
	v_sub_f32_e32 v17, v32, v36
	v_pk_add_f32 v[26:27], v[26:27], v[36:37] neg_lo:[0,1] neg_hi:[0,1]
	v_sub_f32_e32 v17, v38, v17
	v_add_f32_e32 v17, v26, v17
	v_add_f32_e32 v17, v17, v27
	;; [unrolled: 1-line block ×3, first 2 shown]
	v_cndmask_b32_e32 v17, v28, v17, vcc
	v_cmp_lt_f32_e64 vcc, |v12|, s8
	s_nop 1
	v_cndmask_b32_e32 v12, v17, v12, vcc
	v_add_f32_e32 v12, v19, v12
	v_cvt_f16_f32_e32 v32, v12
	v_cvt_f32_f16_e32 v12, v32
	v_mov_b32_e32 v17, v32
.LBB416_199:
	s_or_b64 exec, exec, s[6:7]
	v_max_f32_e32 v19, v29, v29
	v_max_f32_e32 v24, v12, v12
	v_min_f32_e32 v25, v24, v19
	v_cmp_u_f16_e32 vcc, v32, v32
	v_max_f32_e32 v19, v24, v19
	s_movk_i32 s8, 0x1f8
	v_cndmask_b32_e32 v25, v25, v12, vcc
	v_cndmask_b32_e32 v19, v19, v12, vcc
	v_cndmask_b32_e64 v25, v25, v29, s[28:29]
	v_cndmask_b32_e64 v19, v19, v29, s[28:29]
	v_cmp_neq_f32_e32 vcc, v25, v19
	v_cmp_class_f32_e64 s[6:7], v25, s8
	s_or_b64 s[10:11], vcc, s[6:7]
	v_mov_b32_e32 v24, v17
	s_and_saveexec_b64 s[6:7], s[10:11]
	s_cbranch_execz .LBB416_201
; %bb.200:
	v_sub_f32_e32 v12, v25, v19
	s_mov_b32 s9, 0x3fb8aa3b
	v_mul_f32_e32 v24, 0x3fb8aa3b, v12
	v_fma_f32 v25, v12, s9, -v24
	v_rndne_f32_e32 v26, v24
	v_fmamk_f32 v25, v12, 0x32a5705f, v25
	v_sub_f32_e32 v24, v24, v26
	v_add_f32_e32 v24, v24, v25
	v_exp_f32_e32 v24, v24
	v_cvt_i32_f32_e32 v25, v26
	s_mov_b32 s9, 0xc2ce8ed0
	v_cmp_ngt_f32_e32 vcc, s9, v12
	s_mov_b32 s9, 0x42b17218
	v_ldexp_f32 v24, v24, v25
	v_cndmask_b32_e32 v24, 0, v24, vcc
	v_mov_b32_e32 v40, 0x7f800000
	v_cmp_nlt_f32_e32 vcc, s9, v12
	s_mov_b32 s9, 0x3f2aaaab
	s_mov_b32 s10, 0x7f800000
	v_cndmask_b32_e32 v12, v40, v24, vcc
	v_add_f32_e32 v26, 1.0, v12
	v_add_f32_e32 v24, -1.0, v26
	v_sub_f32_e32 v25, v24, v26
	v_add_f32_e32 v25, 1.0, v25
	v_sub_f32_e32 v24, v12, v24
	v_add_f32_e32 v27, v24, v25
	v_frexp_mant_f32_e32 v28, v26
	v_cvt_f64_f32_e32 v[24:25], v26
	v_frexp_exp_i32_f64_e32 v24, v[24:25]
	v_cmp_gt_f32_e32 vcc, s9, v28
	s_mov_b32 s9, 0x3f317218
	s_nop 0
	v_subbrev_co_u32_e32 v34, vcc, 0, v24, vcc
	v_sub_u32_e32 v24, 0, v34
	v_ldexp_f32 v25, v26, v24
	v_add_f32_e32 v26, -1.0, v25
	v_add_f32_e32 v28, 1.0, v25
	v_ldexp_f32 v24, v27, v24
	v_add_f32_e32 v27, 1.0, v26
	v_add_f32_e32 v29, -1.0, v28
	v_sub_f32_e32 v27, v25, v27
	v_sub_f32_e32 v25, v25, v29
	v_add_f32_e32 v27, v24, v27
	v_add_f32_e32 v24, v24, v25
	;; [unrolled: 1-line block ×3, first 2 shown]
	v_rcp_f32_e32 v37, v35
	v_sub_f32_e32 v25, v28, v35
	v_add_f32_e32 v36, v24, v25
	v_add_f32_e32 v25, v26, v27
	v_mul_f32_e32 v39, v25, v37
	v_sub_f32_e32 v24, v26, v25
	v_mul_f32_e32 v26, v35, v39
	v_fma_f32 v28, v39, v35, -v26
	v_fmac_f32_e32 v28, v39, v36
	v_add_f32_e32 v38, v27, v24
	v_add_f32_e32 v24, v26, v28
	v_sub_f32_e32 v27, v25, v24
	v_pk_add_f32 v[32:33], v[24:25], v[26:27] neg_lo:[0,1] neg_hi:[0,1]
	v_mov_b32_e32 v29, v24
	v_pk_add_f32 v[24:25], v[32:33], v[28:29] neg_lo:[0,1] neg_hi:[0,1]
	v_cmp_neq_f32_e32 vcc, s10, v12
	v_add_f32_e32 v25, v38, v25
	v_add_f32_e32 v24, v24, v25
	;; [unrolled: 1-line block ×3, first 2 shown]
	v_mul_f32_e32 v38, v37, v25
	v_mul_f32_e32 v26, v35, v38
	v_fma_f32 v28, v38, v35, -v26
	v_fmac_f32_e32 v28, v38, v36
	v_sub_f32_e32 v27, v27, v25
	v_add_f32_e32 v35, v24, v27
	v_add_f32_e32 v24, v26, v28
	v_sub_f32_e32 v27, v25, v24
	v_pk_add_f32 v[32:33], v[24:25], v[26:27] neg_lo:[0,1] neg_hi:[0,1]
	v_mov_b32_e32 v29, v24
	v_pk_add_f32 v[24:25], v[32:33], v[28:29] neg_lo:[0,1] neg_hi:[0,1]
	v_cvt_f32_i32_e32 v26, v34
	v_add_f32_e32 v25, v35, v25
	v_add_f32_e32 v24, v24, v25
	;; [unrolled: 1-line block ×4, first 2 shown]
	v_sub_f32_e32 v25, v27, v39
	v_mul_f32_e32 v24, v37, v24
	v_sub_f32_e32 v25, v38, v25
	v_add_f32_e32 v24, v25, v24
	v_add_f32_e32 v28, v27, v24
	v_mul_f32_e32 v32, v28, v28
	v_mov_b32_e32 v25, 0x3ecc95a3
	v_sub_f32_e32 v27, v28, v27
	v_fmac_f32_e32 v25, 0x3e9b6dac, v32
	v_sub_f32_e32 v24, v24, v27
	v_fmaak_f32 v25, v32, v25, 0x3f2aaada
	v_ldexp_f32 v33, v24, 1
	v_mul_f32_e32 v27, v28, v32
	v_mov_b32_e32 v24, 0x3f317218
	v_pk_mul_f32 v[24:25], v[26:27], v[24:25]
	v_ldexp_f32 v29, v28, 1
	v_fma_f32 v27, v26, s9, -v24
	v_fmamk_f32 v28, v26, 0xb102e308, v27
	v_pk_add_f32 v[26:27], v[24:25], v[28:29]
	v_mov_b32_e32 v32, v24
	v_sub_f32_e32 v29, v27, v29
	v_sub_f32_e32 v29, v25, v29
	v_add_f32_e32 v33, v33, v29
	v_pk_add_f32 v[24:25], v[26:27], v[24:25] neg_lo:[0,1] neg_hi:[0,1]
	v_pk_add_f32 v[34:35], v[26:27], v[32:33]
	v_mov_b32_e32 v29, v26
	v_mov_b32_e32 v25, v35
	v_pk_add_f32 v[36:37], v[28:29], v[24:25] neg_lo:[0,1] neg_hi:[0,1]
	v_pk_add_f32 v[24:25], v[28:29], v[24:25]
	v_mov_b32_e32 v32, v33
	v_pk_add_f32 v[28:29], v[24:25], v[26:27] op_sel:[1,0] op_sel_hi:[0,1] neg_lo:[0,1] neg_hi:[0,1]
	v_pk_add_f32 v[38:39], v[34:35], v[28:29] op_sel_hi:[1,0] neg_lo:[0,1] neg_hi:[0,1]
	v_mov_b32_e32 v34, v35
	v_mov_b32_e32 v35, v25
	v_pk_mov_b32 v[28:29], v[26:27], v[28:29] op_sel:[1,0]
	v_mov_b32_e32 v33, v26
	v_pk_add_f32 v[28:29], v[34:35], v[28:29] neg_lo:[0,1] neg_hi:[0,1]
	v_mov_b32_e32 v38, v36
	v_pk_add_f32 v[26:27], v[32:33], v[28:29] neg_lo:[0,1] neg_hi:[0,1]
	v_mov_b32_e32 v37, v25
	v_pk_add_f32 v[28:29], v[38:39], v[26:27]
	s_mov_b32 s9, 0x33800000
	v_pk_add_f32 v[32:33], v[28:29], v[28:29] op_sel:[0,1] op_sel_hi:[1,0]
	s_nop 0
	v_pk_add_f32 v[24:25], v[24:25], v[32:33] op_sel:[1,0] op_sel_hi:[0,1]
	v_mov_b32_e32 v29, v24
	v_pk_add_f32 v[34:35], v[28:29], v[36:37] neg_lo:[0,1] neg_hi:[0,1]
	v_mov_b32_e32 v27, v32
	v_sub_f32_e32 v25, v28, v34
	v_pk_add_f32 v[26:27], v[26:27], v[34:35] neg_lo:[0,1] neg_hi:[0,1]
	v_sub_f32_e32 v25, v36, v25
	v_add_f32_e32 v25, v26, v25
	v_add_f32_e32 v25, v25, v27
	;; [unrolled: 1-line block ×3, first 2 shown]
	v_cndmask_b32_e32 v24, v40, v24, vcc
	v_cmp_lt_f32_e64 vcc, |v12|, s9
	s_nop 1
	v_cndmask_b32_e32 v12, v24, v12, vcc
	v_add_f32_e32 v12, v19, v12
	v_cvt_f16_f32_e32 v32, v12
	v_cvt_f32_f16_e32 v12, v32
	v_mov_b32_e32 v24, v32
.LBB416_201:
	s_or_b64 exec, exec, s[6:7]
	v_max_f32_e32 v19, v30, v30
	v_max_f32_e32 v26, v12, v12
	v_min_f32_e32 v25, v26, v19
	v_cmp_u_f16_e32 vcc, v32, v32
	v_max_f32_e32 v19, v26, v19
	s_nop 0
	v_cndmask_b32_e32 v25, v25, v12, vcc
	v_cndmask_b32_e32 v12, v19, v12, vcc
	v_cndmask_b32_e64 v25, v25, v30, s[30:31]
	v_cndmask_b32_e64 v19, v12, v30, s[30:31]
	v_cmp_neq_f32_e32 vcc, v25, v19
	v_cmp_class_f32_e64 s[6:7], v25, s8
	s_or_b64 s[8:9], vcc, s[6:7]
	v_mov_b32_e32 v12, v24
	s_and_saveexec_b64 s[6:7], s[8:9]
	s_cbranch_execz .LBB416_203
; %bb.202:
	v_sub_f32_e32 v12, v25, v19
	s_mov_b32 s8, 0x3fb8aa3b
	v_mul_f32_e32 v25, 0x3fb8aa3b, v12
	v_fma_f32 v26, v12, s8, -v25
	v_rndne_f32_e32 v27, v25
	v_fmamk_f32 v26, v12, 0x32a5705f, v26
	v_sub_f32_e32 v25, v25, v27
	v_add_f32_e32 v25, v25, v26
	v_exp_f32_e32 v25, v25
	v_cvt_i32_f32_e32 v26, v27
	s_mov_b32 s8, 0xc2ce8ed0
	v_cmp_ngt_f32_e32 vcc, s8, v12
	s_mov_b32 s8, 0x42b17218
	v_ldexp_f32 v25, v25, v26
	v_cndmask_b32_e32 v25, 0, v25, vcc
	v_mov_b32_e32 v30, 0x7f800000
	v_cmp_nlt_f32_e32 vcc, s8, v12
	s_mov_b32 s8, 0x3f2aaaab
	s_mov_b32 s9, 0x7f800000
	v_cndmask_b32_e32 v12, v30, v25, vcc
	v_add_f32_e32 v25, 1.0, v12
	v_add_f32_e32 v26, -1.0, v25
	v_sub_f32_e32 v27, v26, v25
	v_add_f32_e32 v27, 1.0, v27
	v_sub_f32_e32 v26, v12, v26
	v_add_f32_e32 v28, v26, v27
	v_frexp_mant_f32_e32 v29, v25
	v_cvt_f64_f32_e32 v[26:27], v25
	v_frexp_exp_i32_f64_e32 v26, v[26:27]
	v_cmp_gt_f32_e32 vcc, s8, v29
	s_mov_b32 s8, 0x3f317218
	s_nop 0
	v_subbrev_co_u32_e32 v36, vcc, 0, v26, vcc
	v_sub_u32_e32 v26, 0, v36
	v_ldexp_f32 v25, v25, v26
	v_ldexp_f32 v26, v28, v26
	v_add_f32_e32 v28, -1.0, v25
	v_add_f32_e32 v27, 1.0, v28
	v_sub_f32_e32 v27, v25, v27
	v_add_f32_e32 v29, v26, v27
	v_add_f32_e32 v27, 1.0, v25
	v_add_f32_e32 v32, -1.0, v27
	v_sub_f32_e32 v25, v25, v32
	v_add_f32_e32 v25, v26, v25
	v_add_f32_e32 v37, v27, v25
	v_rcp_f32_e32 v38, v37
	v_sub_f32_e32 v26, v27, v37
	v_add_f32_e32 v27, v28, v29
	v_add_f32_e32 v25, v25, v26
	v_mul_f32_e32 v40, v27, v38
	v_sub_f32_e32 v26, v28, v27
	v_mul_f32_e32 v28, v37, v40
	v_fma_f32 v32, v40, v37, -v28
	v_fmac_f32_e32 v32, v40, v25
	v_add_f32_e32 v39, v29, v26
	v_add_f32_e32 v26, v28, v32
	v_sub_f32_e32 v29, v27, v26
	v_pk_add_f32 v[34:35], v[26:27], v[28:29] neg_lo:[0,1] neg_hi:[0,1]
	v_mov_b32_e32 v33, v26
	v_pk_add_f32 v[26:27], v[34:35], v[32:33] neg_lo:[0,1] neg_hi:[0,1]
	v_cmp_neq_f32_e32 vcc, s9, v12
	v_add_f32_e32 v27, v39, v27
	v_add_f32_e32 v26, v26, v27
	;; [unrolled: 1-line block ×3, first 2 shown]
	v_mul_f32_e32 v39, v38, v27
	v_mul_f32_e32 v28, v37, v39
	v_fma_f32 v32, v39, v37, -v28
	v_fmac_f32_e32 v32, v39, v25
	v_sub_f32_e32 v25, v29, v27
	v_add_f32_e32 v25, v26, v25
	v_add_f32_e32 v26, v28, v32
	v_sub_f32_e32 v29, v27, v26
	v_pk_add_f32 v[34:35], v[26:27], v[28:29] neg_lo:[0,1] neg_hi:[0,1]
	v_mov_b32_e32 v33, v26
	v_pk_add_f32 v[26:27], v[34:35], v[32:33] neg_lo:[0,1] neg_hi:[0,1]
	v_cvt_f32_i32_e32 v28, v36
	v_add_f32_e32 v25, v25, v27
	v_add_f32_e32 v25, v26, v25
	;; [unrolled: 1-line block ×4, first 2 shown]
	v_sub_f32_e32 v27, v26, v40
	v_mul_f32_e32 v25, v38, v25
	v_sub_f32_e32 v27, v39, v27
	v_add_f32_e32 v25, v27, v25
	v_add_f32_e32 v29, v26, v25
	v_mul_f32_e32 v32, v29, v29
	v_mov_b32_e32 v27, 0x3ecc95a3
	v_fmac_f32_e32 v27, 0x3e9b6dac, v32
	v_sub_f32_e32 v26, v29, v26
	v_fmaak_f32 v27, v32, v27, 0x3f2aaada
	v_sub_f32_e32 v25, v25, v26
	v_ldexp_f32 v33, v29, 1
	v_mul_f32_e32 v29, v29, v32
	v_mov_b32_e32 v26, 0x3f317218
	v_pk_mul_f32 v[26:27], v[28:29], v[26:27]
	v_ldexp_f32 v25, v25, 1
	v_fma_f32 v29, v28, s8, -v26
	v_fmamk_f32 v32, v28, 0xb102e308, v29
	v_pk_add_f32 v[28:29], v[26:27], v[32:33]
	v_mov_b32_e32 v34, v26
	v_sub_f32_e32 v33, v29, v33
	v_sub_f32_e32 v33, v27, v33
	v_add_f32_e32 v35, v25, v33
	v_pk_add_f32 v[26:27], v[28:29], v[26:27] neg_lo:[0,1] neg_hi:[0,1]
	v_pk_add_f32 v[36:37], v[28:29], v[34:35]
	v_mov_b32_e32 v33, v28
	v_mov_b32_e32 v27, v37
	v_pk_add_f32 v[38:39], v[32:33], v[26:27] neg_lo:[0,1] neg_hi:[0,1]
	v_pk_add_f32 v[26:27], v[32:33], v[26:27]
	v_mov_b32_e32 v34, v35
	v_pk_add_f32 v[32:33], v[26:27], v[28:29] op_sel:[1,0] op_sel_hi:[0,1] neg_lo:[0,1] neg_hi:[0,1]
	v_pk_add_f32 v[40:41], v[36:37], v[32:33] op_sel_hi:[1,0] neg_lo:[0,1] neg_hi:[0,1]
	v_mov_b32_e32 v36, v37
	v_mov_b32_e32 v37, v27
	v_pk_mov_b32 v[32:33], v[28:29], v[32:33] op_sel:[1,0]
	v_mov_b32_e32 v35, v28
	v_pk_add_f32 v[32:33], v[36:37], v[32:33] neg_lo:[0,1] neg_hi:[0,1]
	v_mov_b32_e32 v40, v38
	v_pk_add_f32 v[28:29], v[34:35], v[32:33] neg_lo:[0,1] neg_hi:[0,1]
	v_mov_b32_e32 v39, v27
	v_pk_add_f32 v[32:33], v[40:41], v[28:29]
	s_mov_b32 s8, 0x33800000
	v_pk_add_f32 v[34:35], v[32:33], v[32:33] op_sel:[0,1] op_sel_hi:[1,0]
	s_nop 0
	v_pk_add_f32 v[26:27], v[26:27], v[34:35] op_sel:[1,0] op_sel_hi:[0,1]
	v_mov_b32_e32 v33, v26
	v_pk_add_f32 v[36:37], v[32:33], v[38:39] neg_lo:[0,1] neg_hi:[0,1]
	v_mov_b32_e32 v29, v34
	v_sub_f32_e32 v25, v32, v36
	v_pk_add_f32 v[28:29], v[28:29], v[36:37] neg_lo:[0,1] neg_hi:[0,1]
	v_sub_f32_e32 v25, v38, v25
	v_add_f32_e32 v25, v28, v25
	v_add_f32_e32 v25, v25, v29
	;; [unrolled: 1-line block ×3, first 2 shown]
	v_cndmask_b32_e32 v25, v30, v25, vcc
	v_cmp_lt_f32_e64 vcc, |v12|, s8
	s_nop 1
	v_cndmask_b32_e32 v12, v25, v12, vcc
	v_add_f32_e32 v12, v19, v12
	v_cvt_f16_f32_e32 v12, v12
.LBB416_203:
	s_or_b64 exec, exec, s[6:7]
	s_branch .LBB416_303
.LBB416_204:
	s_cmp_lg_u64 s[44:45], 0
	s_cselect_b64 s[6:7], -1, 0
	s_and_b64 s[6:7], s[4:5], s[6:7]
	v_mov_b32_e32 v10, v8
	s_and_saveexec_b64 s[4:5], s[6:7]
	s_cbranch_execz .LBB416_208
; %bb.205:
	v_mov_b32_e32 v10, 0
	global_load_ushort v10, v10, s[40:41]
	v_cvt_f32_f16_e32 v11, v8
	s_movk_i32 s6, 0x1f8
	s_waitcnt vmcnt(0)
	v_cvt_f32_f16_e32 v12, v10
	v_cmp_u_f16_e32 vcc, v10, v10
	v_min_f32_e32 v13, v12, v11
	v_max_f32_e32 v14, v12, v11
	v_cndmask_b32_e32 v13, v13, v12, vcc
	v_cndmask_b32_e32 v14, v14, v12, vcc
	v_cmp_u_f16_e32 vcc, v8, v8
	s_nop 1
	v_cndmask_b32_e32 v12, v13, v11, vcc
	v_cndmask_b32_e32 v11, v14, v11, vcc
	v_cmp_neq_f32_e32 vcc, v12, v11
	v_cmp_class_f32_e64 s[6:7], v12, s6
	s_or_b64 s[8:9], vcc, s[6:7]
	s_and_saveexec_b64 s[6:7], s[8:9]
	s_cbranch_execz .LBB416_207
; %bb.206:
	v_sub_f32_e32 v10, v12, v11
	s_mov_b32 s8, 0x3fb8aa3b
	v_mul_f32_e32 v12, 0x3fb8aa3b, v10
	v_fma_f32 v13, v10, s8, -v12
	v_rndne_f32_e32 v14, v12
	v_fmamk_f32 v13, v10, 0x32a5705f, v13
	v_sub_f32_e32 v12, v12, v14
	v_add_f32_e32 v12, v12, v13
	v_exp_f32_e32 v12, v12
	v_cvt_i32_f32_e32 v13, v14
	s_mov_b32 s8, 0xc2ce8ed0
	v_cmp_ngt_f32_e32 vcc, s8, v10
	s_mov_b32 s8, 0x42b17218
	v_ldexp_f32 v12, v12, v13
	v_cndmask_b32_e32 v12, 0, v12, vcc
	v_mov_b32_e32 v19, 0x7f800000
	v_cmp_nlt_f32_e32 vcc, s8, v10
	s_mov_b32 s8, 0x3f2aaaab
	s_mov_b32 s9, 0x7f800000
	v_cndmask_b32_e32 v10, v19, v12, vcc
	v_add_f32_e32 v14, 1.0, v10
	v_add_f32_e32 v12, -1.0, v14
	v_sub_f32_e32 v13, v12, v14
	v_add_f32_e32 v13, 1.0, v13
	v_sub_f32_e32 v12, v10, v12
	v_add_f32_e32 v15, v12, v13
	v_frexp_mant_f32_e32 v16, v14
	v_cvt_f64_f32_e32 v[12:13], v14
	v_frexp_exp_i32_f64_e32 v12, v[12:13]
	v_cmp_gt_f32_e32 vcc, s8, v16
	s_mov_b32 s8, 0x3f317218
	s_nop 0
	v_subbrev_co_u32_e32 v22, vcc, 0, v12, vcc
	v_sub_u32_e32 v12, 0, v22
	v_ldexp_f32 v13, v14, v12
	v_add_f32_e32 v14, -1.0, v13
	v_add_f32_e32 v16, 1.0, v13
	v_ldexp_f32 v12, v15, v12
	v_add_f32_e32 v15, 1.0, v14
	v_add_f32_e32 v17, -1.0, v16
	v_sub_f32_e32 v15, v13, v15
	v_sub_f32_e32 v13, v13, v17
	v_add_f32_e32 v15, v12, v15
	v_add_f32_e32 v12, v12, v13
	;; [unrolled: 1-line block ×3, first 2 shown]
	v_rcp_f32_e32 v25, v23
	v_sub_f32_e32 v13, v16, v23
	v_add_f32_e32 v24, v12, v13
	v_add_f32_e32 v13, v14, v15
	v_mul_f32_e32 v27, v13, v25
	v_sub_f32_e32 v12, v14, v13
	v_mul_f32_e32 v14, v23, v27
	v_fma_f32 v16, v27, v23, -v14
	v_fmac_f32_e32 v16, v27, v24
	v_add_f32_e32 v26, v15, v12
	v_add_f32_e32 v12, v14, v16
	v_sub_f32_e32 v15, v13, v12
	v_pk_add_f32 v[20:21], v[12:13], v[14:15] neg_lo:[0,1] neg_hi:[0,1]
	v_mov_b32_e32 v17, v12
	v_pk_add_f32 v[12:13], v[20:21], v[16:17] neg_lo:[0,1] neg_hi:[0,1]
	v_cmp_neq_f32_e32 vcc, s9, v10
	v_add_f32_e32 v13, v26, v13
	v_add_f32_e32 v12, v12, v13
	;; [unrolled: 1-line block ×3, first 2 shown]
	v_mul_f32_e32 v26, v25, v13
	v_mul_f32_e32 v14, v23, v26
	v_fma_f32 v16, v26, v23, -v14
	v_fmac_f32_e32 v16, v26, v24
	v_sub_f32_e32 v15, v15, v13
	v_add_f32_e32 v23, v12, v15
	v_add_f32_e32 v12, v14, v16
	v_sub_f32_e32 v15, v13, v12
	v_pk_add_f32 v[20:21], v[12:13], v[14:15] neg_lo:[0,1] neg_hi:[0,1]
	v_mov_b32_e32 v17, v12
	v_pk_add_f32 v[12:13], v[20:21], v[16:17] neg_lo:[0,1] neg_hi:[0,1]
	v_cvt_f32_i32_e32 v14, v22
	v_add_f32_e32 v13, v23, v13
	v_add_f32_e32 v12, v12, v13
	;; [unrolled: 1-line block ×4, first 2 shown]
	v_sub_f32_e32 v13, v15, v27
	v_mul_f32_e32 v12, v25, v12
	v_sub_f32_e32 v13, v26, v13
	v_add_f32_e32 v12, v13, v12
	v_add_f32_e32 v16, v15, v12
	v_mul_f32_e32 v20, v16, v16
	v_mov_b32_e32 v13, 0x3ecc95a3
	v_sub_f32_e32 v15, v16, v15
	v_fmac_f32_e32 v13, 0x3e9b6dac, v20
	v_sub_f32_e32 v12, v12, v15
	v_fmaak_f32 v13, v20, v13, 0x3f2aaada
	v_ldexp_f32 v21, v12, 1
	v_mul_f32_e32 v15, v16, v20
	v_mov_b32_e32 v12, 0x3f317218
	v_pk_mul_f32 v[12:13], v[14:15], v[12:13]
	v_ldexp_f32 v17, v16, 1
	v_fma_f32 v15, v14, s8, -v12
	v_fmamk_f32 v16, v14, 0xb102e308, v15
	v_pk_add_f32 v[14:15], v[12:13], v[16:17]
	v_mov_b32_e32 v20, v12
	v_sub_f32_e32 v17, v15, v17
	v_sub_f32_e32 v17, v13, v17
	v_add_f32_e32 v21, v21, v17
	v_pk_add_f32 v[12:13], v[14:15], v[12:13] neg_lo:[0,1] neg_hi:[0,1]
	v_pk_add_f32 v[22:23], v[14:15], v[20:21]
	v_mov_b32_e32 v17, v14
	v_mov_b32_e32 v13, v23
	v_pk_add_f32 v[24:25], v[16:17], v[12:13] neg_lo:[0,1] neg_hi:[0,1]
	v_pk_add_f32 v[12:13], v[16:17], v[12:13]
	v_mov_b32_e32 v20, v21
	v_pk_add_f32 v[16:17], v[12:13], v[14:15] op_sel:[1,0] op_sel_hi:[0,1] neg_lo:[0,1] neg_hi:[0,1]
	v_pk_add_f32 v[26:27], v[22:23], v[16:17] op_sel_hi:[1,0] neg_lo:[0,1] neg_hi:[0,1]
	v_mov_b32_e32 v22, v23
	v_mov_b32_e32 v23, v13
	v_pk_mov_b32 v[16:17], v[14:15], v[16:17] op_sel:[1,0]
	v_mov_b32_e32 v21, v14
	v_pk_add_f32 v[16:17], v[22:23], v[16:17] neg_lo:[0,1] neg_hi:[0,1]
	v_mov_b32_e32 v26, v24
	v_pk_add_f32 v[14:15], v[20:21], v[16:17] neg_lo:[0,1] neg_hi:[0,1]
	v_mov_b32_e32 v25, v13
	v_pk_add_f32 v[16:17], v[26:27], v[14:15]
	s_mov_b32 s8, 0x33800000
	v_pk_add_f32 v[20:21], v[16:17], v[16:17] op_sel:[0,1] op_sel_hi:[1,0]
	s_nop 0
	v_pk_add_f32 v[12:13], v[12:13], v[20:21] op_sel:[1,0] op_sel_hi:[0,1]
	v_mov_b32_e32 v17, v12
	v_pk_add_f32 v[22:23], v[16:17], v[24:25] neg_lo:[0,1] neg_hi:[0,1]
	v_mov_b32_e32 v15, v20
	v_sub_f32_e32 v13, v16, v22
	v_pk_add_f32 v[14:15], v[14:15], v[22:23] neg_lo:[0,1] neg_hi:[0,1]
	v_sub_f32_e32 v13, v24, v13
	v_add_f32_e32 v13, v14, v13
	v_add_f32_e32 v13, v13, v15
	;; [unrolled: 1-line block ×3, first 2 shown]
	v_cndmask_b32_e32 v12, v19, v12, vcc
	v_cmp_lt_f32_e64 vcc, |v10|, s8
	s_nop 1
	v_cndmask_b32_e32 v10, v12, v10, vcc
	v_add_f32_e32 v10, v11, v10
	v_cvt_f16_f32_e32 v10, v10
.LBB416_207:
	s_or_b64 exec, exec, s[6:7]
.LBB416_208:
	s_or_b64 exec, exec, s[4:5]
	v_cvt_f32_f16_e32 v12, v10
	v_cmp_u_f16_e64 s[28:29], v10, v10
	v_cmp_u_f16_sdwa vcc, v8, v8 src0_sel:WORD_1 src1_sel:WORD_1
	s_movk_i32 s8, 0x1f8
	v_min_f32_e32 v11, v12, v3
	v_max_f32_e32 v20, v12, v3
	v_cndmask_b32_e64 v13, v11, v12, s[28:29]
	v_cndmask_b32_e64 v8, v20, v12, s[28:29]
	v_cndmask_b32_e32 v13, v13, v3, vcc
	v_cndmask_b32_e32 v8, v8, v3, vcc
	v_cmp_neq_f32_e64 s[4:5], v13, v8
	v_cmp_class_f32_e64 s[6:7], v13, s8
	s_or_b64 s[4:5], s[4:5], s[6:7]
	v_mov_b32_e32 v22, v12
	v_mov_b32_e32 v21, v10
	s_and_saveexec_b64 s[6:7], s[4:5]
	s_cbranch_execz .LBB416_210
; %bb.209:
	v_sub_f32_e32 v13, v13, v8
	s_mov_b32 s4, 0x3fb8aa3b
	v_mul_f32_e32 v14, 0x3fb8aa3b, v13
	v_fma_f32 v15, v13, s4, -v14
	v_rndne_f32_e32 v16, v14
	v_fmamk_f32 v15, v13, 0x32a5705f, v15
	v_sub_f32_e32 v14, v14, v16
	v_add_f32_e32 v14, v14, v15
	v_exp_f32_e32 v14, v14
	v_cvt_i32_f32_e32 v15, v16
	s_mov_b32 s4, 0xc2ce8ed0
	v_cmp_ngt_f32_e64 s[4:5], s4, v13
	v_mov_b32_e32 v19, 0x7f800000
	v_ldexp_f32 v14, v14, v15
	v_cndmask_b32_e64 v14, 0, v14, s[4:5]
	s_mov_b32 s4, 0x42b17218
	v_cmp_nlt_f32_e64 s[4:5], s4, v13
	s_mov_b32 s9, 0x7f800000
	s_nop 0
	v_cndmask_b32_e64 v13, v19, v14, s[4:5]
	v_add_f32_e32 v16, 1.0, v13
	v_add_f32_e32 v14, -1.0, v16
	v_sub_f32_e32 v15, v14, v16
	v_add_f32_e32 v15, 1.0, v15
	v_sub_f32_e32 v14, v13, v14
	v_add_f32_e32 v17, v14, v15
	v_frexp_mant_f32_e32 v21, v16
	s_mov_b32 s4, 0x3f2aaaab
	v_cvt_f64_f32_e32 v[14:15], v16
	v_frexp_exp_i32_f64_e32 v14, v[14:15]
	v_cmp_gt_f32_e64 s[4:5], s4, v21
	s_nop 1
	v_subbrev_co_u32_e64 v21, s[4:5], 0, v14, s[4:5]
	v_sub_u32_e32 v14, 0, v21
	v_ldexp_f32 v15, v16, v14
	v_add_f32_e32 v16, -1.0, v15
	v_add_f32_e32 v22, 1.0, v15
	v_ldexp_f32 v14, v17, v14
	v_add_f32_e32 v17, 1.0, v16
	v_add_f32_e32 v23, -1.0, v22
	v_sub_f32_e32 v17, v15, v17
	v_sub_f32_e32 v15, v15, v23
	v_add_f32_e32 v17, v14, v17
	v_add_f32_e32 v14, v14, v15
	;; [unrolled: 1-line block ×3, first 2 shown]
	v_rcp_f32_e32 v28, v26
	v_sub_f32_e32 v15, v22, v26
	v_add_f32_e32 v27, v14, v15
	v_add_f32_e32 v15, v16, v17
	v_mul_f32_e32 v30, v15, v28
	v_sub_f32_e32 v14, v16, v15
	v_mul_f32_e32 v16, v26, v30
	v_fma_f32 v22, v30, v26, -v16
	v_fmac_f32_e32 v22, v30, v27
	v_add_f32_e32 v29, v17, v14
	v_add_f32_e32 v14, v16, v22
	v_sub_f32_e32 v17, v15, v14
	v_pk_add_f32 v[24:25], v[14:15], v[16:17] neg_lo:[0,1] neg_hi:[0,1]
	v_mov_b32_e32 v23, v14
	v_pk_add_f32 v[14:15], v[24:25], v[22:23] neg_lo:[0,1] neg_hi:[0,1]
	s_mov_b32 s4, 0x3f317218
	v_add_f32_e32 v15, v29, v15
	v_add_f32_e32 v14, v14, v15
	;; [unrolled: 1-line block ×3, first 2 shown]
	v_mul_f32_e32 v29, v28, v15
	v_mul_f32_e32 v16, v26, v29
	v_fma_f32 v22, v29, v26, -v16
	v_fmac_f32_e32 v22, v29, v27
	v_sub_f32_e32 v17, v17, v15
	v_add_f32_e32 v26, v14, v17
	v_add_f32_e32 v14, v16, v22
	v_sub_f32_e32 v17, v15, v14
	v_pk_add_f32 v[24:25], v[14:15], v[16:17] neg_lo:[0,1] neg_hi:[0,1]
	v_mov_b32_e32 v23, v14
	v_pk_add_f32 v[14:15], v[24:25], v[22:23] neg_lo:[0,1] neg_hi:[0,1]
	v_cvt_f32_i32_e32 v16, v21
	v_add_f32_e32 v15, v26, v15
	v_add_f32_e32 v14, v14, v15
	;; [unrolled: 1-line block ×4, first 2 shown]
	v_sub_f32_e32 v15, v17, v30
	v_mul_f32_e32 v14, v28, v14
	v_sub_f32_e32 v15, v29, v15
	v_add_f32_e32 v14, v15, v14
	v_add_f32_e32 v22, v17, v14
	v_mul_f32_e32 v24, v22, v22
	v_mov_b32_e32 v15, 0x3ecc95a3
	v_sub_f32_e32 v17, v22, v17
	v_fmac_f32_e32 v15, 0x3e9b6dac, v24
	v_sub_f32_e32 v14, v14, v17
	v_fmaak_f32 v15, v24, v15, 0x3f2aaada
	v_ldexp_f32 v21, v14, 1
	v_mul_f32_e32 v17, v22, v24
	v_mov_b32_e32 v14, 0x3f317218
	v_pk_mul_f32 v[14:15], v[16:17], v[14:15]
	v_ldexp_f32 v23, v22, 1
	v_fma_f32 v17, v16, s4, -v14
	v_fmamk_f32 v22, v16, 0xb102e308, v17
	v_pk_add_f32 v[16:17], v[14:15], v[22:23]
	v_mov_b32_e32 v24, v14
	v_sub_f32_e32 v23, v17, v23
	v_sub_f32_e32 v23, v15, v23
	v_add_f32_e32 v25, v21, v23
	v_pk_add_f32 v[14:15], v[16:17], v[14:15] neg_lo:[0,1] neg_hi:[0,1]
	v_pk_add_f32 v[26:27], v[16:17], v[24:25]
	v_mov_b32_e32 v23, v16
	v_mov_b32_e32 v15, v27
	v_pk_add_f32 v[28:29], v[22:23], v[14:15] neg_lo:[0,1] neg_hi:[0,1]
	v_pk_add_f32 v[14:15], v[22:23], v[14:15]
	v_mov_b32_e32 v24, v25
	v_pk_add_f32 v[22:23], v[14:15], v[16:17] op_sel:[1,0] op_sel_hi:[0,1] neg_lo:[0,1] neg_hi:[0,1]
	v_pk_add_f32 v[30:31], v[26:27], v[22:23] op_sel_hi:[1,0] neg_lo:[0,1] neg_hi:[0,1]
	v_mov_b32_e32 v26, v27
	v_mov_b32_e32 v27, v15
	v_pk_mov_b32 v[22:23], v[16:17], v[22:23] op_sel:[1,0]
	v_mov_b32_e32 v25, v16
	v_pk_add_f32 v[22:23], v[26:27], v[22:23] neg_lo:[0,1] neg_hi:[0,1]
	v_mov_b32_e32 v30, v28
	v_pk_add_f32 v[16:17], v[24:25], v[22:23] neg_lo:[0,1] neg_hi:[0,1]
	v_mov_b32_e32 v29, v15
	v_pk_add_f32 v[22:23], v[30:31], v[16:17]
	v_cmp_neq_f32_e64 s[4:5], s9, v13
	v_pk_add_f32 v[24:25], v[22:23], v[22:23] op_sel:[0,1] op_sel_hi:[1,0]
	s_nop 0
	v_pk_add_f32 v[14:15], v[14:15], v[24:25] op_sel:[1,0] op_sel_hi:[0,1]
	v_mov_b32_e32 v23, v14
	v_pk_add_f32 v[26:27], v[22:23], v[28:29] neg_lo:[0,1] neg_hi:[0,1]
	v_mov_b32_e32 v17, v24
	v_sub_f32_e32 v15, v22, v26
	v_pk_add_f32 v[16:17], v[16:17], v[26:27] neg_lo:[0,1] neg_hi:[0,1]
	v_sub_f32_e32 v15, v28, v15
	v_add_f32_e32 v15, v16, v15
	v_add_f32_e32 v15, v15, v17
	;; [unrolled: 1-line block ×3, first 2 shown]
	v_cndmask_b32_e64 v14, v19, v14, s[4:5]
	s_mov_b32 s4, 0x33800000
	v_cmp_lt_f32_e64 s[4:5], |v13|, s4
	s_nop 1
	v_cndmask_b32_e64 v13, v14, v13, s[4:5]
	v_add_f32_e32 v8, v8, v13
	v_cvt_f16_f32_e32 v21, v8
	v_cvt_f32_f16_e32 v22, v21
.LBB416_210:
	s_or_b64 exec, exec, s[6:7]
	v_cvt_f32_f16_e32 v8, v9
	v_max_f32_e32 v13, v22, v22
	v_cmp_u_f16_e64 s[6:7], v21, v21
	v_cmp_u_f16_e64 s[4:5], v9, v9
	v_min_f32_e32 v14, v13, v8
	v_max_f32_e32 v13, v13, v8
	v_cndmask_b32_e64 v14, v14, v22, s[6:7]
	v_cndmask_b32_e64 v13, v13, v22, s[6:7]
	v_cndmask_b32_e64 v14, v14, v8, s[4:5]
	v_cndmask_b32_e64 v13, v13, v8, s[4:5]
	v_cmp_neq_f32_e64 s[6:7], v14, v13
	v_cmp_class_f32_e64 s[8:9], v14, s8
	s_or_b64 s[6:7], s[6:7], s[8:9]
	s_and_saveexec_b64 s[8:9], s[6:7]
	s_cbranch_execz .LBB416_212
; %bb.211:
	v_sub_f32_e32 v14, v14, v13
	s_mov_b32 s6, 0x3fb8aa3b
	v_mul_f32_e32 v15, 0x3fb8aa3b, v14
	v_fma_f32 v16, v14, s6, -v15
	v_rndne_f32_e32 v17, v15
	v_fmamk_f32 v16, v14, 0x32a5705f, v16
	v_sub_f32_e32 v15, v15, v17
	v_add_f32_e32 v15, v15, v16
	v_exp_f32_e32 v15, v15
	v_cvt_i32_f32_e32 v16, v17
	s_mov_b32 s6, 0xc2ce8ed0
	v_cmp_ngt_f32_e64 s[6:7], s6, v14
	v_mov_b32_e32 v19, 0x7f800000
	v_ldexp_f32 v15, v15, v16
	v_cndmask_b32_e64 v15, 0, v15, s[6:7]
	s_mov_b32 s6, 0x42b17218
	v_cmp_nlt_f32_e64 s[6:7], s6, v14
	s_mov_b32 s10, 0x7f800000
	s_nop 0
	v_cndmask_b32_e64 v21, v19, v15, s[6:7]
	v_add_f32_e32 v16, 1.0, v21
	v_add_f32_e32 v14, -1.0, v16
	v_sub_f32_e32 v15, v14, v16
	v_add_f32_e32 v15, 1.0, v15
	v_sub_f32_e32 v14, v21, v14
	v_add_f32_e32 v17, v14, v15
	v_frexp_mant_f32_e32 v22, v16
	s_mov_b32 s6, 0x3f2aaaab
	v_cvt_f64_f32_e32 v[14:15], v16
	v_frexp_exp_i32_f64_e32 v14, v[14:15]
	v_cmp_gt_f32_e64 s[6:7], s6, v22
	s_nop 1
	v_subbrev_co_u32_e64 v26, s[6:7], 0, v14, s[6:7]
	v_sub_u32_e32 v14, 0, v26
	v_ldexp_f32 v15, v16, v14
	v_add_f32_e32 v16, -1.0, v15
	v_add_f32_e32 v22, 1.0, v15
	v_ldexp_f32 v14, v17, v14
	v_add_f32_e32 v17, 1.0, v16
	v_add_f32_e32 v23, -1.0, v22
	v_sub_f32_e32 v17, v15, v17
	v_sub_f32_e32 v15, v15, v23
	v_add_f32_e32 v17, v14, v17
	v_add_f32_e32 v14, v14, v15
	;; [unrolled: 1-line block ×3, first 2 shown]
	v_rcp_f32_e32 v29, v27
	v_sub_f32_e32 v15, v22, v27
	v_add_f32_e32 v28, v14, v15
	v_add_f32_e32 v15, v16, v17
	v_mul_f32_e32 v31, v15, v29
	v_sub_f32_e32 v14, v16, v15
	v_mul_f32_e32 v16, v27, v31
	v_fma_f32 v22, v31, v27, -v16
	v_fmac_f32_e32 v22, v31, v28
	v_add_f32_e32 v30, v17, v14
	v_add_f32_e32 v14, v16, v22
	v_sub_f32_e32 v17, v15, v14
	v_pk_add_f32 v[24:25], v[14:15], v[16:17] neg_lo:[0,1] neg_hi:[0,1]
	v_mov_b32_e32 v23, v14
	v_pk_add_f32 v[14:15], v[24:25], v[22:23] neg_lo:[0,1] neg_hi:[0,1]
	s_mov_b32 s6, 0x3f317218
	v_add_f32_e32 v15, v30, v15
	v_add_f32_e32 v14, v14, v15
	;; [unrolled: 1-line block ×3, first 2 shown]
	v_mul_f32_e32 v30, v29, v15
	v_mul_f32_e32 v16, v27, v30
	v_fma_f32 v22, v30, v27, -v16
	v_fmac_f32_e32 v22, v30, v28
	v_sub_f32_e32 v17, v17, v15
	v_add_f32_e32 v27, v14, v17
	v_add_f32_e32 v14, v16, v22
	v_sub_f32_e32 v17, v15, v14
	v_pk_add_f32 v[24:25], v[14:15], v[16:17] neg_lo:[0,1] neg_hi:[0,1]
	v_mov_b32_e32 v23, v14
	v_pk_add_f32 v[14:15], v[24:25], v[22:23] neg_lo:[0,1] neg_hi:[0,1]
	v_cvt_f32_i32_e32 v16, v26
	v_add_f32_e32 v15, v27, v15
	v_add_f32_e32 v14, v14, v15
	;; [unrolled: 1-line block ×4, first 2 shown]
	v_sub_f32_e32 v15, v17, v31
	v_mul_f32_e32 v14, v29, v14
	v_sub_f32_e32 v15, v30, v15
	v_add_f32_e32 v14, v15, v14
	v_add_f32_e32 v22, v17, v14
	v_mul_f32_e32 v24, v22, v22
	v_mov_b32_e32 v15, 0x3ecc95a3
	v_sub_f32_e32 v17, v22, v17
	v_fmac_f32_e32 v15, 0x3e9b6dac, v24
	v_sub_f32_e32 v14, v14, v17
	v_fmaak_f32 v15, v24, v15, 0x3f2aaada
	v_ldexp_f32 v25, v14, 1
	v_mul_f32_e32 v17, v22, v24
	v_mov_b32_e32 v14, 0x3f317218
	v_pk_mul_f32 v[14:15], v[16:17], v[14:15]
	v_ldexp_f32 v23, v22, 1
	v_fma_f32 v17, v16, s6, -v14
	v_fmamk_f32 v22, v16, 0xb102e308, v17
	v_pk_add_f32 v[16:17], v[14:15], v[22:23]
	v_mov_b32_e32 v24, v14
	v_sub_f32_e32 v23, v17, v23
	v_sub_f32_e32 v23, v15, v23
	v_add_f32_e32 v25, v25, v23
	v_pk_add_f32 v[14:15], v[16:17], v[14:15] neg_lo:[0,1] neg_hi:[0,1]
	v_pk_add_f32 v[26:27], v[16:17], v[24:25]
	v_mov_b32_e32 v23, v16
	v_mov_b32_e32 v15, v27
	v_pk_add_f32 v[28:29], v[22:23], v[14:15] neg_lo:[0,1] neg_hi:[0,1]
	v_pk_add_f32 v[14:15], v[22:23], v[14:15]
	v_mov_b32_e32 v24, v25
	v_pk_add_f32 v[22:23], v[14:15], v[16:17] op_sel:[1,0] op_sel_hi:[0,1] neg_lo:[0,1] neg_hi:[0,1]
	v_pk_add_f32 v[30:31], v[26:27], v[22:23] op_sel_hi:[1,0] neg_lo:[0,1] neg_hi:[0,1]
	v_mov_b32_e32 v26, v27
	v_mov_b32_e32 v27, v15
	v_pk_mov_b32 v[22:23], v[16:17], v[22:23] op_sel:[1,0]
	v_mov_b32_e32 v25, v16
	v_pk_add_f32 v[22:23], v[26:27], v[22:23] neg_lo:[0,1] neg_hi:[0,1]
	v_mov_b32_e32 v30, v28
	v_pk_add_f32 v[16:17], v[24:25], v[22:23] neg_lo:[0,1] neg_hi:[0,1]
	v_mov_b32_e32 v29, v15
	v_pk_add_f32 v[22:23], v[30:31], v[16:17]
	v_cmp_neq_f32_e64 s[6:7], s10, v21
	v_pk_add_f32 v[24:25], v[22:23], v[22:23] op_sel:[0,1] op_sel_hi:[1,0]
	s_nop 0
	v_pk_add_f32 v[14:15], v[14:15], v[24:25] op_sel:[1,0] op_sel_hi:[0,1]
	v_mov_b32_e32 v23, v14
	v_pk_add_f32 v[26:27], v[22:23], v[28:29] neg_lo:[0,1] neg_hi:[0,1]
	v_mov_b32_e32 v17, v24
	v_sub_f32_e32 v15, v22, v26
	v_pk_add_f32 v[16:17], v[16:17], v[26:27] neg_lo:[0,1] neg_hi:[0,1]
	v_sub_f32_e32 v15, v28, v15
	v_add_f32_e32 v15, v16, v15
	v_add_f32_e32 v15, v15, v17
	;; [unrolled: 1-line block ×3, first 2 shown]
	v_cndmask_b32_e64 v14, v19, v14, s[6:7]
	s_mov_b32 s6, 0x33800000
	v_cmp_lt_f32_e64 s[6:7], |v21|, s6
	s_nop 1
	v_cndmask_b32_e64 v14, v14, v21, s[6:7]
	v_add_f32_e32 v13, v13, v14
	v_cvt_f16_f32_e32 v21, v13
	v_cvt_f32_f16_e32 v22, v21
.LBB416_212:
	s_or_b64 exec, exec, s[8:9]
	v_cvt_f32_f16_sdwa v13, v9 dst_sel:DWORD dst_unused:UNUSED_PAD src0_sel:WORD_1
	v_max_f32_e32 v15, v22, v22
	v_cmp_u_f16_e64 s[8:9], v21, v21
	v_cmp_u_f16_sdwa s[6:7], v9, v9 src0_sel:WORD_1 src1_sel:WORD_1
	v_min_f32_e32 v14, v15, v13
	v_max_f32_e32 v9, v15, v13
	v_cndmask_b32_e64 v14, v14, v22, s[8:9]
	v_cndmask_b32_e64 v9, v9, v22, s[8:9]
	;; [unrolled: 1-line block ×4, first 2 shown]
	s_movk_i32 s12, 0x1f8
	v_cmp_neq_f32_e64 s[8:9], v14, v9
	v_cmp_class_f32_e64 s[10:11], v14, s12
	s_or_b64 s[8:9], s[8:9], s[10:11]
	s_and_saveexec_b64 s[10:11], s[8:9]
	s_cbranch_execz .LBB416_214
; %bb.213:
	v_sub_f32_e32 v14, v14, v9
	s_mov_b32 s8, 0x3fb8aa3b
	v_mul_f32_e32 v15, 0x3fb8aa3b, v14
	v_fma_f32 v16, v14, s8, -v15
	v_rndne_f32_e32 v17, v15
	v_fmamk_f32 v16, v14, 0x32a5705f, v16
	v_sub_f32_e32 v15, v15, v17
	v_add_f32_e32 v15, v15, v16
	v_exp_f32_e32 v15, v15
	v_cvt_i32_f32_e32 v16, v17
	s_mov_b32 s8, 0xc2ce8ed0
	v_cmp_ngt_f32_e64 s[8:9], s8, v14
	v_mov_b32_e32 v19, 0x7f800000
	v_ldexp_f32 v15, v15, v16
	v_cndmask_b32_e64 v15, 0, v15, s[8:9]
	s_mov_b32 s8, 0x42b17218
	v_cmp_nlt_f32_e64 s[8:9], s8, v14
	s_mov_b32 s13, 0x7f800000
	s_nop 0
	v_cndmask_b32_e64 v21, v19, v15, s[8:9]
	v_add_f32_e32 v16, 1.0, v21
	v_add_f32_e32 v14, -1.0, v16
	v_sub_f32_e32 v15, v14, v16
	v_add_f32_e32 v15, 1.0, v15
	v_sub_f32_e32 v14, v21, v14
	v_add_f32_e32 v17, v14, v15
	v_frexp_mant_f32_e32 v22, v16
	s_mov_b32 s8, 0x3f2aaaab
	v_cvt_f64_f32_e32 v[14:15], v16
	v_frexp_exp_i32_f64_e32 v14, v[14:15]
	v_cmp_gt_f32_e64 s[8:9], s8, v22
	s_nop 1
	v_subbrev_co_u32_e64 v26, s[8:9], 0, v14, s[8:9]
	v_sub_u32_e32 v14, 0, v26
	v_ldexp_f32 v15, v16, v14
	v_add_f32_e32 v16, -1.0, v15
	v_add_f32_e32 v22, 1.0, v15
	v_ldexp_f32 v14, v17, v14
	v_add_f32_e32 v17, 1.0, v16
	v_add_f32_e32 v23, -1.0, v22
	v_sub_f32_e32 v17, v15, v17
	v_sub_f32_e32 v15, v15, v23
	v_add_f32_e32 v17, v14, v17
	v_add_f32_e32 v14, v14, v15
	;; [unrolled: 1-line block ×3, first 2 shown]
	v_rcp_f32_e32 v29, v27
	v_sub_f32_e32 v15, v22, v27
	v_add_f32_e32 v28, v14, v15
	v_add_f32_e32 v15, v16, v17
	v_mul_f32_e32 v31, v15, v29
	v_sub_f32_e32 v14, v16, v15
	v_mul_f32_e32 v16, v27, v31
	v_fma_f32 v22, v31, v27, -v16
	v_fmac_f32_e32 v22, v31, v28
	v_add_f32_e32 v30, v17, v14
	v_add_f32_e32 v14, v16, v22
	v_sub_f32_e32 v17, v15, v14
	v_pk_add_f32 v[24:25], v[14:15], v[16:17] neg_lo:[0,1] neg_hi:[0,1]
	v_mov_b32_e32 v23, v14
	v_pk_add_f32 v[14:15], v[24:25], v[22:23] neg_lo:[0,1] neg_hi:[0,1]
	s_mov_b32 s8, 0x3f317218
	v_add_f32_e32 v15, v30, v15
	v_add_f32_e32 v14, v14, v15
	;; [unrolled: 1-line block ×3, first 2 shown]
	v_mul_f32_e32 v30, v29, v15
	v_mul_f32_e32 v16, v27, v30
	v_fma_f32 v22, v30, v27, -v16
	v_fmac_f32_e32 v22, v30, v28
	v_sub_f32_e32 v17, v17, v15
	v_add_f32_e32 v27, v14, v17
	v_add_f32_e32 v14, v16, v22
	v_sub_f32_e32 v17, v15, v14
	v_pk_add_f32 v[24:25], v[14:15], v[16:17] neg_lo:[0,1] neg_hi:[0,1]
	v_mov_b32_e32 v23, v14
	v_pk_add_f32 v[14:15], v[24:25], v[22:23] neg_lo:[0,1] neg_hi:[0,1]
	v_cvt_f32_i32_e32 v16, v26
	v_add_f32_e32 v15, v27, v15
	v_add_f32_e32 v14, v14, v15
	;; [unrolled: 1-line block ×4, first 2 shown]
	v_sub_f32_e32 v15, v17, v31
	v_mul_f32_e32 v14, v29, v14
	v_sub_f32_e32 v15, v30, v15
	v_add_f32_e32 v14, v15, v14
	v_add_f32_e32 v22, v17, v14
	v_mul_f32_e32 v24, v22, v22
	v_mov_b32_e32 v15, 0x3ecc95a3
	v_sub_f32_e32 v17, v22, v17
	v_fmac_f32_e32 v15, 0x3e9b6dac, v24
	v_sub_f32_e32 v14, v14, v17
	v_fmaak_f32 v15, v24, v15, 0x3f2aaada
	v_ldexp_f32 v25, v14, 1
	v_mul_f32_e32 v17, v22, v24
	v_mov_b32_e32 v14, 0x3f317218
	v_pk_mul_f32 v[14:15], v[16:17], v[14:15]
	v_ldexp_f32 v23, v22, 1
	v_fma_f32 v17, v16, s8, -v14
	v_fmamk_f32 v22, v16, 0xb102e308, v17
	v_pk_add_f32 v[16:17], v[14:15], v[22:23]
	v_mov_b32_e32 v24, v14
	v_sub_f32_e32 v23, v17, v23
	v_sub_f32_e32 v23, v15, v23
	v_add_f32_e32 v25, v25, v23
	v_pk_add_f32 v[14:15], v[16:17], v[14:15] neg_lo:[0,1] neg_hi:[0,1]
	v_pk_add_f32 v[26:27], v[16:17], v[24:25]
	v_mov_b32_e32 v23, v16
	v_mov_b32_e32 v15, v27
	v_pk_add_f32 v[28:29], v[22:23], v[14:15] neg_lo:[0,1] neg_hi:[0,1]
	v_pk_add_f32 v[14:15], v[22:23], v[14:15]
	v_mov_b32_e32 v24, v25
	v_pk_add_f32 v[22:23], v[14:15], v[16:17] op_sel:[1,0] op_sel_hi:[0,1] neg_lo:[0,1] neg_hi:[0,1]
	v_pk_add_f32 v[30:31], v[26:27], v[22:23] op_sel_hi:[1,0] neg_lo:[0,1] neg_hi:[0,1]
	v_mov_b32_e32 v26, v27
	v_mov_b32_e32 v27, v15
	v_pk_mov_b32 v[22:23], v[16:17], v[22:23] op_sel:[1,0]
	v_mov_b32_e32 v25, v16
	v_pk_add_f32 v[22:23], v[26:27], v[22:23] neg_lo:[0,1] neg_hi:[0,1]
	v_mov_b32_e32 v30, v28
	v_pk_add_f32 v[16:17], v[24:25], v[22:23] neg_lo:[0,1] neg_hi:[0,1]
	v_mov_b32_e32 v29, v15
	v_pk_add_f32 v[22:23], v[30:31], v[16:17]
	v_cmp_neq_f32_e64 s[8:9], s13, v21
	v_pk_add_f32 v[24:25], v[22:23], v[22:23] op_sel:[0,1] op_sel_hi:[1,0]
	s_nop 0
	v_pk_add_f32 v[14:15], v[14:15], v[24:25] op_sel:[1,0] op_sel_hi:[0,1]
	v_mov_b32_e32 v23, v14
	v_pk_add_f32 v[26:27], v[22:23], v[28:29] neg_lo:[0,1] neg_hi:[0,1]
	v_mov_b32_e32 v17, v24
	v_sub_f32_e32 v15, v22, v26
	v_pk_add_f32 v[16:17], v[16:17], v[26:27] neg_lo:[0,1] neg_hi:[0,1]
	v_sub_f32_e32 v15, v28, v15
	v_add_f32_e32 v15, v16, v15
	v_add_f32_e32 v15, v15, v17
	;; [unrolled: 1-line block ×3, first 2 shown]
	v_cndmask_b32_e64 v14, v19, v14, s[8:9]
	s_mov_b32 s8, 0x33800000
	v_cmp_lt_f32_e64 s[8:9], |v21|, s8
	s_nop 1
	v_cndmask_b32_e64 v14, v14, v21, s[8:9]
	v_add_f32_e32 v9, v9, v14
	v_cvt_f16_f32_e32 v21, v9
	v_cvt_f32_f16_e32 v22, v21
.LBB416_214:
	s_or_b64 exec, exec, s[10:11]
	v_cvt_f32_f16_e32 v9, v6
	v_max_f32_e32 v14, v22, v22
	v_cmp_u_f16_e64 s[10:11], v21, v21
	v_cmp_u_f16_e64 s[8:9], v6, v6
	v_min_f32_e32 v15, v14, v9
	v_max_f32_e32 v14, v14, v9
	v_cndmask_b32_e64 v15, v15, v22, s[10:11]
	v_cndmask_b32_e64 v14, v14, v22, s[10:11]
	;; [unrolled: 1-line block ×4, first 2 shown]
	v_cmp_neq_f32_e64 s[10:11], v15, v14
	v_cmp_class_f32_e64 s[12:13], v15, s12
	s_or_b64 s[10:11], s[10:11], s[12:13]
	s_and_saveexec_b64 s[12:13], s[10:11]
	s_cbranch_execz .LBB416_216
; %bb.215:
	v_sub_f32_e32 v15, v15, v14
	s_mov_b32 s10, 0x3fb8aa3b
	v_mul_f32_e32 v16, 0x3fb8aa3b, v15
	v_fma_f32 v17, v15, s10, -v16
	v_rndne_f32_e32 v19, v16
	v_fmamk_f32 v17, v15, 0x32a5705f, v17
	v_sub_f32_e32 v16, v16, v19
	v_add_f32_e32 v16, v16, v17
	v_exp_f32_e32 v16, v16
	v_cvt_i32_f32_e32 v17, v19
	s_mov_b32 s10, 0xc2ce8ed0
	v_cmp_ngt_f32_e64 s[10:11], s10, v15
	v_mov_b32_e32 v19, 0x7f800000
	v_ldexp_f32 v16, v16, v17
	v_cndmask_b32_e64 v16, 0, v16, s[10:11]
	s_mov_b32 s10, 0x42b17218
	v_cmp_nlt_f32_e64 s[10:11], s10, v15
	s_mov_b32 s14, 0x7f800000
	s_nop 0
	v_cndmask_b32_e64 v15, v19, v16, s[10:11]
	v_add_f32_e32 v21, 1.0, v15
	v_add_f32_e32 v16, -1.0, v21
	v_sub_f32_e32 v17, v16, v21
	v_add_f32_e32 v17, 1.0, v17
	v_sub_f32_e32 v16, v15, v16
	v_add_f32_e32 v22, v16, v17
	v_frexp_mant_f32_e32 v23, v21
	s_mov_b32 s10, 0x3f2aaaab
	v_cvt_f64_f32_e32 v[16:17], v21
	v_frexp_exp_i32_f64_e32 v16, v[16:17]
	v_cmp_gt_f32_e64 s[10:11], s10, v23
	s_nop 1
	v_subbrev_co_u32_e64 v28, s[10:11], 0, v16, s[10:11]
	v_sub_u32_e32 v16, 0, v28
	v_ldexp_f32 v17, v21, v16
	v_add_f32_e32 v21, -1.0, v17
	v_add_f32_e32 v23, 1.0, v17
	v_ldexp_f32 v16, v22, v16
	v_add_f32_e32 v22, 1.0, v21
	v_add_f32_e32 v24, -1.0, v23
	v_sub_f32_e32 v22, v17, v22
	v_sub_f32_e32 v17, v17, v24
	v_add_f32_e32 v22, v16, v22
	v_add_f32_e32 v16, v16, v17
	;; [unrolled: 1-line block ×3, first 2 shown]
	v_rcp_f32_e32 v31, v29
	v_sub_f32_e32 v17, v23, v29
	v_add_f32_e32 v30, v16, v17
	v_add_f32_e32 v17, v21, v22
	v_sub_f32_e32 v16, v21, v17
	v_mul_f32_e32 v32, v17, v31
	v_add_f32_e32 v21, v22, v16
	v_mul_f32_e32 v22, v29, v32
	v_fma_f32 v24, v32, v29, -v22
	v_fmac_f32_e32 v24, v32, v30
	v_add_f32_e32 v16, v22, v24
	v_sub_f32_e32 v23, v17, v16
	v_pk_add_f32 v[26:27], v[16:17], v[22:23] neg_lo:[0,1] neg_hi:[0,1]
	v_mov_b32_e32 v25, v16
	v_pk_add_f32 v[16:17], v[26:27], v[24:25] neg_lo:[0,1] neg_hi:[0,1]
	s_mov_b32 s10, 0x3f317218
	v_add_f32_e32 v17, v21, v17
	v_add_f32_e32 v16, v16, v17
	;; [unrolled: 1-line block ×3, first 2 shown]
	v_mul_f32_e32 v21, v31, v17
	v_mul_f32_e32 v22, v29, v21
	v_fma_f32 v24, v21, v29, -v22
	v_fmac_f32_e32 v24, v21, v30
	v_sub_f32_e32 v23, v23, v17
	v_add_f32_e32 v29, v16, v23
	v_add_f32_e32 v16, v22, v24
	v_sub_f32_e32 v23, v17, v16
	v_pk_add_f32 v[26:27], v[16:17], v[22:23] neg_lo:[0,1] neg_hi:[0,1]
	v_mov_b32_e32 v25, v16
	v_pk_add_f32 v[16:17], v[26:27], v[24:25] neg_lo:[0,1] neg_hi:[0,1]
	v_cvt_f32_i32_e32 v22, v28
	v_add_f32_e32 v17, v29, v17
	v_add_f32_e32 v16, v16, v17
	v_add_f32_e32 v16, v23, v16
	v_add_f32_e32 v23, v32, v21
	v_sub_f32_e32 v17, v23, v32
	v_mul_f32_e32 v16, v31, v16
	v_sub_f32_e32 v17, v21, v17
	v_add_f32_e32 v16, v17, v16
	v_add_f32_e32 v21, v23, v16
	v_mul_f32_e32 v24, v21, v21
	v_mov_b32_e32 v17, 0x3ecc95a3
	v_sub_f32_e32 v23, v21, v23
	v_fmac_f32_e32 v17, 0x3e9b6dac, v24
	v_sub_f32_e32 v16, v16, v23
	v_fmaak_f32 v17, v24, v17, 0x3f2aaada
	v_ldexp_f32 v26, v16, 1
	v_mul_f32_e32 v23, v21, v24
	v_mov_b32_e32 v16, 0x3f317218
	v_pk_mul_f32 v[16:17], v[22:23], v[16:17]
	v_ldexp_f32 v25, v21, 1
	v_fma_f32 v21, v22, s10, -v16
	v_fmamk_f32 v24, v22, 0xb102e308, v21
	v_pk_add_f32 v[22:23], v[16:17], v[24:25]
	v_cmp_neq_f32_e64 s[10:11], s14, v15
	v_sub_f32_e32 v21, v23, v25
	v_sub_f32_e32 v21, v17, v21
	v_add_f32_e32 v27, v26, v21
	v_mov_b32_e32 v26, v16
	v_pk_add_f32 v[16:17], v[22:23], v[16:17] neg_lo:[0,1] neg_hi:[0,1]
	v_pk_add_f32 v[28:29], v[22:23], v[26:27]
	v_mov_b32_e32 v25, v22
	v_mov_b32_e32 v17, v29
	v_pk_add_f32 v[30:31], v[24:25], v[16:17] neg_lo:[0,1] neg_hi:[0,1]
	v_pk_add_f32 v[16:17], v[24:25], v[16:17]
	v_mov_b32_e32 v26, v27
	v_pk_add_f32 v[24:25], v[16:17], v[22:23] op_sel:[1,0] op_sel_hi:[0,1] neg_lo:[0,1] neg_hi:[0,1]
	v_pk_add_f32 v[32:33], v[28:29], v[24:25] op_sel_hi:[1,0] neg_lo:[0,1] neg_hi:[0,1]
	v_mov_b32_e32 v28, v29
	v_mov_b32_e32 v29, v17
	v_pk_mov_b32 v[24:25], v[22:23], v[24:25] op_sel:[1,0]
	v_mov_b32_e32 v27, v22
	v_pk_add_f32 v[24:25], v[28:29], v[24:25] neg_lo:[0,1] neg_hi:[0,1]
	v_mov_b32_e32 v32, v30
	v_pk_add_f32 v[22:23], v[26:27], v[24:25] neg_lo:[0,1] neg_hi:[0,1]
	v_mov_b32_e32 v31, v17
	v_pk_add_f32 v[24:25], v[32:33], v[22:23]
	s_nop 0
	v_pk_add_f32 v[26:27], v[24:25], v[24:25] op_sel:[0,1] op_sel_hi:[1,0]
	s_nop 0
	v_pk_add_f32 v[16:17], v[16:17], v[26:27] op_sel:[1,0] op_sel_hi:[0,1]
	v_mov_b32_e32 v25, v16
	v_pk_add_f32 v[28:29], v[24:25], v[30:31] neg_lo:[0,1] neg_hi:[0,1]
	v_mov_b32_e32 v23, v26
	v_sub_f32_e32 v17, v24, v28
	v_pk_add_f32 v[22:23], v[22:23], v[28:29] neg_lo:[0,1] neg_hi:[0,1]
	v_sub_f32_e32 v17, v30, v17
	v_add_f32_e32 v17, v22, v17
	v_add_f32_e32 v17, v17, v23
	;; [unrolled: 1-line block ×3, first 2 shown]
	v_cndmask_b32_e64 v16, v19, v16, s[10:11]
	s_mov_b32 s10, 0x33800000
	v_cmp_lt_f32_e64 s[10:11], |v15|, s10
	s_nop 1
	v_cndmask_b32_e64 v15, v16, v15, s[10:11]
	v_add_f32_e32 v14, v14, v15
	v_cvt_f16_f32_e32 v21, v14
	v_cvt_f32_f16_e32 v22, v21
.LBB416_216:
	s_or_b64 exec, exec, s[12:13]
	v_cvt_f32_f16_sdwa v14, v6 dst_sel:DWORD dst_unused:UNUSED_PAD src0_sel:WORD_1
	v_max_f32_e32 v16, v22, v22
	v_cmp_u_f16_e64 s[12:13], v21, v21
	v_cmp_u_f16_sdwa s[10:11], v6, v6 src0_sel:WORD_1 src1_sel:WORD_1
	v_min_f32_e32 v15, v16, v14
	v_max_f32_e32 v6, v16, v14
	v_cndmask_b32_e64 v15, v15, v22, s[12:13]
	v_cndmask_b32_e64 v6, v6, v22, s[12:13]
	v_cndmask_b32_e64 v15, v15, v14, s[10:11]
	v_cndmask_b32_e64 v6, v6, v14, s[10:11]
	s_movk_i32 s16, 0x1f8
	v_cmp_neq_f32_e64 s[12:13], v15, v6
	v_cmp_class_f32_e64 s[14:15], v15, s16
	s_or_b64 s[12:13], s[12:13], s[14:15]
	s_and_saveexec_b64 s[14:15], s[12:13]
	s_cbranch_execz .LBB416_218
; %bb.217:
	v_sub_f32_e32 v15, v15, v6
	s_mov_b32 s12, 0x3fb8aa3b
	v_mul_f32_e32 v16, 0x3fb8aa3b, v15
	v_fma_f32 v17, v15, s12, -v16
	v_rndne_f32_e32 v19, v16
	v_fmamk_f32 v17, v15, 0x32a5705f, v17
	v_sub_f32_e32 v16, v16, v19
	v_add_f32_e32 v16, v16, v17
	v_exp_f32_e32 v16, v16
	v_cvt_i32_f32_e32 v17, v19
	s_mov_b32 s12, 0xc2ce8ed0
	v_cmp_ngt_f32_e64 s[12:13], s12, v15
	v_mov_b32_e32 v19, 0x7f800000
	v_ldexp_f32 v16, v16, v17
	v_cndmask_b32_e64 v16, 0, v16, s[12:13]
	s_mov_b32 s12, 0x42b17218
	v_cmp_nlt_f32_e64 s[12:13], s12, v15
	s_mov_b32 s17, 0x7f800000
	s_nop 0
	v_cndmask_b32_e64 v15, v19, v16, s[12:13]
	v_add_f32_e32 v21, 1.0, v15
	v_add_f32_e32 v16, -1.0, v21
	v_sub_f32_e32 v17, v16, v21
	v_add_f32_e32 v17, 1.0, v17
	v_sub_f32_e32 v16, v15, v16
	v_add_f32_e32 v22, v16, v17
	v_frexp_mant_f32_e32 v23, v21
	s_mov_b32 s12, 0x3f2aaaab
	v_cvt_f64_f32_e32 v[16:17], v21
	v_frexp_exp_i32_f64_e32 v16, v[16:17]
	v_cmp_gt_f32_e64 s[12:13], s12, v23
	s_nop 1
	v_subbrev_co_u32_e64 v28, s[12:13], 0, v16, s[12:13]
	v_sub_u32_e32 v16, 0, v28
	v_ldexp_f32 v17, v21, v16
	v_add_f32_e32 v21, -1.0, v17
	v_add_f32_e32 v23, 1.0, v17
	v_ldexp_f32 v16, v22, v16
	v_add_f32_e32 v22, 1.0, v21
	v_add_f32_e32 v24, -1.0, v23
	v_sub_f32_e32 v22, v17, v22
	v_sub_f32_e32 v17, v17, v24
	v_add_f32_e32 v22, v16, v22
	v_add_f32_e32 v16, v16, v17
	;; [unrolled: 1-line block ×3, first 2 shown]
	v_rcp_f32_e32 v31, v29
	v_sub_f32_e32 v17, v23, v29
	v_add_f32_e32 v30, v16, v17
	v_add_f32_e32 v17, v21, v22
	v_sub_f32_e32 v16, v21, v17
	v_mul_f32_e32 v32, v17, v31
	v_add_f32_e32 v21, v22, v16
	v_mul_f32_e32 v22, v29, v32
	v_fma_f32 v24, v32, v29, -v22
	v_fmac_f32_e32 v24, v32, v30
	v_add_f32_e32 v16, v22, v24
	v_sub_f32_e32 v23, v17, v16
	v_pk_add_f32 v[26:27], v[16:17], v[22:23] neg_lo:[0,1] neg_hi:[0,1]
	v_mov_b32_e32 v25, v16
	v_pk_add_f32 v[16:17], v[26:27], v[24:25] neg_lo:[0,1] neg_hi:[0,1]
	s_mov_b32 s12, 0x3f317218
	v_add_f32_e32 v17, v21, v17
	v_add_f32_e32 v16, v16, v17
	;; [unrolled: 1-line block ×3, first 2 shown]
	v_mul_f32_e32 v21, v31, v17
	v_mul_f32_e32 v22, v29, v21
	v_fma_f32 v24, v21, v29, -v22
	v_fmac_f32_e32 v24, v21, v30
	v_sub_f32_e32 v23, v23, v17
	v_add_f32_e32 v29, v16, v23
	v_add_f32_e32 v16, v22, v24
	v_sub_f32_e32 v23, v17, v16
	v_pk_add_f32 v[26:27], v[16:17], v[22:23] neg_lo:[0,1] neg_hi:[0,1]
	v_mov_b32_e32 v25, v16
	v_pk_add_f32 v[16:17], v[26:27], v[24:25] neg_lo:[0,1] neg_hi:[0,1]
	v_cvt_f32_i32_e32 v22, v28
	v_add_f32_e32 v17, v29, v17
	v_add_f32_e32 v16, v16, v17
	;; [unrolled: 1-line block ×4, first 2 shown]
	v_sub_f32_e32 v17, v23, v32
	v_mul_f32_e32 v16, v31, v16
	v_sub_f32_e32 v17, v21, v17
	v_add_f32_e32 v16, v17, v16
	v_add_f32_e32 v21, v23, v16
	v_mul_f32_e32 v24, v21, v21
	v_mov_b32_e32 v17, 0x3ecc95a3
	v_sub_f32_e32 v23, v21, v23
	v_fmac_f32_e32 v17, 0x3e9b6dac, v24
	v_sub_f32_e32 v16, v16, v23
	v_fmaak_f32 v17, v24, v17, 0x3f2aaada
	v_ldexp_f32 v26, v16, 1
	v_mul_f32_e32 v23, v21, v24
	v_mov_b32_e32 v16, 0x3f317218
	v_pk_mul_f32 v[16:17], v[22:23], v[16:17]
	v_ldexp_f32 v25, v21, 1
	v_fma_f32 v21, v22, s12, -v16
	v_fmamk_f32 v24, v22, 0xb102e308, v21
	v_pk_add_f32 v[22:23], v[16:17], v[24:25]
	v_cmp_neq_f32_e64 s[12:13], s17, v15
	v_sub_f32_e32 v21, v23, v25
	v_sub_f32_e32 v21, v17, v21
	v_add_f32_e32 v27, v26, v21
	v_mov_b32_e32 v26, v16
	v_pk_add_f32 v[16:17], v[22:23], v[16:17] neg_lo:[0,1] neg_hi:[0,1]
	v_pk_add_f32 v[28:29], v[22:23], v[26:27]
	v_mov_b32_e32 v25, v22
	v_mov_b32_e32 v17, v29
	v_pk_add_f32 v[30:31], v[24:25], v[16:17] neg_lo:[0,1] neg_hi:[0,1]
	v_pk_add_f32 v[16:17], v[24:25], v[16:17]
	v_mov_b32_e32 v26, v27
	v_pk_add_f32 v[24:25], v[16:17], v[22:23] op_sel:[1,0] op_sel_hi:[0,1] neg_lo:[0,1] neg_hi:[0,1]
	v_pk_add_f32 v[32:33], v[28:29], v[24:25] op_sel_hi:[1,0] neg_lo:[0,1] neg_hi:[0,1]
	v_mov_b32_e32 v28, v29
	v_mov_b32_e32 v29, v17
	v_pk_mov_b32 v[24:25], v[22:23], v[24:25] op_sel:[1,0]
	v_mov_b32_e32 v27, v22
	v_pk_add_f32 v[24:25], v[28:29], v[24:25] neg_lo:[0,1] neg_hi:[0,1]
	v_mov_b32_e32 v32, v30
	v_pk_add_f32 v[22:23], v[26:27], v[24:25] neg_lo:[0,1] neg_hi:[0,1]
	v_mov_b32_e32 v31, v17
	v_pk_add_f32 v[24:25], v[32:33], v[22:23]
	s_nop 0
	v_pk_add_f32 v[26:27], v[24:25], v[24:25] op_sel:[0,1] op_sel_hi:[1,0]
	s_nop 0
	v_pk_add_f32 v[16:17], v[16:17], v[26:27] op_sel:[1,0] op_sel_hi:[0,1]
	v_mov_b32_e32 v25, v16
	v_pk_add_f32 v[28:29], v[24:25], v[30:31] neg_lo:[0,1] neg_hi:[0,1]
	v_mov_b32_e32 v23, v26
	v_sub_f32_e32 v17, v24, v28
	v_pk_add_f32 v[22:23], v[22:23], v[28:29] neg_lo:[0,1] neg_hi:[0,1]
	v_sub_f32_e32 v17, v30, v17
	v_add_f32_e32 v17, v22, v17
	v_add_f32_e32 v17, v17, v23
	v_add_f32_e32 v16, v16, v17
	v_cndmask_b32_e64 v16, v19, v16, s[12:13]
	s_mov_b32 s12, 0x33800000
	v_cmp_lt_f32_e64 s[12:13], |v15|, s12
	s_nop 1
	v_cndmask_b32_e64 v15, v16, v15, s[12:13]
	v_add_f32_e32 v6, v6, v15
	v_cvt_f16_f32_e32 v21, v6
	v_cvt_f32_f16_e32 v22, v21
.LBB416_218:
	s_or_b64 exec, exec, s[14:15]
	v_cvt_f32_f16_e32 v6, v7
	v_max_f32_e32 v15, v22, v22
	v_cmp_u_f16_e64 s[14:15], v21, v21
	v_cmp_u_f16_e64 s[12:13], v7, v7
	v_min_f32_e32 v16, v15, v6
	v_max_f32_e32 v15, v15, v6
	v_cndmask_b32_e64 v16, v16, v22, s[14:15]
	v_cndmask_b32_e64 v15, v15, v22, s[14:15]
	v_cndmask_b32_e64 v16, v16, v6, s[12:13]
	v_cndmask_b32_e64 v15, v15, v6, s[12:13]
	v_cmp_neq_f32_e64 s[14:15], v16, v15
	v_cmp_class_f32_e64 s[16:17], v16, s16
	s_or_b64 s[14:15], s[14:15], s[16:17]
	s_and_saveexec_b64 s[16:17], s[14:15]
	s_cbranch_execz .LBB416_220
; %bb.219:
	v_sub_f32_e32 v16, v16, v15
	s_mov_b32 s14, 0x3fb8aa3b
	v_mul_f32_e32 v17, 0x3fb8aa3b, v16
	v_fma_f32 v19, v16, s14, -v17
	v_rndne_f32_e32 v21, v17
	v_fmamk_f32 v19, v16, 0x32a5705f, v19
	v_sub_f32_e32 v17, v17, v21
	v_add_f32_e32 v17, v17, v19
	v_exp_f32_e32 v17, v17
	v_cvt_i32_f32_e32 v19, v21
	s_mov_b32 s14, 0xc2ce8ed0
	v_cmp_ngt_f32_e64 s[14:15], s14, v16
	s_mov_b32 s18, 0x7f800000
	v_ldexp_f32 v17, v17, v19
	v_cndmask_b32_e64 v17, 0, v17, s[14:15]
	s_mov_b32 s14, 0x42b17218
	v_mov_b32_e32 v19, 0x7f800000
	v_cmp_nlt_f32_e64 s[14:15], s14, v16
	s_nop 1
	v_cndmask_b32_e64 v21, v19, v17, s[14:15]
	v_add_f32_e32 v22, 1.0, v21
	v_add_f32_e32 v16, -1.0, v22
	v_sub_f32_e32 v17, v16, v22
	v_add_f32_e32 v17, 1.0, v17
	v_sub_f32_e32 v16, v21, v16
	v_add_f32_e32 v23, v16, v17
	v_frexp_mant_f32_e32 v24, v22
	s_mov_b32 s14, 0x3f2aaaab
	v_cvt_f64_f32_e32 v[16:17], v22
	v_frexp_exp_i32_f64_e32 v16, v[16:17]
	v_cmp_gt_f32_e64 s[14:15], s14, v24
	s_nop 1
	v_subbrev_co_u32_e64 v28, s[14:15], 0, v16, s[14:15]
	v_sub_u32_e32 v16, 0, v28
	v_ldexp_f32 v17, v22, v16
	v_add_f32_e32 v22, -1.0, v17
	v_add_f32_e32 v24, 1.0, v17
	v_ldexp_f32 v16, v23, v16
	v_add_f32_e32 v23, 1.0, v22
	v_add_f32_e32 v25, -1.0, v24
	v_sub_f32_e32 v23, v17, v23
	v_sub_f32_e32 v17, v17, v25
	v_add_f32_e32 v23, v16, v23
	v_add_f32_e32 v16, v16, v17
	;; [unrolled: 1-line block ×3, first 2 shown]
	v_rcp_f32_e32 v31, v29
	v_sub_f32_e32 v17, v24, v29
	v_add_f32_e32 v30, v16, v17
	v_add_f32_e32 v17, v22, v23
	v_mul_f32_e32 v33, v17, v31
	v_sub_f32_e32 v16, v22, v17
	v_mul_f32_e32 v22, v29, v33
	v_fma_f32 v24, v33, v29, -v22
	v_fmac_f32_e32 v24, v33, v30
	v_add_f32_e32 v32, v23, v16
	v_add_f32_e32 v16, v22, v24
	v_sub_f32_e32 v23, v17, v16
	v_pk_add_f32 v[26:27], v[16:17], v[22:23] neg_lo:[0,1] neg_hi:[0,1]
	v_mov_b32_e32 v25, v16
	v_pk_add_f32 v[16:17], v[26:27], v[24:25] neg_lo:[0,1] neg_hi:[0,1]
	s_mov_b32 s14, 0x3f317218
	v_add_f32_e32 v17, v32, v17
	v_add_f32_e32 v16, v16, v17
	;; [unrolled: 1-line block ×3, first 2 shown]
	v_mul_f32_e32 v32, v31, v17
	v_mul_f32_e32 v22, v29, v32
	v_fma_f32 v24, v32, v29, -v22
	v_fmac_f32_e32 v24, v32, v30
	v_sub_f32_e32 v23, v23, v17
	v_add_f32_e32 v29, v16, v23
	v_add_f32_e32 v16, v22, v24
	v_sub_f32_e32 v23, v17, v16
	v_pk_add_f32 v[26:27], v[16:17], v[22:23] neg_lo:[0,1] neg_hi:[0,1]
	v_mov_b32_e32 v25, v16
	v_pk_add_f32 v[16:17], v[26:27], v[24:25] neg_lo:[0,1] neg_hi:[0,1]
	v_cvt_f32_i32_e32 v22, v28
	v_add_f32_e32 v17, v29, v17
	v_add_f32_e32 v16, v16, v17
	;; [unrolled: 1-line block ×4, first 2 shown]
	v_sub_f32_e32 v17, v23, v33
	v_mul_f32_e32 v16, v31, v16
	v_sub_f32_e32 v17, v32, v17
	v_add_f32_e32 v16, v17, v16
	v_add_f32_e32 v24, v23, v16
	v_mul_f32_e32 v26, v24, v24
	v_mov_b32_e32 v17, 0x3ecc95a3
	v_sub_f32_e32 v23, v24, v23
	v_fmac_f32_e32 v17, 0x3e9b6dac, v26
	v_sub_f32_e32 v16, v16, v23
	v_fmaak_f32 v17, v26, v17, 0x3f2aaada
	v_ldexp_f32 v27, v16, 1
	v_mul_f32_e32 v23, v24, v26
	v_mov_b32_e32 v16, 0x3f317218
	v_pk_mul_f32 v[16:17], v[22:23], v[16:17]
	v_ldexp_f32 v25, v24, 1
	v_fma_f32 v23, v22, s14, -v16
	v_fmamk_f32 v24, v22, 0xb102e308, v23
	v_pk_add_f32 v[22:23], v[16:17], v[24:25]
	v_mov_b32_e32 v26, v16
	v_sub_f32_e32 v25, v23, v25
	v_sub_f32_e32 v25, v17, v25
	v_add_f32_e32 v27, v27, v25
	v_pk_add_f32 v[16:17], v[22:23], v[16:17] neg_lo:[0,1] neg_hi:[0,1]
	v_pk_add_f32 v[28:29], v[22:23], v[26:27]
	v_mov_b32_e32 v25, v22
	v_mov_b32_e32 v17, v29
	v_pk_add_f32 v[30:31], v[24:25], v[16:17] neg_lo:[0,1] neg_hi:[0,1]
	v_pk_add_f32 v[16:17], v[24:25], v[16:17]
	v_mov_b32_e32 v26, v27
	v_pk_add_f32 v[24:25], v[16:17], v[22:23] op_sel:[1,0] op_sel_hi:[0,1] neg_lo:[0,1] neg_hi:[0,1]
	v_pk_add_f32 v[32:33], v[28:29], v[24:25] op_sel_hi:[1,0] neg_lo:[0,1] neg_hi:[0,1]
	v_mov_b32_e32 v28, v29
	v_mov_b32_e32 v29, v17
	v_pk_mov_b32 v[24:25], v[22:23], v[24:25] op_sel:[1,0]
	v_mov_b32_e32 v27, v22
	v_pk_add_f32 v[24:25], v[28:29], v[24:25] neg_lo:[0,1] neg_hi:[0,1]
	v_mov_b32_e32 v32, v30
	v_pk_add_f32 v[22:23], v[26:27], v[24:25] neg_lo:[0,1] neg_hi:[0,1]
	v_mov_b32_e32 v31, v17
	v_pk_add_f32 v[24:25], v[32:33], v[22:23]
	v_cmp_neq_f32_e64 s[14:15], s18, v21
	v_pk_add_f32 v[26:27], v[24:25], v[24:25] op_sel:[0,1] op_sel_hi:[1,0]
	s_nop 0
	v_pk_add_f32 v[16:17], v[16:17], v[26:27] op_sel:[1,0] op_sel_hi:[0,1]
	v_mov_b32_e32 v25, v16
	v_pk_add_f32 v[28:29], v[24:25], v[30:31] neg_lo:[0,1] neg_hi:[0,1]
	v_mov_b32_e32 v23, v26
	v_sub_f32_e32 v17, v24, v28
	v_pk_add_f32 v[22:23], v[22:23], v[28:29] neg_lo:[0,1] neg_hi:[0,1]
	v_sub_f32_e32 v17, v30, v17
	v_add_f32_e32 v17, v22, v17
	v_add_f32_e32 v17, v17, v23
	;; [unrolled: 1-line block ×3, first 2 shown]
	v_cndmask_b32_e64 v16, v19, v16, s[14:15]
	s_mov_b32 s14, 0x33800000
	v_cmp_lt_f32_e64 s[14:15], |v21|, s14
	s_nop 1
	v_cndmask_b32_e64 v16, v16, v21, s[14:15]
	v_add_f32_e32 v15, v15, v16
	v_cvt_f16_f32_e32 v21, v15
	v_cvt_f32_f16_e32 v22, v21
.LBB416_220:
	s_or_b64 exec, exec, s[16:17]
	v_cvt_f32_f16_sdwa v15, v7 dst_sel:DWORD dst_unused:UNUSED_PAD src0_sel:WORD_1
	v_max_f32_e32 v17, v22, v22
	v_cmp_u_f16_e64 s[16:17], v21, v21
	v_cmp_u_f16_sdwa s[14:15], v7, v7 src0_sel:WORD_1 src1_sel:WORD_1
	v_min_f32_e32 v16, v17, v15
	v_max_f32_e32 v7, v17, v15
	v_cndmask_b32_e64 v16, v16, v22, s[16:17]
	v_cndmask_b32_e64 v7, v7, v22, s[16:17]
	;; [unrolled: 1-line block ×4, first 2 shown]
	s_movk_i32 s20, 0x1f8
	v_cmp_neq_f32_e64 s[16:17], v16, v7
	v_cmp_class_f32_e64 s[18:19], v16, s20
	s_or_b64 s[16:17], s[16:17], s[18:19]
	s_and_saveexec_b64 s[18:19], s[16:17]
	s_cbranch_execz .LBB416_222
; %bb.221:
	v_sub_f32_e32 v16, v16, v7
	s_mov_b32 s16, 0x3fb8aa3b
	v_mul_f32_e32 v17, 0x3fb8aa3b, v16
	v_fma_f32 v19, v16, s16, -v17
	v_rndne_f32_e32 v21, v17
	v_fmamk_f32 v19, v16, 0x32a5705f, v19
	v_sub_f32_e32 v17, v17, v21
	v_add_f32_e32 v17, v17, v19
	v_exp_f32_e32 v17, v17
	v_cvt_i32_f32_e32 v19, v21
	s_mov_b32 s16, 0xc2ce8ed0
	v_cmp_ngt_f32_e64 s[16:17], s16, v16
	s_mov_b32 s21, 0x7f800000
	v_ldexp_f32 v17, v17, v19
	v_cndmask_b32_e64 v17, 0, v17, s[16:17]
	s_mov_b32 s16, 0x42b17218
	v_mov_b32_e32 v19, 0x7f800000
	v_cmp_nlt_f32_e64 s[16:17], s16, v16
	s_nop 1
	v_cndmask_b32_e64 v21, v19, v17, s[16:17]
	v_add_f32_e32 v22, 1.0, v21
	v_add_f32_e32 v16, -1.0, v22
	v_sub_f32_e32 v17, v16, v22
	v_add_f32_e32 v17, 1.0, v17
	v_sub_f32_e32 v16, v21, v16
	v_add_f32_e32 v23, v16, v17
	v_frexp_mant_f32_e32 v24, v22
	s_mov_b32 s16, 0x3f2aaaab
	v_cvt_f64_f32_e32 v[16:17], v22
	v_frexp_exp_i32_f64_e32 v16, v[16:17]
	v_cmp_gt_f32_e64 s[16:17], s16, v24
	s_nop 1
	v_subbrev_co_u32_e64 v28, s[16:17], 0, v16, s[16:17]
	v_sub_u32_e32 v16, 0, v28
	v_ldexp_f32 v17, v22, v16
	v_add_f32_e32 v22, -1.0, v17
	v_add_f32_e32 v24, 1.0, v17
	v_ldexp_f32 v16, v23, v16
	v_add_f32_e32 v23, 1.0, v22
	v_add_f32_e32 v25, -1.0, v24
	v_sub_f32_e32 v23, v17, v23
	v_sub_f32_e32 v17, v17, v25
	v_add_f32_e32 v23, v16, v23
	v_add_f32_e32 v16, v16, v17
	;; [unrolled: 1-line block ×3, first 2 shown]
	v_rcp_f32_e32 v31, v29
	v_sub_f32_e32 v17, v24, v29
	v_add_f32_e32 v30, v16, v17
	v_add_f32_e32 v17, v22, v23
	v_mul_f32_e32 v33, v17, v31
	v_sub_f32_e32 v16, v22, v17
	v_mul_f32_e32 v22, v29, v33
	v_fma_f32 v24, v33, v29, -v22
	v_fmac_f32_e32 v24, v33, v30
	v_add_f32_e32 v32, v23, v16
	v_add_f32_e32 v16, v22, v24
	v_sub_f32_e32 v23, v17, v16
	v_pk_add_f32 v[26:27], v[16:17], v[22:23] neg_lo:[0,1] neg_hi:[0,1]
	v_mov_b32_e32 v25, v16
	v_pk_add_f32 v[16:17], v[26:27], v[24:25] neg_lo:[0,1] neg_hi:[0,1]
	s_mov_b32 s16, 0x3f317218
	v_add_f32_e32 v17, v32, v17
	v_add_f32_e32 v16, v16, v17
	;; [unrolled: 1-line block ×3, first 2 shown]
	v_mul_f32_e32 v32, v31, v17
	v_mul_f32_e32 v22, v29, v32
	v_fma_f32 v24, v32, v29, -v22
	v_fmac_f32_e32 v24, v32, v30
	v_sub_f32_e32 v23, v23, v17
	v_add_f32_e32 v29, v16, v23
	v_add_f32_e32 v16, v22, v24
	v_sub_f32_e32 v23, v17, v16
	v_pk_add_f32 v[26:27], v[16:17], v[22:23] neg_lo:[0,1] neg_hi:[0,1]
	v_mov_b32_e32 v25, v16
	v_pk_add_f32 v[16:17], v[26:27], v[24:25] neg_lo:[0,1] neg_hi:[0,1]
	v_cvt_f32_i32_e32 v22, v28
	v_add_f32_e32 v17, v29, v17
	v_add_f32_e32 v16, v16, v17
	;; [unrolled: 1-line block ×4, first 2 shown]
	v_sub_f32_e32 v17, v23, v33
	v_mul_f32_e32 v16, v31, v16
	v_sub_f32_e32 v17, v32, v17
	v_add_f32_e32 v16, v17, v16
	v_add_f32_e32 v24, v23, v16
	v_mul_f32_e32 v26, v24, v24
	v_mov_b32_e32 v17, 0x3ecc95a3
	v_sub_f32_e32 v23, v24, v23
	v_fmac_f32_e32 v17, 0x3e9b6dac, v26
	v_sub_f32_e32 v16, v16, v23
	v_fmaak_f32 v17, v26, v17, 0x3f2aaada
	v_ldexp_f32 v27, v16, 1
	v_mul_f32_e32 v23, v24, v26
	v_mov_b32_e32 v16, 0x3f317218
	v_pk_mul_f32 v[16:17], v[22:23], v[16:17]
	v_ldexp_f32 v25, v24, 1
	v_fma_f32 v23, v22, s16, -v16
	v_fmamk_f32 v24, v22, 0xb102e308, v23
	v_pk_add_f32 v[22:23], v[16:17], v[24:25]
	v_mov_b32_e32 v26, v16
	v_sub_f32_e32 v25, v23, v25
	v_sub_f32_e32 v25, v17, v25
	v_add_f32_e32 v27, v27, v25
	v_pk_add_f32 v[16:17], v[22:23], v[16:17] neg_lo:[0,1] neg_hi:[0,1]
	v_pk_add_f32 v[28:29], v[22:23], v[26:27]
	v_mov_b32_e32 v25, v22
	v_mov_b32_e32 v17, v29
	v_pk_add_f32 v[30:31], v[24:25], v[16:17] neg_lo:[0,1] neg_hi:[0,1]
	v_pk_add_f32 v[16:17], v[24:25], v[16:17]
	v_mov_b32_e32 v26, v27
	v_pk_add_f32 v[24:25], v[16:17], v[22:23] op_sel:[1,0] op_sel_hi:[0,1] neg_lo:[0,1] neg_hi:[0,1]
	v_pk_add_f32 v[32:33], v[28:29], v[24:25] op_sel_hi:[1,0] neg_lo:[0,1] neg_hi:[0,1]
	v_mov_b32_e32 v28, v29
	v_mov_b32_e32 v29, v17
	v_pk_mov_b32 v[24:25], v[22:23], v[24:25] op_sel:[1,0]
	v_mov_b32_e32 v27, v22
	v_pk_add_f32 v[24:25], v[28:29], v[24:25] neg_lo:[0,1] neg_hi:[0,1]
	v_mov_b32_e32 v32, v30
	v_pk_add_f32 v[22:23], v[26:27], v[24:25] neg_lo:[0,1] neg_hi:[0,1]
	v_mov_b32_e32 v31, v17
	v_pk_add_f32 v[24:25], v[32:33], v[22:23]
	v_cmp_neq_f32_e64 s[16:17], s21, v21
	v_pk_add_f32 v[26:27], v[24:25], v[24:25] op_sel:[0,1] op_sel_hi:[1,0]
	s_nop 0
	v_pk_add_f32 v[16:17], v[16:17], v[26:27] op_sel:[1,0] op_sel_hi:[0,1]
	v_mov_b32_e32 v25, v16
	v_pk_add_f32 v[28:29], v[24:25], v[30:31] neg_lo:[0,1] neg_hi:[0,1]
	v_mov_b32_e32 v23, v26
	v_sub_f32_e32 v17, v24, v28
	v_pk_add_f32 v[22:23], v[22:23], v[28:29] neg_lo:[0,1] neg_hi:[0,1]
	v_sub_f32_e32 v17, v30, v17
	v_add_f32_e32 v17, v22, v17
	v_add_f32_e32 v17, v17, v23
	v_add_f32_e32 v16, v16, v17
	v_cndmask_b32_e64 v16, v19, v16, s[16:17]
	s_mov_b32 s16, 0x33800000
	v_cmp_lt_f32_e64 s[16:17], |v21|, s16
	s_nop 1
	v_cndmask_b32_e64 v16, v16, v21, s[16:17]
	v_add_f32_e32 v7, v7, v16
	v_cvt_f16_f32_e32 v21, v7
	v_cvt_f32_f16_e32 v22, v21
.LBB416_222:
	s_or_b64 exec, exec, s[18:19]
	v_cvt_f32_f16_e32 v7, v4
	v_max_f32_e32 v16, v22, v22
	v_cmp_u_f16_e64 s[18:19], v21, v21
	v_cmp_u_f16_e64 s[16:17], v4, v4
	v_min_f32_e32 v17, v16, v7
	v_max_f32_e32 v16, v16, v7
	v_cndmask_b32_e64 v17, v17, v22, s[18:19]
	v_cndmask_b32_e64 v16, v16, v22, s[18:19]
	;; [unrolled: 1-line block ×4, first 2 shown]
	v_cmp_neq_f32_e64 s[18:19], v17, v16
	v_cmp_class_f32_e64 s[20:21], v17, s20
	s_or_b64 s[18:19], s[18:19], s[20:21]
	s_and_saveexec_b64 s[20:21], s[18:19]
	s_cbranch_execz .LBB416_224
; %bb.223:
	v_sub_f32_e32 v17, v17, v16
	s_mov_b32 s18, 0x3fb8aa3b
	v_mul_f32_e32 v19, 0x3fb8aa3b, v17
	v_fma_f32 v21, v17, s18, -v19
	v_rndne_f32_e32 v22, v19
	v_fmamk_f32 v21, v17, 0x32a5705f, v21
	v_sub_f32_e32 v19, v19, v22
	v_add_f32_e32 v19, v19, v21
	v_exp_f32_e32 v19, v19
	v_cvt_i32_f32_e32 v21, v22
	s_mov_b32 s18, 0xc2ce8ed0
	v_cmp_ngt_f32_e64 s[18:19], s18, v17
	s_mov_b32 s22, 0x7f800000
	v_ldexp_f32 v19, v19, v21
	v_cndmask_b32_e64 v19, 0, v19, s[18:19]
	s_mov_b32 s18, 0x42b17218
	v_mov_b32_e32 v21, 0x7f800000
	v_cmp_nlt_f32_e64 s[18:19], s18, v17
	s_nop 1
	v_cndmask_b32_e64 v17, v21, v19, s[18:19]
	v_add_f32_e32 v19, 1.0, v17
	v_add_f32_e32 v22, -1.0, v19
	v_sub_f32_e32 v23, v22, v19
	v_add_f32_e32 v23, 1.0, v23
	v_sub_f32_e32 v22, v17, v22
	v_add_f32_e32 v24, v22, v23
	v_frexp_mant_f32_e32 v25, v19
	s_mov_b32 s18, 0x3f2aaaab
	v_cvt_f64_f32_e32 v[22:23], v19
	v_frexp_exp_i32_f64_e32 v22, v[22:23]
	v_cmp_gt_f32_e64 s[18:19], s18, v25
	s_nop 1
	v_subbrev_co_u32_e64 v30, s[18:19], 0, v22, s[18:19]
	v_sub_u32_e32 v22, 0, v30
	v_ldexp_f32 v19, v19, v22
	v_ldexp_f32 v22, v24, v22
	v_add_f32_e32 v24, -1.0, v19
	v_add_f32_e32 v23, 1.0, v24
	v_sub_f32_e32 v23, v19, v23
	v_add_f32_e32 v25, v22, v23
	v_add_f32_e32 v23, 1.0, v19
	v_add_f32_e32 v26, -1.0, v23
	v_sub_f32_e32 v19, v19, v26
	v_add_f32_e32 v19, v22, v19
	v_add_f32_e32 v31, v23, v19
	v_rcp_f32_e32 v32, v31
	v_sub_f32_e32 v22, v23, v31
	v_add_f32_e32 v23, v24, v25
	v_add_f32_e32 v19, v19, v22
	v_mul_f32_e32 v34, v23, v32
	v_sub_f32_e32 v22, v24, v23
	v_mul_f32_e32 v24, v31, v34
	v_fma_f32 v26, v34, v31, -v24
	v_fmac_f32_e32 v26, v34, v19
	v_add_f32_e32 v33, v25, v22
	v_add_f32_e32 v22, v24, v26
	v_sub_f32_e32 v25, v23, v22
	v_pk_add_f32 v[28:29], v[22:23], v[24:25] neg_lo:[0,1] neg_hi:[0,1]
	v_mov_b32_e32 v27, v22
	v_pk_add_f32 v[22:23], v[28:29], v[26:27] neg_lo:[0,1] neg_hi:[0,1]
	s_mov_b32 s18, 0x3f317218
	v_add_f32_e32 v23, v33, v23
	v_add_f32_e32 v22, v22, v23
	;; [unrolled: 1-line block ×3, first 2 shown]
	v_mul_f32_e32 v33, v32, v23
	v_mul_f32_e32 v24, v31, v33
	v_fma_f32 v26, v33, v31, -v24
	v_fmac_f32_e32 v26, v33, v19
	v_sub_f32_e32 v19, v25, v23
	v_add_f32_e32 v19, v22, v19
	v_add_f32_e32 v22, v24, v26
	v_sub_f32_e32 v25, v23, v22
	v_pk_add_f32 v[28:29], v[22:23], v[24:25] neg_lo:[0,1] neg_hi:[0,1]
	v_mov_b32_e32 v27, v22
	v_pk_add_f32 v[22:23], v[28:29], v[26:27] neg_lo:[0,1] neg_hi:[0,1]
	v_cvt_f32_i32_e32 v24, v30
	v_add_f32_e32 v19, v19, v23
	v_add_f32_e32 v19, v22, v19
	;; [unrolled: 1-line block ×4, first 2 shown]
	v_sub_f32_e32 v23, v22, v34
	v_mul_f32_e32 v19, v32, v19
	v_sub_f32_e32 v23, v33, v23
	v_add_f32_e32 v19, v23, v19
	v_add_f32_e32 v25, v22, v19
	v_mul_f32_e32 v26, v25, v25
	v_mov_b32_e32 v23, 0x3ecc95a3
	v_fmac_f32_e32 v23, 0x3e9b6dac, v26
	v_sub_f32_e32 v22, v25, v22
	v_fmaak_f32 v23, v26, v23, 0x3f2aaada
	v_sub_f32_e32 v19, v19, v22
	v_ldexp_f32 v27, v25, 1
	v_mul_f32_e32 v25, v25, v26
	v_mov_b32_e32 v22, 0x3f317218
	v_pk_mul_f32 v[22:23], v[24:25], v[22:23]
	v_ldexp_f32 v19, v19, 1
	v_fma_f32 v25, v24, s18, -v22
	v_fmamk_f32 v26, v24, 0xb102e308, v25
	v_pk_add_f32 v[24:25], v[22:23], v[26:27]
	v_mov_b32_e32 v28, v22
	v_sub_f32_e32 v27, v25, v27
	v_sub_f32_e32 v27, v23, v27
	v_add_f32_e32 v29, v19, v27
	v_pk_add_f32 v[22:23], v[24:25], v[22:23] neg_lo:[0,1] neg_hi:[0,1]
	v_pk_add_f32 v[30:31], v[24:25], v[28:29]
	v_mov_b32_e32 v27, v24
	v_mov_b32_e32 v23, v31
	v_pk_add_f32 v[32:33], v[26:27], v[22:23] neg_lo:[0,1] neg_hi:[0,1]
	v_pk_add_f32 v[22:23], v[26:27], v[22:23]
	v_mov_b32_e32 v28, v29
	v_pk_add_f32 v[26:27], v[22:23], v[24:25] op_sel:[1,0] op_sel_hi:[0,1] neg_lo:[0,1] neg_hi:[0,1]
	v_pk_add_f32 v[34:35], v[30:31], v[26:27] op_sel_hi:[1,0] neg_lo:[0,1] neg_hi:[0,1]
	v_mov_b32_e32 v30, v31
	v_mov_b32_e32 v31, v23
	v_pk_mov_b32 v[26:27], v[24:25], v[26:27] op_sel:[1,0]
	v_mov_b32_e32 v29, v24
	v_pk_add_f32 v[26:27], v[30:31], v[26:27] neg_lo:[0,1] neg_hi:[0,1]
	v_mov_b32_e32 v34, v32
	v_pk_add_f32 v[24:25], v[28:29], v[26:27] neg_lo:[0,1] neg_hi:[0,1]
	v_mov_b32_e32 v33, v23
	v_pk_add_f32 v[26:27], v[34:35], v[24:25]
	v_cmp_neq_f32_e64 s[18:19], s22, v17
	v_pk_add_f32 v[28:29], v[26:27], v[26:27] op_sel:[0,1] op_sel_hi:[1,0]
	s_nop 0
	v_pk_add_f32 v[22:23], v[22:23], v[28:29] op_sel:[1,0] op_sel_hi:[0,1]
	v_mov_b32_e32 v27, v22
	v_pk_add_f32 v[30:31], v[26:27], v[32:33] neg_lo:[0,1] neg_hi:[0,1]
	v_mov_b32_e32 v25, v28
	v_sub_f32_e32 v19, v26, v30
	v_pk_add_f32 v[24:25], v[24:25], v[30:31] neg_lo:[0,1] neg_hi:[0,1]
	v_sub_f32_e32 v19, v32, v19
	v_add_f32_e32 v19, v24, v19
	v_add_f32_e32 v19, v19, v25
	;; [unrolled: 1-line block ×3, first 2 shown]
	v_cndmask_b32_e64 v19, v21, v19, s[18:19]
	s_mov_b32 s18, 0x33800000
	v_cmp_lt_f32_e64 s[18:19], |v17|, s18
	s_nop 1
	v_cndmask_b32_e64 v17, v19, v17, s[18:19]
	v_add_f32_e32 v16, v16, v17
	v_cvt_f16_f32_e32 v21, v16
	v_cvt_f32_f16_e32 v22, v21
.LBB416_224:
	s_or_b64 exec, exec, s[20:21]
	v_cvt_f32_f16_sdwa v16, v4 dst_sel:DWORD dst_unused:UNUSED_PAD src0_sel:WORD_1
	v_max_f32_e32 v19, v22, v22
	v_cmp_u_f16_e64 s[20:21], v21, v21
	v_cmp_u_f16_sdwa s[18:19], v4, v4 src0_sel:WORD_1 src1_sel:WORD_1
	v_min_f32_e32 v17, v19, v16
	v_max_f32_e32 v4, v19, v16
	v_cndmask_b32_e64 v17, v17, v22, s[20:21]
	v_cndmask_b32_e64 v4, v4, v22, s[20:21]
	;; [unrolled: 1-line block ×4, first 2 shown]
	s_movk_i32 s24, 0x1f8
	v_cmp_neq_f32_e64 s[20:21], v17, v4
	v_cmp_class_f32_e64 s[22:23], v17, s24
	s_or_b64 s[20:21], s[20:21], s[22:23]
	s_and_saveexec_b64 s[22:23], s[20:21]
	s_cbranch_execz .LBB416_226
; %bb.225:
	v_sub_f32_e32 v17, v17, v4
	s_mov_b32 s20, 0x3fb8aa3b
	v_mul_f32_e32 v19, 0x3fb8aa3b, v17
	v_fma_f32 v21, v17, s20, -v19
	v_rndne_f32_e32 v22, v19
	v_fmamk_f32 v21, v17, 0x32a5705f, v21
	v_sub_f32_e32 v19, v19, v22
	v_add_f32_e32 v19, v19, v21
	v_exp_f32_e32 v19, v19
	v_cvt_i32_f32_e32 v21, v22
	s_mov_b32 s20, 0xc2ce8ed0
	v_cmp_ngt_f32_e64 s[20:21], s20, v17
	s_mov_b32 s25, 0x7f800000
	v_ldexp_f32 v19, v19, v21
	v_cndmask_b32_e64 v19, 0, v19, s[20:21]
	s_mov_b32 s20, 0x42b17218
	v_mov_b32_e32 v21, 0x7f800000
	v_cmp_nlt_f32_e64 s[20:21], s20, v17
	s_nop 1
	v_cndmask_b32_e64 v17, v21, v19, s[20:21]
	v_add_f32_e32 v19, 1.0, v17
	v_add_f32_e32 v22, -1.0, v19
	v_sub_f32_e32 v23, v22, v19
	v_add_f32_e32 v23, 1.0, v23
	v_sub_f32_e32 v22, v17, v22
	v_add_f32_e32 v24, v22, v23
	v_frexp_mant_f32_e32 v25, v19
	s_mov_b32 s20, 0x3f2aaaab
	v_cvt_f64_f32_e32 v[22:23], v19
	v_frexp_exp_i32_f64_e32 v22, v[22:23]
	v_cmp_gt_f32_e64 s[20:21], s20, v25
	s_nop 1
	v_subbrev_co_u32_e64 v30, s[20:21], 0, v22, s[20:21]
	v_sub_u32_e32 v22, 0, v30
	v_ldexp_f32 v19, v19, v22
	v_ldexp_f32 v22, v24, v22
	v_add_f32_e32 v24, -1.0, v19
	v_add_f32_e32 v23, 1.0, v24
	v_sub_f32_e32 v23, v19, v23
	v_add_f32_e32 v25, v22, v23
	v_add_f32_e32 v23, 1.0, v19
	v_add_f32_e32 v26, -1.0, v23
	v_sub_f32_e32 v19, v19, v26
	v_add_f32_e32 v19, v22, v19
	v_add_f32_e32 v31, v23, v19
	v_rcp_f32_e32 v32, v31
	v_sub_f32_e32 v22, v23, v31
	v_add_f32_e32 v23, v24, v25
	v_add_f32_e32 v19, v19, v22
	v_mul_f32_e32 v34, v23, v32
	v_sub_f32_e32 v22, v24, v23
	v_mul_f32_e32 v24, v31, v34
	v_fma_f32 v26, v34, v31, -v24
	v_fmac_f32_e32 v26, v34, v19
	v_add_f32_e32 v33, v25, v22
	v_add_f32_e32 v22, v24, v26
	v_sub_f32_e32 v25, v23, v22
	v_pk_add_f32 v[28:29], v[22:23], v[24:25] neg_lo:[0,1] neg_hi:[0,1]
	v_mov_b32_e32 v27, v22
	v_pk_add_f32 v[22:23], v[28:29], v[26:27] neg_lo:[0,1] neg_hi:[0,1]
	s_mov_b32 s20, 0x3f317218
	v_add_f32_e32 v23, v33, v23
	v_add_f32_e32 v22, v22, v23
	;; [unrolled: 1-line block ×3, first 2 shown]
	v_mul_f32_e32 v33, v32, v23
	v_mul_f32_e32 v24, v31, v33
	v_fma_f32 v26, v33, v31, -v24
	v_fmac_f32_e32 v26, v33, v19
	v_sub_f32_e32 v19, v25, v23
	v_add_f32_e32 v19, v22, v19
	v_add_f32_e32 v22, v24, v26
	v_sub_f32_e32 v25, v23, v22
	v_pk_add_f32 v[28:29], v[22:23], v[24:25] neg_lo:[0,1] neg_hi:[0,1]
	v_mov_b32_e32 v27, v22
	v_pk_add_f32 v[22:23], v[28:29], v[26:27] neg_lo:[0,1] neg_hi:[0,1]
	v_cvt_f32_i32_e32 v24, v30
	v_add_f32_e32 v19, v19, v23
	v_add_f32_e32 v19, v22, v19
	;; [unrolled: 1-line block ×4, first 2 shown]
	v_sub_f32_e32 v23, v22, v34
	v_mul_f32_e32 v19, v32, v19
	v_sub_f32_e32 v23, v33, v23
	v_add_f32_e32 v19, v23, v19
	v_add_f32_e32 v25, v22, v19
	v_mul_f32_e32 v26, v25, v25
	v_mov_b32_e32 v23, 0x3ecc95a3
	v_fmac_f32_e32 v23, 0x3e9b6dac, v26
	v_sub_f32_e32 v22, v25, v22
	v_fmaak_f32 v23, v26, v23, 0x3f2aaada
	v_sub_f32_e32 v19, v19, v22
	v_ldexp_f32 v27, v25, 1
	v_mul_f32_e32 v25, v25, v26
	v_mov_b32_e32 v22, 0x3f317218
	v_pk_mul_f32 v[22:23], v[24:25], v[22:23]
	v_ldexp_f32 v19, v19, 1
	v_fma_f32 v25, v24, s20, -v22
	v_fmamk_f32 v26, v24, 0xb102e308, v25
	v_pk_add_f32 v[24:25], v[22:23], v[26:27]
	v_mov_b32_e32 v28, v22
	v_sub_f32_e32 v27, v25, v27
	v_sub_f32_e32 v27, v23, v27
	v_add_f32_e32 v29, v19, v27
	v_pk_add_f32 v[22:23], v[24:25], v[22:23] neg_lo:[0,1] neg_hi:[0,1]
	v_pk_add_f32 v[30:31], v[24:25], v[28:29]
	v_mov_b32_e32 v27, v24
	v_mov_b32_e32 v23, v31
	v_pk_add_f32 v[32:33], v[26:27], v[22:23] neg_lo:[0,1] neg_hi:[0,1]
	v_pk_add_f32 v[22:23], v[26:27], v[22:23]
	v_mov_b32_e32 v28, v29
	v_pk_add_f32 v[26:27], v[22:23], v[24:25] op_sel:[1,0] op_sel_hi:[0,1] neg_lo:[0,1] neg_hi:[0,1]
	v_pk_add_f32 v[34:35], v[30:31], v[26:27] op_sel_hi:[1,0] neg_lo:[0,1] neg_hi:[0,1]
	v_mov_b32_e32 v30, v31
	v_mov_b32_e32 v31, v23
	v_pk_mov_b32 v[26:27], v[24:25], v[26:27] op_sel:[1,0]
	v_mov_b32_e32 v29, v24
	v_pk_add_f32 v[26:27], v[30:31], v[26:27] neg_lo:[0,1] neg_hi:[0,1]
	v_mov_b32_e32 v34, v32
	v_pk_add_f32 v[24:25], v[28:29], v[26:27] neg_lo:[0,1] neg_hi:[0,1]
	v_mov_b32_e32 v33, v23
	v_pk_add_f32 v[26:27], v[34:35], v[24:25]
	v_cmp_neq_f32_e64 s[20:21], s25, v17
	v_pk_add_f32 v[28:29], v[26:27], v[26:27] op_sel:[0,1] op_sel_hi:[1,0]
	s_nop 0
	v_pk_add_f32 v[22:23], v[22:23], v[28:29] op_sel:[1,0] op_sel_hi:[0,1]
	v_mov_b32_e32 v27, v22
	v_pk_add_f32 v[30:31], v[26:27], v[32:33] neg_lo:[0,1] neg_hi:[0,1]
	v_mov_b32_e32 v25, v28
	v_sub_f32_e32 v19, v26, v30
	v_pk_add_f32 v[24:25], v[24:25], v[30:31] neg_lo:[0,1] neg_hi:[0,1]
	v_sub_f32_e32 v19, v32, v19
	v_add_f32_e32 v19, v24, v19
	v_add_f32_e32 v19, v19, v25
	;; [unrolled: 1-line block ×3, first 2 shown]
	v_cndmask_b32_e64 v19, v21, v19, s[20:21]
	s_mov_b32 s20, 0x33800000
	v_cmp_lt_f32_e64 s[20:21], |v17|, s20
	s_nop 1
	v_cndmask_b32_e64 v17, v19, v17, s[20:21]
	v_add_f32_e32 v4, v4, v17
	v_cvt_f16_f32_e32 v21, v4
	v_cvt_f32_f16_e32 v22, v21
.LBB416_226:
	s_or_b64 exec, exec, s[22:23]
	v_cvt_f32_f16_e32 v4, v5
	v_max_f32_e32 v17, v22, v22
	v_cmp_u_f16_e64 s[22:23], v21, v21
	v_cmp_u_f16_e64 s[20:21], v5, v5
	v_min_f32_e32 v19, v17, v4
	v_max_f32_e32 v17, v17, v4
	v_cndmask_b32_e64 v19, v19, v22, s[22:23]
	v_cndmask_b32_e64 v17, v17, v22, s[22:23]
	;; [unrolled: 1-line block ×4, first 2 shown]
	v_cmp_neq_f32_e64 s[22:23], v19, v17
	v_cmp_class_f32_e64 s[24:25], v19, s24
	s_or_b64 s[22:23], s[22:23], s[24:25]
	s_and_saveexec_b64 s[24:25], s[22:23]
	s_cbranch_execz .LBB416_228
; %bb.227:
	v_sub_f32_e32 v19, v19, v17
	s_mov_b32 s22, 0x3fb8aa3b
	v_mul_f32_e32 v21, 0x3fb8aa3b, v19
	v_fma_f32 v22, v19, s22, -v21
	v_rndne_f32_e32 v23, v21
	v_fmamk_f32 v22, v19, 0x32a5705f, v22
	v_sub_f32_e32 v21, v21, v23
	v_add_f32_e32 v21, v21, v22
	v_exp_f32_e32 v21, v21
	v_cvt_i32_f32_e32 v22, v23
	s_mov_b32 s22, 0xc2ce8ed0
	v_cmp_ngt_f32_e64 s[22:23], s22, v19
	v_mov_b32_e32 v36, 0x7f800000
	v_ldexp_f32 v21, v21, v22
	v_cndmask_b32_e64 v21, 0, v21, s[22:23]
	s_mov_b32 s22, 0x42b17218
	v_cmp_nlt_f32_e64 s[22:23], s22, v19
	s_mov_b32 s26, 0x7f800000
	s_nop 0
	v_cndmask_b32_e64 v19, v36, v21, s[22:23]
	v_add_f32_e32 v21, 1.0, v19
	v_add_f32_e32 v22, -1.0, v21
	v_sub_f32_e32 v23, v22, v21
	v_add_f32_e32 v23, 1.0, v23
	v_sub_f32_e32 v22, v19, v22
	v_add_f32_e32 v24, v22, v23
	v_frexp_mant_f32_e32 v25, v21
	s_mov_b32 s22, 0x3f2aaaab
	v_cvt_f64_f32_e32 v[22:23], v21
	v_frexp_exp_i32_f64_e32 v22, v[22:23]
	v_cmp_gt_f32_e64 s[22:23], s22, v25
	s_nop 1
	v_subbrev_co_u32_e64 v30, s[22:23], 0, v22, s[22:23]
	v_sub_u32_e32 v22, 0, v30
	v_ldexp_f32 v21, v21, v22
	v_ldexp_f32 v22, v24, v22
	v_add_f32_e32 v24, -1.0, v21
	v_add_f32_e32 v23, 1.0, v24
	v_sub_f32_e32 v23, v21, v23
	v_add_f32_e32 v25, v22, v23
	v_add_f32_e32 v23, 1.0, v21
	v_add_f32_e32 v26, -1.0, v23
	v_sub_f32_e32 v21, v21, v26
	v_add_f32_e32 v21, v22, v21
	v_add_f32_e32 v31, v23, v21
	v_rcp_f32_e32 v32, v31
	v_sub_f32_e32 v22, v23, v31
	v_add_f32_e32 v23, v24, v25
	v_add_f32_e32 v21, v21, v22
	v_mul_f32_e32 v34, v23, v32
	v_sub_f32_e32 v22, v24, v23
	v_mul_f32_e32 v24, v31, v34
	v_fma_f32 v26, v34, v31, -v24
	v_fmac_f32_e32 v26, v34, v21
	v_add_f32_e32 v33, v25, v22
	v_add_f32_e32 v22, v24, v26
	v_sub_f32_e32 v25, v23, v22
	v_pk_add_f32 v[28:29], v[22:23], v[24:25] neg_lo:[0,1] neg_hi:[0,1]
	v_mov_b32_e32 v27, v22
	v_pk_add_f32 v[22:23], v[28:29], v[26:27] neg_lo:[0,1] neg_hi:[0,1]
	s_mov_b32 s22, 0x3f317218
	v_add_f32_e32 v23, v33, v23
	v_add_f32_e32 v22, v22, v23
	;; [unrolled: 1-line block ×3, first 2 shown]
	v_mul_f32_e32 v33, v32, v23
	v_mul_f32_e32 v24, v31, v33
	v_fma_f32 v26, v33, v31, -v24
	v_fmac_f32_e32 v26, v33, v21
	v_sub_f32_e32 v21, v25, v23
	v_add_f32_e32 v21, v22, v21
	v_add_f32_e32 v22, v24, v26
	v_sub_f32_e32 v25, v23, v22
	v_pk_add_f32 v[28:29], v[22:23], v[24:25] neg_lo:[0,1] neg_hi:[0,1]
	v_mov_b32_e32 v27, v22
	v_pk_add_f32 v[22:23], v[28:29], v[26:27] neg_lo:[0,1] neg_hi:[0,1]
	v_cvt_f32_i32_e32 v24, v30
	v_add_f32_e32 v21, v21, v23
	v_add_f32_e32 v21, v22, v21
	v_add_f32_e32 v22, v34, v33
	v_add_f32_e32 v21, v25, v21
	v_sub_f32_e32 v23, v22, v34
	v_mul_f32_e32 v21, v32, v21
	v_sub_f32_e32 v23, v33, v23
	v_add_f32_e32 v21, v23, v21
	v_add_f32_e32 v25, v22, v21
	v_mul_f32_e32 v26, v25, v25
	v_mov_b32_e32 v23, 0x3ecc95a3
	v_fmac_f32_e32 v23, 0x3e9b6dac, v26
	v_sub_f32_e32 v22, v25, v22
	v_fmaak_f32 v23, v26, v23, 0x3f2aaada
	v_sub_f32_e32 v21, v21, v22
	v_ldexp_f32 v27, v25, 1
	v_mul_f32_e32 v25, v25, v26
	v_mov_b32_e32 v22, 0x3f317218
	v_pk_mul_f32 v[22:23], v[24:25], v[22:23]
	v_ldexp_f32 v21, v21, 1
	v_fma_f32 v25, v24, s22, -v22
	v_fmamk_f32 v26, v24, 0xb102e308, v25
	v_pk_add_f32 v[24:25], v[22:23], v[26:27]
	v_mov_b32_e32 v28, v22
	v_sub_f32_e32 v27, v25, v27
	v_sub_f32_e32 v27, v23, v27
	v_add_f32_e32 v29, v21, v27
	v_pk_add_f32 v[22:23], v[24:25], v[22:23] neg_lo:[0,1] neg_hi:[0,1]
	v_pk_add_f32 v[30:31], v[24:25], v[28:29]
	v_mov_b32_e32 v27, v24
	v_mov_b32_e32 v23, v31
	v_pk_add_f32 v[32:33], v[26:27], v[22:23] neg_lo:[0,1] neg_hi:[0,1]
	v_pk_add_f32 v[22:23], v[26:27], v[22:23]
	v_mov_b32_e32 v28, v29
	v_pk_add_f32 v[26:27], v[22:23], v[24:25] op_sel:[1,0] op_sel_hi:[0,1] neg_lo:[0,1] neg_hi:[0,1]
	v_pk_add_f32 v[34:35], v[30:31], v[26:27] op_sel_hi:[1,0] neg_lo:[0,1] neg_hi:[0,1]
	v_mov_b32_e32 v30, v31
	v_mov_b32_e32 v31, v23
	v_pk_mov_b32 v[26:27], v[24:25], v[26:27] op_sel:[1,0]
	v_mov_b32_e32 v29, v24
	v_pk_add_f32 v[26:27], v[30:31], v[26:27] neg_lo:[0,1] neg_hi:[0,1]
	v_mov_b32_e32 v34, v32
	v_pk_add_f32 v[24:25], v[28:29], v[26:27] neg_lo:[0,1] neg_hi:[0,1]
	v_mov_b32_e32 v33, v23
	v_pk_add_f32 v[26:27], v[34:35], v[24:25]
	v_cmp_neq_f32_e64 s[22:23], s26, v19
	v_pk_add_f32 v[28:29], v[26:27], v[26:27] op_sel:[0,1] op_sel_hi:[1,0]
	s_nop 0
	v_pk_add_f32 v[22:23], v[22:23], v[28:29] op_sel:[1,0] op_sel_hi:[0,1]
	v_mov_b32_e32 v27, v22
	v_pk_add_f32 v[30:31], v[26:27], v[32:33] neg_lo:[0,1] neg_hi:[0,1]
	v_mov_b32_e32 v25, v28
	v_sub_f32_e32 v21, v26, v30
	v_pk_add_f32 v[24:25], v[24:25], v[30:31] neg_lo:[0,1] neg_hi:[0,1]
	v_sub_f32_e32 v21, v32, v21
	v_add_f32_e32 v21, v24, v21
	v_add_f32_e32 v21, v21, v25
	;; [unrolled: 1-line block ×3, first 2 shown]
	v_cndmask_b32_e64 v21, v36, v21, s[22:23]
	s_mov_b32 s22, 0x33800000
	v_cmp_lt_f32_e64 s[22:23], |v19|, s22
	s_nop 1
	v_cndmask_b32_e64 v19, v21, v19, s[22:23]
	v_add_f32_e32 v17, v17, v19
	v_cvt_f16_f32_e32 v21, v17
	v_cvt_f32_f16_e32 v22, v21
.LBB416_228:
	s_or_b64 exec, exec, s[24:25]
	v_cvt_f32_f16_sdwa v17, v5 dst_sel:DWORD dst_unused:UNUSED_PAD src0_sel:WORD_1
	v_max_f32_e32 v23, v22, v22
	v_cmp_u_f16_e64 s[24:25], v21, v21
	v_cmp_u_f16_sdwa s[22:23], v5, v5 src0_sel:WORD_1 src1_sel:WORD_1
	v_min_f32_e32 v19, v23, v17
	v_max_f32_e32 v5, v23, v17
	v_cndmask_b32_e64 v19, v19, v22, s[24:25]
	v_cndmask_b32_e64 v5, v5, v22, s[24:25]
	;; [unrolled: 1-line block ×4, first 2 shown]
	s_movk_i32 s30, 0x1f8
	v_cmp_neq_f32_e64 s[24:25], v19, v5
	v_cmp_class_f32_e64 s[26:27], v19, s30
	s_or_b64 s[24:25], s[24:25], s[26:27]
	s_and_saveexec_b64 s[26:27], s[24:25]
	s_cbranch_execz .LBB416_230
; %bb.229:
	v_sub_f32_e32 v19, v19, v5
	s_mov_b32 s24, 0x3fb8aa3b
	v_mul_f32_e32 v21, 0x3fb8aa3b, v19
	v_fma_f32 v22, v19, s24, -v21
	v_rndne_f32_e32 v23, v21
	v_fmamk_f32 v22, v19, 0x32a5705f, v22
	v_sub_f32_e32 v21, v21, v23
	v_add_f32_e32 v21, v21, v22
	v_exp_f32_e32 v21, v21
	v_cvt_i32_f32_e32 v22, v23
	s_mov_b32 s24, 0xc2ce8ed0
	v_cmp_ngt_f32_e64 s[24:25], s24, v19
	v_mov_b32_e32 v36, 0x7f800000
	v_ldexp_f32 v21, v21, v22
	v_cndmask_b32_e64 v21, 0, v21, s[24:25]
	s_mov_b32 s24, 0x42b17218
	v_cmp_nlt_f32_e64 s[24:25], s24, v19
	s_mov_b32 s31, 0x7f800000
	s_nop 0
	v_cndmask_b32_e64 v19, v36, v21, s[24:25]
	v_add_f32_e32 v21, 1.0, v19
	v_add_f32_e32 v22, -1.0, v21
	v_sub_f32_e32 v23, v22, v21
	v_add_f32_e32 v23, 1.0, v23
	v_sub_f32_e32 v22, v19, v22
	v_add_f32_e32 v24, v22, v23
	v_frexp_mant_f32_e32 v25, v21
	s_mov_b32 s24, 0x3f2aaaab
	v_cvt_f64_f32_e32 v[22:23], v21
	v_frexp_exp_i32_f64_e32 v22, v[22:23]
	v_cmp_gt_f32_e64 s[24:25], s24, v25
	s_nop 1
	v_subbrev_co_u32_e64 v30, s[24:25], 0, v22, s[24:25]
	v_sub_u32_e32 v22, 0, v30
	v_ldexp_f32 v21, v21, v22
	v_ldexp_f32 v22, v24, v22
	v_add_f32_e32 v24, -1.0, v21
	v_add_f32_e32 v23, 1.0, v24
	v_sub_f32_e32 v23, v21, v23
	v_add_f32_e32 v25, v22, v23
	v_add_f32_e32 v23, 1.0, v21
	v_add_f32_e32 v26, -1.0, v23
	v_sub_f32_e32 v21, v21, v26
	v_add_f32_e32 v21, v22, v21
	v_add_f32_e32 v31, v23, v21
	v_rcp_f32_e32 v32, v31
	v_sub_f32_e32 v22, v23, v31
	v_add_f32_e32 v23, v24, v25
	v_add_f32_e32 v21, v21, v22
	v_mul_f32_e32 v34, v23, v32
	v_sub_f32_e32 v22, v24, v23
	v_mul_f32_e32 v24, v31, v34
	v_fma_f32 v26, v34, v31, -v24
	v_fmac_f32_e32 v26, v34, v21
	v_add_f32_e32 v33, v25, v22
	v_add_f32_e32 v22, v24, v26
	v_sub_f32_e32 v25, v23, v22
	v_pk_add_f32 v[28:29], v[22:23], v[24:25] neg_lo:[0,1] neg_hi:[0,1]
	v_mov_b32_e32 v27, v22
	v_pk_add_f32 v[22:23], v[28:29], v[26:27] neg_lo:[0,1] neg_hi:[0,1]
	s_mov_b32 s24, 0x3f317218
	v_add_f32_e32 v23, v33, v23
	v_add_f32_e32 v22, v22, v23
	;; [unrolled: 1-line block ×3, first 2 shown]
	v_mul_f32_e32 v33, v32, v23
	v_mul_f32_e32 v24, v31, v33
	v_fma_f32 v26, v33, v31, -v24
	v_fmac_f32_e32 v26, v33, v21
	v_sub_f32_e32 v21, v25, v23
	v_add_f32_e32 v21, v22, v21
	v_add_f32_e32 v22, v24, v26
	v_sub_f32_e32 v25, v23, v22
	v_pk_add_f32 v[28:29], v[22:23], v[24:25] neg_lo:[0,1] neg_hi:[0,1]
	v_mov_b32_e32 v27, v22
	v_pk_add_f32 v[22:23], v[28:29], v[26:27] neg_lo:[0,1] neg_hi:[0,1]
	v_cvt_f32_i32_e32 v24, v30
	v_add_f32_e32 v21, v21, v23
	v_add_f32_e32 v21, v22, v21
	;; [unrolled: 1-line block ×4, first 2 shown]
	v_sub_f32_e32 v23, v22, v34
	v_mul_f32_e32 v21, v32, v21
	v_sub_f32_e32 v23, v33, v23
	v_add_f32_e32 v21, v23, v21
	v_add_f32_e32 v25, v22, v21
	v_mul_f32_e32 v26, v25, v25
	v_mov_b32_e32 v23, 0x3ecc95a3
	v_fmac_f32_e32 v23, 0x3e9b6dac, v26
	v_sub_f32_e32 v22, v25, v22
	v_fmaak_f32 v23, v26, v23, 0x3f2aaada
	v_sub_f32_e32 v21, v21, v22
	v_ldexp_f32 v27, v25, 1
	v_mul_f32_e32 v25, v25, v26
	v_mov_b32_e32 v22, 0x3f317218
	v_pk_mul_f32 v[22:23], v[24:25], v[22:23]
	v_ldexp_f32 v21, v21, 1
	v_fma_f32 v25, v24, s24, -v22
	v_fmamk_f32 v26, v24, 0xb102e308, v25
	v_pk_add_f32 v[24:25], v[22:23], v[26:27]
	v_mov_b32_e32 v28, v22
	v_sub_f32_e32 v27, v25, v27
	v_sub_f32_e32 v27, v23, v27
	v_add_f32_e32 v29, v21, v27
	v_pk_add_f32 v[22:23], v[24:25], v[22:23] neg_lo:[0,1] neg_hi:[0,1]
	v_pk_add_f32 v[30:31], v[24:25], v[28:29]
	v_mov_b32_e32 v27, v24
	v_mov_b32_e32 v23, v31
	v_pk_add_f32 v[32:33], v[26:27], v[22:23] neg_lo:[0,1] neg_hi:[0,1]
	v_pk_add_f32 v[22:23], v[26:27], v[22:23]
	v_mov_b32_e32 v28, v29
	v_pk_add_f32 v[26:27], v[22:23], v[24:25] op_sel:[1,0] op_sel_hi:[0,1] neg_lo:[0,1] neg_hi:[0,1]
	v_pk_add_f32 v[34:35], v[30:31], v[26:27] op_sel_hi:[1,0] neg_lo:[0,1] neg_hi:[0,1]
	v_mov_b32_e32 v30, v31
	v_mov_b32_e32 v31, v23
	v_pk_mov_b32 v[26:27], v[24:25], v[26:27] op_sel:[1,0]
	v_mov_b32_e32 v29, v24
	v_pk_add_f32 v[26:27], v[30:31], v[26:27] neg_lo:[0,1] neg_hi:[0,1]
	v_mov_b32_e32 v34, v32
	v_pk_add_f32 v[24:25], v[28:29], v[26:27] neg_lo:[0,1] neg_hi:[0,1]
	v_mov_b32_e32 v33, v23
	v_pk_add_f32 v[26:27], v[34:35], v[24:25]
	v_cmp_neq_f32_e64 s[24:25], s31, v19
	v_pk_add_f32 v[28:29], v[26:27], v[26:27] op_sel:[0,1] op_sel_hi:[1,0]
	s_nop 0
	v_pk_add_f32 v[22:23], v[22:23], v[28:29] op_sel:[1,0] op_sel_hi:[0,1]
	v_mov_b32_e32 v27, v22
	v_pk_add_f32 v[30:31], v[26:27], v[32:33] neg_lo:[0,1] neg_hi:[0,1]
	v_mov_b32_e32 v25, v28
	v_sub_f32_e32 v21, v26, v30
	v_pk_add_f32 v[24:25], v[24:25], v[30:31] neg_lo:[0,1] neg_hi:[0,1]
	v_sub_f32_e32 v21, v32, v21
	v_add_f32_e32 v21, v24, v21
	v_add_f32_e32 v21, v21, v25
	;; [unrolled: 1-line block ×3, first 2 shown]
	v_cndmask_b32_e64 v21, v36, v21, s[24:25]
	s_mov_b32 s24, 0x33800000
	v_cmp_lt_f32_e64 s[24:25], |v19|, s24
	s_nop 1
	v_cndmask_b32_e64 v19, v21, v19, s[24:25]
	v_add_f32_e32 v5, v5, v19
	v_cvt_f16_f32_e32 v21, v5
	v_cvt_f32_f16_e32 v22, v21
.LBB416_230:
	s_or_b64 exec, exec, s[26:27]
	v_cvt_f32_f16_e32 v5, v18
	v_max_f32_e32 v19, v22, v22
	v_cmp_u_f16_e64 s[26:27], v21, v21
	v_cmp_u_f16_e64 s[24:25], v18, v18
	v_min_f32_e32 v23, v19, v5
	v_max_f32_e32 v19, v19, v5
	v_cndmask_b32_e64 v23, v23, v22, s[26:27]
	v_cndmask_b32_e64 v19, v19, v22, s[26:27]
	;; [unrolled: 1-line block ×4, first 2 shown]
	v_cmp_neq_f32_e64 s[26:27], v23, v19
	v_cmp_class_f32_e64 s[30:31], v23, s30
	s_or_b64 s[26:27], s[26:27], s[30:31]
	s_and_saveexec_b64 s[30:31], s[26:27]
	s_cbranch_execz .LBB416_232
; %bb.231:
	v_sub_f32_e32 v21, v23, v19
	s_mov_b32 s26, 0x3fb8aa3b
	v_mul_f32_e32 v22, 0x3fb8aa3b, v21
	v_fma_f32 v23, v21, s26, -v22
	v_rndne_f32_e32 v24, v22
	v_fmamk_f32 v23, v21, 0x32a5705f, v23
	v_sub_f32_e32 v22, v22, v24
	v_add_f32_e32 v22, v22, v23
	v_exp_f32_e32 v22, v22
	v_cvt_i32_f32_e32 v23, v24
	s_mov_b32 s26, 0xc2ce8ed0
	v_cmp_ngt_f32_e64 s[26:27], s26, v21
	v_mov_b32_e32 v36, 0x7f800000
	v_ldexp_f32 v22, v22, v23
	v_cndmask_b32_e64 v22, 0, v22, s[26:27]
	s_mov_b32 s26, 0x42b17218
	v_cmp_nlt_f32_e64 s[26:27], s26, v21
	s_mov_b32 s34, 0x7f800000
	s_nop 0
	v_cndmask_b32_e64 v21, v36, v22, s[26:27]
	v_add_f32_e32 v24, 1.0, v21
	v_add_f32_e32 v22, -1.0, v24
	v_sub_f32_e32 v23, v22, v24
	v_add_f32_e32 v23, 1.0, v23
	v_sub_f32_e32 v22, v21, v22
	v_add_f32_e32 v25, v22, v23
	v_frexp_mant_f32_e32 v26, v24
	s_mov_b32 s26, 0x3f2aaaab
	v_cvt_f64_f32_e32 v[22:23], v24
	v_frexp_exp_i32_f64_e32 v22, v[22:23]
	v_cmp_gt_f32_e64 s[26:27], s26, v26
	s_nop 1
	v_subbrev_co_u32_e64 v30, s[26:27], 0, v22, s[26:27]
	v_sub_u32_e32 v22, 0, v30
	v_ldexp_f32 v23, v24, v22
	v_add_f32_e32 v24, -1.0, v23
	v_add_f32_e32 v26, 1.0, v23
	v_ldexp_f32 v22, v25, v22
	v_add_f32_e32 v25, 1.0, v24
	v_add_f32_e32 v27, -1.0, v26
	v_sub_f32_e32 v25, v23, v25
	v_sub_f32_e32 v23, v23, v27
	v_add_f32_e32 v25, v22, v25
	v_add_f32_e32 v22, v22, v23
	v_add_f32_e32 v31, v26, v22
	v_rcp_f32_e32 v33, v31
	v_sub_f32_e32 v23, v26, v31
	v_add_f32_e32 v32, v22, v23
	v_add_f32_e32 v23, v24, v25
	v_mul_f32_e32 v35, v23, v33
	v_sub_f32_e32 v22, v24, v23
	v_mul_f32_e32 v24, v31, v35
	v_fma_f32 v26, v35, v31, -v24
	v_fmac_f32_e32 v26, v35, v32
	v_add_f32_e32 v34, v25, v22
	v_add_f32_e32 v22, v24, v26
	v_sub_f32_e32 v25, v23, v22
	v_pk_add_f32 v[28:29], v[22:23], v[24:25] neg_lo:[0,1] neg_hi:[0,1]
	v_mov_b32_e32 v27, v22
	v_pk_add_f32 v[22:23], v[28:29], v[26:27] neg_lo:[0,1] neg_hi:[0,1]
	s_mov_b32 s26, 0x3f317218
	v_add_f32_e32 v23, v34, v23
	v_add_f32_e32 v22, v22, v23
	;; [unrolled: 1-line block ×3, first 2 shown]
	v_mul_f32_e32 v34, v33, v23
	v_mul_f32_e32 v24, v31, v34
	v_fma_f32 v26, v34, v31, -v24
	v_fmac_f32_e32 v26, v34, v32
	v_sub_f32_e32 v25, v25, v23
	v_add_f32_e32 v31, v22, v25
	v_add_f32_e32 v22, v24, v26
	v_sub_f32_e32 v25, v23, v22
	v_pk_add_f32 v[28:29], v[22:23], v[24:25] neg_lo:[0,1] neg_hi:[0,1]
	v_mov_b32_e32 v27, v22
	v_pk_add_f32 v[22:23], v[28:29], v[26:27] neg_lo:[0,1] neg_hi:[0,1]
	v_cvt_f32_i32_e32 v24, v30
	v_add_f32_e32 v23, v31, v23
	v_add_f32_e32 v22, v22, v23
	;; [unrolled: 1-line block ×4, first 2 shown]
	v_sub_f32_e32 v23, v25, v35
	v_mul_f32_e32 v22, v33, v22
	v_sub_f32_e32 v23, v34, v23
	v_add_f32_e32 v22, v23, v22
	v_add_f32_e32 v26, v25, v22
	v_mul_f32_e32 v28, v26, v26
	v_mov_b32_e32 v23, 0x3ecc95a3
	v_sub_f32_e32 v25, v26, v25
	v_fmac_f32_e32 v23, 0x3e9b6dac, v28
	v_sub_f32_e32 v22, v22, v25
	v_fmaak_f32 v23, v28, v23, 0x3f2aaada
	v_ldexp_f32 v29, v22, 1
	v_mul_f32_e32 v25, v26, v28
	v_mov_b32_e32 v22, 0x3f317218
	v_pk_mul_f32 v[22:23], v[24:25], v[22:23]
	v_ldexp_f32 v27, v26, 1
	v_fma_f32 v25, v24, s26, -v22
	v_fmamk_f32 v26, v24, 0xb102e308, v25
	v_pk_add_f32 v[24:25], v[22:23], v[26:27]
	v_mov_b32_e32 v28, v22
	v_sub_f32_e32 v27, v25, v27
	v_sub_f32_e32 v27, v23, v27
	v_add_f32_e32 v29, v29, v27
	v_pk_add_f32 v[22:23], v[24:25], v[22:23] neg_lo:[0,1] neg_hi:[0,1]
	v_pk_add_f32 v[30:31], v[24:25], v[28:29]
	v_mov_b32_e32 v27, v24
	v_mov_b32_e32 v23, v31
	v_pk_add_f32 v[32:33], v[26:27], v[22:23] neg_lo:[0,1] neg_hi:[0,1]
	v_pk_add_f32 v[22:23], v[26:27], v[22:23]
	v_mov_b32_e32 v28, v29
	v_pk_add_f32 v[26:27], v[22:23], v[24:25] op_sel:[1,0] op_sel_hi:[0,1] neg_lo:[0,1] neg_hi:[0,1]
	v_pk_add_f32 v[34:35], v[30:31], v[26:27] op_sel_hi:[1,0] neg_lo:[0,1] neg_hi:[0,1]
	v_mov_b32_e32 v30, v31
	v_mov_b32_e32 v31, v23
	v_pk_mov_b32 v[26:27], v[24:25], v[26:27] op_sel:[1,0]
	v_mov_b32_e32 v29, v24
	v_pk_add_f32 v[26:27], v[30:31], v[26:27] neg_lo:[0,1] neg_hi:[0,1]
	v_mov_b32_e32 v34, v32
	v_pk_add_f32 v[24:25], v[28:29], v[26:27] neg_lo:[0,1] neg_hi:[0,1]
	v_mov_b32_e32 v33, v23
	v_pk_add_f32 v[26:27], v[34:35], v[24:25]
	v_cmp_neq_f32_e64 s[26:27], s34, v21
	v_pk_add_f32 v[28:29], v[26:27], v[26:27] op_sel:[0,1] op_sel_hi:[1,0]
	s_nop 0
	v_pk_add_f32 v[22:23], v[22:23], v[28:29] op_sel:[1,0] op_sel_hi:[0,1]
	v_mov_b32_e32 v27, v22
	v_pk_add_f32 v[30:31], v[26:27], v[32:33] neg_lo:[0,1] neg_hi:[0,1]
	v_mov_b32_e32 v25, v28
	v_sub_f32_e32 v23, v26, v30
	v_pk_add_f32 v[24:25], v[24:25], v[30:31] neg_lo:[0,1] neg_hi:[0,1]
	v_sub_f32_e32 v23, v32, v23
	v_add_f32_e32 v23, v24, v23
	v_add_f32_e32 v23, v23, v25
	;; [unrolled: 1-line block ×3, first 2 shown]
	v_cndmask_b32_e64 v22, v36, v22, s[26:27]
	s_mov_b32 s26, 0x33800000
	v_cmp_lt_f32_e64 s[26:27], |v21|, s26
	s_nop 1
	v_cndmask_b32_e64 v21, v22, v21, s[26:27]
	v_add_f32_e32 v19, v19, v21
	v_cvt_f16_f32_e32 v21, v19
	v_cvt_f32_f16_e32 v22, v21
.LBB416_232:
	s_or_b64 exec, exec, s[30:31]
	v_cvt_f32_f16_sdwa v19, v18 dst_sel:DWORD dst_unused:UNUSED_PAD src0_sel:WORD_1
	v_max_f32_e32 v24, v22, v22
	v_cmp_u_f16_e64 s[30:31], v21, v21
	v_cmp_u_f16_sdwa s[26:27], v18, v18 src0_sel:WORD_1 src1_sel:WORD_1
	v_min_f32_e32 v23, v24, v19
	v_max_f32_e32 v18, v24, v19
	v_cndmask_b32_e64 v23, v23, v22, s[30:31]
	v_cndmask_b32_e64 v18, v18, v22, s[30:31]
	;; [unrolled: 1-line block ×4, first 2 shown]
	s_movk_i32 s34, 0x1f8
	v_cmp_neq_f32_e64 s[30:31], v23, v18
	v_cmp_class_f32_e64 s[34:35], v23, s34
	s_or_b64 s[30:31], s[30:31], s[34:35]
	s_and_saveexec_b64 s[34:35], s[30:31]
	s_cbranch_execz .LBB416_234
; %bb.233:
	v_sub_f32_e32 v21, v23, v18
	s_mov_b32 s30, 0x3fb8aa3b
	v_mul_f32_e32 v22, 0x3fb8aa3b, v21
	v_fma_f32 v23, v21, s30, -v22
	v_rndne_f32_e32 v24, v22
	v_fmamk_f32 v23, v21, 0x32a5705f, v23
	v_sub_f32_e32 v22, v22, v24
	v_add_f32_e32 v22, v22, v23
	v_exp_f32_e32 v22, v22
	v_cvt_i32_f32_e32 v23, v24
	s_mov_b32 s30, 0xc2ce8ed0
	v_cmp_ngt_f32_e64 s[30:31], s30, v21
	v_mov_b32_e32 v36, 0x7f800000
	v_ldexp_f32 v22, v22, v23
	v_cndmask_b32_e64 v22, 0, v22, s[30:31]
	s_mov_b32 s30, 0x42b17218
	v_cmp_nlt_f32_e64 s[30:31], s30, v21
	s_mov_b32 s36, 0x7f800000
	s_nop 0
	v_cndmask_b32_e64 v21, v36, v22, s[30:31]
	v_add_f32_e32 v24, 1.0, v21
	v_add_f32_e32 v22, -1.0, v24
	v_sub_f32_e32 v23, v22, v24
	v_add_f32_e32 v23, 1.0, v23
	v_sub_f32_e32 v22, v21, v22
	v_add_f32_e32 v25, v22, v23
	v_frexp_mant_f32_e32 v26, v24
	s_mov_b32 s30, 0x3f2aaaab
	v_cvt_f64_f32_e32 v[22:23], v24
	v_frexp_exp_i32_f64_e32 v22, v[22:23]
	v_cmp_gt_f32_e64 s[30:31], s30, v26
	s_nop 1
	v_subbrev_co_u32_e64 v30, s[30:31], 0, v22, s[30:31]
	v_sub_u32_e32 v22, 0, v30
	v_ldexp_f32 v23, v24, v22
	v_add_f32_e32 v24, -1.0, v23
	v_add_f32_e32 v26, 1.0, v23
	v_ldexp_f32 v22, v25, v22
	v_add_f32_e32 v25, 1.0, v24
	v_add_f32_e32 v27, -1.0, v26
	v_sub_f32_e32 v25, v23, v25
	v_sub_f32_e32 v23, v23, v27
	v_add_f32_e32 v25, v22, v25
	v_add_f32_e32 v22, v22, v23
	;; [unrolled: 1-line block ×3, first 2 shown]
	v_rcp_f32_e32 v33, v31
	v_sub_f32_e32 v23, v26, v31
	v_add_f32_e32 v32, v22, v23
	v_add_f32_e32 v23, v24, v25
	v_mul_f32_e32 v35, v23, v33
	v_sub_f32_e32 v22, v24, v23
	v_mul_f32_e32 v24, v31, v35
	v_fma_f32 v26, v35, v31, -v24
	v_fmac_f32_e32 v26, v35, v32
	v_add_f32_e32 v34, v25, v22
	v_add_f32_e32 v22, v24, v26
	v_sub_f32_e32 v25, v23, v22
	v_pk_add_f32 v[28:29], v[22:23], v[24:25] neg_lo:[0,1] neg_hi:[0,1]
	v_mov_b32_e32 v27, v22
	v_pk_add_f32 v[22:23], v[28:29], v[26:27] neg_lo:[0,1] neg_hi:[0,1]
	s_mov_b32 s30, 0x3f317218
	v_add_f32_e32 v23, v34, v23
	v_add_f32_e32 v22, v22, v23
	;; [unrolled: 1-line block ×3, first 2 shown]
	v_mul_f32_e32 v34, v33, v23
	v_mul_f32_e32 v24, v31, v34
	v_fma_f32 v26, v34, v31, -v24
	v_fmac_f32_e32 v26, v34, v32
	v_sub_f32_e32 v25, v25, v23
	v_add_f32_e32 v31, v22, v25
	v_add_f32_e32 v22, v24, v26
	v_sub_f32_e32 v25, v23, v22
	v_pk_add_f32 v[28:29], v[22:23], v[24:25] neg_lo:[0,1] neg_hi:[0,1]
	v_mov_b32_e32 v27, v22
	v_pk_add_f32 v[22:23], v[28:29], v[26:27] neg_lo:[0,1] neg_hi:[0,1]
	v_cvt_f32_i32_e32 v24, v30
	v_add_f32_e32 v23, v31, v23
	v_add_f32_e32 v22, v22, v23
	;; [unrolled: 1-line block ×4, first 2 shown]
	v_sub_f32_e32 v23, v25, v35
	v_mul_f32_e32 v22, v33, v22
	v_sub_f32_e32 v23, v34, v23
	v_add_f32_e32 v22, v23, v22
	v_add_f32_e32 v26, v25, v22
	v_mul_f32_e32 v28, v26, v26
	v_mov_b32_e32 v23, 0x3ecc95a3
	v_sub_f32_e32 v25, v26, v25
	v_fmac_f32_e32 v23, 0x3e9b6dac, v28
	v_sub_f32_e32 v22, v22, v25
	v_fmaak_f32 v23, v28, v23, 0x3f2aaada
	v_ldexp_f32 v29, v22, 1
	v_mul_f32_e32 v25, v26, v28
	v_mov_b32_e32 v22, 0x3f317218
	v_pk_mul_f32 v[22:23], v[24:25], v[22:23]
	v_ldexp_f32 v27, v26, 1
	v_fma_f32 v25, v24, s30, -v22
	v_fmamk_f32 v26, v24, 0xb102e308, v25
	v_pk_add_f32 v[24:25], v[22:23], v[26:27]
	v_mov_b32_e32 v28, v22
	v_sub_f32_e32 v27, v25, v27
	v_sub_f32_e32 v27, v23, v27
	v_add_f32_e32 v29, v29, v27
	v_pk_add_f32 v[22:23], v[24:25], v[22:23] neg_lo:[0,1] neg_hi:[0,1]
	v_pk_add_f32 v[30:31], v[24:25], v[28:29]
	v_mov_b32_e32 v27, v24
	v_mov_b32_e32 v23, v31
	v_pk_add_f32 v[32:33], v[26:27], v[22:23] neg_lo:[0,1] neg_hi:[0,1]
	v_pk_add_f32 v[22:23], v[26:27], v[22:23]
	v_mov_b32_e32 v28, v29
	v_pk_add_f32 v[26:27], v[22:23], v[24:25] op_sel:[1,0] op_sel_hi:[0,1] neg_lo:[0,1] neg_hi:[0,1]
	v_pk_add_f32 v[34:35], v[30:31], v[26:27] op_sel_hi:[1,0] neg_lo:[0,1] neg_hi:[0,1]
	v_mov_b32_e32 v30, v31
	v_mov_b32_e32 v31, v23
	v_pk_mov_b32 v[26:27], v[24:25], v[26:27] op_sel:[1,0]
	v_mov_b32_e32 v29, v24
	v_pk_add_f32 v[26:27], v[30:31], v[26:27] neg_lo:[0,1] neg_hi:[0,1]
	v_mov_b32_e32 v34, v32
	v_pk_add_f32 v[24:25], v[28:29], v[26:27] neg_lo:[0,1] neg_hi:[0,1]
	v_mov_b32_e32 v33, v23
	v_pk_add_f32 v[26:27], v[34:35], v[24:25]
	v_cmp_neq_f32_e64 s[30:31], s36, v21
	v_pk_add_f32 v[28:29], v[26:27], v[26:27] op_sel:[0,1] op_sel_hi:[1,0]
	s_nop 0
	v_pk_add_f32 v[22:23], v[22:23], v[28:29] op_sel:[1,0] op_sel_hi:[0,1]
	v_mov_b32_e32 v27, v22
	v_pk_add_f32 v[30:31], v[26:27], v[32:33] neg_lo:[0,1] neg_hi:[0,1]
	v_mov_b32_e32 v25, v28
	v_sub_f32_e32 v23, v26, v30
	v_pk_add_f32 v[24:25], v[24:25], v[30:31] neg_lo:[0,1] neg_hi:[0,1]
	v_sub_f32_e32 v23, v32, v23
	v_add_f32_e32 v23, v24, v23
	v_add_f32_e32 v23, v23, v25
	;; [unrolled: 1-line block ×3, first 2 shown]
	v_cndmask_b32_e64 v22, v36, v22, s[30:31]
	s_mov_b32 s30, 0x33800000
	v_cmp_lt_f32_e64 s[30:31], |v21|, s30
	s_nop 1
	v_cndmask_b32_e64 v21, v22, v21, s[30:31]
	v_add_f32_e32 v18, v18, v21
	v_cvt_f16_f32_e32 v21, v18
.LBB416_234:
	s_or_b64 exec, exec, s[34:35]
	v_mbcnt_lo_u32_b32 v18, -1, 0
	v_mbcnt_hi_u32_b32 v18, -1, v18
	v_and_b32_e32 v22, 15, v18
	v_and_b32_e32 v23, 0xffff, v21
	v_cmp_ne_u32_e64 s[30:31], 0, v22
	s_nop 0
	v_mov_b32_dpp v24, v23 row_shr:1 row_mask:0xf bank_mask:0xf
	s_and_saveexec_b64 s[36:37], s[30:31]
	s_cbranch_execz .LBB416_238
; %bb.235:
	v_cvt_f32_f16_e32 v25, v24
	v_cvt_f32_f16_e32 v26, v21
	v_cmp_u_f16_e64 s[30:31], v24, v24
	v_cmp_u_f16_e64 s[34:35], v21, v21
	v_min_f32_e32 v23, v25, v26
	v_max_f32_e32 v21, v25, v26
	v_cndmask_b32_e64 v23, v23, v25, s[30:31]
	v_cndmask_b32_e64 v21, v21, v25, s[30:31]
	;; [unrolled: 1-line block ×4, first 2 shown]
	s_movk_i32 s34, 0x1f8
	v_cmp_neq_f32_e64 s[30:31], v23, v21
	v_cmp_class_f32_e64 s[34:35], v23, s34
	s_or_b64 s[30:31], s[30:31], s[34:35]
	s_and_saveexec_b64 s[34:35], s[30:31]
	s_cbranch_execz .LBB416_237
; %bb.236:
	v_sub_f32_e32 v23, v23, v21
	s_mov_b32 s30, 0x3fb8aa3b
	v_mul_f32_e32 v24, 0x3fb8aa3b, v23
	v_fma_f32 v25, v23, s30, -v24
	v_rndne_f32_e32 v26, v24
	v_fmamk_f32 v25, v23, 0x32a5705f, v25
	v_sub_f32_e32 v24, v24, v26
	v_add_f32_e32 v24, v24, v25
	v_exp_f32_e32 v24, v24
	v_cvt_i32_f32_e32 v25, v26
	s_mov_b32 s30, 0xc2ce8ed0
	v_cmp_ngt_f32_e64 s[30:31], s30, v23
	v_mov_b32_e32 v38, 0x7f800000
	v_ldexp_f32 v24, v24, v25
	v_cndmask_b32_e64 v24, 0, v24, s[30:31]
	s_mov_b32 s30, 0x42b17218
	v_cmp_nlt_f32_e64 s[30:31], s30, v23
	s_mov_b32 s38, 0x7f800000
	s_nop 0
	v_cndmask_b32_e64 v23, v38, v24, s[30:31]
	v_add_f32_e32 v26, 1.0, v23
	v_add_f32_e32 v24, -1.0, v26
	v_sub_f32_e32 v25, v24, v26
	v_add_f32_e32 v25, 1.0, v25
	v_sub_f32_e32 v24, v23, v24
	v_add_f32_e32 v27, v24, v25
	v_frexp_mant_f32_e32 v28, v26
	s_mov_b32 s30, 0x3f2aaaab
	v_cvt_f64_f32_e32 v[24:25], v26
	v_frexp_exp_i32_f64_e32 v24, v[24:25]
	v_cmp_gt_f32_e64 s[30:31], s30, v28
	s_nop 1
	v_subbrev_co_u32_e64 v32, s[30:31], 0, v24, s[30:31]
	v_sub_u32_e32 v24, 0, v32
	v_ldexp_f32 v25, v26, v24
	v_add_f32_e32 v26, -1.0, v25
	v_add_f32_e32 v28, 1.0, v25
	v_ldexp_f32 v24, v27, v24
	v_add_f32_e32 v27, 1.0, v26
	v_add_f32_e32 v29, -1.0, v28
	v_sub_f32_e32 v27, v25, v27
	v_sub_f32_e32 v25, v25, v29
	v_add_f32_e32 v27, v24, v27
	v_add_f32_e32 v24, v24, v25
	;; [unrolled: 1-line block ×3, first 2 shown]
	v_rcp_f32_e32 v35, v33
	v_sub_f32_e32 v25, v28, v33
	v_add_f32_e32 v34, v24, v25
	v_add_f32_e32 v25, v26, v27
	v_mul_f32_e32 v37, v25, v35
	v_sub_f32_e32 v24, v26, v25
	v_mul_f32_e32 v26, v33, v37
	v_fma_f32 v28, v37, v33, -v26
	v_fmac_f32_e32 v28, v37, v34
	v_add_f32_e32 v36, v27, v24
	v_add_f32_e32 v24, v26, v28
	v_sub_f32_e32 v27, v25, v24
	v_pk_add_f32 v[30:31], v[24:25], v[26:27] neg_lo:[0,1] neg_hi:[0,1]
	v_mov_b32_e32 v29, v24
	v_pk_add_f32 v[24:25], v[30:31], v[28:29] neg_lo:[0,1] neg_hi:[0,1]
	s_mov_b32 s30, 0x3f317218
	v_add_f32_e32 v25, v36, v25
	v_add_f32_e32 v24, v24, v25
	;; [unrolled: 1-line block ×3, first 2 shown]
	v_mul_f32_e32 v36, v35, v25
	v_mul_f32_e32 v26, v33, v36
	v_fma_f32 v28, v36, v33, -v26
	v_fmac_f32_e32 v28, v36, v34
	v_sub_f32_e32 v27, v27, v25
	v_add_f32_e32 v33, v24, v27
	v_add_f32_e32 v24, v26, v28
	v_sub_f32_e32 v27, v25, v24
	v_pk_add_f32 v[30:31], v[24:25], v[26:27] neg_lo:[0,1] neg_hi:[0,1]
	v_mov_b32_e32 v29, v24
	v_pk_add_f32 v[24:25], v[30:31], v[28:29] neg_lo:[0,1] neg_hi:[0,1]
	v_cvt_f32_i32_e32 v26, v32
	v_add_f32_e32 v25, v33, v25
	v_add_f32_e32 v24, v24, v25
	;; [unrolled: 1-line block ×4, first 2 shown]
	v_sub_f32_e32 v25, v27, v37
	v_mul_f32_e32 v24, v35, v24
	v_sub_f32_e32 v25, v36, v25
	v_add_f32_e32 v24, v25, v24
	v_add_f32_e32 v28, v27, v24
	v_mul_f32_e32 v30, v28, v28
	v_mov_b32_e32 v25, 0x3ecc95a3
	v_sub_f32_e32 v27, v28, v27
	v_fmac_f32_e32 v25, 0x3e9b6dac, v30
	v_sub_f32_e32 v24, v24, v27
	v_fmaak_f32 v25, v30, v25, 0x3f2aaada
	v_ldexp_f32 v31, v24, 1
	v_mul_f32_e32 v27, v28, v30
	v_mov_b32_e32 v24, 0x3f317218
	v_pk_mul_f32 v[24:25], v[26:27], v[24:25]
	v_ldexp_f32 v29, v28, 1
	v_fma_f32 v27, v26, s30, -v24
	v_fmamk_f32 v28, v26, 0xb102e308, v27
	v_pk_add_f32 v[26:27], v[24:25], v[28:29]
	v_mov_b32_e32 v30, v24
	v_sub_f32_e32 v29, v27, v29
	v_sub_f32_e32 v29, v25, v29
	v_add_f32_e32 v31, v31, v29
	v_pk_add_f32 v[24:25], v[26:27], v[24:25] neg_lo:[0,1] neg_hi:[0,1]
	v_pk_add_f32 v[32:33], v[26:27], v[30:31]
	v_mov_b32_e32 v29, v26
	v_mov_b32_e32 v25, v33
	v_pk_add_f32 v[34:35], v[28:29], v[24:25] neg_lo:[0,1] neg_hi:[0,1]
	v_pk_add_f32 v[24:25], v[28:29], v[24:25]
	v_mov_b32_e32 v30, v31
	v_pk_add_f32 v[28:29], v[24:25], v[26:27] op_sel:[1,0] op_sel_hi:[0,1] neg_lo:[0,1] neg_hi:[0,1]
	v_pk_add_f32 v[36:37], v[32:33], v[28:29] op_sel_hi:[1,0] neg_lo:[0,1] neg_hi:[0,1]
	v_mov_b32_e32 v32, v33
	v_mov_b32_e32 v33, v25
	v_pk_mov_b32 v[28:29], v[26:27], v[28:29] op_sel:[1,0]
	v_mov_b32_e32 v31, v26
	v_pk_add_f32 v[28:29], v[32:33], v[28:29] neg_lo:[0,1] neg_hi:[0,1]
	v_mov_b32_e32 v36, v34
	v_pk_add_f32 v[26:27], v[30:31], v[28:29] neg_lo:[0,1] neg_hi:[0,1]
	v_mov_b32_e32 v35, v25
	v_pk_add_f32 v[28:29], v[36:37], v[26:27]
	v_cmp_neq_f32_e64 s[30:31], s38, v23
	v_pk_add_f32 v[30:31], v[28:29], v[28:29] op_sel:[0,1] op_sel_hi:[1,0]
	s_nop 0
	v_pk_add_f32 v[24:25], v[24:25], v[30:31] op_sel:[1,0] op_sel_hi:[0,1]
	v_mov_b32_e32 v29, v24
	v_pk_add_f32 v[32:33], v[28:29], v[34:35] neg_lo:[0,1] neg_hi:[0,1]
	v_mov_b32_e32 v27, v30
	v_sub_f32_e32 v25, v28, v32
	v_pk_add_f32 v[26:27], v[26:27], v[32:33] neg_lo:[0,1] neg_hi:[0,1]
	v_sub_f32_e32 v25, v34, v25
	v_add_f32_e32 v25, v26, v25
	v_add_f32_e32 v25, v25, v27
	;; [unrolled: 1-line block ×3, first 2 shown]
	v_cndmask_b32_e64 v24, v38, v24, s[30:31]
	s_mov_b32 s30, 0x33800000
	v_cmp_lt_f32_e64 s[30:31], |v23|, s30
	s_nop 1
	v_cndmask_b32_e64 v23, v24, v23, s[30:31]
	v_add_f32_e32 v21, v21, v23
	v_cvt_f16_f32_e32 v24, v21
.LBB416_237:
	s_or_b64 exec, exec, s[34:35]
	v_and_b32_e32 v23, 0xffff, v24
	v_mov_b32_e32 v21, v24
.LBB416_238:
	s_or_b64 exec, exec, s[36:37]
	v_mov_b32_dpp v24, v23 row_shr:2 row_mask:0xf bank_mask:0xf
	v_cmp_lt_u32_e64 s[30:31], 1, v22
	s_and_saveexec_b64 s[36:37], s[30:31]
	s_cbranch_execz .LBB416_242
; %bb.239:
	v_cvt_f32_f16_e32 v25, v24
	v_cvt_f32_f16_e32 v26, v21
	v_cmp_u_f16_e64 s[30:31], v24, v24
	v_cmp_u_f16_e64 s[34:35], v21, v21
	v_min_f32_e32 v23, v25, v26
	v_max_f32_e32 v21, v25, v26
	v_cndmask_b32_e64 v23, v23, v25, s[30:31]
	v_cndmask_b32_e64 v21, v21, v25, s[30:31]
	;; [unrolled: 1-line block ×4, first 2 shown]
	s_movk_i32 s34, 0x1f8
	v_cmp_neq_f32_e64 s[30:31], v23, v21
	v_cmp_class_f32_e64 s[34:35], v23, s34
	s_or_b64 s[30:31], s[30:31], s[34:35]
	s_and_saveexec_b64 s[34:35], s[30:31]
	s_cbranch_execz .LBB416_241
; %bb.240:
	v_sub_f32_e32 v23, v23, v21
	s_mov_b32 s30, 0x3fb8aa3b
	v_mul_f32_e32 v24, 0x3fb8aa3b, v23
	v_fma_f32 v25, v23, s30, -v24
	v_rndne_f32_e32 v26, v24
	v_fmamk_f32 v25, v23, 0x32a5705f, v25
	v_sub_f32_e32 v24, v24, v26
	v_add_f32_e32 v24, v24, v25
	v_exp_f32_e32 v24, v24
	v_cvt_i32_f32_e32 v25, v26
	s_mov_b32 s30, 0xc2ce8ed0
	v_cmp_ngt_f32_e64 s[30:31], s30, v23
	v_mov_b32_e32 v38, 0x7f800000
	v_ldexp_f32 v24, v24, v25
	v_cndmask_b32_e64 v24, 0, v24, s[30:31]
	s_mov_b32 s30, 0x42b17218
	v_cmp_nlt_f32_e64 s[30:31], s30, v23
	s_mov_b32 s38, 0x7f800000
	s_nop 0
	v_cndmask_b32_e64 v23, v38, v24, s[30:31]
	v_add_f32_e32 v26, 1.0, v23
	v_add_f32_e32 v24, -1.0, v26
	v_sub_f32_e32 v25, v24, v26
	v_add_f32_e32 v25, 1.0, v25
	v_sub_f32_e32 v24, v23, v24
	v_add_f32_e32 v27, v24, v25
	v_frexp_mant_f32_e32 v28, v26
	s_mov_b32 s30, 0x3f2aaaab
	v_cvt_f64_f32_e32 v[24:25], v26
	v_frexp_exp_i32_f64_e32 v24, v[24:25]
	v_cmp_gt_f32_e64 s[30:31], s30, v28
	s_nop 1
	v_subbrev_co_u32_e64 v32, s[30:31], 0, v24, s[30:31]
	v_sub_u32_e32 v24, 0, v32
	v_ldexp_f32 v25, v26, v24
	v_add_f32_e32 v26, -1.0, v25
	v_add_f32_e32 v28, 1.0, v25
	v_ldexp_f32 v24, v27, v24
	v_add_f32_e32 v27, 1.0, v26
	v_add_f32_e32 v29, -1.0, v28
	v_sub_f32_e32 v27, v25, v27
	v_sub_f32_e32 v25, v25, v29
	v_add_f32_e32 v27, v24, v27
	v_add_f32_e32 v24, v24, v25
	v_add_f32_e32 v33, v28, v24
	v_rcp_f32_e32 v35, v33
	v_sub_f32_e32 v25, v28, v33
	v_add_f32_e32 v34, v24, v25
	v_add_f32_e32 v25, v26, v27
	v_mul_f32_e32 v37, v25, v35
	v_sub_f32_e32 v24, v26, v25
	v_mul_f32_e32 v26, v33, v37
	v_fma_f32 v28, v37, v33, -v26
	v_fmac_f32_e32 v28, v37, v34
	v_add_f32_e32 v36, v27, v24
	v_add_f32_e32 v24, v26, v28
	v_sub_f32_e32 v27, v25, v24
	v_pk_add_f32 v[30:31], v[24:25], v[26:27] neg_lo:[0,1] neg_hi:[0,1]
	v_mov_b32_e32 v29, v24
	v_pk_add_f32 v[24:25], v[30:31], v[28:29] neg_lo:[0,1] neg_hi:[0,1]
	s_mov_b32 s30, 0x3f317218
	v_add_f32_e32 v25, v36, v25
	v_add_f32_e32 v24, v24, v25
	;; [unrolled: 1-line block ×3, first 2 shown]
	v_mul_f32_e32 v36, v35, v25
	v_mul_f32_e32 v26, v33, v36
	v_fma_f32 v28, v36, v33, -v26
	v_fmac_f32_e32 v28, v36, v34
	v_sub_f32_e32 v27, v27, v25
	v_add_f32_e32 v33, v24, v27
	v_add_f32_e32 v24, v26, v28
	v_sub_f32_e32 v27, v25, v24
	v_pk_add_f32 v[30:31], v[24:25], v[26:27] neg_lo:[0,1] neg_hi:[0,1]
	v_mov_b32_e32 v29, v24
	v_pk_add_f32 v[24:25], v[30:31], v[28:29] neg_lo:[0,1] neg_hi:[0,1]
	v_cvt_f32_i32_e32 v26, v32
	v_add_f32_e32 v25, v33, v25
	v_add_f32_e32 v24, v24, v25
	;; [unrolled: 1-line block ×4, first 2 shown]
	v_sub_f32_e32 v25, v27, v37
	v_mul_f32_e32 v24, v35, v24
	v_sub_f32_e32 v25, v36, v25
	v_add_f32_e32 v24, v25, v24
	v_add_f32_e32 v28, v27, v24
	v_mul_f32_e32 v30, v28, v28
	v_mov_b32_e32 v25, 0x3ecc95a3
	v_sub_f32_e32 v27, v28, v27
	v_fmac_f32_e32 v25, 0x3e9b6dac, v30
	v_sub_f32_e32 v24, v24, v27
	v_fmaak_f32 v25, v30, v25, 0x3f2aaada
	v_ldexp_f32 v31, v24, 1
	v_mul_f32_e32 v27, v28, v30
	v_mov_b32_e32 v24, 0x3f317218
	v_pk_mul_f32 v[24:25], v[26:27], v[24:25]
	v_ldexp_f32 v29, v28, 1
	v_fma_f32 v27, v26, s30, -v24
	v_fmamk_f32 v28, v26, 0xb102e308, v27
	v_pk_add_f32 v[26:27], v[24:25], v[28:29]
	v_mov_b32_e32 v30, v24
	v_sub_f32_e32 v29, v27, v29
	v_sub_f32_e32 v29, v25, v29
	v_add_f32_e32 v31, v31, v29
	v_pk_add_f32 v[24:25], v[26:27], v[24:25] neg_lo:[0,1] neg_hi:[0,1]
	v_pk_add_f32 v[32:33], v[26:27], v[30:31]
	v_mov_b32_e32 v29, v26
	v_mov_b32_e32 v25, v33
	v_pk_add_f32 v[34:35], v[28:29], v[24:25] neg_lo:[0,1] neg_hi:[0,1]
	v_pk_add_f32 v[24:25], v[28:29], v[24:25]
	v_mov_b32_e32 v30, v31
	v_pk_add_f32 v[28:29], v[24:25], v[26:27] op_sel:[1,0] op_sel_hi:[0,1] neg_lo:[0,1] neg_hi:[0,1]
	v_pk_add_f32 v[36:37], v[32:33], v[28:29] op_sel_hi:[1,0] neg_lo:[0,1] neg_hi:[0,1]
	v_mov_b32_e32 v32, v33
	v_mov_b32_e32 v33, v25
	v_pk_mov_b32 v[28:29], v[26:27], v[28:29] op_sel:[1,0]
	v_mov_b32_e32 v31, v26
	v_pk_add_f32 v[28:29], v[32:33], v[28:29] neg_lo:[0,1] neg_hi:[0,1]
	v_mov_b32_e32 v36, v34
	v_pk_add_f32 v[26:27], v[30:31], v[28:29] neg_lo:[0,1] neg_hi:[0,1]
	v_mov_b32_e32 v35, v25
	v_pk_add_f32 v[28:29], v[36:37], v[26:27]
	v_cmp_neq_f32_e64 s[30:31], s38, v23
	v_pk_add_f32 v[30:31], v[28:29], v[28:29] op_sel:[0,1] op_sel_hi:[1,0]
	s_nop 0
	v_pk_add_f32 v[24:25], v[24:25], v[30:31] op_sel:[1,0] op_sel_hi:[0,1]
	v_mov_b32_e32 v29, v24
	v_pk_add_f32 v[32:33], v[28:29], v[34:35] neg_lo:[0,1] neg_hi:[0,1]
	v_mov_b32_e32 v27, v30
	v_sub_f32_e32 v25, v28, v32
	v_pk_add_f32 v[26:27], v[26:27], v[32:33] neg_lo:[0,1] neg_hi:[0,1]
	v_sub_f32_e32 v25, v34, v25
	v_add_f32_e32 v25, v26, v25
	v_add_f32_e32 v25, v25, v27
	;; [unrolled: 1-line block ×3, first 2 shown]
	v_cndmask_b32_e64 v24, v38, v24, s[30:31]
	s_mov_b32 s30, 0x33800000
	v_cmp_lt_f32_e64 s[30:31], |v23|, s30
	s_nop 1
	v_cndmask_b32_e64 v23, v24, v23, s[30:31]
	v_add_f32_e32 v21, v21, v23
	v_cvt_f16_f32_e32 v24, v21
.LBB416_241:
	s_or_b64 exec, exec, s[34:35]
	v_and_b32_e32 v23, 0xffff, v24
	v_mov_b32_e32 v21, v24
.LBB416_242:
	s_or_b64 exec, exec, s[36:37]
	v_mov_b32_dpp v24, v23 row_shr:4 row_mask:0xf bank_mask:0xf
	v_cmp_lt_u32_e64 s[30:31], 3, v22
	s_and_saveexec_b64 s[36:37], s[30:31]
	s_cbranch_execz .LBB416_246
; %bb.243:
	v_cvt_f32_f16_e32 v25, v24
	v_cvt_f32_f16_e32 v26, v21
	v_cmp_u_f16_e64 s[30:31], v24, v24
	v_cmp_u_f16_e64 s[34:35], v21, v21
	v_min_f32_e32 v23, v25, v26
	v_max_f32_e32 v21, v25, v26
	v_cndmask_b32_e64 v23, v23, v25, s[30:31]
	v_cndmask_b32_e64 v21, v21, v25, s[30:31]
	;; [unrolled: 1-line block ×4, first 2 shown]
	s_movk_i32 s34, 0x1f8
	v_cmp_neq_f32_e64 s[30:31], v23, v21
	v_cmp_class_f32_e64 s[34:35], v23, s34
	s_or_b64 s[30:31], s[30:31], s[34:35]
	s_and_saveexec_b64 s[34:35], s[30:31]
	s_cbranch_execz .LBB416_245
; %bb.244:
	v_sub_f32_e32 v23, v23, v21
	s_mov_b32 s30, 0x3fb8aa3b
	v_mul_f32_e32 v24, 0x3fb8aa3b, v23
	v_fma_f32 v25, v23, s30, -v24
	v_rndne_f32_e32 v26, v24
	v_fmamk_f32 v25, v23, 0x32a5705f, v25
	v_sub_f32_e32 v24, v24, v26
	v_add_f32_e32 v24, v24, v25
	v_exp_f32_e32 v24, v24
	v_cvt_i32_f32_e32 v25, v26
	s_mov_b32 s30, 0xc2ce8ed0
	v_cmp_ngt_f32_e64 s[30:31], s30, v23
	v_mov_b32_e32 v38, 0x7f800000
	v_ldexp_f32 v24, v24, v25
	v_cndmask_b32_e64 v24, 0, v24, s[30:31]
	s_mov_b32 s30, 0x42b17218
	v_cmp_nlt_f32_e64 s[30:31], s30, v23
	s_mov_b32 s38, 0x7f800000
	s_nop 0
	v_cndmask_b32_e64 v23, v38, v24, s[30:31]
	v_add_f32_e32 v26, 1.0, v23
	v_add_f32_e32 v24, -1.0, v26
	v_sub_f32_e32 v25, v24, v26
	v_add_f32_e32 v25, 1.0, v25
	v_sub_f32_e32 v24, v23, v24
	v_add_f32_e32 v27, v24, v25
	v_frexp_mant_f32_e32 v28, v26
	s_mov_b32 s30, 0x3f2aaaab
	v_cvt_f64_f32_e32 v[24:25], v26
	v_frexp_exp_i32_f64_e32 v24, v[24:25]
	v_cmp_gt_f32_e64 s[30:31], s30, v28
	s_nop 1
	v_subbrev_co_u32_e64 v32, s[30:31], 0, v24, s[30:31]
	v_sub_u32_e32 v24, 0, v32
	v_ldexp_f32 v25, v26, v24
	v_add_f32_e32 v26, -1.0, v25
	v_add_f32_e32 v28, 1.0, v25
	v_ldexp_f32 v24, v27, v24
	v_add_f32_e32 v27, 1.0, v26
	v_add_f32_e32 v29, -1.0, v28
	v_sub_f32_e32 v27, v25, v27
	v_sub_f32_e32 v25, v25, v29
	v_add_f32_e32 v27, v24, v27
	v_add_f32_e32 v24, v24, v25
	;; [unrolled: 1-line block ×3, first 2 shown]
	v_rcp_f32_e32 v35, v33
	v_sub_f32_e32 v25, v28, v33
	v_add_f32_e32 v34, v24, v25
	v_add_f32_e32 v25, v26, v27
	v_mul_f32_e32 v37, v25, v35
	v_sub_f32_e32 v24, v26, v25
	v_mul_f32_e32 v26, v33, v37
	v_fma_f32 v28, v37, v33, -v26
	v_fmac_f32_e32 v28, v37, v34
	v_add_f32_e32 v36, v27, v24
	v_add_f32_e32 v24, v26, v28
	v_sub_f32_e32 v27, v25, v24
	v_pk_add_f32 v[30:31], v[24:25], v[26:27] neg_lo:[0,1] neg_hi:[0,1]
	v_mov_b32_e32 v29, v24
	v_pk_add_f32 v[24:25], v[30:31], v[28:29] neg_lo:[0,1] neg_hi:[0,1]
	s_mov_b32 s30, 0x3f317218
	v_add_f32_e32 v25, v36, v25
	v_add_f32_e32 v24, v24, v25
	;; [unrolled: 1-line block ×3, first 2 shown]
	v_mul_f32_e32 v36, v35, v25
	v_mul_f32_e32 v26, v33, v36
	v_fma_f32 v28, v36, v33, -v26
	v_fmac_f32_e32 v28, v36, v34
	v_sub_f32_e32 v27, v27, v25
	v_add_f32_e32 v33, v24, v27
	v_add_f32_e32 v24, v26, v28
	v_sub_f32_e32 v27, v25, v24
	v_pk_add_f32 v[30:31], v[24:25], v[26:27] neg_lo:[0,1] neg_hi:[0,1]
	v_mov_b32_e32 v29, v24
	v_pk_add_f32 v[24:25], v[30:31], v[28:29] neg_lo:[0,1] neg_hi:[0,1]
	v_cvt_f32_i32_e32 v26, v32
	v_add_f32_e32 v25, v33, v25
	v_add_f32_e32 v24, v24, v25
	;; [unrolled: 1-line block ×4, first 2 shown]
	v_sub_f32_e32 v25, v27, v37
	v_mul_f32_e32 v24, v35, v24
	v_sub_f32_e32 v25, v36, v25
	v_add_f32_e32 v24, v25, v24
	v_add_f32_e32 v28, v27, v24
	v_mul_f32_e32 v30, v28, v28
	v_mov_b32_e32 v25, 0x3ecc95a3
	v_sub_f32_e32 v27, v28, v27
	v_fmac_f32_e32 v25, 0x3e9b6dac, v30
	v_sub_f32_e32 v24, v24, v27
	v_fmaak_f32 v25, v30, v25, 0x3f2aaada
	v_ldexp_f32 v31, v24, 1
	v_mul_f32_e32 v27, v28, v30
	v_mov_b32_e32 v24, 0x3f317218
	v_pk_mul_f32 v[24:25], v[26:27], v[24:25]
	v_ldexp_f32 v29, v28, 1
	v_fma_f32 v27, v26, s30, -v24
	v_fmamk_f32 v28, v26, 0xb102e308, v27
	v_pk_add_f32 v[26:27], v[24:25], v[28:29]
	v_mov_b32_e32 v30, v24
	v_sub_f32_e32 v29, v27, v29
	v_sub_f32_e32 v29, v25, v29
	v_add_f32_e32 v31, v31, v29
	v_pk_add_f32 v[24:25], v[26:27], v[24:25] neg_lo:[0,1] neg_hi:[0,1]
	v_pk_add_f32 v[32:33], v[26:27], v[30:31]
	v_mov_b32_e32 v29, v26
	v_mov_b32_e32 v25, v33
	v_pk_add_f32 v[34:35], v[28:29], v[24:25] neg_lo:[0,1] neg_hi:[0,1]
	v_pk_add_f32 v[24:25], v[28:29], v[24:25]
	v_mov_b32_e32 v30, v31
	v_pk_add_f32 v[28:29], v[24:25], v[26:27] op_sel:[1,0] op_sel_hi:[0,1] neg_lo:[0,1] neg_hi:[0,1]
	v_pk_add_f32 v[36:37], v[32:33], v[28:29] op_sel_hi:[1,0] neg_lo:[0,1] neg_hi:[0,1]
	v_mov_b32_e32 v32, v33
	v_mov_b32_e32 v33, v25
	v_pk_mov_b32 v[28:29], v[26:27], v[28:29] op_sel:[1,0]
	v_mov_b32_e32 v31, v26
	v_pk_add_f32 v[28:29], v[32:33], v[28:29] neg_lo:[0,1] neg_hi:[0,1]
	v_mov_b32_e32 v36, v34
	v_pk_add_f32 v[26:27], v[30:31], v[28:29] neg_lo:[0,1] neg_hi:[0,1]
	v_mov_b32_e32 v35, v25
	v_pk_add_f32 v[28:29], v[36:37], v[26:27]
	v_cmp_neq_f32_e64 s[30:31], s38, v23
	v_pk_add_f32 v[30:31], v[28:29], v[28:29] op_sel:[0,1] op_sel_hi:[1,0]
	s_nop 0
	v_pk_add_f32 v[24:25], v[24:25], v[30:31] op_sel:[1,0] op_sel_hi:[0,1]
	v_mov_b32_e32 v29, v24
	v_pk_add_f32 v[32:33], v[28:29], v[34:35] neg_lo:[0,1] neg_hi:[0,1]
	v_mov_b32_e32 v27, v30
	v_sub_f32_e32 v25, v28, v32
	v_pk_add_f32 v[26:27], v[26:27], v[32:33] neg_lo:[0,1] neg_hi:[0,1]
	v_sub_f32_e32 v25, v34, v25
	v_add_f32_e32 v25, v26, v25
	v_add_f32_e32 v25, v25, v27
	;; [unrolled: 1-line block ×3, first 2 shown]
	v_cndmask_b32_e64 v24, v38, v24, s[30:31]
	s_mov_b32 s30, 0x33800000
	v_cmp_lt_f32_e64 s[30:31], |v23|, s30
	s_nop 1
	v_cndmask_b32_e64 v23, v24, v23, s[30:31]
	v_add_f32_e32 v21, v21, v23
	v_cvt_f16_f32_e32 v24, v21
.LBB416_245:
	s_or_b64 exec, exec, s[34:35]
	v_and_b32_e32 v23, 0xffff, v24
	v_mov_b32_e32 v21, v24
.LBB416_246:
	s_or_b64 exec, exec, s[36:37]
	v_mov_b32_dpp v24, v23 row_shr:8 row_mask:0xf bank_mask:0xf
	v_cmp_lt_u32_e64 s[30:31], 7, v22
	s_and_saveexec_b64 s[36:37], s[30:31]
	s_cbranch_execz .LBB416_250
; %bb.247:
	v_cvt_f32_f16_e32 v23, v24
	v_cvt_f32_f16_e32 v25, v21
	v_cmp_u_f16_e64 s[30:31], v24, v24
	v_cmp_u_f16_e64 s[34:35], v21, v21
	v_min_f32_e32 v22, v23, v25
	v_max_f32_e32 v21, v23, v25
	v_cndmask_b32_e64 v22, v22, v23, s[30:31]
	v_cndmask_b32_e64 v21, v21, v23, s[30:31]
	;; [unrolled: 1-line block ×4, first 2 shown]
	s_movk_i32 s34, 0x1f8
	v_cmp_neq_f32_e64 s[30:31], v22, v21
	v_cmp_class_f32_e64 s[34:35], v22, s34
	s_or_b64 s[30:31], s[30:31], s[34:35]
	s_and_saveexec_b64 s[34:35], s[30:31]
	s_cbranch_execz .LBB416_249
; %bb.248:
	v_sub_f32_e32 v22, v22, v21
	s_mov_b32 s30, 0x3fb8aa3b
	v_mul_f32_e32 v23, 0x3fb8aa3b, v22
	v_fma_f32 v24, v22, s30, -v23
	v_rndne_f32_e32 v25, v23
	v_fmamk_f32 v24, v22, 0x32a5705f, v24
	v_sub_f32_e32 v23, v23, v25
	v_add_f32_e32 v23, v23, v24
	v_exp_f32_e32 v23, v23
	v_cvt_i32_f32_e32 v24, v25
	s_mov_b32 s30, 0xc2ce8ed0
	v_cmp_ngt_f32_e64 s[30:31], s30, v22
	v_mov_b32_e32 v36, 0x7f800000
	v_ldexp_f32 v23, v23, v24
	v_cndmask_b32_e64 v23, 0, v23, s[30:31]
	s_mov_b32 s30, 0x42b17218
	v_cmp_nlt_f32_e64 s[30:31], s30, v22
	s_mov_b32 s38, 0x7f800000
	s_nop 0
	v_cndmask_b32_e64 v37, v36, v23, s[30:31]
	v_add_f32_e32 v24, 1.0, v37
	v_add_f32_e32 v22, -1.0, v24
	v_sub_f32_e32 v23, v22, v24
	v_add_f32_e32 v23, 1.0, v23
	v_sub_f32_e32 v22, v37, v22
	v_add_f32_e32 v25, v22, v23
	v_frexp_mant_f32_e32 v26, v24
	s_mov_b32 s30, 0x3f2aaaab
	v_cvt_f64_f32_e32 v[22:23], v24
	v_frexp_exp_i32_f64_e32 v22, v[22:23]
	v_cmp_gt_f32_e64 s[30:31], s30, v26
	s_nop 1
	v_subbrev_co_u32_e64 v30, s[30:31], 0, v22, s[30:31]
	v_sub_u32_e32 v22, 0, v30
	v_ldexp_f32 v23, v24, v22
	v_add_f32_e32 v24, -1.0, v23
	v_add_f32_e32 v26, 1.0, v23
	v_ldexp_f32 v22, v25, v22
	v_add_f32_e32 v25, 1.0, v24
	v_add_f32_e32 v27, -1.0, v26
	v_sub_f32_e32 v25, v23, v25
	v_sub_f32_e32 v23, v23, v27
	v_add_f32_e32 v25, v22, v25
	v_add_f32_e32 v22, v22, v23
	v_add_f32_e32 v31, v26, v22
	v_rcp_f32_e32 v33, v31
	v_sub_f32_e32 v23, v26, v31
	v_add_f32_e32 v32, v22, v23
	v_add_f32_e32 v23, v24, v25
	v_mul_f32_e32 v35, v23, v33
	v_sub_f32_e32 v22, v24, v23
	v_mul_f32_e32 v24, v31, v35
	v_fma_f32 v26, v35, v31, -v24
	v_fmac_f32_e32 v26, v35, v32
	v_add_f32_e32 v34, v25, v22
	v_add_f32_e32 v22, v24, v26
	v_sub_f32_e32 v25, v23, v22
	v_pk_add_f32 v[28:29], v[22:23], v[24:25] neg_lo:[0,1] neg_hi:[0,1]
	v_mov_b32_e32 v27, v22
	v_pk_add_f32 v[22:23], v[28:29], v[26:27] neg_lo:[0,1] neg_hi:[0,1]
	s_mov_b32 s30, 0x3f317218
	v_add_f32_e32 v23, v34, v23
	v_add_f32_e32 v22, v22, v23
	;; [unrolled: 1-line block ×3, first 2 shown]
	v_mul_f32_e32 v34, v33, v23
	v_mul_f32_e32 v24, v31, v34
	v_fma_f32 v26, v34, v31, -v24
	v_fmac_f32_e32 v26, v34, v32
	v_sub_f32_e32 v25, v25, v23
	v_add_f32_e32 v31, v22, v25
	v_add_f32_e32 v22, v24, v26
	v_sub_f32_e32 v25, v23, v22
	v_pk_add_f32 v[28:29], v[22:23], v[24:25] neg_lo:[0,1] neg_hi:[0,1]
	v_mov_b32_e32 v27, v22
	v_pk_add_f32 v[22:23], v[28:29], v[26:27] neg_lo:[0,1] neg_hi:[0,1]
	v_cvt_f32_i32_e32 v24, v30
	v_add_f32_e32 v23, v31, v23
	v_add_f32_e32 v22, v22, v23
	;; [unrolled: 1-line block ×4, first 2 shown]
	v_sub_f32_e32 v23, v25, v35
	v_mul_f32_e32 v22, v33, v22
	v_sub_f32_e32 v23, v34, v23
	v_add_f32_e32 v22, v23, v22
	v_add_f32_e32 v26, v25, v22
	v_mul_f32_e32 v28, v26, v26
	v_mov_b32_e32 v23, 0x3ecc95a3
	v_sub_f32_e32 v25, v26, v25
	v_fmac_f32_e32 v23, 0x3e9b6dac, v28
	v_sub_f32_e32 v22, v22, v25
	v_fmaak_f32 v23, v28, v23, 0x3f2aaada
	v_ldexp_f32 v29, v22, 1
	v_mul_f32_e32 v25, v26, v28
	v_mov_b32_e32 v22, 0x3f317218
	v_pk_mul_f32 v[22:23], v[24:25], v[22:23]
	v_ldexp_f32 v27, v26, 1
	v_fma_f32 v25, v24, s30, -v22
	v_fmamk_f32 v26, v24, 0xb102e308, v25
	v_pk_add_f32 v[24:25], v[22:23], v[26:27]
	v_mov_b32_e32 v28, v22
	v_sub_f32_e32 v27, v25, v27
	v_sub_f32_e32 v27, v23, v27
	v_add_f32_e32 v29, v29, v27
	v_pk_add_f32 v[22:23], v[24:25], v[22:23] neg_lo:[0,1] neg_hi:[0,1]
	v_pk_add_f32 v[30:31], v[24:25], v[28:29]
	v_mov_b32_e32 v27, v24
	v_mov_b32_e32 v23, v31
	v_pk_add_f32 v[32:33], v[26:27], v[22:23] neg_lo:[0,1] neg_hi:[0,1]
	v_pk_add_f32 v[22:23], v[26:27], v[22:23]
	v_mov_b32_e32 v28, v29
	v_pk_add_f32 v[26:27], v[22:23], v[24:25] op_sel:[1,0] op_sel_hi:[0,1] neg_lo:[0,1] neg_hi:[0,1]
	v_pk_add_f32 v[34:35], v[30:31], v[26:27] op_sel_hi:[1,0] neg_lo:[0,1] neg_hi:[0,1]
	v_mov_b32_e32 v30, v31
	v_mov_b32_e32 v31, v23
	v_pk_mov_b32 v[26:27], v[24:25], v[26:27] op_sel:[1,0]
	v_mov_b32_e32 v29, v24
	v_pk_add_f32 v[26:27], v[30:31], v[26:27] neg_lo:[0,1] neg_hi:[0,1]
	v_mov_b32_e32 v34, v32
	v_pk_add_f32 v[24:25], v[28:29], v[26:27] neg_lo:[0,1] neg_hi:[0,1]
	v_mov_b32_e32 v33, v23
	v_pk_add_f32 v[26:27], v[34:35], v[24:25]
	v_cmp_neq_f32_e64 s[30:31], s38, v37
	v_pk_add_f32 v[28:29], v[26:27], v[26:27] op_sel:[0,1] op_sel_hi:[1,0]
	s_nop 0
	v_pk_add_f32 v[22:23], v[22:23], v[28:29] op_sel:[1,0] op_sel_hi:[0,1]
	v_mov_b32_e32 v27, v22
	v_pk_add_f32 v[30:31], v[26:27], v[32:33] neg_lo:[0,1] neg_hi:[0,1]
	v_mov_b32_e32 v25, v28
	v_sub_f32_e32 v23, v26, v30
	v_pk_add_f32 v[24:25], v[24:25], v[30:31] neg_lo:[0,1] neg_hi:[0,1]
	v_sub_f32_e32 v23, v32, v23
	v_add_f32_e32 v23, v24, v23
	v_add_f32_e32 v23, v23, v25
	v_add_f32_e32 v22, v22, v23
	v_cndmask_b32_e64 v22, v36, v22, s[30:31]
	s_mov_b32 s30, 0x33800000
	v_cmp_lt_f32_e64 s[30:31], |v37|, s30
	s_nop 1
	v_cndmask_b32_e64 v22, v22, v37, s[30:31]
	v_add_f32_e32 v21, v21, v22
	v_cvt_f16_f32_e32 v24, v21
.LBB416_249:
	s_or_b64 exec, exec, s[34:35]
	v_and_b32_e32 v23, 0xffff, v24
	v_mov_b32_e32 v21, v24
.LBB416_250:
	s_or_b64 exec, exec, s[36:37]
	v_and_b32_e32 v24, 16, v18
	v_mov_b32_dpp v22, v23 row_bcast:15 row_mask:0xf bank_mask:0xf
	v_cmp_ne_u32_e64 s[30:31], 0, v24
	s_and_saveexec_b64 s[36:37], s[30:31]
	s_cbranch_execz .LBB416_254
; %bb.251:
	v_cvt_f32_f16_e32 v24, v22
	v_cvt_f32_f16_e32 v25, v21
	v_cmp_u_f16_e64 s[30:31], v22, v22
	v_cmp_u_f16_e64 s[34:35], v21, v21
	v_min_f32_e32 v23, v24, v25
	v_max_f32_e32 v21, v24, v25
	v_cndmask_b32_e64 v23, v23, v24, s[30:31]
	v_cndmask_b32_e64 v21, v21, v24, s[30:31]
	;; [unrolled: 1-line block ×4, first 2 shown]
	s_movk_i32 s34, 0x1f8
	v_cmp_neq_f32_e64 s[30:31], v23, v21
	v_cmp_class_f32_e64 s[34:35], v23, s34
	s_or_b64 s[30:31], s[30:31], s[34:35]
	s_and_saveexec_b64 s[34:35], s[30:31]
	s_cbranch_execz .LBB416_253
; %bb.252:
	v_sub_f32_e32 v22, v23, v21
	s_mov_b32 s30, 0x3fb8aa3b
	v_mul_f32_e32 v23, 0x3fb8aa3b, v22
	v_fma_f32 v24, v22, s30, -v23
	v_rndne_f32_e32 v25, v23
	v_fmamk_f32 v24, v22, 0x32a5705f, v24
	v_sub_f32_e32 v23, v23, v25
	v_add_f32_e32 v23, v23, v24
	v_exp_f32_e32 v23, v23
	v_cvt_i32_f32_e32 v24, v25
	s_mov_b32 s30, 0xc2ce8ed0
	v_cmp_ngt_f32_e64 s[30:31], s30, v22
	v_mov_b32_e32 v36, 0x7f800000
	v_ldexp_f32 v23, v23, v24
	v_cndmask_b32_e64 v23, 0, v23, s[30:31]
	s_mov_b32 s30, 0x42b17218
	v_cmp_nlt_f32_e64 s[30:31], s30, v22
	s_mov_b32 s38, 0x7f800000
	s_nop 0
	v_cndmask_b32_e64 v37, v36, v23, s[30:31]
	v_add_f32_e32 v24, 1.0, v37
	v_add_f32_e32 v22, -1.0, v24
	v_sub_f32_e32 v23, v22, v24
	v_add_f32_e32 v23, 1.0, v23
	v_sub_f32_e32 v22, v37, v22
	v_add_f32_e32 v25, v22, v23
	v_frexp_mant_f32_e32 v26, v24
	s_mov_b32 s30, 0x3f2aaaab
	v_cvt_f64_f32_e32 v[22:23], v24
	v_frexp_exp_i32_f64_e32 v22, v[22:23]
	v_cmp_gt_f32_e64 s[30:31], s30, v26
	s_nop 1
	v_subbrev_co_u32_e64 v30, s[30:31], 0, v22, s[30:31]
	v_sub_u32_e32 v22, 0, v30
	v_ldexp_f32 v23, v24, v22
	v_add_f32_e32 v24, -1.0, v23
	v_add_f32_e32 v26, 1.0, v23
	v_ldexp_f32 v22, v25, v22
	v_add_f32_e32 v25, 1.0, v24
	v_add_f32_e32 v27, -1.0, v26
	v_sub_f32_e32 v25, v23, v25
	v_sub_f32_e32 v23, v23, v27
	v_add_f32_e32 v25, v22, v25
	v_add_f32_e32 v22, v22, v23
	;; [unrolled: 1-line block ×3, first 2 shown]
	v_rcp_f32_e32 v33, v31
	v_sub_f32_e32 v23, v26, v31
	v_add_f32_e32 v32, v22, v23
	v_add_f32_e32 v23, v24, v25
	v_mul_f32_e32 v35, v23, v33
	v_sub_f32_e32 v22, v24, v23
	v_mul_f32_e32 v24, v31, v35
	v_fma_f32 v26, v35, v31, -v24
	v_fmac_f32_e32 v26, v35, v32
	v_add_f32_e32 v34, v25, v22
	v_add_f32_e32 v22, v24, v26
	v_sub_f32_e32 v25, v23, v22
	v_pk_add_f32 v[28:29], v[22:23], v[24:25] neg_lo:[0,1] neg_hi:[0,1]
	v_mov_b32_e32 v27, v22
	v_pk_add_f32 v[22:23], v[28:29], v[26:27] neg_lo:[0,1] neg_hi:[0,1]
	s_mov_b32 s30, 0x3f317218
	v_add_f32_e32 v23, v34, v23
	v_add_f32_e32 v22, v22, v23
	;; [unrolled: 1-line block ×3, first 2 shown]
	v_mul_f32_e32 v34, v33, v23
	v_mul_f32_e32 v24, v31, v34
	v_fma_f32 v26, v34, v31, -v24
	v_fmac_f32_e32 v26, v34, v32
	v_sub_f32_e32 v25, v25, v23
	v_add_f32_e32 v31, v22, v25
	v_add_f32_e32 v22, v24, v26
	v_sub_f32_e32 v25, v23, v22
	v_pk_add_f32 v[28:29], v[22:23], v[24:25] neg_lo:[0,1] neg_hi:[0,1]
	v_mov_b32_e32 v27, v22
	v_pk_add_f32 v[22:23], v[28:29], v[26:27] neg_lo:[0,1] neg_hi:[0,1]
	v_cvt_f32_i32_e32 v24, v30
	v_add_f32_e32 v23, v31, v23
	v_add_f32_e32 v22, v22, v23
	v_add_f32_e32 v22, v25, v22
	v_add_f32_e32 v25, v35, v34
	v_sub_f32_e32 v23, v25, v35
	v_mul_f32_e32 v22, v33, v22
	v_sub_f32_e32 v23, v34, v23
	v_add_f32_e32 v22, v23, v22
	v_add_f32_e32 v26, v25, v22
	v_mul_f32_e32 v28, v26, v26
	v_mov_b32_e32 v23, 0x3ecc95a3
	v_sub_f32_e32 v25, v26, v25
	v_fmac_f32_e32 v23, 0x3e9b6dac, v28
	v_sub_f32_e32 v22, v22, v25
	v_fmaak_f32 v23, v28, v23, 0x3f2aaada
	v_ldexp_f32 v29, v22, 1
	v_mul_f32_e32 v25, v26, v28
	v_mov_b32_e32 v22, 0x3f317218
	v_pk_mul_f32 v[22:23], v[24:25], v[22:23]
	v_ldexp_f32 v27, v26, 1
	v_fma_f32 v25, v24, s30, -v22
	v_fmamk_f32 v26, v24, 0xb102e308, v25
	v_pk_add_f32 v[24:25], v[22:23], v[26:27]
	v_mov_b32_e32 v28, v22
	v_sub_f32_e32 v27, v25, v27
	v_sub_f32_e32 v27, v23, v27
	v_add_f32_e32 v29, v29, v27
	v_pk_add_f32 v[22:23], v[24:25], v[22:23] neg_lo:[0,1] neg_hi:[0,1]
	v_pk_add_f32 v[30:31], v[24:25], v[28:29]
	v_mov_b32_e32 v27, v24
	v_mov_b32_e32 v23, v31
	v_pk_add_f32 v[32:33], v[26:27], v[22:23] neg_lo:[0,1] neg_hi:[0,1]
	v_pk_add_f32 v[22:23], v[26:27], v[22:23]
	v_mov_b32_e32 v28, v29
	v_pk_add_f32 v[26:27], v[22:23], v[24:25] op_sel:[1,0] op_sel_hi:[0,1] neg_lo:[0,1] neg_hi:[0,1]
	v_pk_add_f32 v[34:35], v[30:31], v[26:27] op_sel_hi:[1,0] neg_lo:[0,1] neg_hi:[0,1]
	v_mov_b32_e32 v30, v31
	v_mov_b32_e32 v31, v23
	v_pk_mov_b32 v[26:27], v[24:25], v[26:27] op_sel:[1,0]
	v_mov_b32_e32 v29, v24
	v_pk_add_f32 v[26:27], v[30:31], v[26:27] neg_lo:[0,1] neg_hi:[0,1]
	v_mov_b32_e32 v34, v32
	v_pk_add_f32 v[24:25], v[28:29], v[26:27] neg_lo:[0,1] neg_hi:[0,1]
	v_mov_b32_e32 v33, v23
	v_pk_add_f32 v[26:27], v[34:35], v[24:25]
	v_cmp_neq_f32_e64 s[30:31], s38, v37
	v_pk_add_f32 v[28:29], v[26:27], v[26:27] op_sel:[0,1] op_sel_hi:[1,0]
	s_nop 0
	v_pk_add_f32 v[22:23], v[22:23], v[28:29] op_sel:[1,0] op_sel_hi:[0,1]
	v_mov_b32_e32 v27, v22
	v_pk_add_f32 v[30:31], v[26:27], v[32:33] neg_lo:[0,1] neg_hi:[0,1]
	v_mov_b32_e32 v25, v28
	v_sub_f32_e32 v23, v26, v30
	v_pk_add_f32 v[24:25], v[24:25], v[30:31] neg_lo:[0,1] neg_hi:[0,1]
	v_sub_f32_e32 v23, v32, v23
	v_add_f32_e32 v23, v24, v23
	v_add_f32_e32 v23, v23, v25
	;; [unrolled: 1-line block ×3, first 2 shown]
	v_cndmask_b32_e64 v22, v36, v22, s[30:31]
	s_mov_b32 s30, 0x33800000
	v_cmp_lt_f32_e64 s[30:31], |v37|, s30
	s_nop 1
	v_cndmask_b32_e64 v22, v22, v37, s[30:31]
	v_add_f32_e32 v21, v21, v22
	v_cvt_f16_f32_e32 v22, v21
.LBB416_253:
	s_or_b64 exec, exec, s[34:35]
	v_and_b32_e32 v23, 0xffff, v22
	v_mov_b32_e32 v21, v22
.LBB416_254:
	s_or_b64 exec, exec, s[36:37]
	v_mov_b32_dpp v22, v23 row_bcast:31 row_mask:0xf bank_mask:0xf
	v_cmp_lt_u32_e64 s[30:31], 31, v18
	s_and_saveexec_b64 s[36:37], s[30:31]
	s_cbranch_execz .LBB416_258
; %bb.255:
	v_cvt_f32_f16_e32 v24, v22
	v_cvt_f32_f16_e32 v25, v21
	v_cmp_u_f16_e64 s[30:31], v22, v22
	v_cmp_u_f16_e64 s[34:35], v21, v21
	v_min_f32_e32 v23, v24, v25
	v_max_f32_e32 v21, v24, v25
	v_cndmask_b32_e64 v23, v23, v24, s[30:31]
	v_cndmask_b32_e64 v21, v21, v24, s[30:31]
	;; [unrolled: 1-line block ×4, first 2 shown]
	s_movk_i32 s34, 0x1f8
	v_cmp_neq_f32_e64 s[30:31], v23, v21
	v_cmp_class_f32_e64 s[34:35], v23, s34
	s_or_b64 s[30:31], s[30:31], s[34:35]
	s_and_saveexec_b64 s[34:35], s[30:31]
	s_cbranch_execz .LBB416_257
; %bb.256:
	v_sub_f32_e32 v22, v23, v21
	s_mov_b32 s30, 0x3fb8aa3b
	v_mul_f32_e32 v23, 0x3fb8aa3b, v22
	v_fma_f32 v24, v22, s30, -v23
	v_rndne_f32_e32 v25, v23
	v_fmamk_f32 v24, v22, 0x32a5705f, v24
	v_sub_f32_e32 v23, v23, v25
	v_add_f32_e32 v23, v23, v24
	v_exp_f32_e32 v23, v23
	v_cvt_i32_f32_e32 v24, v25
	s_mov_b32 s30, 0xc2ce8ed0
	v_cmp_ngt_f32_e64 s[30:31], s30, v22
	v_mov_b32_e32 v36, 0x7f800000
	v_ldexp_f32 v23, v23, v24
	v_cndmask_b32_e64 v23, 0, v23, s[30:31]
	s_mov_b32 s30, 0x42b17218
	v_cmp_nlt_f32_e64 s[30:31], s30, v22
	s_mov_b32 s38, 0x7f800000
	s_nop 0
	v_cndmask_b32_e64 v37, v36, v23, s[30:31]
	v_add_f32_e32 v24, 1.0, v37
	v_add_f32_e32 v22, -1.0, v24
	v_sub_f32_e32 v23, v22, v24
	v_add_f32_e32 v23, 1.0, v23
	v_sub_f32_e32 v22, v37, v22
	v_add_f32_e32 v25, v22, v23
	v_frexp_mant_f32_e32 v26, v24
	s_mov_b32 s30, 0x3f2aaaab
	v_cvt_f64_f32_e32 v[22:23], v24
	v_frexp_exp_i32_f64_e32 v22, v[22:23]
	v_cmp_gt_f32_e64 s[30:31], s30, v26
	s_nop 1
	v_subbrev_co_u32_e64 v30, s[30:31], 0, v22, s[30:31]
	v_sub_u32_e32 v22, 0, v30
	v_ldexp_f32 v23, v24, v22
	v_add_f32_e32 v24, -1.0, v23
	v_add_f32_e32 v26, 1.0, v23
	v_ldexp_f32 v22, v25, v22
	v_add_f32_e32 v25, 1.0, v24
	v_add_f32_e32 v27, -1.0, v26
	v_sub_f32_e32 v25, v23, v25
	v_sub_f32_e32 v23, v23, v27
	v_add_f32_e32 v25, v22, v25
	v_add_f32_e32 v22, v22, v23
	;; [unrolled: 1-line block ×3, first 2 shown]
	v_rcp_f32_e32 v33, v31
	v_sub_f32_e32 v23, v26, v31
	v_add_f32_e32 v32, v22, v23
	v_add_f32_e32 v23, v24, v25
	v_mul_f32_e32 v35, v23, v33
	v_sub_f32_e32 v22, v24, v23
	v_mul_f32_e32 v24, v31, v35
	v_fma_f32 v26, v35, v31, -v24
	v_fmac_f32_e32 v26, v35, v32
	v_add_f32_e32 v34, v25, v22
	v_add_f32_e32 v22, v24, v26
	v_sub_f32_e32 v25, v23, v22
	v_pk_add_f32 v[28:29], v[22:23], v[24:25] neg_lo:[0,1] neg_hi:[0,1]
	v_mov_b32_e32 v27, v22
	v_pk_add_f32 v[22:23], v[28:29], v[26:27] neg_lo:[0,1] neg_hi:[0,1]
	s_mov_b32 s30, 0x3f317218
	v_add_f32_e32 v23, v34, v23
	v_add_f32_e32 v22, v22, v23
	;; [unrolled: 1-line block ×3, first 2 shown]
	v_mul_f32_e32 v34, v33, v23
	v_mul_f32_e32 v24, v31, v34
	v_fma_f32 v26, v34, v31, -v24
	v_fmac_f32_e32 v26, v34, v32
	v_sub_f32_e32 v25, v25, v23
	v_add_f32_e32 v31, v22, v25
	v_add_f32_e32 v22, v24, v26
	v_sub_f32_e32 v25, v23, v22
	v_pk_add_f32 v[28:29], v[22:23], v[24:25] neg_lo:[0,1] neg_hi:[0,1]
	v_mov_b32_e32 v27, v22
	v_pk_add_f32 v[22:23], v[28:29], v[26:27] neg_lo:[0,1] neg_hi:[0,1]
	v_cvt_f32_i32_e32 v24, v30
	v_add_f32_e32 v23, v31, v23
	v_add_f32_e32 v22, v22, v23
	;; [unrolled: 1-line block ×4, first 2 shown]
	v_sub_f32_e32 v23, v25, v35
	v_mul_f32_e32 v22, v33, v22
	v_sub_f32_e32 v23, v34, v23
	v_add_f32_e32 v22, v23, v22
	v_add_f32_e32 v26, v25, v22
	v_mul_f32_e32 v28, v26, v26
	v_mov_b32_e32 v23, 0x3ecc95a3
	v_sub_f32_e32 v25, v26, v25
	v_fmac_f32_e32 v23, 0x3e9b6dac, v28
	v_sub_f32_e32 v22, v22, v25
	v_fmaak_f32 v23, v28, v23, 0x3f2aaada
	v_ldexp_f32 v29, v22, 1
	v_mul_f32_e32 v25, v26, v28
	v_mov_b32_e32 v22, 0x3f317218
	v_pk_mul_f32 v[22:23], v[24:25], v[22:23]
	v_ldexp_f32 v27, v26, 1
	v_fma_f32 v25, v24, s30, -v22
	v_fmamk_f32 v26, v24, 0xb102e308, v25
	v_pk_add_f32 v[24:25], v[22:23], v[26:27]
	v_mov_b32_e32 v28, v22
	v_sub_f32_e32 v27, v25, v27
	v_sub_f32_e32 v27, v23, v27
	v_add_f32_e32 v29, v29, v27
	v_pk_add_f32 v[22:23], v[24:25], v[22:23] neg_lo:[0,1] neg_hi:[0,1]
	v_pk_add_f32 v[30:31], v[24:25], v[28:29]
	v_mov_b32_e32 v27, v24
	v_mov_b32_e32 v23, v31
	v_pk_add_f32 v[32:33], v[26:27], v[22:23] neg_lo:[0,1] neg_hi:[0,1]
	v_pk_add_f32 v[22:23], v[26:27], v[22:23]
	v_mov_b32_e32 v28, v29
	v_pk_add_f32 v[26:27], v[22:23], v[24:25] op_sel:[1,0] op_sel_hi:[0,1] neg_lo:[0,1] neg_hi:[0,1]
	v_pk_add_f32 v[34:35], v[30:31], v[26:27] op_sel_hi:[1,0] neg_lo:[0,1] neg_hi:[0,1]
	v_mov_b32_e32 v30, v31
	v_mov_b32_e32 v31, v23
	v_pk_mov_b32 v[26:27], v[24:25], v[26:27] op_sel:[1,0]
	v_mov_b32_e32 v29, v24
	v_pk_add_f32 v[26:27], v[30:31], v[26:27] neg_lo:[0,1] neg_hi:[0,1]
	v_mov_b32_e32 v34, v32
	v_pk_add_f32 v[24:25], v[28:29], v[26:27] neg_lo:[0,1] neg_hi:[0,1]
	v_mov_b32_e32 v33, v23
	v_pk_add_f32 v[26:27], v[34:35], v[24:25]
	v_cmp_neq_f32_e64 s[30:31], s38, v37
	v_pk_add_f32 v[28:29], v[26:27], v[26:27] op_sel:[0,1] op_sel_hi:[1,0]
	s_nop 0
	v_pk_add_f32 v[22:23], v[22:23], v[28:29] op_sel:[1,0] op_sel_hi:[0,1]
	v_mov_b32_e32 v27, v22
	v_pk_add_f32 v[30:31], v[26:27], v[32:33] neg_lo:[0,1] neg_hi:[0,1]
	v_mov_b32_e32 v25, v28
	v_sub_f32_e32 v23, v26, v30
	v_pk_add_f32 v[24:25], v[24:25], v[30:31] neg_lo:[0,1] neg_hi:[0,1]
	v_sub_f32_e32 v23, v32, v23
	v_add_f32_e32 v23, v24, v23
	v_add_f32_e32 v23, v23, v25
	;; [unrolled: 1-line block ×3, first 2 shown]
	v_cndmask_b32_e64 v22, v36, v22, s[30:31]
	s_mov_b32 s30, 0x33800000
	v_cmp_lt_f32_e64 s[30:31], |v37|, s30
	s_nop 1
	v_cndmask_b32_e64 v22, v22, v37, s[30:31]
	v_add_f32_e32 v21, v21, v22
	v_cvt_f16_f32_e32 v22, v21
.LBB416_257:
	s_or_b64 exec, exec, s[34:35]
	v_mov_b32_e32 v21, v22
.LBB416_258:
	s_or_b64 exec, exec, s[36:37]
	v_or_b32_e32 v23, 63, v0
	v_lshrrev_b32_e32 v22, 6, v0
	v_cmp_eq_u32_e64 s[30:31], v0, v23
	s_and_saveexec_b64 s[34:35], s[30:31]
; %bb.259:
	v_lshlrev_b32_e32 v23, 1, v22
	ds_write_b16 v23, v21
; %bb.260:
	s_or_b64 exec, exec, s[34:35]
	v_cmp_gt_u32_e64 s[30:31], 2, v0
	s_waitcnt lgkmcnt(0)
	s_barrier
	s_and_saveexec_b64 s[36:37], s[30:31]
	s_cbranch_execz .LBB416_266
; %bb.261:
	ds_read_u16 v23, v2
	v_and_b32_e32 v25, 1, v18
	v_cmp_eq_u32_e64 s[30:31], 1, v25
	s_waitcnt lgkmcnt(0)
	v_and_b32_e32 v24, 0xffff, v23
	s_nop 1
	v_mov_b32_dpp v24, v24 row_shr:1 row_mask:0xf bank_mask:0xf
	s_and_saveexec_b64 s[38:39], s[30:31]
	s_cbranch_execz .LBB416_265
; %bb.262:
	v_cvt_f32_f16_e32 v26, v24
	v_cvt_f32_f16_e32 v27, v23
	v_cmp_u_f16_e64 s[30:31], v24, v24
	v_cmp_u_f16_e64 s[34:35], v23, v23
	v_min_f32_e32 v25, v26, v27
	v_max_f32_e32 v23, v26, v27
	v_cndmask_b32_e64 v25, v25, v26, s[30:31]
	v_cndmask_b32_e64 v23, v23, v26, s[30:31]
	;; [unrolled: 1-line block ×4, first 2 shown]
	s_movk_i32 s34, 0x1f8
	v_cmp_neq_f32_e64 s[30:31], v25, v23
	v_cmp_class_f32_e64 s[34:35], v25, s34
	s_or_b64 s[30:31], s[30:31], s[34:35]
	s_and_saveexec_b64 s[34:35], s[30:31]
	s_cbranch_execz .LBB416_264
; %bb.263:
	v_sub_f32_e32 v24, v25, v23
	s_mov_b32 s30, 0x3fb8aa3b
	v_mul_f32_e32 v25, 0x3fb8aa3b, v24
	v_fma_f32 v26, v24, s30, -v25
	v_rndne_f32_e32 v27, v25
	v_fmamk_f32 v26, v24, 0x32a5705f, v26
	v_sub_f32_e32 v25, v25, v27
	v_add_f32_e32 v25, v25, v26
	v_exp_f32_e32 v25, v25
	v_cvt_i32_f32_e32 v26, v27
	s_mov_b32 s30, 0xc2ce8ed0
	v_cmp_ngt_f32_e64 s[30:31], s30, v24
	v_mov_b32_e32 v38, 0x7f800000
	v_ldexp_f32 v25, v25, v26
	v_cndmask_b32_e64 v25, 0, v25, s[30:31]
	s_mov_b32 s30, 0x42b17218
	v_cmp_nlt_f32_e64 s[30:31], s30, v24
	s_mov_b32 s40, 0x7f800000
	s_nop 0
	v_cndmask_b32_e64 v39, v38, v25, s[30:31]
	v_add_f32_e32 v26, 1.0, v39
	v_add_f32_e32 v24, -1.0, v26
	v_sub_f32_e32 v25, v24, v26
	v_add_f32_e32 v25, 1.0, v25
	v_sub_f32_e32 v24, v39, v24
	v_add_f32_e32 v27, v24, v25
	v_frexp_mant_f32_e32 v28, v26
	s_mov_b32 s30, 0x3f2aaaab
	v_cvt_f64_f32_e32 v[24:25], v26
	v_frexp_exp_i32_f64_e32 v24, v[24:25]
	v_cmp_gt_f32_e64 s[30:31], s30, v28
	s_nop 1
	v_subbrev_co_u32_e64 v32, s[30:31], 0, v24, s[30:31]
	v_sub_u32_e32 v24, 0, v32
	v_ldexp_f32 v25, v26, v24
	v_add_f32_e32 v26, -1.0, v25
	v_add_f32_e32 v28, 1.0, v25
	v_ldexp_f32 v24, v27, v24
	v_add_f32_e32 v27, 1.0, v26
	v_add_f32_e32 v29, -1.0, v28
	v_sub_f32_e32 v27, v25, v27
	v_sub_f32_e32 v25, v25, v29
	v_add_f32_e32 v27, v24, v27
	v_add_f32_e32 v24, v24, v25
	;; [unrolled: 1-line block ×3, first 2 shown]
	v_rcp_f32_e32 v35, v33
	v_sub_f32_e32 v25, v28, v33
	v_add_f32_e32 v34, v24, v25
	v_add_f32_e32 v25, v26, v27
	v_mul_f32_e32 v37, v25, v35
	v_sub_f32_e32 v24, v26, v25
	v_mul_f32_e32 v26, v33, v37
	v_fma_f32 v28, v37, v33, -v26
	v_fmac_f32_e32 v28, v37, v34
	v_add_f32_e32 v36, v27, v24
	v_add_f32_e32 v24, v26, v28
	v_sub_f32_e32 v27, v25, v24
	v_pk_add_f32 v[30:31], v[24:25], v[26:27] neg_lo:[0,1] neg_hi:[0,1]
	v_mov_b32_e32 v29, v24
	v_pk_add_f32 v[24:25], v[30:31], v[28:29] neg_lo:[0,1] neg_hi:[0,1]
	s_mov_b32 s30, 0x3f317218
	v_add_f32_e32 v25, v36, v25
	v_add_f32_e32 v24, v24, v25
	;; [unrolled: 1-line block ×3, first 2 shown]
	v_mul_f32_e32 v36, v35, v25
	v_mul_f32_e32 v26, v33, v36
	v_fma_f32 v28, v36, v33, -v26
	v_fmac_f32_e32 v28, v36, v34
	v_sub_f32_e32 v27, v27, v25
	v_add_f32_e32 v33, v24, v27
	v_add_f32_e32 v24, v26, v28
	v_sub_f32_e32 v27, v25, v24
	v_pk_add_f32 v[30:31], v[24:25], v[26:27] neg_lo:[0,1] neg_hi:[0,1]
	v_mov_b32_e32 v29, v24
	v_pk_add_f32 v[24:25], v[30:31], v[28:29] neg_lo:[0,1] neg_hi:[0,1]
	v_cvt_f32_i32_e32 v26, v32
	v_add_f32_e32 v25, v33, v25
	v_add_f32_e32 v24, v24, v25
	;; [unrolled: 1-line block ×4, first 2 shown]
	v_sub_f32_e32 v25, v27, v37
	v_mul_f32_e32 v24, v35, v24
	v_sub_f32_e32 v25, v36, v25
	v_add_f32_e32 v24, v25, v24
	v_add_f32_e32 v28, v27, v24
	v_mul_f32_e32 v30, v28, v28
	v_mov_b32_e32 v25, 0x3ecc95a3
	v_sub_f32_e32 v27, v28, v27
	v_fmac_f32_e32 v25, 0x3e9b6dac, v30
	v_sub_f32_e32 v24, v24, v27
	v_fmaak_f32 v25, v30, v25, 0x3f2aaada
	v_ldexp_f32 v31, v24, 1
	v_mul_f32_e32 v27, v28, v30
	v_mov_b32_e32 v24, 0x3f317218
	v_pk_mul_f32 v[24:25], v[26:27], v[24:25]
	v_ldexp_f32 v29, v28, 1
	v_fma_f32 v27, v26, s30, -v24
	v_fmamk_f32 v28, v26, 0xb102e308, v27
	v_pk_add_f32 v[26:27], v[24:25], v[28:29]
	v_mov_b32_e32 v30, v24
	v_sub_f32_e32 v29, v27, v29
	v_sub_f32_e32 v29, v25, v29
	v_add_f32_e32 v31, v31, v29
	v_pk_add_f32 v[24:25], v[26:27], v[24:25] neg_lo:[0,1] neg_hi:[0,1]
	v_pk_add_f32 v[32:33], v[26:27], v[30:31]
	v_mov_b32_e32 v29, v26
	v_mov_b32_e32 v25, v33
	v_pk_add_f32 v[34:35], v[28:29], v[24:25] neg_lo:[0,1] neg_hi:[0,1]
	v_pk_add_f32 v[24:25], v[28:29], v[24:25]
	v_mov_b32_e32 v30, v31
	v_pk_add_f32 v[28:29], v[24:25], v[26:27] op_sel:[1,0] op_sel_hi:[0,1] neg_lo:[0,1] neg_hi:[0,1]
	v_pk_add_f32 v[36:37], v[32:33], v[28:29] op_sel_hi:[1,0] neg_lo:[0,1] neg_hi:[0,1]
	v_mov_b32_e32 v32, v33
	v_mov_b32_e32 v33, v25
	v_pk_mov_b32 v[28:29], v[26:27], v[28:29] op_sel:[1,0]
	v_mov_b32_e32 v31, v26
	v_pk_add_f32 v[28:29], v[32:33], v[28:29] neg_lo:[0,1] neg_hi:[0,1]
	v_mov_b32_e32 v36, v34
	v_pk_add_f32 v[26:27], v[30:31], v[28:29] neg_lo:[0,1] neg_hi:[0,1]
	v_mov_b32_e32 v35, v25
	v_pk_add_f32 v[28:29], v[36:37], v[26:27]
	v_cmp_neq_f32_e64 s[30:31], s40, v39
	v_pk_add_f32 v[30:31], v[28:29], v[28:29] op_sel:[0,1] op_sel_hi:[1,0]
	s_nop 0
	v_pk_add_f32 v[24:25], v[24:25], v[30:31] op_sel:[1,0] op_sel_hi:[0,1]
	v_mov_b32_e32 v29, v24
	v_pk_add_f32 v[32:33], v[28:29], v[34:35] neg_lo:[0,1] neg_hi:[0,1]
	v_mov_b32_e32 v27, v30
	v_sub_f32_e32 v25, v28, v32
	v_pk_add_f32 v[26:27], v[26:27], v[32:33] neg_lo:[0,1] neg_hi:[0,1]
	v_sub_f32_e32 v25, v34, v25
	v_add_f32_e32 v25, v26, v25
	v_add_f32_e32 v25, v25, v27
	;; [unrolled: 1-line block ×3, first 2 shown]
	v_cndmask_b32_e64 v24, v38, v24, s[30:31]
	s_mov_b32 s30, 0x33800000
	v_cmp_lt_f32_e64 s[30:31], |v39|, s30
	s_nop 1
	v_cndmask_b32_e64 v24, v24, v39, s[30:31]
	v_add_f32_e32 v23, v23, v24
	v_cvt_f16_f32_e32 v24, v23
.LBB416_264:
	s_or_b64 exec, exec, s[34:35]
	v_mov_b32_e32 v23, v24
.LBB416_265:
	s_or_b64 exec, exec, s[38:39]
	ds_write_b16 v2, v23
.LBB416_266:
	s_or_b64 exec, exec, s[36:37]
	v_cmp_lt_u32_e64 s[30:31], 63, v0
	s_waitcnt lgkmcnt(0)
	s_barrier
                                        ; implicit-def: $vgpr23
	s_and_saveexec_b64 s[34:35], s[30:31]
	s_cbranch_execz .LBB416_270
; %bb.267:
	v_lshl_add_u32 v22, v22, 1, -2
	ds_read_u16 v23, v22
	v_cvt_f32_f16_e32 v22, v21
	s_movk_i32 s36, 0x1f8
	s_waitcnt lgkmcnt(0)
	v_cvt_f32_f16_e32 v24, v23
	v_cmp_u_f16_e64 s[30:31], v23, v23
	v_min_f32_e32 v25, v24, v22
	v_max_f32_e32 v26, v24, v22
	v_cndmask_b32_e64 v25, v25, v24, s[30:31]
	v_cndmask_b32_e64 v26, v26, v24, s[30:31]
	v_cmp_u_f16_e64 s[30:31], v21, v21
	v_mov_b32_e32 v21, v23
	s_nop 0
	v_cndmask_b32_e64 v24, v25, v22, s[30:31]
	v_cndmask_b32_e64 v22, v26, v22, s[30:31]
	v_cmp_neq_f32_e64 s[30:31], v24, v22
	v_cmp_class_f32_e64 s[36:37], v24, s36
	s_or_b64 s[30:31], s[30:31], s[36:37]
	s_and_saveexec_b64 s[36:37], s[30:31]
	s_cbranch_execz .LBB416_269
; %bb.268:
	v_sub_f32_e32 v21, v24, v22
	s_mov_b32 s30, 0x3fb8aa3b
	v_mul_f32_e32 v24, 0x3fb8aa3b, v21
	v_fma_f32 v25, v21, s30, -v24
	v_rndne_f32_e32 v26, v24
	v_fmamk_f32 v25, v21, 0x32a5705f, v25
	v_sub_f32_e32 v24, v24, v26
	v_add_f32_e32 v24, v24, v25
	v_exp_f32_e32 v24, v24
	v_cvt_i32_f32_e32 v25, v26
	s_mov_b32 s30, 0xc2ce8ed0
	v_cmp_ngt_f32_e64 s[30:31], s30, v21
	v_mov_b32_e32 v38, 0x7f800000
	v_ldexp_f32 v24, v24, v25
	v_cndmask_b32_e64 v24, 0, v24, s[30:31]
	s_mov_b32 s30, 0x42b17218
	v_cmp_nlt_f32_e64 s[30:31], s30, v21
	s_mov_b32 s38, 0x7f800000
	s_nop 0
	v_cndmask_b32_e64 v21, v38, v24, s[30:31]
	v_add_f32_e32 v26, 1.0, v21
	v_add_f32_e32 v24, -1.0, v26
	v_sub_f32_e32 v25, v24, v26
	v_add_f32_e32 v25, 1.0, v25
	v_sub_f32_e32 v24, v21, v24
	v_add_f32_e32 v27, v24, v25
	v_frexp_mant_f32_e32 v28, v26
	s_mov_b32 s30, 0x3f2aaaab
	v_cvt_f64_f32_e32 v[24:25], v26
	v_frexp_exp_i32_f64_e32 v24, v[24:25]
	v_cmp_gt_f32_e64 s[30:31], s30, v28
	s_nop 1
	v_subbrev_co_u32_e64 v32, s[30:31], 0, v24, s[30:31]
	v_sub_u32_e32 v24, 0, v32
	v_ldexp_f32 v25, v26, v24
	v_add_f32_e32 v26, -1.0, v25
	v_add_f32_e32 v28, 1.0, v25
	v_ldexp_f32 v24, v27, v24
	v_add_f32_e32 v27, 1.0, v26
	v_add_f32_e32 v29, -1.0, v28
	v_sub_f32_e32 v27, v25, v27
	v_sub_f32_e32 v25, v25, v29
	v_add_f32_e32 v27, v24, v27
	v_add_f32_e32 v24, v24, v25
	v_add_f32_e32 v33, v28, v24
	v_rcp_f32_e32 v35, v33
	v_sub_f32_e32 v25, v28, v33
	v_add_f32_e32 v34, v24, v25
	v_add_f32_e32 v25, v26, v27
	v_mul_f32_e32 v37, v25, v35
	v_sub_f32_e32 v24, v26, v25
	v_mul_f32_e32 v26, v33, v37
	v_fma_f32 v28, v37, v33, -v26
	v_fmac_f32_e32 v28, v37, v34
	v_add_f32_e32 v36, v27, v24
	v_add_f32_e32 v24, v26, v28
	v_sub_f32_e32 v27, v25, v24
	v_pk_add_f32 v[30:31], v[24:25], v[26:27] neg_lo:[0,1] neg_hi:[0,1]
	v_mov_b32_e32 v29, v24
	v_pk_add_f32 v[24:25], v[30:31], v[28:29] neg_lo:[0,1] neg_hi:[0,1]
	s_mov_b32 s30, 0x3f317218
	v_add_f32_e32 v25, v36, v25
	v_add_f32_e32 v24, v24, v25
	;; [unrolled: 1-line block ×3, first 2 shown]
	v_mul_f32_e32 v36, v35, v25
	v_mul_f32_e32 v26, v33, v36
	v_fma_f32 v28, v36, v33, -v26
	v_fmac_f32_e32 v28, v36, v34
	v_sub_f32_e32 v27, v27, v25
	v_add_f32_e32 v33, v24, v27
	v_add_f32_e32 v24, v26, v28
	v_sub_f32_e32 v27, v25, v24
	v_pk_add_f32 v[30:31], v[24:25], v[26:27] neg_lo:[0,1] neg_hi:[0,1]
	v_mov_b32_e32 v29, v24
	v_pk_add_f32 v[24:25], v[30:31], v[28:29] neg_lo:[0,1] neg_hi:[0,1]
	v_cvt_f32_i32_e32 v26, v32
	v_add_f32_e32 v25, v33, v25
	v_add_f32_e32 v24, v24, v25
	;; [unrolled: 1-line block ×4, first 2 shown]
	v_sub_f32_e32 v25, v27, v37
	v_mul_f32_e32 v24, v35, v24
	v_sub_f32_e32 v25, v36, v25
	v_add_f32_e32 v24, v25, v24
	v_add_f32_e32 v28, v27, v24
	v_mul_f32_e32 v30, v28, v28
	v_mov_b32_e32 v25, 0x3ecc95a3
	v_sub_f32_e32 v27, v28, v27
	v_fmac_f32_e32 v25, 0x3e9b6dac, v30
	v_sub_f32_e32 v24, v24, v27
	v_fmaak_f32 v25, v30, v25, 0x3f2aaada
	v_ldexp_f32 v31, v24, 1
	v_mul_f32_e32 v27, v28, v30
	v_mov_b32_e32 v24, 0x3f317218
	v_pk_mul_f32 v[24:25], v[26:27], v[24:25]
	v_ldexp_f32 v29, v28, 1
	v_fma_f32 v27, v26, s30, -v24
	v_fmamk_f32 v28, v26, 0xb102e308, v27
	v_pk_add_f32 v[26:27], v[24:25], v[28:29]
	v_mov_b32_e32 v30, v24
	v_sub_f32_e32 v29, v27, v29
	v_sub_f32_e32 v29, v25, v29
	v_add_f32_e32 v31, v31, v29
	v_pk_add_f32 v[24:25], v[26:27], v[24:25] neg_lo:[0,1] neg_hi:[0,1]
	v_pk_add_f32 v[32:33], v[26:27], v[30:31]
	v_mov_b32_e32 v29, v26
	v_mov_b32_e32 v25, v33
	v_pk_add_f32 v[34:35], v[28:29], v[24:25] neg_lo:[0,1] neg_hi:[0,1]
	v_pk_add_f32 v[24:25], v[28:29], v[24:25]
	v_mov_b32_e32 v30, v31
	v_pk_add_f32 v[28:29], v[24:25], v[26:27] op_sel:[1,0] op_sel_hi:[0,1] neg_lo:[0,1] neg_hi:[0,1]
	v_pk_add_f32 v[36:37], v[32:33], v[28:29] op_sel_hi:[1,0] neg_lo:[0,1] neg_hi:[0,1]
	v_mov_b32_e32 v32, v33
	v_mov_b32_e32 v33, v25
	v_pk_mov_b32 v[28:29], v[26:27], v[28:29] op_sel:[1,0]
	v_mov_b32_e32 v31, v26
	v_pk_add_f32 v[28:29], v[32:33], v[28:29] neg_lo:[0,1] neg_hi:[0,1]
	v_mov_b32_e32 v36, v34
	v_pk_add_f32 v[26:27], v[30:31], v[28:29] neg_lo:[0,1] neg_hi:[0,1]
	v_mov_b32_e32 v35, v25
	v_pk_add_f32 v[28:29], v[36:37], v[26:27]
	v_cmp_neq_f32_e64 s[30:31], s38, v21
	v_pk_add_f32 v[30:31], v[28:29], v[28:29] op_sel:[0,1] op_sel_hi:[1,0]
	s_nop 0
	v_pk_add_f32 v[24:25], v[24:25], v[30:31] op_sel:[1,0] op_sel_hi:[0,1]
	v_mov_b32_e32 v29, v24
	v_pk_add_f32 v[32:33], v[28:29], v[34:35] neg_lo:[0,1] neg_hi:[0,1]
	v_mov_b32_e32 v27, v30
	v_sub_f32_e32 v25, v28, v32
	v_pk_add_f32 v[26:27], v[26:27], v[32:33] neg_lo:[0,1] neg_hi:[0,1]
	v_sub_f32_e32 v25, v34, v25
	v_add_f32_e32 v25, v26, v25
	v_add_f32_e32 v25, v25, v27
	;; [unrolled: 1-line block ×3, first 2 shown]
	v_cndmask_b32_e64 v24, v38, v24, s[30:31]
	s_mov_b32 s30, 0x33800000
	v_cmp_lt_f32_e64 s[30:31], |v21|, s30
	s_nop 1
	v_cndmask_b32_e64 v21, v24, v21, s[30:31]
	v_add_f32_e32 v21, v22, v21
	v_cvt_f16_f32_e32 v21, v21
.LBB416_269:
	s_or_b64 exec, exec, s[36:37]
.LBB416_270:
	s_or_b64 exec, exec, s[34:35]
	v_add_u32_e32 v22, -1, v18
	v_and_b32_e32 v24, 64, v18
	v_cmp_lt_i32_e64 s[30:31], v22, v24
	v_and_b32_e32 v21, 0xffff, v21
	v_mov_b32_e32 v25, v10
	v_cndmask_b32_e64 v22, v22, v18, s[30:31]
	v_lshlrev_b32_e32 v22, 2, v22
	ds_bpermute_b32 v21, v22, v21
	s_and_saveexec_b64 s[30:31], s[2:3]
	s_cbranch_execz .LBB416_274
; %bb.271:
	v_cmp_eq_u32_e64 s[2:3], 0, v18
	v_max_f32_e32 v11, v12, v12
	s_waitcnt lgkmcnt(0)
	v_cndmask_b32_e64 v10, v21, v23, s[2:3]
	v_cvt_f32_f16_e32 v18, v10
	v_cmp_u_f16_e64 s[2:3], v10, v10
	v_min_f32_e32 v20, v18, v11
	v_max_f32_e32 v11, v18, v11
	v_cndmask_b32_e64 v20, v20, v18, s[2:3]
	v_cndmask_b32_e64 v11, v11, v18, s[2:3]
	;; [unrolled: 1-line block ×4, first 2 shown]
	s_movk_i32 s28, 0x1f8
	v_cmp_neq_f32_e64 s[2:3], v20, v11
	v_cmp_class_f32_e64 s[28:29], v20, s28
	s_or_b64 s[2:3], s[2:3], s[28:29]
	s_and_saveexec_b64 s[28:29], s[2:3]
	s_cbranch_execz .LBB416_273
; %bb.272:
	v_sub_f32_e32 v10, v20, v11
	s_mov_b32 s2, 0x3fb8aa3b
	v_mul_f32_e32 v12, 0x3fb8aa3b, v10
	v_fma_f32 v18, v10, s2, -v12
	v_rndne_f32_e32 v20, v12
	v_fmamk_f32 v18, v10, 0x32a5705f, v18
	v_sub_f32_e32 v12, v12, v20
	v_add_f32_e32 v12, v12, v18
	v_exp_f32_e32 v12, v12
	v_cvt_i32_f32_e32 v18, v20
	s_mov_b32 s2, 0xc2ce8ed0
	v_cmp_ngt_f32_e64 s[2:3], s2, v10
	s_mov_b32 s34, 0x7f800000
	v_ldexp_f32 v12, v12, v18
	v_cndmask_b32_e64 v12, 0, v12, s[2:3]
	s_mov_b32 s2, 0x42b17218
	v_mov_b32_e32 v18, 0x7f800000
	v_cmp_nlt_f32_e64 s[2:3], s2, v10
	s_nop 1
	v_cndmask_b32_e64 v10, v18, v12, s[2:3]
	v_add_f32_e32 v12, 1.0, v10
	v_add_f32_e32 v20, -1.0, v12
	v_sub_f32_e32 v21, v20, v12
	v_add_f32_e32 v21, 1.0, v21
	v_sub_f32_e32 v20, v10, v20
	v_add_f32_e32 v22, v20, v21
	v_frexp_mant_f32_e32 v23, v12
	s_mov_b32 s2, 0x3f2aaaab
	v_cvt_f64_f32_e32 v[20:21], v12
	v_frexp_exp_i32_f64_e32 v20, v[20:21]
	v_cmp_gt_f32_e64 s[2:3], s2, v23
	s_nop 1
	v_subbrev_co_u32_e64 v28, s[2:3], 0, v20, s[2:3]
	v_sub_u32_e32 v20, 0, v28
	v_ldexp_f32 v12, v12, v20
	v_ldexp_f32 v20, v22, v20
	v_add_f32_e32 v22, -1.0, v12
	v_add_f32_e32 v21, 1.0, v22
	v_sub_f32_e32 v21, v12, v21
	v_add_f32_e32 v23, v20, v21
	v_add_f32_e32 v21, 1.0, v12
	v_add_f32_e32 v24, -1.0, v21
	v_sub_f32_e32 v12, v12, v24
	v_add_f32_e32 v12, v20, v12
	v_add_f32_e32 v29, v21, v12
	v_rcp_f32_e32 v30, v29
	v_sub_f32_e32 v20, v21, v29
	v_add_f32_e32 v21, v22, v23
	v_add_f32_e32 v12, v12, v20
	v_mul_f32_e32 v32, v21, v30
	v_sub_f32_e32 v20, v22, v21
	v_mul_f32_e32 v22, v29, v32
	v_fma_f32 v24, v32, v29, -v22
	v_fmac_f32_e32 v24, v32, v12
	v_add_f32_e32 v31, v23, v20
	v_add_f32_e32 v20, v22, v24
	v_sub_f32_e32 v23, v21, v20
	v_pk_add_f32 v[26:27], v[20:21], v[22:23] neg_lo:[0,1] neg_hi:[0,1]
	v_mov_b32_e32 v25, v20
	v_pk_add_f32 v[20:21], v[26:27], v[24:25] neg_lo:[0,1] neg_hi:[0,1]
	s_mov_b32 s2, 0x3f317218
	v_add_f32_e32 v21, v31, v21
	v_add_f32_e32 v20, v20, v21
	;; [unrolled: 1-line block ×3, first 2 shown]
	v_mul_f32_e32 v31, v30, v21
	v_mul_f32_e32 v22, v29, v31
	v_fma_f32 v24, v31, v29, -v22
	v_fmac_f32_e32 v24, v31, v12
	v_sub_f32_e32 v12, v23, v21
	v_add_f32_e32 v12, v20, v12
	v_add_f32_e32 v20, v22, v24
	v_sub_f32_e32 v23, v21, v20
	v_pk_add_f32 v[26:27], v[20:21], v[22:23] neg_lo:[0,1] neg_hi:[0,1]
	v_mov_b32_e32 v25, v20
	v_pk_add_f32 v[20:21], v[26:27], v[24:25] neg_lo:[0,1] neg_hi:[0,1]
	v_cvt_f32_i32_e32 v22, v28
	v_add_f32_e32 v12, v12, v21
	v_add_f32_e32 v12, v20, v12
	v_add_f32_e32 v20, v32, v31
	v_add_f32_e32 v12, v23, v12
	v_sub_f32_e32 v21, v20, v32
	v_mul_f32_e32 v12, v30, v12
	v_sub_f32_e32 v21, v31, v21
	v_add_f32_e32 v12, v21, v12
	v_add_f32_e32 v23, v20, v12
	v_mul_f32_e32 v24, v23, v23
	v_mov_b32_e32 v21, 0x3ecc95a3
	v_fmac_f32_e32 v21, 0x3e9b6dac, v24
	v_sub_f32_e32 v20, v23, v20
	v_fmaak_f32 v21, v24, v21, 0x3f2aaada
	v_sub_f32_e32 v12, v12, v20
	v_ldexp_f32 v25, v23, 1
	v_mul_f32_e32 v23, v23, v24
	v_mov_b32_e32 v20, 0x3f317218
	v_pk_mul_f32 v[20:21], v[22:23], v[20:21]
	v_ldexp_f32 v12, v12, 1
	v_fma_f32 v23, v22, s2, -v20
	v_fmamk_f32 v24, v22, 0xb102e308, v23
	v_pk_add_f32 v[22:23], v[20:21], v[24:25]
	v_mov_b32_e32 v26, v20
	v_sub_f32_e32 v25, v23, v25
	v_sub_f32_e32 v25, v21, v25
	v_add_f32_e32 v27, v12, v25
	v_pk_add_f32 v[20:21], v[22:23], v[20:21] neg_lo:[0,1] neg_hi:[0,1]
	v_pk_add_f32 v[28:29], v[22:23], v[26:27]
	v_mov_b32_e32 v25, v22
	v_mov_b32_e32 v21, v29
	v_pk_add_f32 v[30:31], v[24:25], v[20:21] neg_lo:[0,1] neg_hi:[0,1]
	v_pk_add_f32 v[20:21], v[24:25], v[20:21]
	v_mov_b32_e32 v26, v27
	v_pk_add_f32 v[24:25], v[20:21], v[22:23] op_sel:[1,0] op_sel_hi:[0,1] neg_lo:[0,1] neg_hi:[0,1]
	v_pk_add_f32 v[32:33], v[28:29], v[24:25] op_sel_hi:[1,0] neg_lo:[0,1] neg_hi:[0,1]
	v_mov_b32_e32 v28, v29
	v_mov_b32_e32 v29, v21
	v_pk_mov_b32 v[24:25], v[22:23], v[24:25] op_sel:[1,0]
	v_mov_b32_e32 v27, v22
	v_pk_add_f32 v[24:25], v[28:29], v[24:25] neg_lo:[0,1] neg_hi:[0,1]
	v_mov_b32_e32 v32, v30
	v_pk_add_f32 v[22:23], v[26:27], v[24:25] neg_lo:[0,1] neg_hi:[0,1]
	v_mov_b32_e32 v31, v21
	v_pk_add_f32 v[24:25], v[32:33], v[22:23]
	v_cmp_neq_f32_e64 s[2:3], s34, v10
	v_pk_add_f32 v[26:27], v[24:25], v[24:25] op_sel:[0,1] op_sel_hi:[1,0]
	s_nop 0
	v_pk_add_f32 v[20:21], v[20:21], v[26:27] op_sel:[1,0] op_sel_hi:[0,1]
	v_mov_b32_e32 v25, v20
	v_pk_add_f32 v[28:29], v[24:25], v[30:31] neg_lo:[0,1] neg_hi:[0,1]
	v_mov_b32_e32 v23, v26
	v_sub_f32_e32 v12, v24, v28
	v_pk_add_f32 v[22:23], v[22:23], v[28:29] neg_lo:[0,1] neg_hi:[0,1]
	v_sub_f32_e32 v12, v30, v12
	v_add_f32_e32 v12, v22, v12
	v_add_f32_e32 v12, v12, v23
	;; [unrolled: 1-line block ×3, first 2 shown]
	v_cndmask_b32_e64 v12, v18, v12, s[2:3]
	s_mov_b32 s2, 0x33800000
	v_cmp_lt_f32_e64 s[2:3], |v10|, s2
	s_nop 1
	v_cndmask_b32_e64 v10, v12, v10, s[2:3]
	v_add_f32_e32 v10, v11, v10
	v_cvt_f16_f32_e32 v10, v10
	v_cvt_f32_f16_e32 v18, v10
.LBB416_273:
	s_or_b64 exec, exec, s[28:29]
	v_max_f32_e32 v12, v3, v3
	v_max_f32_e32 v20, v18, v18
	v_min_f32_e32 v11, v20, v12
	v_max_f32_e32 v20, v20, v12
	v_mov_b32_e32 v25, v10
	v_mov_b32_e32 v12, v18
	;;#ASMSTART
	;;#ASMEND
.LBB416_274:
	s_or_b64 exec, exec, s[30:31]
	v_cmp_u_f16_e64 s[2:3], v25, v25
	s_movk_i32 s28, 0x1f8
	s_nop 0
	v_cndmask_b32_e64 v11, v11, v12, s[2:3]
	v_cndmask_b32_e32 v18, v11, v3, vcc
	v_cndmask_b32_e64 v11, v20, v12, s[2:3]
	v_cndmask_b32_e32 v3, v11, v3, vcc
	v_cmp_neq_f32_e32 vcc, v18, v3
	v_cmp_class_f32_e64 s[2:3], v18, s28
	s_or_b64 s[30:31], vcc, s[2:3]
	v_mov_b32_e32 v11, v10
	s_and_saveexec_b64 s[2:3], s[30:31]
	s_cbranch_execz .LBB416_276
; %bb.275:
	v_sub_f32_e32 v11, v18, v3
	s_mov_b32 s29, 0x3fb8aa3b
	v_mul_f32_e32 v12, 0x3fb8aa3b, v11
	v_fma_f32 v18, v11, s29, -v12
	v_rndne_f32_e32 v20, v12
	v_fmamk_f32 v18, v11, 0x32a5705f, v18
	v_sub_f32_e32 v12, v12, v20
	v_add_f32_e32 v12, v12, v18
	v_exp_f32_e32 v12, v12
	v_cvt_i32_f32_e32 v18, v20
	s_mov_b32 s29, 0xc2ce8ed0
	v_cmp_ngt_f32_e32 vcc, s29, v11
	s_mov_b32 s29, 0x42b17218
	v_ldexp_f32 v12, v12, v18
	v_cndmask_b32_e32 v12, 0, v12, vcc
	v_mov_b32_e32 v18, 0x7f800000
	v_cmp_nlt_f32_e32 vcc, s29, v11
	s_mov_b32 s29, 0x3f2aaaab
	s_mov_b32 s30, 0x7f800000
	v_cndmask_b32_e32 v11, v18, v12, vcc
	v_add_f32_e32 v12, 1.0, v11
	v_add_f32_e32 v20, -1.0, v12
	s_waitcnt lgkmcnt(0)
	v_sub_f32_e32 v21, v20, v12
	v_add_f32_e32 v21, 1.0, v21
	v_sub_f32_e32 v20, v11, v20
	v_add_f32_e32 v22, v20, v21
	v_frexp_mant_f32_e32 v23, v12
	v_cvt_f64_f32_e32 v[20:21], v12
	v_frexp_exp_i32_f64_e32 v20, v[20:21]
	v_cmp_gt_f32_e32 vcc, s29, v23
	s_mov_b32 s29, 0x3f317218
	s_nop 0
	v_subbrev_co_u32_e32 v28, vcc, 0, v20, vcc
	v_sub_u32_e32 v20, 0, v28
	v_ldexp_f32 v12, v12, v20
	v_ldexp_f32 v20, v22, v20
	v_add_f32_e32 v22, -1.0, v12
	v_add_f32_e32 v21, 1.0, v22
	v_sub_f32_e32 v21, v12, v21
	v_add_f32_e32 v23, v20, v21
	v_add_f32_e32 v21, 1.0, v12
	v_add_f32_e32 v24, -1.0, v21
	v_sub_f32_e32 v12, v12, v24
	v_add_f32_e32 v12, v20, v12
	v_add_f32_e32 v29, v21, v12
	v_rcp_f32_e32 v30, v29
	v_sub_f32_e32 v20, v21, v29
	v_add_f32_e32 v21, v22, v23
	v_add_f32_e32 v12, v12, v20
	v_mul_f32_e32 v32, v21, v30
	v_sub_f32_e32 v20, v22, v21
	v_mul_f32_e32 v22, v29, v32
	v_fma_f32 v24, v32, v29, -v22
	v_fmac_f32_e32 v24, v32, v12
	v_add_f32_e32 v31, v23, v20
	v_add_f32_e32 v20, v22, v24
	v_sub_f32_e32 v23, v21, v20
	v_pk_add_f32 v[26:27], v[20:21], v[22:23] neg_lo:[0,1] neg_hi:[0,1]
	v_mov_b32_e32 v25, v20
	v_pk_add_f32 v[20:21], v[26:27], v[24:25] neg_lo:[0,1] neg_hi:[0,1]
	v_cmp_neq_f32_e32 vcc, s30, v11
	v_add_f32_e32 v21, v31, v21
	v_add_f32_e32 v20, v20, v21
	;; [unrolled: 1-line block ×3, first 2 shown]
	v_mul_f32_e32 v31, v30, v21
	v_mul_f32_e32 v22, v29, v31
	v_fma_f32 v24, v31, v29, -v22
	v_fmac_f32_e32 v24, v31, v12
	v_sub_f32_e32 v12, v23, v21
	v_add_f32_e32 v12, v20, v12
	v_add_f32_e32 v20, v22, v24
	v_sub_f32_e32 v23, v21, v20
	v_pk_add_f32 v[26:27], v[20:21], v[22:23] neg_lo:[0,1] neg_hi:[0,1]
	v_mov_b32_e32 v25, v20
	v_pk_add_f32 v[20:21], v[26:27], v[24:25] neg_lo:[0,1] neg_hi:[0,1]
	v_cvt_f32_i32_e32 v22, v28
	v_add_f32_e32 v12, v12, v21
	v_add_f32_e32 v12, v20, v12
	;; [unrolled: 1-line block ×4, first 2 shown]
	v_sub_f32_e32 v21, v20, v32
	v_mul_f32_e32 v12, v30, v12
	v_sub_f32_e32 v21, v31, v21
	v_add_f32_e32 v12, v21, v12
	v_add_f32_e32 v23, v20, v12
	v_mul_f32_e32 v24, v23, v23
	v_mov_b32_e32 v21, 0x3ecc95a3
	v_fmac_f32_e32 v21, 0x3e9b6dac, v24
	v_sub_f32_e32 v20, v23, v20
	v_fmaak_f32 v21, v24, v21, 0x3f2aaada
	v_sub_f32_e32 v12, v12, v20
	v_ldexp_f32 v25, v23, 1
	v_mul_f32_e32 v23, v23, v24
	v_mov_b32_e32 v20, 0x3f317218
	v_pk_mul_f32 v[20:21], v[22:23], v[20:21]
	v_ldexp_f32 v12, v12, 1
	v_fma_f32 v23, v22, s29, -v20
	v_fmamk_f32 v24, v22, 0xb102e308, v23
	v_pk_add_f32 v[22:23], v[20:21], v[24:25]
	v_mov_b32_e32 v26, v20
	v_sub_f32_e32 v25, v23, v25
	v_sub_f32_e32 v25, v21, v25
	v_add_f32_e32 v27, v12, v25
	v_pk_add_f32 v[20:21], v[22:23], v[20:21] neg_lo:[0,1] neg_hi:[0,1]
	v_pk_add_f32 v[28:29], v[22:23], v[26:27]
	v_mov_b32_e32 v25, v22
	v_mov_b32_e32 v21, v29
	v_pk_add_f32 v[30:31], v[24:25], v[20:21] neg_lo:[0,1] neg_hi:[0,1]
	v_pk_add_f32 v[20:21], v[24:25], v[20:21]
	v_mov_b32_e32 v26, v27
	v_pk_add_f32 v[24:25], v[20:21], v[22:23] op_sel:[1,0] op_sel_hi:[0,1] neg_lo:[0,1] neg_hi:[0,1]
	v_pk_add_f32 v[32:33], v[28:29], v[24:25] op_sel_hi:[1,0] neg_lo:[0,1] neg_hi:[0,1]
	v_mov_b32_e32 v28, v29
	v_mov_b32_e32 v29, v21
	v_pk_mov_b32 v[24:25], v[22:23], v[24:25] op_sel:[1,0]
	v_mov_b32_e32 v27, v22
	v_pk_add_f32 v[24:25], v[28:29], v[24:25] neg_lo:[0,1] neg_hi:[0,1]
	v_mov_b32_e32 v32, v30
	v_pk_add_f32 v[22:23], v[26:27], v[24:25] neg_lo:[0,1] neg_hi:[0,1]
	v_mov_b32_e32 v31, v21
	v_pk_add_f32 v[24:25], v[32:33], v[22:23]
	s_mov_b32 s29, 0x33800000
	v_pk_add_f32 v[26:27], v[24:25], v[24:25] op_sel:[0,1] op_sel_hi:[1,0]
	s_nop 0
	v_pk_add_f32 v[20:21], v[20:21], v[26:27] op_sel:[1,0] op_sel_hi:[0,1]
	v_mov_b32_e32 v25, v20
	v_pk_add_f32 v[28:29], v[24:25], v[30:31] neg_lo:[0,1] neg_hi:[0,1]
	v_mov_b32_e32 v23, v26
	v_sub_f32_e32 v12, v24, v28
	v_pk_add_f32 v[22:23], v[22:23], v[28:29] neg_lo:[0,1] neg_hi:[0,1]
	v_sub_f32_e32 v12, v30, v12
	v_add_f32_e32 v12, v22, v12
	v_add_f32_e32 v12, v12, v23
	;; [unrolled: 1-line block ×3, first 2 shown]
	v_cndmask_b32_e32 v12, v18, v12, vcc
	v_cmp_lt_f32_e64 vcc, |v11|, s29
	s_nop 1
	v_cndmask_b32_e32 v11, v12, v11, vcc
	v_add_f32_e32 v3, v3, v11
	v_cvt_f16_f32_e32 v25, v3
	v_cvt_f32_f16_e32 v12, v25
	v_mov_b32_e32 v11, v25
.LBB416_276:
	s_or_b64 exec, exec, s[2:3]
	v_max_f32_e32 v3, v8, v8
	v_max_f32_e32 v20, v12, v12
	v_min_f32_e32 v18, v20, v3
	v_cmp_u_f16_e32 vcc, v25, v25
	v_max_f32_e32 v3, v20, v3
	v_mov_b32_e32 v31, v11
	v_cndmask_b32_e32 v18, v18, v12, vcc
	v_cndmask_b32_e32 v3, v3, v12, vcc
	v_cndmask_b32_e64 v18, v18, v8, s[4:5]
	v_cndmask_b32_e64 v3, v3, v8, s[4:5]
	v_cmp_neq_f32_e32 vcc, v18, v3
	v_cmp_class_f32_e64 s[2:3], v18, s28
	s_or_b64 s[4:5], vcc, s[2:3]
	s_and_saveexec_b64 s[2:3], s[4:5]
	s_cbranch_execz .LBB416_278
; %bb.277:
	v_sub_f32_e32 v8, v18, v3
	s_mov_b32 s4, 0x3fb8aa3b
	v_mul_f32_e32 v12, 0x3fb8aa3b, v8
	v_fma_f32 v18, v8, s4, -v12
	v_rndne_f32_e32 v20, v12
	v_fmamk_f32 v18, v8, 0x32a5705f, v18
	v_sub_f32_e32 v12, v12, v20
	v_add_f32_e32 v12, v12, v18
	v_exp_f32_e32 v12, v12
	v_cvt_i32_f32_e32 v18, v20
	s_mov_b32 s4, 0xc2ce8ed0
	v_cmp_ngt_f32_e32 vcc, s4, v8
	s_mov_b32 s4, 0x42b17218
	v_ldexp_f32 v12, v12, v18
	v_cndmask_b32_e32 v12, 0, v12, vcc
	v_mov_b32_e32 v18, 0x7f800000
	v_cmp_nlt_f32_e32 vcc, s4, v8
	s_mov_b32 s4, 0x3f2aaaab
	s_mov_b32 s5, 0x7f800000
	v_cndmask_b32_e32 v8, v18, v12, vcc
	v_add_f32_e32 v12, 1.0, v8
	v_add_f32_e32 v20, -1.0, v12
	s_waitcnt lgkmcnt(0)
	v_sub_f32_e32 v21, v20, v12
	v_add_f32_e32 v21, 1.0, v21
	v_sub_f32_e32 v20, v8, v20
	v_add_f32_e32 v22, v20, v21
	v_frexp_mant_f32_e32 v23, v12
	v_cvt_f64_f32_e32 v[20:21], v12
	v_frexp_exp_i32_f64_e32 v20, v[20:21]
	v_cmp_gt_f32_e32 vcc, s4, v23
	s_mov_b32 s4, 0x3f317218
	s_nop 0
	v_subbrev_co_u32_e32 v28, vcc, 0, v20, vcc
	v_sub_u32_e32 v20, 0, v28
	v_ldexp_f32 v12, v12, v20
	v_ldexp_f32 v20, v22, v20
	v_add_f32_e32 v22, -1.0, v12
	v_add_f32_e32 v21, 1.0, v22
	v_sub_f32_e32 v21, v12, v21
	v_add_f32_e32 v23, v20, v21
	v_add_f32_e32 v21, 1.0, v12
	v_add_f32_e32 v24, -1.0, v21
	v_sub_f32_e32 v12, v12, v24
	v_add_f32_e32 v12, v20, v12
	v_add_f32_e32 v29, v21, v12
	v_rcp_f32_e32 v30, v29
	v_sub_f32_e32 v20, v21, v29
	v_add_f32_e32 v21, v22, v23
	v_add_f32_e32 v12, v12, v20
	v_mul_f32_e32 v32, v21, v30
	v_sub_f32_e32 v20, v22, v21
	v_mul_f32_e32 v22, v29, v32
	v_fma_f32 v24, v32, v29, -v22
	v_fmac_f32_e32 v24, v32, v12
	v_add_f32_e32 v31, v23, v20
	v_add_f32_e32 v20, v22, v24
	v_sub_f32_e32 v23, v21, v20
	v_pk_add_f32 v[26:27], v[20:21], v[22:23] neg_lo:[0,1] neg_hi:[0,1]
	v_mov_b32_e32 v25, v20
	v_pk_add_f32 v[20:21], v[26:27], v[24:25] neg_lo:[0,1] neg_hi:[0,1]
	v_cmp_neq_f32_e32 vcc, s5, v8
	v_add_f32_e32 v21, v31, v21
	v_add_f32_e32 v20, v20, v21
	;; [unrolled: 1-line block ×3, first 2 shown]
	v_mul_f32_e32 v31, v30, v21
	v_mul_f32_e32 v22, v29, v31
	v_fma_f32 v24, v31, v29, -v22
	v_fmac_f32_e32 v24, v31, v12
	v_sub_f32_e32 v12, v23, v21
	v_add_f32_e32 v12, v20, v12
	v_add_f32_e32 v20, v22, v24
	v_sub_f32_e32 v23, v21, v20
	v_pk_add_f32 v[26:27], v[20:21], v[22:23] neg_lo:[0,1] neg_hi:[0,1]
	v_mov_b32_e32 v25, v20
	v_pk_add_f32 v[20:21], v[26:27], v[24:25] neg_lo:[0,1] neg_hi:[0,1]
	v_cvt_f32_i32_e32 v22, v28
	v_add_f32_e32 v12, v12, v21
	v_add_f32_e32 v12, v20, v12
	;; [unrolled: 1-line block ×4, first 2 shown]
	v_sub_f32_e32 v21, v20, v32
	v_mul_f32_e32 v12, v30, v12
	v_sub_f32_e32 v21, v31, v21
	v_add_f32_e32 v12, v21, v12
	v_add_f32_e32 v23, v20, v12
	v_mul_f32_e32 v24, v23, v23
	v_mov_b32_e32 v21, 0x3ecc95a3
	v_fmac_f32_e32 v21, 0x3e9b6dac, v24
	v_sub_f32_e32 v20, v23, v20
	v_fmaak_f32 v21, v24, v21, 0x3f2aaada
	v_sub_f32_e32 v12, v12, v20
	v_ldexp_f32 v25, v23, 1
	v_mul_f32_e32 v23, v23, v24
	v_mov_b32_e32 v20, 0x3f317218
	v_pk_mul_f32 v[20:21], v[22:23], v[20:21]
	v_ldexp_f32 v12, v12, 1
	v_fma_f32 v23, v22, s4, -v20
	v_fmamk_f32 v24, v22, 0xb102e308, v23
	v_pk_add_f32 v[22:23], v[20:21], v[24:25]
	v_mov_b32_e32 v26, v20
	v_sub_f32_e32 v25, v23, v25
	v_sub_f32_e32 v25, v21, v25
	v_add_f32_e32 v27, v12, v25
	v_pk_add_f32 v[20:21], v[22:23], v[20:21] neg_lo:[0,1] neg_hi:[0,1]
	v_pk_add_f32 v[28:29], v[22:23], v[26:27]
	v_mov_b32_e32 v25, v22
	v_mov_b32_e32 v21, v29
	v_pk_add_f32 v[30:31], v[24:25], v[20:21] neg_lo:[0,1] neg_hi:[0,1]
	v_pk_add_f32 v[20:21], v[24:25], v[20:21]
	v_mov_b32_e32 v26, v27
	v_pk_add_f32 v[24:25], v[20:21], v[22:23] op_sel:[1,0] op_sel_hi:[0,1] neg_lo:[0,1] neg_hi:[0,1]
	v_pk_add_f32 v[32:33], v[28:29], v[24:25] op_sel_hi:[1,0] neg_lo:[0,1] neg_hi:[0,1]
	v_mov_b32_e32 v28, v29
	v_mov_b32_e32 v29, v21
	v_pk_mov_b32 v[24:25], v[22:23], v[24:25] op_sel:[1,0]
	v_mov_b32_e32 v27, v22
	v_pk_add_f32 v[24:25], v[28:29], v[24:25] neg_lo:[0,1] neg_hi:[0,1]
	v_mov_b32_e32 v32, v30
	v_pk_add_f32 v[22:23], v[26:27], v[24:25] neg_lo:[0,1] neg_hi:[0,1]
	v_mov_b32_e32 v31, v21
	v_pk_add_f32 v[24:25], v[32:33], v[22:23]
	s_mov_b32 s4, 0x33800000
	v_pk_add_f32 v[26:27], v[24:25], v[24:25] op_sel:[0,1] op_sel_hi:[1,0]
	s_nop 0
	v_pk_add_f32 v[20:21], v[20:21], v[26:27] op_sel:[1,0] op_sel_hi:[0,1]
	v_mov_b32_e32 v25, v20
	v_pk_add_f32 v[28:29], v[24:25], v[30:31] neg_lo:[0,1] neg_hi:[0,1]
	v_mov_b32_e32 v23, v26
	v_sub_f32_e32 v12, v24, v28
	v_pk_add_f32 v[22:23], v[22:23], v[28:29] neg_lo:[0,1] neg_hi:[0,1]
	v_sub_f32_e32 v12, v30, v12
	v_add_f32_e32 v12, v22, v12
	v_add_f32_e32 v12, v12, v23
	;; [unrolled: 1-line block ×3, first 2 shown]
	v_cndmask_b32_e32 v12, v18, v12, vcc
	v_cmp_lt_f32_e64 vcc, |v8|, s4
	s_nop 1
	v_cndmask_b32_e32 v8, v12, v8, vcc
	v_add_f32_e32 v3, v3, v8
	v_cvt_f16_f32_e32 v25, v3
	v_cvt_f32_f16_e32 v12, v25
	v_mov_b32_e32 v31, v25
.LBB416_278:
	s_or_b64 exec, exec, s[2:3]
	v_max_f32_e32 v3, v13, v13
	v_max_f32_e32 v18, v12, v12
	v_min_f32_e32 v8, v18, v3
	v_cmp_u_f16_e32 vcc, v25, v25
	v_max_f32_e32 v3, v18, v3
	s_movk_i32 s4, 0x1f8
	v_cndmask_b32_e32 v8, v8, v12, vcc
	v_cndmask_b32_e32 v3, v3, v12, vcc
	v_cndmask_b32_e64 v8, v8, v13, s[6:7]
	v_cndmask_b32_e64 v3, v3, v13, s[6:7]
	v_cmp_neq_f32_e32 vcc, v8, v3
	v_cmp_class_f32_e64 s[2:3], v8, s4
	s_or_b64 s[6:7], vcc, s[2:3]
	v_mov_b32_e32 v13, v31
	s_and_saveexec_b64 s[2:3], s[6:7]
	s_cbranch_execz .LBB416_280
; %bb.279:
	v_sub_f32_e32 v8, v8, v3
	s_mov_b32 s5, 0x3fb8aa3b
	v_mul_f32_e32 v12, 0x3fb8aa3b, v8
	v_fma_f32 v13, v8, s5, -v12
	v_rndne_f32_e32 v18, v12
	v_fmamk_f32 v13, v8, 0x32a5705f, v13
	v_sub_f32_e32 v12, v12, v18
	v_add_f32_e32 v12, v12, v13
	v_exp_f32_e32 v12, v12
	v_cvt_i32_f32_e32 v13, v18
	s_mov_b32 s5, 0xc2ce8ed0
	v_cmp_ngt_f32_e32 vcc, s5, v8
	s_mov_b32 s5, 0x42b17218
	v_ldexp_f32 v12, v12, v13
	v_cndmask_b32_e32 v12, 0, v12, vcc
	v_mov_b32_e32 v18, 0x7f800000
	v_cmp_nlt_f32_e32 vcc, s5, v8
	s_mov_b32 s5, 0x3f2aaaab
	s_mov_b32 s6, 0x7f800000
	v_cndmask_b32_e32 v8, v18, v12, vcc
	v_add_f32_e32 v20, 1.0, v8
	v_add_f32_e32 v12, -1.0, v20
	v_sub_f32_e32 v13, v12, v20
	v_add_f32_e32 v13, 1.0, v13
	v_sub_f32_e32 v12, v8, v12
	s_waitcnt lgkmcnt(0)
	v_add_f32_e32 v21, v12, v13
	v_frexp_mant_f32_e32 v22, v20
	v_cvt_f64_f32_e32 v[12:13], v20
	v_frexp_exp_i32_f64_e32 v12, v[12:13]
	v_cmp_gt_f32_e32 vcc, s5, v22
	s_mov_b32 s5, 0x3f317218
	s_nop 0
	v_subbrev_co_u32_e32 v26, vcc, 0, v12, vcc
	v_sub_u32_e32 v12, 0, v26
	v_ldexp_f32 v13, v20, v12
	v_add_f32_e32 v20, -1.0, v13
	v_add_f32_e32 v22, 1.0, v13
	v_ldexp_f32 v12, v21, v12
	v_add_f32_e32 v21, 1.0, v20
	v_add_f32_e32 v23, -1.0, v22
	v_sub_f32_e32 v21, v13, v21
	v_sub_f32_e32 v13, v13, v23
	v_add_f32_e32 v21, v12, v21
	v_add_f32_e32 v12, v12, v13
	;; [unrolled: 1-line block ×3, first 2 shown]
	v_rcp_f32_e32 v29, v27
	v_sub_f32_e32 v13, v22, v27
	v_add_f32_e32 v28, v12, v13
	v_add_f32_e32 v13, v20, v21
	v_mul_f32_e32 v32, v13, v29
	v_sub_f32_e32 v12, v20, v13
	v_mul_f32_e32 v20, v27, v32
	v_fma_f32 v22, v32, v27, -v20
	v_fmac_f32_e32 v22, v32, v28
	v_add_f32_e32 v30, v21, v12
	v_add_f32_e32 v12, v20, v22
	v_sub_f32_e32 v21, v13, v12
	v_pk_add_f32 v[24:25], v[12:13], v[20:21] neg_lo:[0,1] neg_hi:[0,1]
	v_mov_b32_e32 v23, v12
	v_pk_add_f32 v[12:13], v[24:25], v[22:23] neg_lo:[0,1] neg_hi:[0,1]
	v_cmp_neq_f32_e32 vcc, s6, v8
	v_add_f32_e32 v13, v30, v13
	v_add_f32_e32 v12, v12, v13
	;; [unrolled: 1-line block ×3, first 2 shown]
	v_mul_f32_e32 v30, v29, v13
	v_mul_f32_e32 v20, v27, v30
	v_fma_f32 v22, v30, v27, -v20
	v_fmac_f32_e32 v22, v30, v28
	v_sub_f32_e32 v21, v21, v13
	v_add_f32_e32 v27, v12, v21
	v_add_f32_e32 v12, v20, v22
	v_sub_f32_e32 v21, v13, v12
	v_pk_add_f32 v[24:25], v[12:13], v[20:21] neg_lo:[0,1] neg_hi:[0,1]
	v_mov_b32_e32 v23, v12
	v_pk_add_f32 v[12:13], v[24:25], v[22:23] neg_lo:[0,1] neg_hi:[0,1]
	v_cvt_f32_i32_e32 v20, v26
	v_add_f32_e32 v13, v27, v13
	v_add_f32_e32 v12, v12, v13
	;; [unrolled: 1-line block ×4, first 2 shown]
	v_sub_f32_e32 v13, v21, v32
	v_mul_f32_e32 v12, v29, v12
	v_sub_f32_e32 v13, v30, v13
	v_add_f32_e32 v12, v13, v12
	v_add_f32_e32 v22, v21, v12
	v_mul_f32_e32 v24, v22, v22
	v_mov_b32_e32 v13, 0x3ecc95a3
	v_sub_f32_e32 v21, v22, v21
	v_fmac_f32_e32 v13, 0x3e9b6dac, v24
	v_sub_f32_e32 v12, v12, v21
	v_fmaak_f32 v13, v24, v13, 0x3f2aaada
	v_ldexp_f32 v25, v12, 1
	v_mul_f32_e32 v21, v22, v24
	v_mov_b32_e32 v12, 0x3f317218
	v_pk_mul_f32 v[12:13], v[20:21], v[12:13]
	v_ldexp_f32 v23, v22, 1
	v_fma_f32 v21, v20, s5, -v12
	v_fmamk_f32 v22, v20, 0xb102e308, v21
	v_pk_add_f32 v[20:21], v[12:13], v[22:23]
	v_mov_b32_e32 v24, v12
	v_sub_f32_e32 v23, v21, v23
	v_sub_f32_e32 v23, v13, v23
	v_add_f32_e32 v25, v25, v23
	v_pk_add_f32 v[12:13], v[20:21], v[12:13] neg_lo:[0,1] neg_hi:[0,1]
	v_pk_add_f32 v[26:27], v[20:21], v[24:25]
	v_mov_b32_e32 v23, v20
	v_mov_b32_e32 v13, v27
	v_pk_add_f32 v[28:29], v[22:23], v[12:13] neg_lo:[0,1] neg_hi:[0,1]
	v_pk_add_f32 v[12:13], v[22:23], v[12:13]
	v_mov_b32_e32 v24, v25
	v_pk_add_f32 v[22:23], v[12:13], v[20:21] op_sel:[1,0] op_sel_hi:[0,1] neg_lo:[0,1] neg_hi:[0,1]
	v_pk_add_f32 v[32:33], v[26:27], v[22:23] op_sel_hi:[1,0] neg_lo:[0,1] neg_hi:[0,1]
	v_mov_b32_e32 v26, v27
	v_mov_b32_e32 v27, v13
	v_pk_mov_b32 v[22:23], v[20:21], v[22:23] op_sel:[1,0]
	v_mov_b32_e32 v25, v20
	v_pk_add_f32 v[22:23], v[26:27], v[22:23] neg_lo:[0,1] neg_hi:[0,1]
	v_mov_b32_e32 v32, v28
	v_pk_add_f32 v[20:21], v[24:25], v[22:23] neg_lo:[0,1] neg_hi:[0,1]
	v_mov_b32_e32 v29, v13
	v_pk_add_f32 v[22:23], v[32:33], v[20:21]
	s_mov_b32 s5, 0x33800000
	v_pk_add_f32 v[24:25], v[22:23], v[22:23] op_sel:[0,1] op_sel_hi:[1,0]
	s_nop 0
	v_pk_add_f32 v[12:13], v[12:13], v[24:25] op_sel:[1,0] op_sel_hi:[0,1]
	v_mov_b32_e32 v23, v12
	v_pk_add_f32 v[26:27], v[22:23], v[28:29] neg_lo:[0,1] neg_hi:[0,1]
	v_mov_b32_e32 v21, v24
	v_sub_f32_e32 v13, v22, v26
	v_pk_add_f32 v[20:21], v[20:21], v[26:27] neg_lo:[0,1] neg_hi:[0,1]
	v_sub_f32_e32 v13, v28, v13
	v_add_f32_e32 v13, v20, v13
	v_add_f32_e32 v13, v13, v21
	;; [unrolled: 1-line block ×3, first 2 shown]
	v_cndmask_b32_e32 v12, v18, v12, vcc
	v_cmp_lt_f32_e64 vcc, |v8|, s5
	s_nop 1
	v_cndmask_b32_e32 v8, v12, v8, vcc
	v_add_f32_e32 v3, v3, v8
	v_cvt_f16_f32_e32 v25, v3
	v_cvt_f32_f16_e32 v12, v25
	v_mov_b32_e32 v13, v25
.LBB416_280:
	s_or_b64 exec, exec, s[2:3]
	v_max_f32_e32 v3, v9, v9
	v_max_f32_e32 v18, v12, v12
	v_min_f32_e32 v8, v18, v3
	v_cmp_u_f16_e32 vcc, v25, v25
	v_max_f32_e32 v3, v18, v3
	v_mov_b32_e32 v20, v13
	v_cndmask_b32_e32 v8, v8, v12, vcc
	v_cndmask_b32_e32 v3, v3, v12, vcc
	v_cndmask_b32_e64 v8, v8, v9, s[8:9]
	v_cndmask_b32_e64 v3, v3, v9, s[8:9]
	v_cmp_neq_f32_e32 vcc, v8, v3
	v_cmp_class_f32_e64 s[2:3], v8, s4
	s_or_b64 s[4:5], vcc, s[2:3]
	s_and_saveexec_b64 s[2:3], s[4:5]
	s_cbranch_execz .LBB416_282
; %bb.281:
	v_sub_f32_e32 v8, v8, v3
	s_mov_b32 s4, 0x3fb8aa3b
	v_mul_f32_e32 v9, 0x3fb8aa3b, v8
	v_fma_f32 v12, v8, s4, -v9
	v_rndne_f32_e32 v18, v9
	v_fmamk_f32 v12, v8, 0x32a5705f, v12
	v_sub_f32_e32 v9, v9, v18
	v_add_f32_e32 v9, v9, v12
	v_exp_f32_e32 v9, v9
	v_cvt_i32_f32_e32 v12, v18
	s_mov_b32 s4, 0xc2ce8ed0
	v_cmp_ngt_f32_e32 vcc, s4, v8
	s_mov_b32 s4, 0x42b17218
	v_ldexp_f32 v9, v9, v12
	v_cndmask_b32_e32 v9, 0, v9, vcc
	v_mov_b32_e32 v12, 0x7f800000
	v_cmp_nlt_f32_e32 vcc, s4, v8
	s_mov_b32 s4, 0x3f2aaaab
	s_mov_b32 s5, 0x7f800000
	v_cndmask_b32_e32 v18, v12, v9, vcc
	v_add_f32_e32 v20, 1.0, v18
	v_add_f32_e32 v8, -1.0, v20
	v_sub_f32_e32 v9, v8, v20
	v_add_f32_e32 v9, 1.0, v9
	v_sub_f32_e32 v8, v18, v8
	s_waitcnt lgkmcnt(0)
	v_add_f32_e32 v21, v8, v9
	v_frexp_mant_f32_e32 v22, v20
	v_cvt_f64_f32_e32 v[8:9], v20
	v_frexp_exp_i32_f64_e32 v8, v[8:9]
	v_cmp_gt_f32_e32 vcc, s4, v22
	s_mov_b32 s4, 0x3f317218
	s_nop 0
	v_subbrev_co_u32_e32 v26, vcc, 0, v8, vcc
	v_sub_u32_e32 v8, 0, v26
	v_ldexp_f32 v9, v20, v8
	v_add_f32_e32 v20, -1.0, v9
	v_add_f32_e32 v22, 1.0, v9
	v_ldexp_f32 v8, v21, v8
	v_add_f32_e32 v21, 1.0, v20
	v_add_f32_e32 v23, -1.0, v22
	v_sub_f32_e32 v21, v9, v21
	v_sub_f32_e32 v9, v9, v23
	v_add_f32_e32 v21, v8, v21
	v_add_f32_e32 v8, v8, v9
	;; [unrolled: 1-line block ×3, first 2 shown]
	v_rcp_f32_e32 v29, v27
	v_sub_f32_e32 v9, v22, v27
	v_add_f32_e32 v28, v8, v9
	v_add_f32_e32 v9, v20, v21
	v_mul_f32_e32 v32, v9, v29
	v_sub_f32_e32 v8, v20, v9
	v_mul_f32_e32 v20, v27, v32
	v_fma_f32 v22, v32, v27, -v20
	v_fmac_f32_e32 v22, v32, v28
	v_add_f32_e32 v30, v21, v8
	v_add_f32_e32 v8, v20, v22
	v_sub_f32_e32 v21, v9, v8
	v_pk_add_f32 v[24:25], v[8:9], v[20:21] neg_lo:[0,1] neg_hi:[0,1]
	v_mov_b32_e32 v23, v8
	v_pk_add_f32 v[8:9], v[24:25], v[22:23] neg_lo:[0,1] neg_hi:[0,1]
	v_cmp_neq_f32_e32 vcc, s5, v18
	v_add_f32_e32 v9, v30, v9
	v_add_f32_e32 v8, v8, v9
	v_add_f32_e32 v9, v21, v8
	v_mul_f32_e32 v30, v29, v9
	v_mul_f32_e32 v20, v27, v30
	v_fma_f32 v22, v30, v27, -v20
	v_fmac_f32_e32 v22, v30, v28
	v_sub_f32_e32 v21, v21, v9
	v_add_f32_e32 v27, v8, v21
	v_add_f32_e32 v8, v20, v22
	v_sub_f32_e32 v21, v9, v8
	v_pk_add_f32 v[24:25], v[8:9], v[20:21] neg_lo:[0,1] neg_hi:[0,1]
	v_mov_b32_e32 v23, v8
	v_pk_add_f32 v[8:9], v[24:25], v[22:23] neg_lo:[0,1] neg_hi:[0,1]
	v_cvt_f32_i32_e32 v20, v26
	v_add_f32_e32 v9, v27, v9
	v_add_f32_e32 v8, v8, v9
	;; [unrolled: 1-line block ×4, first 2 shown]
	v_sub_f32_e32 v9, v21, v32
	v_mul_f32_e32 v8, v29, v8
	v_sub_f32_e32 v9, v30, v9
	v_add_f32_e32 v8, v9, v8
	v_add_f32_e32 v22, v21, v8
	v_mul_f32_e32 v24, v22, v22
	v_mov_b32_e32 v9, 0x3ecc95a3
	v_sub_f32_e32 v21, v22, v21
	v_fmac_f32_e32 v9, 0x3e9b6dac, v24
	v_sub_f32_e32 v8, v8, v21
	v_fmaak_f32 v9, v24, v9, 0x3f2aaada
	v_ldexp_f32 v25, v8, 1
	v_mul_f32_e32 v21, v22, v24
	v_mov_b32_e32 v8, 0x3f317218
	v_pk_mul_f32 v[8:9], v[20:21], v[8:9]
	v_ldexp_f32 v23, v22, 1
	v_fma_f32 v21, v20, s4, -v8
	v_fmamk_f32 v22, v20, 0xb102e308, v21
	v_pk_add_f32 v[20:21], v[8:9], v[22:23]
	v_mov_b32_e32 v24, v8
	v_sub_f32_e32 v23, v21, v23
	v_sub_f32_e32 v23, v9, v23
	v_add_f32_e32 v25, v25, v23
	v_pk_add_f32 v[8:9], v[20:21], v[8:9] neg_lo:[0,1] neg_hi:[0,1]
	v_pk_add_f32 v[26:27], v[20:21], v[24:25]
	v_mov_b32_e32 v23, v20
	v_mov_b32_e32 v9, v27
	v_pk_add_f32 v[28:29], v[22:23], v[8:9] neg_lo:[0,1] neg_hi:[0,1]
	v_pk_add_f32 v[8:9], v[22:23], v[8:9]
	v_mov_b32_e32 v24, v25
	v_pk_add_f32 v[22:23], v[8:9], v[20:21] op_sel:[1,0] op_sel_hi:[0,1] neg_lo:[0,1] neg_hi:[0,1]
	v_pk_add_f32 v[32:33], v[26:27], v[22:23] op_sel_hi:[1,0] neg_lo:[0,1] neg_hi:[0,1]
	v_mov_b32_e32 v26, v27
	v_mov_b32_e32 v27, v9
	v_pk_mov_b32 v[22:23], v[20:21], v[22:23] op_sel:[1,0]
	v_mov_b32_e32 v25, v20
	v_pk_add_f32 v[22:23], v[26:27], v[22:23] neg_lo:[0,1] neg_hi:[0,1]
	v_mov_b32_e32 v32, v28
	v_pk_add_f32 v[20:21], v[24:25], v[22:23] neg_lo:[0,1] neg_hi:[0,1]
	v_mov_b32_e32 v29, v9
	v_pk_add_f32 v[22:23], v[32:33], v[20:21]
	s_mov_b32 s4, 0x33800000
	v_pk_add_f32 v[24:25], v[22:23], v[22:23] op_sel:[0,1] op_sel_hi:[1,0]
	s_nop 0
	v_pk_add_f32 v[8:9], v[8:9], v[24:25] op_sel:[1,0] op_sel_hi:[0,1]
	v_mov_b32_e32 v23, v8
	v_pk_add_f32 v[26:27], v[22:23], v[28:29] neg_lo:[0,1] neg_hi:[0,1]
	v_mov_b32_e32 v21, v24
	v_sub_f32_e32 v9, v22, v26
	v_pk_add_f32 v[20:21], v[20:21], v[26:27] neg_lo:[0,1] neg_hi:[0,1]
	v_sub_f32_e32 v9, v28, v9
	v_add_f32_e32 v9, v20, v9
	v_add_f32_e32 v9, v9, v21
	;; [unrolled: 1-line block ×3, first 2 shown]
	v_cndmask_b32_e32 v8, v12, v8, vcc
	v_cmp_lt_f32_e64 vcc, |v18|, s4
	s_nop 1
	v_cndmask_b32_e32 v8, v8, v18, vcc
	v_add_f32_e32 v3, v3, v8
	v_cvt_f16_f32_e32 v25, v3
	v_cvt_f32_f16_e32 v12, v25
	v_mov_b32_e32 v20, v25
.LBB416_282:
	s_or_b64 exec, exec, s[2:3]
	v_max_f32_e32 v3, v14, v14
	v_max_f32_e32 v9, v12, v12
	v_min_f32_e32 v8, v9, v3
	v_cmp_u_f16_e32 vcc, v25, v25
	v_max_f32_e32 v3, v9, v3
	s_movk_i32 s4, 0x1f8
	v_cndmask_b32_e32 v8, v8, v12, vcc
	v_cndmask_b32_e32 v3, v3, v12, vcc
	v_cndmask_b32_e64 v8, v8, v14, s[10:11]
	v_cndmask_b32_e64 v3, v3, v14, s[10:11]
	v_cmp_neq_f32_e32 vcc, v8, v3
	v_cmp_class_f32_e64 s[2:3], v8, s4
	s_or_b64 s[6:7], vcc, s[2:3]
	v_mov_b32_e32 v14, v20
	s_and_saveexec_b64 s[2:3], s[6:7]
	s_cbranch_execz .LBB416_284
; %bb.283:
	v_sub_f32_e32 v8, v8, v3
	s_mov_b32 s5, 0x3fb8aa3b
	v_mul_f32_e32 v9, 0x3fb8aa3b, v8
	v_fma_f32 v12, v8, s5, -v9
	v_rndne_f32_e32 v14, v9
	v_fmamk_f32 v12, v8, 0x32a5705f, v12
	v_sub_f32_e32 v9, v9, v14
	v_add_f32_e32 v9, v9, v12
	v_exp_f32_e32 v9, v9
	v_cvt_i32_f32_e32 v12, v14
	s_mov_b32 s5, 0xc2ce8ed0
	v_cmp_ngt_f32_e32 vcc, s5, v8
	s_mov_b32 s5, 0x42b17218
	v_ldexp_f32 v9, v9, v12
	v_cndmask_b32_e32 v9, 0, v9, vcc
	v_mov_b32_e32 v12, 0x7f800000
	v_cmp_nlt_f32_e32 vcc, s5, v8
	s_mov_b32 s5, 0x3f2aaaab
	s_mov_b32 s6, 0x7f800000
	v_cndmask_b32_e32 v14, v12, v9, vcc
	v_add_f32_e32 v18, 1.0, v14
	v_add_f32_e32 v8, -1.0, v18
	v_sub_f32_e32 v9, v8, v18
	v_add_f32_e32 v9, 1.0, v9
	v_sub_f32_e32 v8, v14, v8
	s_waitcnt lgkmcnt(0)
	v_add_f32_e32 v21, v8, v9
	v_frexp_mant_f32_e32 v22, v18
	v_cvt_f64_f32_e32 v[8:9], v18
	v_frexp_exp_i32_f64_e32 v8, v[8:9]
	v_cmp_gt_f32_e32 vcc, s5, v22
	s_mov_b32 s5, 0x3f317218
	s_nop 0
	v_subbrev_co_u32_e32 v28, vcc, 0, v8, vcc
	v_sub_u32_e32 v8, 0, v28
	v_ldexp_f32 v9, v18, v8
	v_add_f32_e32 v18, -1.0, v9
	v_add_f32_e32 v22, 1.0, v9
	v_ldexp_f32 v8, v21, v8
	v_add_f32_e32 v21, 1.0, v18
	v_add_f32_e32 v23, -1.0, v22
	v_sub_f32_e32 v21, v9, v21
	v_sub_f32_e32 v9, v9, v23
	v_add_f32_e32 v21, v8, v21
	v_add_f32_e32 v8, v8, v9
	;; [unrolled: 1-line block ×3, first 2 shown]
	v_rcp_f32_e32 v32, v29
	v_sub_f32_e32 v9, v22, v29
	v_add_f32_e32 v30, v8, v9
	v_add_f32_e32 v9, v18, v21
	v_sub_f32_e32 v8, v18, v9
	v_add_f32_e32 v18, v21, v8
	v_mul_f32_e32 v21, v9, v32
	v_mul_f32_e32 v22, v29, v21
	v_fma_f32 v24, v21, v29, -v22
	v_fmac_f32_e32 v24, v21, v30
	v_add_f32_e32 v8, v22, v24
	v_sub_f32_e32 v23, v9, v8
	v_pk_add_f32 v[26:27], v[8:9], v[22:23] neg_lo:[0,1] neg_hi:[0,1]
	v_mov_b32_e32 v25, v8
	v_pk_add_f32 v[8:9], v[26:27], v[24:25] neg_lo:[0,1] neg_hi:[0,1]
	v_cmp_neq_f32_e32 vcc, s6, v14
	v_add_f32_e32 v9, v18, v9
	v_add_f32_e32 v8, v8, v9
	;; [unrolled: 1-line block ×3, first 2 shown]
	v_mul_f32_e32 v18, v32, v9
	v_mul_f32_e32 v22, v29, v18
	v_fma_f32 v24, v18, v29, -v22
	v_fmac_f32_e32 v24, v18, v30
	v_sub_f32_e32 v23, v23, v9
	v_add_f32_e32 v29, v8, v23
	v_add_f32_e32 v8, v22, v24
	v_sub_f32_e32 v23, v9, v8
	v_pk_add_f32 v[26:27], v[8:9], v[22:23] neg_lo:[0,1] neg_hi:[0,1]
	v_mov_b32_e32 v25, v8
	v_pk_add_f32 v[8:9], v[26:27], v[24:25] neg_lo:[0,1] neg_hi:[0,1]
	v_cvt_f32_i32_e32 v22, v28
	v_add_f32_e32 v9, v29, v9
	v_add_f32_e32 v8, v8, v9
	;; [unrolled: 1-line block ×4, first 2 shown]
	v_sub_f32_e32 v9, v23, v21
	v_mul_f32_e32 v8, v32, v8
	v_sub_f32_e32 v9, v18, v9
	v_add_f32_e32 v8, v9, v8
	v_add_f32_e32 v18, v23, v8
	v_mul_f32_e32 v21, v18, v18
	v_mov_b32_e32 v9, 0x3ecc95a3
	v_sub_f32_e32 v23, v18, v23
	v_fmac_f32_e32 v9, 0x3e9b6dac, v21
	v_sub_f32_e32 v8, v8, v23
	v_fmaak_f32 v9, v21, v9, 0x3f2aaada
	v_ldexp_f32 v26, v8, 1
	v_mul_f32_e32 v23, v18, v21
	v_mov_b32_e32 v8, 0x3f317218
	v_pk_mul_f32 v[8:9], v[22:23], v[8:9]
	v_ldexp_f32 v25, v18, 1
	v_fma_f32 v18, v22, s5, -v8
	v_fmamk_f32 v24, v22, 0xb102e308, v18
	v_pk_add_f32 v[22:23], v[8:9], v[24:25]
	s_mov_b32 s5, 0x33800000
	v_sub_f32_e32 v18, v23, v25
	v_sub_f32_e32 v18, v9, v18
	v_add_f32_e32 v27, v26, v18
	v_mov_b32_e32 v26, v8
	v_pk_add_f32 v[8:9], v[22:23], v[8:9] neg_lo:[0,1] neg_hi:[0,1]
	v_pk_add_f32 v[28:29], v[22:23], v[26:27]
	v_mov_b32_e32 v25, v22
	v_mov_b32_e32 v9, v29
	v_pk_add_f32 v[32:33], v[24:25], v[8:9] neg_lo:[0,1] neg_hi:[0,1]
	v_pk_add_f32 v[8:9], v[24:25], v[8:9]
	v_mov_b32_e32 v26, v27
	v_pk_add_f32 v[24:25], v[8:9], v[22:23] op_sel:[1,0] op_sel_hi:[0,1] neg_lo:[0,1] neg_hi:[0,1]
	v_pk_add_f32 v[34:35], v[28:29], v[24:25] op_sel_hi:[1,0] neg_lo:[0,1] neg_hi:[0,1]
	v_mov_b32_e32 v28, v29
	v_mov_b32_e32 v29, v9
	v_pk_mov_b32 v[24:25], v[22:23], v[24:25] op_sel:[1,0]
	v_mov_b32_e32 v27, v22
	v_pk_add_f32 v[24:25], v[28:29], v[24:25] neg_lo:[0,1] neg_hi:[0,1]
	v_mov_b32_e32 v34, v32
	v_pk_add_f32 v[22:23], v[26:27], v[24:25] neg_lo:[0,1] neg_hi:[0,1]
	v_mov_b32_e32 v33, v9
	v_pk_add_f32 v[24:25], v[34:35], v[22:23]
	s_nop 0
	v_pk_add_f32 v[26:27], v[24:25], v[24:25] op_sel:[0,1] op_sel_hi:[1,0]
	s_nop 0
	v_pk_add_f32 v[8:9], v[8:9], v[26:27] op_sel:[1,0] op_sel_hi:[0,1]
	v_mov_b32_e32 v25, v8
	v_pk_add_f32 v[28:29], v[24:25], v[32:33] neg_lo:[0,1] neg_hi:[0,1]
	v_mov_b32_e32 v23, v26
	v_sub_f32_e32 v9, v24, v28
	v_pk_add_f32 v[22:23], v[22:23], v[28:29] neg_lo:[0,1] neg_hi:[0,1]
	v_sub_f32_e32 v9, v32, v9
	v_add_f32_e32 v9, v22, v9
	v_add_f32_e32 v9, v9, v23
	;; [unrolled: 1-line block ×3, first 2 shown]
	v_cndmask_b32_e32 v8, v12, v8, vcc
	v_cmp_lt_f32_e64 vcc, |v14|, s5
	s_nop 1
	v_cndmask_b32_e32 v8, v8, v14, vcc
	v_add_f32_e32 v3, v3, v8
	v_cvt_f16_f32_e32 v25, v3
	v_cvt_f32_f16_e32 v12, v25
	v_mov_b32_e32 v14, v25
.LBB416_284:
	s_or_b64 exec, exec, s[2:3]
	v_max_f32_e32 v3, v6, v6
	v_max_f32_e32 v9, v12, v12
	v_min_f32_e32 v8, v9, v3
	v_cmp_u_f16_e32 vcc, v25, v25
	v_max_f32_e32 v3, v9, v3
	s_waitcnt lgkmcnt(0)
	v_mov_b32_e32 v21, v14
	v_cndmask_b32_e32 v8, v8, v12, vcc
	v_cndmask_b32_e32 v3, v3, v12, vcc
	v_cndmask_b32_e64 v8, v8, v6, s[12:13]
	v_cndmask_b32_e64 v3, v3, v6, s[12:13]
	v_cmp_neq_f32_e32 vcc, v8, v3
	v_cmp_class_f32_e64 s[2:3], v8, s4
	s_or_b64 s[4:5], vcc, s[2:3]
	s_and_saveexec_b64 s[2:3], s[4:5]
	s_cbranch_execz .LBB416_286
; %bb.285:
	v_sub_f32_e32 v6, v8, v3
	s_mov_b32 s4, 0x3fb8aa3b
	v_mul_f32_e32 v8, 0x3fb8aa3b, v6
	v_fma_f32 v9, v6, s4, -v8
	v_rndne_f32_e32 v12, v8
	v_fmamk_f32 v9, v6, 0x32a5705f, v9
	v_sub_f32_e32 v8, v8, v12
	v_add_f32_e32 v8, v8, v9
	v_exp_f32_e32 v8, v8
	v_cvt_i32_f32_e32 v9, v12
	s_mov_b32 s4, 0xc2ce8ed0
	v_cmp_ngt_f32_e32 vcc, s4, v6
	s_mov_b32 s4, 0x42b17218
	v_ldexp_f32 v8, v8, v9
	v_cndmask_b32_e32 v8, 0, v8, vcc
	v_mov_b32_e32 v12, 0x7f800000
	v_cmp_nlt_f32_e32 vcc, s4, v6
	s_mov_b32 s4, 0x3f2aaaab
	s_mov_b32 s5, 0x7f800000
	v_cndmask_b32_e32 v6, v12, v8, vcc
	v_add_f32_e32 v18, 1.0, v6
	v_add_f32_e32 v8, -1.0, v18
	v_sub_f32_e32 v9, v8, v18
	v_add_f32_e32 v9, 1.0, v9
	v_sub_f32_e32 v8, v6, v8
	v_add_f32_e32 v21, v8, v9
	v_frexp_mant_f32_e32 v22, v18
	v_cvt_f64_f32_e32 v[8:9], v18
	v_frexp_exp_i32_f64_e32 v8, v[8:9]
	v_cmp_gt_f32_e32 vcc, s4, v22
	s_mov_b32 s4, 0x3f317218
	s_nop 0
	v_subbrev_co_u32_e32 v28, vcc, 0, v8, vcc
	v_sub_u32_e32 v8, 0, v28
	v_ldexp_f32 v9, v18, v8
	v_add_f32_e32 v18, -1.0, v9
	v_add_f32_e32 v22, 1.0, v9
	v_ldexp_f32 v8, v21, v8
	v_add_f32_e32 v21, 1.0, v18
	v_add_f32_e32 v23, -1.0, v22
	v_sub_f32_e32 v21, v9, v21
	v_sub_f32_e32 v9, v9, v23
	v_add_f32_e32 v21, v8, v21
	v_add_f32_e32 v8, v8, v9
	;; [unrolled: 1-line block ×3, first 2 shown]
	v_rcp_f32_e32 v32, v29
	v_sub_f32_e32 v9, v22, v29
	v_add_f32_e32 v30, v8, v9
	v_add_f32_e32 v9, v18, v21
	v_sub_f32_e32 v8, v18, v9
	v_add_f32_e32 v18, v21, v8
	v_mul_f32_e32 v21, v9, v32
	v_mul_f32_e32 v22, v29, v21
	v_fma_f32 v24, v21, v29, -v22
	v_fmac_f32_e32 v24, v21, v30
	v_add_f32_e32 v8, v22, v24
	v_sub_f32_e32 v23, v9, v8
	v_pk_add_f32 v[26:27], v[8:9], v[22:23] neg_lo:[0,1] neg_hi:[0,1]
	v_mov_b32_e32 v25, v8
	v_pk_add_f32 v[8:9], v[26:27], v[24:25] neg_lo:[0,1] neg_hi:[0,1]
	v_cmp_neq_f32_e32 vcc, s5, v6
	v_add_f32_e32 v9, v18, v9
	v_add_f32_e32 v8, v8, v9
	;; [unrolled: 1-line block ×3, first 2 shown]
	v_mul_f32_e32 v18, v32, v9
	v_mul_f32_e32 v22, v29, v18
	v_fma_f32 v24, v18, v29, -v22
	v_fmac_f32_e32 v24, v18, v30
	v_sub_f32_e32 v23, v23, v9
	v_add_f32_e32 v29, v8, v23
	v_add_f32_e32 v8, v22, v24
	v_sub_f32_e32 v23, v9, v8
	v_pk_add_f32 v[26:27], v[8:9], v[22:23] neg_lo:[0,1] neg_hi:[0,1]
	v_mov_b32_e32 v25, v8
	v_pk_add_f32 v[8:9], v[26:27], v[24:25] neg_lo:[0,1] neg_hi:[0,1]
	v_cvt_f32_i32_e32 v22, v28
	v_add_f32_e32 v9, v29, v9
	v_add_f32_e32 v8, v8, v9
	;; [unrolled: 1-line block ×4, first 2 shown]
	v_sub_f32_e32 v9, v23, v21
	v_mul_f32_e32 v8, v32, v8
	v_sub_f32_e32 v9, v18, v9
	v_add_f32_e32 v8, v9, v8
	v_add_f32_e32 v18, v23, v8
	v_mul_f32_e32 v21, v18, v18
	v_mov_b32_e32 v9, 0x3ecc95a3
	v_sub_f32_e32 v23, v18, v23
	v_fmac_f32_e32 v9, 0x3e9b6dac, v21
	v_sub_f32_e32 v8, v8, v23
	v_fmaak_f32 v9, v21, v9, 0x3f2aaada
	v_ldexp_f32 v26, v8, 1
	v_mul_f32_e32 v23, v18, v21
	v_mov_b32_e32 v8, 0x3f317218
	v_pk_mul_f32 v[8:9], v[22:23], v[8:9]
	v_ldexp_f32 v25, v18, 1
	v_fma_f32 v18, v22, s4, -v8
	v_fmamk_f32 v24, v22, 0xb102e308, v18
	v_pk_add_f32 v[22:23], v[8:9], v[24:25]
	s_mov_b32 s4, 0x33800000
	v_sub_f32_e32 v18, v23, v25
	v_sub_f32_e32 v18, v9, v18
	v_add_f32_e32 v27, v26, v18
	v_mov_b32_e32 v26, v8
	v_pk_add_f32 v[8:9], v[22:23], v[8:9] neg_lo:[0,1] neg_hi:[0,1]
	v_pk_add_f32 v[28:29], v[22:23], v[26:27]
	v_mov_b32_e32 v25, v22
	v_mov_b32_e32 v9, v29
	v_pk_add_f32 v[32:33], v[24:25], v[8:9] neg_lo:[0,1] neg_hi:[0,1]
	v_pk_add_f32 v[8:9], v[24:25], v[8:9]
	v_mov_b32_e32 v26, v27
	v_pk_add_f32 v[24:25], v[8:9], v[22:23] op_sel:[1,0] op_sel_hi:[0,1] neg_lo:[0,1] neg_hi:[0,1]
	v_pk_add_f32 v[34:35], v[28:29], v[24:25] op_sel_hi:[1,0] neg_lo:[0,1] neg_hi:[0,1]
	v_mov_b32_e32 v28, v29
	v_mov_b32_e32 v29, v9
	v_pk_mov_b32 v[24:25], v[22:23], v[24:25] op_sel:[1,0]
	v_mov_b32_e32 v27, v22
	v_pk_add_f32 v[24:25], v[28:29], v[24:25] neg_lo:[0,1] neg_hi:[0,1]
	v_mov_b32_e32 v34, v32
	v_pk_add_f32 v[22:23], v[26:27], v[24:25] neg_lo:[0,1] neg_hi:[0,1]
	v_mov_b32_e32 v33, v9
	v_pk_add_f32 v[24:25], v[34:35], v[22:23]
	s_nop 0
	v_pk_add_f32 v[26:27], v[24:25], v[24:25] op_sel:[0,1] op_sel_hi:[1,0]
	s_nop 0
	v_pk_add_f32 v[8:9], v[8:9], v[26:27] op_sel:[1,0] op_sel_hi:[0,1]
	v_mov_b32_e32 v25, v8
	v_pk_add_f32 v[28:29], v[24:25], v[32:33] neg_lo:[0,1] neg_hi:[0,1]
	v_mov_b32_e32 v23, v26
	v_sub_f32_e32 v9, v24, v28
	v_pk_add_f32 v[22:23], v[22:23], v[28:29] neg_lo:[0,1] neg_hi:[0,1]
	v_sub_f32_e32 v9, v32, v9
	v_add_f32_e32 v9, v22, v9
	v_add_f32_e32 v9, v9, v23
	;; [unrolled: 1-line block ×3, first 2 shown]
	v_cndmask_b32_e32 v8, v12, v8, vcc
	v_cmp_lt_f32_e64 vcc, |v6|, s4
	s_nop 1
	v_cndmask_b32_e32 v6, v8, v6, vcc
	v_add_f32_e32 v3, v3, v6
	v_cvt_f16_f32_e32 v25, v3
	v_cvt_f32_f16_e32 v12, v25
	v_mov_b32_e32 v21, v25
.LBB416_286:
	s_or_b64 exec, exec, s[2:3]
	v_max_f32_e32 v3, v15, v15
	v_max_f32_e32 v8, v12, v12
	v_min_f32_e32 v6, v8, v3
	v_cmp_u_f16_e32 vcc, v25, v25
	v_max_f32_e32 v3, v8, v3
	s_movk_i32 s4, 0x1f8
	v_cndmask_b32_e32 v6, v6, v12, vcc
	v_cndmask_b32_e32 v3, v3, v12, vcc
	v_cndmask_b32_e64 v6, v6, v15, s[14:15]
	v_cndmask_b32_e64 v3, v3, v15, s[14:15]
	v_cmp_neq_f32_e32 vcc, v6, v3
	v_cmp_class_f32_e64 s[2:3], v6, s4
	s_or_b64 s[6:7], vcc, s[2:3]
	v_mov_b32_e32 v15, v21
	s_and_saveexec_b64 s[2:3], s[6:7]
	s_cbranch_execz .LBB416_288
; %bb.287:
	v_sub_f32_e32 v6, v6, v3
	s_mov_b32 s5, 0x3fb8aa3b
	v_mul_f32_e32 v8, 0x3fb8aa3b, v6
	v_fma_f32 v9, v6, s5, -v8
	v_rndne_f32_e32 v12, v8
	v_fmamk_f32 v9, v6, 0x32a5705f, v9
	v_sub_f32_e32 v8, v8, v12
	v_add_f32_e32 v8, v8, v9
	v_exp_f32_e32 v8, v8
	v_cvt_i32_f32_e32 v9, v12
	s_mov_b32 s5, 0xc2ce8ed0
	v_cmp_ngt_f32_e32 vcc, s5, v6
	s_mov_b32 s5, 0x42b17218
	v_ldexp_f32 v8, v8, v9
	v_cndmask_b32_e32 v8, 0, v8, vcc
	v_mov_b32_e32 v12, 0x7f800000
	v_cmp_nlt_f32_e32 vcc, s5, v6
	s_mov_b32 s5, 0x3f2aaaab
	s_mov_b32 s6, 0x7f800000
	v_cndmask_b32_e32 v6, v12, v8, vcc
	v_add_f32_e32 v15, 1.0, v6
	v_add_f32_e32 v8, -1.0, v15
	v_sub_f32_e32 v9, v8, v15
	v_add_f32_e32 v9, 1.0, v9
	v_sub_f32_e32 v8, v6, v8
	v_add_f32_e32 v18, v8, v9
	v_frexp_mant_f32_e32 v22, v15
	v_cvt_f64_f32_e32 v[8:9], v15
	v_frexp_exp_i32_f64_e32 v8, v[8:9]
	v_cmp_gt_f32_e32 vcc, s5, v22
	s_mov_b32 s5, 0x3f317218
	s_nop 0
	v_subbrev_co_u32_e32 v28, vcc, 0, v8, vcc
	v_sub_u32_e32 v8, 0, v28
	v_ldexp_f32 v9, v15, v8
	v_add_f32_e32 v15, -1.0, v9
	v_add_f32_e32 v22, 1.0, v9
	v_ldexp_f32 v8, v18, v8
	v_add_f32_e32 v18, 1.0, v15
	v_add_f32_e32 v23, -1.0, v22
	v_sub_f32_e32 v18, v9, v18
	v_sub_f32_e32 v9, v9, v23
	v_add_f32_e32 v18, v8, v18
	v_add_f32_e32 v8, v8, v9
	;; [unrolled: 1-line block ×3, first 2 shown]
	v_rcp_f32_e32 v32, v29
	v_sub_f32_e32 v9, v22, v29
	v_add_f32_e32 v30, v8, v9
	v_add_f32_e32 v9, v15, v18
	v_sub_f32_e32 v8, v15, v9
	v_add_f32_e32 v15, v18, v8
	v_mul_f32_e32 v18, v9, v32
	v_mul_f32_e32 v22, v29, v18
	v_fma_f32 v24, v18, v29, -v22
	v_fmac_f32_e32 v24, v18, v30
	v_add_f32_e32 v8, v22, v24
	v_sub_f32_e32 v23, v9, v8
	v_pk_add_f32 v[26:27], v[8:9], v[22:23] neg_lo:[0,1] neg_hi:[0,1]
	v_mov_b32_e32 v25, v8
	v_pk_add_f32 v[8:9], v[26:27], v[24:25] neg_lo:[0,1] neg_hi:[0,1]
	v_cmp_neq_f32_e32 vcc, s6, v6
	v_add_f32_e32 v9, v15, v9
	v_add_f32_e32 v8, v8, v9
	;; [unrolled: 1-line block ×3, first 2 shown]
	v_mul_f32_e32 v15, v32, v9
	v_mul_f32_e32 v22, v29, v15
	v_fma_f32 v24, v15, v29, -v22
	v_fmac_f32_e32 v24, v15, v30
	v_sub_f32_e32 v23, v23, v9
	v_add_f32_e32 v29, v8, v23
	v_add_f32_e32 v8, v22, v24
	v_sub_f32_e32 v23, v9, v8
	v_pk_add_f32 v[26:27], v[8:9], v[22:23] neg_lo:[0,1] neg_hi:[0,1]
	v_mov_b32_e32 v25, v8
	v_pk_add_f32 v[8:9], v[26:27], v[24:25] neg_lo:[0,1] neg_hi:[0,1]
	v_cvt_f32_i32_e32 v22, v28
	v_add_f32_e32 v9, v29, v9
	v_add_f32_e32 v8, v8, v9
	;; [unrolled: 1-line block ×4, first 2 shown]
	v_sub_f32_e32 v9, v23, v18
	v_mul_f32_e32 v8, v32, v8
	v_sub_f32_e32 v9, v15, v9
	v_add_f32_e32 v8, v9, v8
	v_add_f32_e32 v15, v23, v8
	v_mul_f32_e32 v18, v15, v15
	v_mov_b32_e32 v9, 0x3ecc95a3
	v_sub_f32_e32 v23, v15, v23
	v_fmac_f32_e32 v9, 0x3e9b6dac, v18
	v_sub_f32_e32 v8, v8, v23
	v_fmaak_f32 v9, v18, v9, 0x3f2aaada
	v_ldexp_f32 v26, v8, 1
	v_mul_f32_e32 v23, v15, v18
	v_mov_b32_e32 v8, 0x3f317218
	v_pk_mul_f32 v[8:9], v[22:23], v[8:9]
	v_ldexp_f32 v25, v15, 1
	v_fma_f32 v15, v22, s5, -v8
	v_fmamk_f32 v24, v22, 0xb102e308, v15
	v_pk_add_f32 v[22:23], v[8:9], v[24:25]
	s_mov_b32 s5, 0x33800000
	v_sub_f32_e32 v15, v23, v25
	v_sub_f32_e32 v15, v9, v15
	v_add_f32_e32 v27, v26, v15
	v_mov_b32_e32 v26, v8
	v_pk_add_f32 v[8:9], v[22:23], v[8:9] neg_lo:[0,1] neg_hi:[0,1]
	v_pk_add_f32 v[28:29], v[22:23], v[26:27]
	v_mov_b32_e32 v25, v22
	v_mov_b32_e32 v9, v29
	v_pk_add_f32 v[32:33], v[24:25], v[8:9] neg_lo:[0,1] neg_hi:[0,1]
	v_pk_add_f32 v[8:9], v[24:25], v[8:9]
	v_mov_b32_e32 v26, v27
	v_pk_add_f32 v[24:25], v[8:9], v[22:23] op_sel:[1,0] op_sel_hi:[0,1] neg_lo:[0,1] neg_hi:[0,1]
	v_pk_add_f32 v[34:35], v[28:29], v[24:25] op_sel_hi:[1,0] neg_lo:[0,1] neg_hi:[0,1]
	v_mov_b32_e32 v28, v29
	v_mov_b32_e32 v29, v9
	v_pk_mov_b32 v[24:25], v[22:23], v[24:25] op_sel:[1,0]
	v_mov_b32_e32 v27, v22
	v_pk_add_f32 v[24:25], v[28:29], v[24:25] neg_lo:[0,1] neg_hi:[0,1]
	v_mov_b32_e32 v34, v32
	v_pk_add_f32 v[22:23], v[26:27], v[24:25] neg_lo:[0,1] neg_hi:[0,1]
	v_mov_b32_e32 v33, v9
	v_pk_add_f32 v[24:25], v[34:35], v[22:23]
	s_nop 0
	v_pk_add_f32 v[26:27], v[24:25], v[24:25] op_sel:[0,1] op_sel_hi:[1,0]
	s_nop 0
	v_pk_add_f32 v[8:9], v[8:9], v[26:27] op_sel:[1,0] op_sel_hi:[0,1]
	v_mov_b32_e32 v25, v8
	v_pk_add_f32 v[28:29], v[24:25], v[32:33] neg_lo:[0,1] neg_hi:[0,1]
	v_mov_b32_e32 v23, v26
	v_sub_f32_e32 v9, v24, v28
	v_pk_add_f32 v[22:23], v[22:23], v[28:29] neg_lo:[0,1] neg_hi:[0,1]
	v_sub_f32_e32 v9, v32, v9
	v_add_f32_e32 v9, v22, v9
	v_add_f32_e32 v9, v9, v23
	;; [unrolled: 1-line block ×3, first 2 shown]
	v_cndmask_b32_e32 v8, v12, v8, vcc
	v_cmp_lt_f32_e64 vcc, |v6|, s5
	s_nop 1
	v_cndmask_b32_e32 v6, v8, v6, vcc
	v_add_f32_e32 v3, v3, v6
	v_cvt_f16_f32_e32 v25, v3
	v_cvt_f32_f16_e32 v12, v25
	v_mov_b32_e32 v15, v25
.LBB416_288:
	s_or_b64 exec, exec, s[2:3]
	v_max_f32_e32 v3, v7, v7
	v_max_f32_e32 v8, v12, v12
	v_min_f32_e32 v6, v8, v3
	v_cmp_u_f16_e32 vcc, v25, v25
	v_max_f32_e32 v3, v8, v3
	v_mov_b32_e32 v22, v15
	v_cndmask_b32_e32 v6, v6, v12, vcc
	v_cndmask_b32_e32 v3, v3, v12, vcc
	v_cndmask_b32_e64 v6, v6, v7, s[16:17]
	v_cndmask_b32_e64 v3, v3, v7, s[16:17]
	v_cmp_neq_f32_e32 vcc, v6, v3
	v_cmp_class_f32_e64 s[2:3], v6, s4
	s_or_b64 s[4:5], vcc, s[2:3]
	s_and_saveexec_b64 s[2:3], s[4:5]
	s_cbranch_execz .LBB416_290
; %bb.289:
	v_sub_f32_e32 v6, v6, v3
	s_mov_b32 s4, 0x3fb8aa3b
	v_mul_f32_e32 v7, 0x3fb8aa3b, v6
	v_fma_f32 v8, v6, s4, -v7
	v_rndne_f32_e32 v9, v7
	v_fmamk_f32 v8, v6, 0x32a5705f, v8
	v_sub_f32_e32 v7, v7, v9
	v_add_f32_e32 v7, v7, v8
	v_exp_f32_e32 v7, v7
	v_cvt_i32_f32_e32 v8, v9
	s_mov_b32 s4, 0xc2ce8ed0
	v_cmp_ngt_f32_e32 vcc, s4, v6
	s_mov_b32 s4, 0x42b17218
	v_ldexp_f32 v7, v7, v8
	v_cndmask_b32_e32 v7, 0, v7, vcc
	v_mov_b32_e32 v12, 0x7f800000
	v_cmp_nlt_f32_e32 vcc, s4, v6
	s_mov_b32 s4, 0x3f2aaaab
	s_mov_b32 s5, 0x7f800000
	v_cndmask_b32_e32 v18, v12, v7, vcc
	v_add_f32_e32 v8, 1.0, v18
	v_add_f32_e32 v6, -1.0, v8
	v_sub_f32_e32 v7, v6, v8
	v_add_f32_e32 v7, 1.0, v7
	v_sub_f32_e32 v6, v18, v6
	v_add_f32_e32 v9, v6, v7
	v_frexp_mant_f32_e32 v22, v8
	v_cvt_f64_f32_e32 v[6:7], v8
	v_frexp_exp_i32_f64_e32 v6, v[6:7]
	v_cmp_gt_f32_e32 vcc, s4, v22
	s_mov_b32 s4, 0x3f317218
	s_nop 0
	v_subbrev_co_u32_e32 v26, vcc, 0, v6, vcc
	v_sub_u32_e32 v6, 0, v26
	v_ldexp_f32 v7, v8, v6
	v_add_f32_e32 v8, -1.0, v7
	v_add_f32_e32 v22, 1.0, v7
	v_ldexp_f32 v6, v9, v6
	v_add_f32_e32 v9, 1.0, v8
	v_add_f32_e32 v23, -1.0, v22
	v_sub_f32_e32 v9, v7, v9
	v_sub_f32_e32 v7, v7, v23
	v_add_f32_e32 v9, v6, v9
	v_add_f32_e32 v6, v6, v7
	;; [unrolled: 1-line block ×3, first 2 shown]
	v_rcp_f32_e32 v29, v27
	v_sub_f32_e32 v7, v22, v27
	v_add_f32_e32 v28, v6, v7
	v_add_f32_e32 v7, v8, v9
	v_mul_f32_e32 v32, v7, v29
	v_sub_f32_e32 v6, v8, v7
	v_mul_f32_e32 v8, v27, v32
	v_fma_f32 v22, v32, v27, -v8
	v_fmac_f32_e32 v22, v32, v28
	v_add_f32_e32 v30, v9, v6
	v_add_f32_e32 v6, v8, v22
	v_sub_f32_e32 v9, v7, v6
	v_pk_add_f32 v[24:25], v[6:7], v[8:9] neg_lo:[0,1] neg_hi:[0,1]
	v_mov_b32_e32 v23, v6
	v_pk_add_f32 v[6:7], v[24:25], v[22:23] neg_lo:[0,1] neg_hi:[0,1]
	v_cmp_neq_f32_e32 vcc, s5, v18
	v_add_f32_e32 v7, v30, v7
	v_add_f32_e32 v6, v6, v7
	;; [unrolled: 1-line block ×3, first 2 shown]
	v_mul_f32_e32 v30, v29, v7
	v_mul_f32_e32 v8, v27, v30
	v_fma_f32 v22, v30, v27, -v8
	v_fmac_f32_e32 v22, v30, v28
	v_sub_f32_e32 v9, v9, v7
	v_add_f32_e32 v27, v6, v9
	v_add_f32_e32 v6, v8, v22
	v_sub_f32_e32 v9, v7, v6
	v_pk_add_f32 v[24:25], v[6:7], v[8:9] neg_lo:[0,1] neg_hi:[0,1]
	v_mov_b32_e32 v23, v6
	v_pk_add_f32 v[6:7], v[24:25], v[22:23] neg_lo:[0,1] neg_hi:[0,1]
	v_cvt_f32_i32_e32 v8, v26
	v_add_f32_e32 v7, v27, v7
	v_add_f32_e32 v6, v6, v7
	;; [unrolled: 1-line block ×4, first 2 shown]
	v_sub_f32_e32 v7, v9, v32
	v_mul_f32_e32 v6, v29, v6
	v_sub_f32_e32 v7, v30, v7
	v_add_f32_e32 v6, v7, v6
	v_add_f32_e32 v22, v9, v6
	v_mul_f32_e32 v24, v22, v22
	v_mov_b32_e32 v7, 0x3ecc95a3
	v_sub_f32_e32 v9, v22, v9
	v_fmac_f32_e32 v7, 0x3e9b6dac, v24
	v_sub_f32_e32 v6, v6, v9
	v_fmaak_f32 v7, v24, v7, 0x3f2aaada
	v_ldexp_f32 v25, v6, 1
	v_mul_f32_e32 v9, v22, v24
	v_mov_b32_e32 v6, 0x3f317218
	v_pk_mul_f32 v[6:7], v[8:9], v[6:7]
	v_ldexp_f32 v23, v22, 1
	v_fma_f32 v9, v8, s4, -v6
	v_fmamk_f32 v22, v8, 0xb102e308, v9
	v_pk_add_f32 v[8:9], v[6:7], v[22:23]
	v_mov_b32_e32 v24, v6
	v_sub_f32_e32 v23, v9, v23
	v_sub_f32_e32 v23, v7, v23
	v_add_f32_e32 v25, v25, v23
	v_pk_add_f32 v[6:7], v[8:9], v[6:7] neg_lo:[0,1] neg_hi:[0,1]
	v_pk_add_f32 v[26:27], v[8:9], v[24:25]
	v_mov_b32_e32 v23, v8
	v_mov_b32_e32 v7, v27
	v_pk_add_f32 v[28:29], v[22:23], v[6:7] neg_lo:[0,1] neg_hi:[0,1]
	v_pk_add_f32 v[6:7], v[22:23], v[6:7]
	v_mov_b32_e32 v24, v25
	v_pk_add_f32 v[22:23], v[6:7], v[8:9] op_sel:[1,0] op_sel_hi:[0,1] neg_lo:[0,1] neg_hi:[0,1]
	v_pk_add_f32 v[32:33], v[26:27], v[22:23] op_sel_hi:[1,0] neg_lo:[0,1] neg_hi:[0,1]
	v_mov_b32_e32 v26, v27
	v_mov_b32_e32 v27, v7
	v_pk_mov_b32 v[22:23], v[8:9], v[22:23] op_sel:[1,0]
	v_mov_b32_e32 v25, v8
	v_pk_add_f32 v[22:23], v[26:27], v[22:23] neg_lo:[0,1] neg_hi:[0,1]
	v_mov_b32_e32 v32, v28
	v_pk_add_f32 v[8:9], v[24:25], v[22:23] neg_lo:[0,1] neg_hi:[0,1]
	v_mov_b32_e32 v29, v7
	v_pk_add_f32 v[22:23], v[32:33], v[8:9]
	s_mov_b32 s4, 0x33800000
	v_pk_add_f32 v[24:25], v[22:23], v[22:23] op_sel:[0,1] op_sel_hi:[1,0]
	s_nop 0
	v_pk_add_f32 v[6:7], v[6:7], v[24:25] op_sel:[1,0] op_sel_hi:[0,1]
	v_mov_b32_e32 v23, v6
	v_pk_add_f32 v[26:27], v[22:23], v[28:29] neg_lo:[0,1] neg_hi:[0,1]
	v_mov_b32_e32 v9, v24
	v_sub_f32_e32 v7, v22, v26
	v_pk_add_f32 v[8:9], v[8:9], v[26:27] neg_lo:[0,1] neg_hi:[0,1]
	v_sub_f32_e32 v7, v28, v7
	v_add_f32_e32 v7, v8, v7
	v_add_f32_e32 v7, v7, v9
	;; [unrolled: 1-line block ×3, first 2 shown]
	v_cndmask_b32_e32 v6, v12, v6, vcc
	v_cmp_lt_f32_e64 vcc, |v18|, s4
	s_nop 1
	v_cndmask_b32_e32 v6, v6, v18, vcc
	v_add_f32_e32 v3, v3, v6
	v_cvt_f16_f32_e32 v25, v3
	v_cvt_f32_f16_e32 v12, v25
	v_mov_b32_e32 v22, v25
.LBB416_290:
	s_or_b64 exec, exec, s[2:3]
	v_max_f32_e32 v3, v16, v16
	v_max_f32_e32 v7, v12, v12
	v_min_f32_e32 v6, v7, v3
	v_cmp_u_f16_e32 vcc, v25, v25
	v_max_f32_e32 v3, v7, v3
	s_movk_i32 s4, 0x1f8
	v_cndmask_b32_e32 v6, v6, v12, vcc
	v_cndmask_b32_e32 v3, v3, v12, vcc
	v_cndmask_b32_e64 v6, v6, v16, s[18:19]
	v_cndmask_b32_e64 v3, v3, v16, s[18:19]
	v_cmp_neq_f32_e32 vcc, v6, v3
	v_cmp_class_f32_e64 s[2:3], v6, s4
	s_or_b64 s[6:7], vcc, s[2:3]
	v_mov_b32_e32 v16, v22
	s_and_saveexec_b64 s[2:3], s[6:7]
	s_cbranch_execz .LBB416_292
; %bb.291:
	v_sub_f32_e32 v6, v6, v3
	s_mov_b32 s5, 0x3fb8aa3b
	v_mul_f32_e32 v7, 0x3fb8aa3b, v6
	v_fma_f32 v8, v6, s5, -v7
	v_rndne_f32_e32 v9, v7
	v_fmamk_f32 v8, v6, 0x32a5705f, v8
	v_sub_f32_e32 v7, v7, v9
	v_add_f32_e32 v7, v7, v8
	v_exp_f32_e32 v7, v7
	v_cvt_i32_f32_e32 v8, v9
	s_mov_b32 s5, 0xc2ce8ed0
	v_cmp_ngt_f32_e32 vcc, s5, v6
	s_mov_b32 s5, 0x42b17218
	v_ldexp_f32 v7, v7, v8
	v_cndmask_b32_e32 v7, 0, v7, vcc
	v_mov_b32_e32 v12, 0x7f800000
	v_cmp_nlt_f32_e32 vcc, s5, v6
	s_mov_b32 s5, 0x3f2aaaab
	s_mov_b32 s6, 0x7f800000
	v_cndmask_b32_e32 v16, v12, v7, vcc
	v_add_f32_e32 v8, 1.0, v16
	v_add_f32_e32 v6, -1.0, v8
	v_sub_f32_e32 v7, v6, v8
	v_add_f32_e32 v7, 1.0, v7
	v_sub_f32_e32 v6, v16, v6
	v_add_f32_e32 v9, v6, v7
	v_frexp_mant_f32_e32 v18, v8
	v_cvt_f64_f32_e32 v[6:7], v8
	v_frexp_exp_i32_f64_e32 v6, v[6:7]
	v_cmp_gt_f32_e32 vcc, s5, v18
	s_mov_b32 s5, 0x3f317218
	s_nop 0
	v_subbrev_co_u32_e32 v18, vcc, 0, v6, vcc
	v_sub_u32_e32 v6, 0, v18
	v_ldexp_f32 v7, v8, v6
	v_add_f32_e32 v8, -1.0, v7
	v_add_f32_e32 v23, 1.0, v7
	v_ldexp_f32 v6, v9, v6
	v_add_f32_e32 v9, 1.0, v8
	v_add_f32_e32 v24, -1.0, v23
	v_sub_f32_e32 v9, v7, v9
	v_sub_f32_e32 v7, v7, v24
	v_add_f32_e32 v9, v6, v9
	v_add_f32_e32 v6, v6, v7
	;; [unrolled: 1-line block ×3, first 2 shown]
	v_rcp_f32_e32 v29, v28
	v_sub_f32_e32 v7, v23, v28
	v_add_f32_e32 v23, v6, v7
	v_add_f32_e32 v7, v8, v9
	v_mul_f32_e32 v32, v7, v29
	v_sub_f32_e32 v6, v8, v7
	v_mul_f32_e32 v8, v28, v32
	v_fma_f32 v24, v32, v28, -v8
	v_fmac_f32_e32 v24, v32, v23
	v_add_f32_e32 v30, v9, v6
	v_add_f32_e32 v6, v8, v24
	v_sub_f32_e32 v9, v7, v6
	v_pk_add_f32 v[26:27], v[6:7], v[8:9] neg_lo:[0,1] neg_hi:[0,1]
	v_mov_b32_e32 v25, v6
	v_pk_add_f32 v[6:7], v[26:27], v[24:25] neg_lo:[0,1] neg_hi:[0,1]
	v_cmp_neq_f32_e32 vcc, s6, v16
	v_add_f32_e32 v7, v30, v7
	v_add_f32_e32 v6, v6, v7
	;; [unrolled: 1-line block ×3, first 2 shown]
	v_mul_f32_e32 v30, v29, v7
	v_mul_f32_e32 v8, v28, v30
	v_fma_f32 v24, v30, v28, -v8
	v_fmac_f32_e32 v24, v30, v23
	v_sub_f32_e32 v9, v9, v7
	v_add_f32_e32 v23, v6, v9
	v_add_f32_e32 v6, v8, v24
	v_sub_f32_e32 v9, v7, v6
	v_pk_add_f32 v[26:27], v[6:7], v[8:9] neg_lo:[0,1] neg_hi:[0,1]
	v_mov_b32_e32 v25, v6
	v_pk_add_f32 v[6:7], v[26:27], v[24:25] neg_lo:[0,1] neg_hi:[0,1]
	v_cvt_f32_i32_e32 v8, v18
	v_add_f32_e32 v7, v23, v7
	v_add_f32_e32 v6, v6, v7
	;; [unrolled: 1-line block ×4, first 2 shown]
	v_sub_f32_e32 v7, v9, v32
	v_mul_f32_e32 v6, v29, v6
	v_sub_f32_e32 v7, v30, v7
	v_add_f32_e32 v6, v7, v6
	v_add_f32_e32 v23, v9, v6
	v_mul_f32_e32 v24, v23, v23
	v_mov_b32_e32 v7, 0x3ecc95a3
	v_sub_f32_e32 v9, v23, v9
	v_fmac_f32_e32 v7, 0x3e9b6dac, v24
	v_sub_f32_e32 v6, v6, v9
	v_fmaak_f32 v7, v24, v7, 0x3f2aaada
	v_ldexp_f32 v18, v6, 1
	v_mul_f32_e32 v9, v23, v24
	v_mov_b32_e32 v6, 0x3f317218
	v_pk_mul_f32 v[6:7], v[8:9], v[6:7]
	v_ldexp_f32 v25, v23, 1
	v_fma_f32 v9, v8, s5, -v6
	v_fmamk_f32 v24, v8, 0xb102e308, v9
	v_pk_add_f32 v[8:9], v[6:7], v[24:25]
	v_mov_b32_e32 v26, v6
	v_sub_f32_e32 v23, v9, v25
	v_sub_f32_e32 v23, v7, v23
	v_add_f32_e32 v27, v18, v23
	v_pk_add_f32 v[6:7], v[8:9], v[6:7] neg_lo:[0,1] neg_hi:[0,1]
	v_pk_add_f32 v[28:29], v[8:9], v[26:27]
	v_mov_b32_e32 v25, v8
	v_mov_b32_e32 v7, v29
	v_pk_add_f32 v[32:33], v[24:25], v[6:7] neg_lo:[0,1] neg_hi:[0,1]
	v_pk_add_f32 v[6:7], v[24:25], v[6:7]
	v_mov_b32_e32 v26, v27
	v_pk_add_f32 v[24:25], v[6:7], v[8:9] op_sel:[1,0] op_sel_hi:[0,1] neg_lo:[0,1] neg_hi:[0,1]
	v_pk_add_f32 v[34:35], v[28:29], v[24:25] op_sel_hi:[1,0] neg_lo:[0,1] neg_hi:[0,1]
	v_mov_b32_e32 v28, v29
	v_mov_b32_e32 v29, v7
	v_pk_mov_b32 v[24:25], v[8:9], v[24:25] op_sel:[1,0]
	v_mov_b32_e32 v27, v8
	v_pk_add_f32 v[24:25], v[28:29], v[24:25] neg_lo:[0,1] neg_hi:[0,1]
	v_mov_b32_e32 v34, v32
	v_pk_add_f32 v[8:9], v[26:27], v[24:25] neg_lo:[0,1] neg_hi:[0,1]
	v_mov_b32_e32 v33, v7
	v_pk_add_f32 v[24:25], v[34:35], v[8:9]
	s_mov_b32 s5, 0x33800000
	v_pk_add_f32 v[26:27], v[24:25], v[24:25] op_sel:[0,1] op_sel_hi:[1,0]
	s_nop 0
	v_pk_add_f32 v[6:7], v[6:7], v[26:27] op_sel:[1,0] op_sel_hi:[0,1]
	v_mov_b32_e32 v25, v6
	v_pk_add_f32 v[28:29], v[24:25], v[32:33] neg_lo:[0,1] neg_hi:[0,1]
	v_mov_b32_e32 v9, v26
	v_sub_f32_e32 v7, v24, v28
	v_pk_add_f32 v[8:9], v[8:9], v[28:29] neg_lo:[0,1] neg_hi:[0,1]
	v_sub_f32_e32 v7, v32, v7
	v_add_f32_e32 v7, v8, v7
	v_add_f32_e32 v7, v7, v9
	;; [unrolled: 1-line block ×3, first 2 shown]
	v_cndmask_b32_e32 v6, v12, v6, vcc
	v_cmp_lt_f32_e64 vcc, |v16|, s5
	s_nop 1
	v_cndmask_b32_e32 v6, v6, v16, vcc
	v_add_f32_e32 v3, v3, v6
	v_cvt_f16_f32_e32 v25, v3
	v_cvt_f32_f16_e32 v12, v25
	v_mov_b32_e32 v16, v25
.LBB416_292:
	s_or_b64 exec, exec, s[2:3]
	v_max_f32_e32 v3, v4, v4
	v_max_f32_e32 v7, v12, v12
	v_min_f32_e32 v6, v7, v3
	v_cmp_u_f16_e32 vcc, v25, v25
	v_max_f32_e32 v3, v7, v3
	v_mov_b32_e32 v23, v16
	v_cndmask_b32_e32 v6, v6, v12, vcc
	v_cndmask_b32_e32 v3, v3, v12, vcc
	v_cndmask_b32_e64 v6, v6, v4, s[20:21]
	v_cndmask_b32_e64 v3, v3, v4, s[20:21]
	v_cmp_neq_f32_e32 vcc, v6, v3
	v_cmp_class_f32_e64 s[2:3], v6, s4
	s_or_b64 s[4:5], vcc, s[2:3]
	s_and_saveexec_b64 s[2:3], s[4:5]
	s_cbranch_execz .LBB416_294
; %bb.293:
	v_sub_f32_e32 v4, v6, v3
	s_mov_b32 s4, 0x3fb8aa3b
	v_mul_f32_e32 v6, 0x3fb8aa3b, v4
	v_fma_f32 v7, v4, s4, -v6
	v_rndne_f32_e32 v8, v6
	v_fmamk_f32 v7, v4, 0x32a5705f, v7
	v_sub_f32_e32 v6, v6, v8
	v_add_f32_e32 v6, v6, v7
	v_exp_f32_e32 v6, v6
	v_cvt_i32_f32_e32 v7, v8
	s_mov_b32 s4, 0xc2ce8ed0
	v_cmp_ngt_f32_e32 vcc, s4, v4
	s_mov_b32 s4, 0x42b17218
	v_ldexp_f32 v6, v6, v7
	v_cndmask_b32_e32 v6, 0, v6, vcc
	v_mov_b32_e32 v12, 0x7f800000
	v_cmp_nlt_f32_e32 vcc, s4, v4
	s_mov_b32 s4, 0x3f2aaaab
	s_mov_b32 s5, 0x7f800000
	v_cndmask_b32_e32 v4, v12, v6, vcc
	v_add_f32_e32 v8, 1.0, v4
	v_add_f32_e32 v6, -1.0, v8
	v_sub_f32_e32 v7, v6, v8
	v_add_f32_e32 v7, 1.0, v7
	v_sub_f32_e32 v6, v4, v6
	v_add_f32_e32 v9, v6, v7
	v_frexp_mant_f32_e32 v18, v8
	v_cvt_f64_f32_e32 v[6:7], v8
	v_frexp_exp_i32_f64_e32 v6, v[6:7]
	v_cmp_gt_f32_e32 vcc, s4, v18
	s_mov_b32 s4, 0x3f317218
	s_nop 0
	v_subbrev_co_u32_e32 v18, vcc, 0, v6, vcc
	v_sub_u32_e32 v6, 0, v18
	v_ldexp_f32 v7, v8, v6
	v_add_f32_e32 v8, -1.0, v7
	v_add_f32_e32 v23, 1.0, v7
	v_ldexp_f32 v6, v9, v6
	v_add_f32_e32 v9, 1.0, v8
	v_add_f32_e32 v24, -1.0, v23
	v_sub_f32_e32 v9, v7, v9
	v_sub_f32_e32 v7, v7, v24
	v_add_f32_e32 v9, v6, v9
	v_add_f32_e32 v6, v6, v7
	;; [unrolled: 1-line block ×3, first 2 shown]
	v_rcp_f32_e32 v29, v28
	v_sub_f32_e32 v7, v23, v28
	v_add_f32_e32 v23, v6, v7
	v_add_f32_e32 v7, v8, v9
	v_mul_f32_e32 v32, v7, v29
	v_sub_f32_e32 v6, v8, v7
	v_mul_f32_e32 v8, v28, v32
	v_fma_f32 v24, v32, v28, -v8
	v_fmac_f32_e32 v24, v32, v23
	v_add_f32_e32 v30, v9, v6
	v_add_f32_e32 v6, v8, v24
	v_sub_f32_e32 v9, v7, v6
	v_pk_add_f32 v[26:27], v[6:7], v[8:9] neg_lo:[0,1] neg_hi:[0,1]
	v_mov_b32_e32 v25, v6
	v_pk_add_f32 v[6:7], v[26:27], v[24:25] neg_lo:[0,1] neg_hi:[0,1]
	v_cmp_neq_f32_e32 vcc, s5, v4
	v_add_f32_e32 v7, v30, v7
	v_add_f32_e32 v6, v6, v7
	;; [unrolled: 1-line block ×3, first 2 shown]
	v_mul_f32_e32 v30, v29, v7
	v_mul_f32_e32 v8, v28, v30
	v_fma_f32 v24, v30, v28, -v8
	v_fmac_f32_e32 v24, v30, v23
	v_sub_f32_e32 v9, v9, v7
	v_add_f32_e32 v23, v6, v9
	v_add_f32_e32 v6, v8, v24
	v_sub_f32_e32 v9, v7, v6
	v_pk_add_f32 v[26:27], v[6:7], v[8:9] neg_lo:[0,1] neg_hi:[0,1]
	v_mov_b32_e32 v25, v6
	v_pk_add_f32 v[6:7], v[26:27], v[24:25] neg_lo:[0,1] neg_hi:[0,1]
	v_cvt_f32_i32_e32 v8, v18
	v_add_f32_e32 v7, v23, v7
	v_add_f32_e32 v6, v6, v7
	;; [unrolled: 1-line block ×4, first 2 shown]
	v_sub_f32_e32 v7, v9, v32
	v_mul_f32_e32 v6, v29, v6
	v_sub_f32_e32 v7, v30, v7
	v_add_f32_e32 v6, v7, v6
	v_add_f32_e32 v23, v9, v6
	v_mul_f32_e32 v24, v23, v23
	v_mov_b32_e32 v7, 0x3ecc95a3
	v_sub_f32_e32 v9, v23, v9
	v_fmac_f32_e32 v7, 0x3e9b6dac, v24
	v_sub_f32_e32 v6, v6, v9
	v_fmaak_f32 v7, v24, v7, 0x3f2aaada
	v_ldexp_f32 v18, v6, 1
	v_mul_f32_e32 v9, v23, v24
	v_mov_b32_e32 v6, 0x3f317218
	v_pk_mul_f32 v[6:7], v[8:9], v[6:7]
	v_ldexp_f32 v25, v23, 1
	v_fma_f32 v9, v8, s4, -v6
	v_fmamk_f32 v24, v8, 0xb102e308, v9
	v_pk_add_f32 v[8:9], v[6:7], v[24:25]
	v_mov_b32_e32 v26, v6
	v_sub_f32_e32 v23, v9, v25
	v_sub_f32_e32 v23, v7, v23
	v_add_f32_e32 v27, v18, v23
	v_pk_add_f32 v[6:7], v[8:9], v[6:7] neg_lo:[0,1] neg_hi:[0,1]
	v_pk_add_f32 v[28:29], v[8:9], v[26:27]
	v_mov_b32_e32 v25, v8
	v_mov_b32_e32 v7, v29
	v_pk_add_f32 v[32:33], v[24:25], v[6:7] neg_lo:[0,1] neg_hi:[0,1]
	v_pk_add_f32 v[6:7], v[24:25], v[6:7]
	v_mov_b32_e32 v26, v27
	v_pk_add_f32 v[24:25], v[6:7], v[8:9] op_sel:[1,0] op_sel_hi:[0,1] neg_lo:[0,1] neg_hi:[0,1]
	v_pk_add_f32 v[34:35], v[28:29], v[24:25] op_sel_hi:[1,0] neg_lo:[0,1] neg_hi:[0,1]
	v_mov_b32_e32 v28, v29
	v_mov_b32_e32 v29, v7
	v_pk_mov_b32 v[24:25], v[8:9], v[24:25] op_sel:[1,0]
	v_mov_b32_e32 v27, v8
	v_pk_add_f32 v[24:25], v[28:29], v[24:25] neg_lo:[0,1] neg_hi:[0,1]
	v_mov_b32_e32 v34, v32
	v_pk_add_f32 v[8:9], v[26:27], v[24:25] neg_lo:[0,1] neg_hi:[0,1]
	v_mov_b32_e32 v33, v7
	v_pk_add_f32 v[24:25], v[34:35], v[8:9]
	s_mov_b32 s4, 0x33800000
	v_pk_add_f32 v[26:27], v[24:25], v[24:25] op_sel:[0,1] op_sel_hi:[1,0]
	s_nop 0
	v_pk_add_f32 v[6:7], v[6:7], v[26:27] op_sel:[1,0] op_sel_hi:[0,1]
	v_mov_b32_e32 v25, v6
	v_pk_add_f32 v[28:29], v[24:25], v[32:33] neg_lo:[0,1] neg_hi:[0,1]
	v_mov_b32_e32 v9, v26
	v_sub_f32_e32 v7, v24, v28
	v_pk_add_f32 v[8:9], v[8:9], v[28:29] neg_lo:[0,1] neg_hi:[0,1]
	v_sub_f32_e32 v7, v32, v7
	v_add_f32_e32 v7, v8, v7
	v_add_f32_e32 v7, v7, v9
	;; [unrolled: 1-line block ×3, first 2 shown]
	v_cndmask_b32_e32 v6, v12, v6, vcc
	v_cmp_lt_f32_e64 vcc, |v4|, s4
	s_nop 1
	v_cndmask_b32_e32 v4, v6, v4, vcc
	v_add_f32_e32 v3, v3, v4
	v_cvt_f16_f32_e32 v25, v3
	v_cvt_f32_f16_e32 v12, v25
	v_mov_b32_e32 v23, v25
.LBB416_294:
	s_or_b64 exec, exec, s[2:3]
	v_max_f32_e32 v3, v17, v17
	v_max_f32_e32 v6, v12, v12
	v_min_f32_e32 v4, v6, v3
	v_cmp_u_f16_e32 vcc, v25, v25
	v_max_f32_e32 v3, v6, v3
	s_movk_i32 s4, 0x1f8
	v_cndmask_b32_e32 v4, v4, v12, vcc
	v_cndmask_b32_e32 v3, v3, v12, vcc
	v_cndmask_b32_e64 v4, v4, v17, s[22:23]
	v_cndmask_b32_e64 v3, v3, v17, s[22:23]
	v_cmp_neq_f32_e32 vcc, v4, v3
	v_cmp_class_f32_e64 s[2:3], v4, s4
	s_or_b64 s[6:7], vcc, s[2:3]
	v_mov_b32_e32 v17, v23
	s_and_saveexec_b64 s[2:3], s[6:7]
	s_cbranch_execz .LBB416_296
; %bb.295:
	v_sub_f32_e32 v4, v4, v3
	s_mov_b32 s5, 0x3fb8aa3b
	v_mul_f32_e32 v6, 0x3fb8aa3b, v4
	v_fma_f32 v7, v4, s5, -v6
	v_rndne_f32_e32 v8, v6
	v_fmamk_f32 v7, v4, 0x32a5705f, v7
	v_sub_f32_e32 v6, v6, v8
	v_add_f32_e32 v6, v6, v7
	v_exp_f32_e32 v6, v6
	v_cvt_i32_f32_e32 v7, v8
	s_mov_b32 s5, 0xc2ce8ed0
	v_cmp_ngt_f32_e32 vcc, s5, v4
	s_mov_b32 s5, 0x42b17218
	v_ldexp_f32 v6, v6, v7
	v_cndmask_b32_e32 v6, 0, v6, vcc
	v_mov_b32_e32 v12, 0x7f800000
	v_cmp_nlt_f32_e32 vcc, s5, v4
	s_mov_b32 s5, 0x3f2aaaab
	s_mov_b32 s6, 0x7f800000
	v_cndmask_b32_e32 v4, v12, v6, vcc
	v_add_f32_e32 v8, 1.0, v4
	v_add_f32_e32 v6, -1.0, v8
	v_sub_f32_e32 v7, v6, v8
	v_add_f32_e32 v7, 1.0, v7
	v_sub_f32_e32 v6, v4, v6
	v_add_f32_e32 v9, v6, v7
	v_frexp_mant_f32_e32 v17, v8
	v_cvt_f64_f32_e32 v[6:7], v8
	v_frexp_exp_i32_f64_e32 v6, v[6:7]
	v_cmp_gt_f32_e32 vcc, s5, v17
	s_mov_b32 s5, 0x3f317218
	s_nop 0
	v_subbrev_co_u32_e32 v17, vcc, 0, v6, vcc
	v_sub_u32_e32 v6, 0, v17
	v_ldexp_f32 v7, v8, v6
	v_add_f32_e32 v8, -1.0, v7
	v_add_f32_e32 v18, 1.0, v7
	v_ldexp_f32 v6, v9, v6
	v_add_f32_e32 v9, 1.0, v8
	v_add_f32_e32 v24, -1.0, v18
	v_sub_f32_e32 v9, v7, v9
	v_sub_f32_e32 v7, v7, v24
	v_add_f32_e32 v9, v6, v9
	v_add_f32_e32 v6, v6, v7
	;; [unrolled: 1-line block ×3, first 2 shown]
	v_rcp_f32_e32 v29, v28
	v_sub_f32_e32 v7, v18, v28
	v_add_f32_e32 v18, v6, v7
	v_add_f32_e32 v7, v8, v9
	v_mul_f32_e32 v32, v7, v29
	v_sub_f32_e32 v6, v8, v7
	v_mul_f32_e32 v8, v28, v32
	v_fma_f32 v24, v32, v28, -v8
	v_fmac_f32_e32 v24, v32, v18
	v_add_f32_e32 v30, v9, v6
	v_add_f32_e32 v6, v8, v24
	v_sub_f32_e32 v9, v7, v6
	v_pk_add_f32 v[26:27], v[6:7], v[8:9] neg_lo:[0,1] neg_hi:[0,1]
	v_mov_b32_e32 v25, v6
	v_pk_add_f32 v[6:7], v[26:27], v[24:25] neg_lo:[0,1] neg_hi:[0,1]
	v_cmp_neq_f32_e32 vcc, s6, v4
	v_add_f32_e32 v7, v30, v7
	v_add_f32_e32 v6, v6, v7
	;; [unrolled: 1-line block ×3, first 2 shown]
	v_mul_f32_e32 v30, v29, v7
	v_mul_f32_e32 v8, v28, v30
	v_fma_f32 v24, v30, v28, -v8
	v_fmac_f32_e32 v24, v30, v18
	v_sub_f32_e32 v9, v9, v7
	v_add_f32_e32 v18, v6, v9
	v_add_f32_e32 v6, v8, v24
	v_sub_f32_e32 v9, v7, v6
	v_pk_add_f32 v[26:27], v[6:7], v[8:9] neg_lo:[0,1] neg_hi:[0,1]
	v_mov_b32_e32 v25, v6
	v_pk_add_f32 v[6:7], v[26:27], v[24:25] neg_lo:[0,1] neg_hi:[0,1]
	v_cvt_f32_i32_e32 v8, v17
	v_add_f32_e32 v7, v18, v7
	v_add_f32_e32 v6, v6, v7
	;; [unrolled: 1-line block ×4, first 2 shown]
	v_sub_f32_e32 v7, v9, v32
	v_mul_f32_e32 v6, v29, v6
	v_sub_f32_e32 v7, v30, v7
	v_add_f32_e32 v6, v7, v6
	v_add_f32_e32 v18, v9, v6
	v_mul_f32_e32 v24, v18, v18
	v_mov_b32_e32 v7, 0x3ecc95a3
	v_sub_f32_e32 v9, v18, v9
	v_fmac_f32_e32 v7, 0x3e9b6dac, v24
	v_sub_f32_e32 v6, v6, v9
	v_fmaak_f32 v7, v24, v7, 0x3f2aaada
	v_ldexp_f32 v17, v6, 1
	v_mul_f32_e32 v9, v18, v24
	v_mov_b32_e32 v6, 0x3f317218
	v_pk_mul_f32 v[6:7], v[8:9], v[6:7]
	v_ldexp_f32 v25, v18, 1
	v_fma_f32 v9, v8, s5, -v6
	v_fmamk_f32 v24, v8, 0xb102e308, v9
	v_pk_add_f32 v[8:9], v[6:7], v[24:25]
	v_mov_b32_e32 v26, v6
	v_sub_f32_e32 v18, v9, v25
	v_sub_f32_e32 v18, v7, v18
	v_add_f32_e32 v27, v17, v18
	v_pk_add_f32 v[6:7], v[8:9], v[6:7] neg_lo:[0,1] neg_hi:[0,1]
	v_pk_add_f32 v[28:29], v[8:9], v[26:27]
	v_mov_b32_e32 v25, v8
	v_mov_b32_e32 v7, v29
	v_pk_add_f32 v[32:33], v[24:25], v[6:7] neg_lo:[0,1] neg_hi:[0,1]
	v_pk_add_f32 v[6:7], v[24:25], v[6:7]
	v_mov_b32_e32 v26, v27
	v_pk_add_f32 v[24:25], v[6:7], v[8:9] op_sel:[1,0] op_sel_hi:[0,1] neg_lo:[0,1] neg_hi:[0,1]
	v_pk_add_f32 v[34:35], v[28:29], v[24:25] op_sel_hi:[1,0] neg_lo:[0,1] neg_hi:[0,1]
	v_mov_b32_e32 v28, v29
	v_mov_b32_e32 v29, v7
	v_pk_mov_b32 v[24:25], v[8:9], v[24:25] op_sel:[1,0]
	v_mov_b32_e32 v27, v8
	v_pk_add_f32 v[24:25], v[28:29], v[24:25] neg_lo:[0,1] neg_hi:[0,1]
	v_mov_b32_e32 v34, v32
	v_pk_add_f32 v[8:9], v[26:27], v[24:25] neg_lo:[0,1] neg_hi:[0,1]
	v_mov_b32_e32 v33, v7
	v_pk_add_f32 v[24:25], v[34:35], v[8:9]
	s_mov_b32 s5, 0x33800000
	v_pk_add_f32 v[26:27], v[24:25], v[24:25] op_sel:[0,1] op_sel_hi:[1,0]
	s_nop 0
	v_pk_add_f32 v[6:7], v[6:7], v[26:27] op_sel:[1,0] op_sel_hi:[0,1]
	v_mov_b32_e32 v25, v6
	v_pk_add_f32 v[28:29], v[24:25], v[32:33] neg_lo:[0,1] neg_hi:[0,1]
	v_mov_b32_e32 v9, v26
	v_sub_f32_e32 v7, v24, v28
	v_pk_add_f32 v[8:9], v[8:9], v[28:29] neg_lo:[0,1] neg_hi:[0,1]
	v_sub_f32_e32 v7, v32, v7
	v_add_f32_e32 v7, v8, v7
	v_add_f32_e32 v7, v7, v9
	;; [unrolled: 1-line block ×3, first 2 shown]
	v_cndmask_b32_e32 v6, v12, v6, vcc
	v_cmp_lt_f32_e64 vcc, |v4|, s5
	s_nop 1
	v_cndmask_b32_e32 v4, v6, v4, vcc
	v_add_f32_e32 v3, v3, v4
	v_cvt_f16_f32_e32 v25, v3
	v_cvt_f32_f16_e32 v12, v25
	v_mov_b32_e32 v17, v25
.LBB416_296:
	s_or_b64 exec, exec, s[2:3]
	v_max_f32_e32 v3, v5, v5
	v_max_f32_e32 v6, v12, v12
	v_min_f32_e32 v4, v6, v3
	v_cmp_u_f16_e32 vcc, v25, v25
	v_max_f32_e32 v3, v6, v3
	v_mov_b32_e32 v24, v17
	v_cndmask_b32_e32 v4, v4, v12, vcc
	v_cndmask_b32_e32 v3, v3, v12, vcc
	v_cndmask_b32_e64 v4, v4, v5, s[24:25]
	v_cndmask_b32_e64 v3, v3, v5, s[24:25]
	v_cmp_neq_f32_e32 vcc, v4, v3
	v_cmp_class_f32_e64 s[2:3], v4, s4
	s_or_b64 s[4:5], vcc, s[2:3]
	s_and_saveexec_b64 s[2:3], s[4:5]
	s_cbranch_execz .LBB416_298
; %bb.297:
	v_sub_f32_e32 v4, v4, v3
	s_mov_b32 s4, 0x3fb8aa3b
	v_mul_f32_e32 v5, 0x3fb8aa3b, v4
	v_fma_f32 v6, v4, s4, -v5
	v_rndne_f32_e32 v7, v5
	v_fmamk_f32 v6, v4, 0x32a5705f, v6
	v_sub_f32_e32 v5, v5, v7
	v_add_f32_e32 v5, v5, v6
	v_exp_f32_e32 v5, v5
	v_cvt_i32_f32_e32 v6, v7
	s_mov_b32 s4, 0xc2ce8ed0
	v_cmp_ngt_f32_e32 vcc, s4, v4
	s_mov_b32 s4, 0x42b17218
	v_ldexp_f32 v5, v5, v6
	v_cndmask_b32_e32 v5, 0, v5, vcc
	v_mov_b32_e32 v12, 0x7f800000
	v_cmp_nlt_f32_e32 vcc, s4, v4
	s_mov_b32 s4, 0x3f2aaaab
	s_mov_b32 s5, 0x7f800000
	v_cndmask_b32_e32 v18, v12, v5, vcc
	v_add_f32_e32 v6, 1.0, v18
	v_add_f32_e32 v4, -1.0, v6
	v_sub_f32_e32 v5, v4, v6
	v_add_f32_e32 v5, 1.0, v5
	v_sub_f32_e32 v4, v18, v4
	v_add_f32_e32 v7, v4, v5
	v_frexp_mant_f32_e32 v8, v6
	v_cvt_f64_f32_e32 v[4:5], v6
	v_frexp_exp_i32_f64_e32 v4, v[4:5]
	v_cmp_gt_f32_e32 vcc, s4, v8
	s_mov_b32 s4, 0x3f317218
	s_nop 0
	v_subbrev_co_u32_e32 v26, vcc, 0, v4, vcc
	v_sub_u32_e32 v4, 0, v26
	v_ldexp_f32 v5, v6, v4
	v_add_f32_e32 v6, -1.0, v5
	v_add_f32_e32 v8, 1.0, v5
	v_ldexp_f32 v4, v7, v4
	v_add_f32_e32 v7, 1.0, v6
	v_add_f32_e32 v9, -1.0, v8
	v_sub_f32_e32 v7, v5, v7
	v_sub_f32_e32 v5, v5, v9
	v_add_f32_e32 v7, v4, v7
	v_add_f32_e32 v4, v4, v5
	;; [unrolled: 1-line block ×3, first 2 shown]
	v_rcp_f32_e32 v29, v27
	v_sub_f32_e32 v5, v8, v27
	v_add_f32_e32 v28, v4, v5
	v_add_f32_e32 v5, v6, v7
	v_mul_f32_e32 v32, v5, v29
	v_sub_f32_e32 v4, v6, v5
	v_mul_f32_e32 v6, v27, v32
	v_fma_f32 v8, v32, v27, -v6
	v_fmac_f32_e32 v8, v32, v28
	v_add_f32_e32 v30, v7, v4
	v_add_f32_e32 v4, v6, v8
	v_sub_f32_e32 v7, v5, v4
	v_pk_add_f32 v[24:25], v[4:5], v[6:7] neg_lo:[0,1] neg_hi:[0,1]
	v_mov_b32_e32 v9, v4
	v_pk_add_f32 v[4:5], v[24:25], v[8:9] neg_lo:[0,1] neg_hi:[0,1]
	v_cmp_neq_f32_e32 vcc, s5, v18
	v_add_f32_e32 v5, v30, v5
	v_add_f32_e32 v4, v4, v5
	;; [unrolled: 1-line block ×3, first 2 shown]
	v_mul_f32_e32 v30, v29, v5
	v_mul_f32_e32 v6, v27, v30
	v_fma_f32 v8, v30, v27, -v6
	v_fmac_f32_e32 v8, v30, v28
	v_sub_f32_e32 v7, v7, v5
	v_add_f32_e32 v27, v4, v7
	v_add_f32_e32 v4, v6, v8
	v_sub_f32_e32 v7, v5, v4
	v_pk_add_f32 v[24:25], v[4:5], v[6:7] neg_lo:[0,1] neg_hi:[0,1]
	v_mov_b32_e32 v9, v4
	v_pk_add_f32 v[4:5], v[24:25], v[8:9] neg_lo:[0,1] neg_hi:[0,1]
	v_cvt_f32_i32_e32 v6, v26
	v_add_f32_e32 v5, v27, v5
	v_add_f32_e32 v4, v4, v5
	;; [unrolled: 1-line block ×4, first 2 shown]
	v_sub_f32_e32 v5, v7, v32
	v_mul_f32_e32 v4, v29, v4
	v_sub_f32_e32 v5, v30, v5
	v_add_f32_e32 v4, v5, v4
	v_add_f32_e32 v8, v7, v4
	v_mul_f32_e32 v24, v8, v8
	v_mov_b32_e32 v5, 0x3ecc95a3
	v_sub_f32_e32 v7, v8, v7
	v_fmac_f32_e32 v5, 0x3e9b6dac, v24
	v_sub_f32_e32 v4, v4, v7
	v_fmaak_f32 v5, v24, v5, 0x3f2aaada
	v_ldexp_f32 v25, v4, 1
	v_mul_f32_e32 v7, v8, v24
	v_mov_b32_e32 v4, 0x3f317218
	v_pk_mul_f32 v[4:5], v[6:7], v[4:5]
	v_ldexp_f32 v9, v8, 1
	v_fma_f32 v7, v6, s4, -v4
	v_fmamk_f32 v8, v6, 0xb102e308, v7
	v_pk_add_f32 v[6:7], v[4:5], v[8:9]
	v_mov_b32_e32 v24, v4
	v_sub_f32_e32 v9, v7, v9
	v_sub_f32_e32 v9, v5, v9
	v_add_f32_e32 v25, v25, v9
	v_pk_add_f32 v[4:5], v[6:7], v[4:5] neg_lo:[0,1] neg_hi:[0,1]
	v_pk_add_f32 v[26:27], v[6:7], v[24:25]
	v_mov_b32_e32 v9, v6
	v_mov_b32_e32 v5, v27
	v_pk_add_f32 v[28:29], v[8:9], v[4:5] neg_lo:[0,1] neg_hi:[0,1]
	v_pk_add_f32 v[4:5], v[8:9], v[4:5]
	v_mov_b32_e32 v24, v25
	v_pk_add_f32 v[8:9], v[4:5], v[6:7] op_sel:[1,0] op_sel_hi:[0,1] neg_lo:[0,1] neg_hi:[0,1]
	v_pk_add_f32 v[32:33], v[26:27], v[8:9] op_sel_hi:[1,0] neg_lo:[0,1] neg_hi:[0,1]
	v_mov_b32_e32 v26, v27
	v_mov_b32_e32 v27, v5
	v_pk_mov_b32 v[8:9], v[6:7], v[8:9] op_sel:[1,0]
	v_mov_b32_e32 v25, v6
	v_pk_add_f32 v[8:9], v[26:27], v[8:9] neg_lo:[0,1] neg_hi:[0,1]
	v_mov_b32_e32 v32, v28
	v_pk_add_f32 v[6:7], v[24:25], v[8:9] neg_lo:[0,1] neg_hi:[0,1]
	v_mov_b32_e32 v29, v5
	v_pk_add_f32 v[8:9], v[32:33], v[6:7]
	s_mov_b32 s4, 0x33800000
	v_pk_add_f32 v[24:25], v[8:9], v[8:9] op_sel:[0,1] op_sel_hi:[1,0]
	s_nop 0
	v_pk_add_f32 v[4:5], v[4:5], v[24:25] op_sel:[1,0] op_sel_hi:[0,1]
	v_mov_b32_e32 v9, v4
	v_pk_add_f32 v[26:27], v[8:9], v[28:29] neg_lo:[0,1] neg_hi:[0,1]
	v_mov_b32_e32 v7, v24
	v_sub_f32_e32 v5, v8, v26
	v_pk_add_f32 v[6:7], v[6:7], v[26:27] neg_lo:[0,1] neg_hi:[0,1]
	v_sub_f32_e32 v5, v28, v5
	v_add_f32_e32 v5, v6, v5
	v_add_f32_e32 v5, v5, v7
	;; [unrolled: 1-line block ×3, first 2 shown]
	v_cndmask_b32_e32 v4, v12, v4, vcc
	v_cmp_lt_f32_e64 vcc, |v18|, s4
	s_nop 1
	v_cndmask_b32_e32 v4, v4, v18, vcc
	v_add_f32_e32 v3, v3, v4
	v_cvt_f16_f32_e32 v25, v3
	v_cvt_f32_f16_e32 v12, v25
	v_mov_b32_e32 v24, v25
.LBB416_298:
	s_or_b64 exec, exec, s[2:3]
	v_max_f32_e32 v3, v19, v19
	v_max_f32_e32 v5, v12, v12
	v_min_f32_e32 v4, v5, v3
	v_cmp_u_f16_e32 vcc, v25, v25
	v_max_f32_e32 v3, v5, v3
	s_movk_i32 s2, 0x1f8
	v_cndmask_b32_e32 v4, v4, v12, vcc
	v_cndmask_b32_e32 v3, v3, v12, vcc
	v_cndmask_b32_e64 v4, v4, v19, s[26:27]
	v_cndmask_b32_e64 v3, v3, v19, s[26:27]
	v_cmp_neq_f32_e32 vcc, v4, v3
	v_cmp_class_f32_e64 s[2:3], v4, s2
	s_or_b64 s[4:5], vcc, s[2:3]
	v_mov_b32_e32 v12, v24
	s_and_saveexec_b64 s[2:3], s[4:5]
	s_cbranch_execz .LBB416_300
; %bb.299:
	v_sub_f32_e32 v4, v4, v3
	s_mov_b32 s4, 0x3fb8aa3b
	v_mul_f32_e32 v5, 0x3fb8aa3b, v4
	v_fma_f32 v6, v4, s4, -v5
	v_rndne_f32_e32 v7, v5
	v_fmamk_f32 v6, v4, 0x32a5705f, v6
	v_sub_f32_e32 v5, v5, v7
	v_add_f32_e32 v5, v5, v6
	v_exp_f32_e32 v5, v5
	v_cvt_i32_f32_e32 v6, v7
	s_mov_b32 s4, 0xc2ce8ed0
	v_cmp_ngt_f32_e32 vcc, s4, v4
	s_mov_b32 s4, 0x42b17218
	v_ldexp_f32 v5, v5, v6
	v_cndmask_b32_e32 v5, 0, v5, vcc
	v_mov_b32_e32 v12, 0x7f800000
	v_cmp_nlt_f32_e32 vcc, s4, v4
	s_mov_b32 s4, 0x3f2aaaab
	s_mov_b32 s5, 0x7f800000
	v_cndmask_b32_e32 v25, v12, v5, vcc
	v_add_f32_e32 v6, 1.0, v25
	v_add_f32_e32 v4, -1.0, v6
	v_sub_f32_e32 v5, v4, v6
	v_add_f32_e32 v5, 1.0, v5
	v_sub_f32_e32 v4, v25, v4
	v_add_f32_e32 v7, v4, v5
	v_frexp_mant_f32_e32 v8, v6
	v_cvt_f64_f32_e32 v[4:5], v6
	v_frexp_exp_i32_f64_e32 v4, v[4:5]
	v_cmp_gt_f32_e32 vcc, s4, v8
	s_mov_b32 s4, 0x3f317218
	s_nop 0
	v_subbrev_co_u32_e32 v26, vcc, 0, v4, vcc
	v_sub_u32_e32 v4, 0, v26
	v_ldexp_f32 v5, v6, v4
	v_add_f32_e32 v6, -1.0, v5
	v_add_f32_e32 v8, 1.0, v5
	v_ldexp_f32 v4, v7, v4
	v_add_f32_e32 v7, 1.0, v6
	v_add_f32_e32 v9, -1.0, v8
	v_sub_f32_e32 v7, v5, v7
	v_sub_f32_e32 v5, v5, v9
	v_add_f32_e32 v7, v4, v7
	v_add_f32_e32 v4, v4, v5
	;; [unrolled: 1-line block ×3, first 2 shown]
	v_rcp_f32_e32 v29, v27
	v_sub_f32_e32 v5, v8, v27
	v_add_f32_e32 v28, v4, v5
	v_add_f32_e32 v5, v6, v7
	v_mul_f32_e32 v32, v5, v29
	v_sub_f32_e32 v4, v6, v5
	v_mul_f32_e32 v6, v27, v32
	v_fma_f32 v8, v32, v27, -v6
	v_fmac_f32_e32 v8, v32, v28
	v_add_f32_e32 v30, v7, v4
	v_add_f32_e32 v4, v6, v8
	v_sub_f32_e32 v7, v5, v4
	v_pk_add_f32 v[18:19], v[4:5], v[6:7] neg_lo:[0,1] neg_hi:[0,1]
	v_mov_b32_e32 v9, v4
	v_pk_add_f32 v[4:5], v[18:19], v[8:9] neg_lo:[0,1] neg_hi:[0,1]
	v_cmp_neq_f32_e32 vcc, s5, v25
	v_add_f32_e32 v5, v30, v5
	v_add_f32_e32 v4, v4, v5
	;; [unrolled: 1-line block ×3, first 2 shown]
	v_mul_f32_e32 v30, v29, v5
	v_mul_f32_e32 v6, v27, v30
	v_fma_f32 v8, v30, v27, -v6
	v_fmac_f32_e32 v8, v30, v28
	v_sub_f32_e32 v7, v7, v5
	v_add_f32_e32 v27, v4, v7
	v_add_f32_e32 v4, v6, v8
	v_sub_f32_e32 v7, v5, v4
	v_pk_add_f32 v[18:19], v[4:5], v[6:7] neg_lo:[0,1] neg_hi:[0,1]
	v_mov_b32_e32 v9, v4
	v_pk_add_f32 v[4:5], v[18:19], v[8:9] neg_lo:[0,1] neg_hi:[0,1]
	v_cvt_f32_i32_e32 v6, v26
	v_add_f32_e32 v5, v27, v5
	v_add_f32_e32 v4, v4, v5
	;; [unrolled: 1-line block ×4, first 2 shown]
	v_sub_f32_e32 v5, v7, v32
	v_mul_f32_e32 v4, v29, v4
	v_sub_f32_e32 v5, v30, v5
	v_add_f32_e32 v4, v5, v4
	v_add_f32_e32 v8, v7, v4
	v_mul_f32_e32 v18, v8, v8
	v_mov_b32_e32 v5, 0x3ecc95a3
	v_sub_f32_e32 v7, v8, v7
	v_fmac_f32_e32 v5, 0x3e9b6dac, v18
	v_sub_f32_e32 v4, v4, v7
	v_fmaak_f32 v5, v18, v5, 0x3f2aaada
	v_ldexp_f32 v19, v4, 1
	v_mul_f32_e32 v7, v8, v18
	v_mov_b32_e32 v4, 0x3f317218
	v_pk_mul_f32 v[4:5], v[6:7], v[4:5]
	v_ldexp_f32 v9, v8, 1
	v_fma_f32 v7, v6, s4, -v4
	v_fmamk_f32 v8, v6, 0xb102e308, v7
	v_pk_add_f32 v[6:7], v[4:5], v[8:9]
	v_mov_b32_e32 v18, v4
	v_sub_f32_e32 v9, v7, v9
	v_sub_f32_e32 v9, v5, v9
	v_add_f32_e32 v19, v19, v9
	v_pk_add_f32 v[4:5], v[6:7], v[4:5] neg_lo:[0,1] neg_hi:[0,1]
	v_pk_add_f32 v[26:27], v[6:7], v[18:19]
	v_mov_b32_e32 v9, v6
	v_mov_b32_e32 v5, v27
	v_pk_add_f32 v[28:29], v[8:9], v[4:5] neg_lo:[0,1] neg_hi:[0,1]
	v_pk_add_f32 v[4:5], v[8:9], v[4:5]
	v_mov_b32_e32 v18, v19
	v_pk_add_f32 v[8:9], v[4:5], v[6:7] op_sel:[1,0] op_sel_hi:[0,1] neg_lo:[0,1] neg_hi:[0,1]
	v_pk_add_f32 v[32:33], v[26:27], v[8:9] op_sel_hi:[1,0] neg_lo:[0,1] neg_hi:[0,1]
	v_mov_b32_e32 v26, v27
	v_mov_b32_e32 v27, v5
	v_pk_mov_b32 v[8:9], v[6:7], v[8:9] op_sel:[1,0]
	v_mov_b32_e32 v19, v6
	v_pk_add_f32 v[8:9], v[26:27], v[8:9] neg_lo:[0,1] neg_hi:[0,1]
	v_mov_b32_e32 v32, v28
	v_pk_add_f32 v[6:7], v[18:19], v[8:9] neg_lo:[0,1] neg_hi:[0,1]
	v_mov_b32_e32 v29, v5
	v_pk_add_f32 v[8:9], v[32:33], v[6:7]
	s_mov_b32 s4, 0x33800000
	v_pk_add_f32 v[18:19], v[8:9], v[8:9] op_sel:[0,1] op_sel_hi:[1,0]
	s_nop 0
	v_pk_add_f32 v[4:5], v[4:5], v[18:19] op_sel:[1,0] op_sel_hi:[0,1]
	v_mov_b32_e32 v9, v4
	v_pk_add_f32 v[26:27], v[8:9], v[28:29] neg_lo:[0,1] neg_hi:[0,1]
	v_mov_b32_e32 v7, v18
	v_sub_f32_e32 v5, v8, v26
	v_pk_add_f32 v[6:7], v[6:7], v[26:27] neg_lo:[0,1] neg_hi:[0,1]
	v_sub_f32_e32 v5, v28, v5
	v_add_f32_e32 v5, v6, v5
	v_add_f32_e32 v5, v5, v7
	;; [unrolled: 1-line block ×3, first 2 shown]
	v_cndmask_b32_e32 v4, v12, v4, vcc
	v_cmp_lt_f32_e64 vcc, |v25|, s4
	s_nop 1
	v_cndmask_b32_e32 v4, v4, v25, vcc
	v_add_f32_e32 v3, v3, v4
	v_cvt_f16_f32_e32 v12, v3
.LBB416_300:
	s_or_b64 exec, exec, s[2:3]
	s_movk_i32 s2, 0x7f
	v_cmp_eq_u32_e32 vcc, s2, v0
	s_and_saveexec_b64 s[2:3], vcc
	s_cbranch_execz .LBB416_302
; %bb.301:
	s_mov_b32 s4, 0x20000
	v_mov_b32_e32 v3, 0
	v_or_b32_sdwa v4, v12, s4 dst_sel:DWORD dst_unused:UNUSED_PAD src0_sel:WORD_0 src1_sel:DWORD
	global_store_dword v3, v4, s[56:57] offset:256 sc1
.LBB416_302:
	s_or_b64 exec, exec, s[2:3]
.LBB416_303:
	s_add_u32 s2, s52, s50
	s_addc_u32 s3, s53, s51
	s_add_u32 s2, s2, s48
	s_addc_u32 s3, s3, s49
	s_mov_b64 s[4:5], -1
	s_and_b64 vcc, exec, s[0:1]
	s_barrier
	s_cbranch_vccz .LBB416_305
; %bb.304:
	s_mov_b32 s0, 0x5040100
	v_perm_b32 v3, v13, v31, s0
	v_perm_b32 v4, v11, v10, s0
	ds_write2_b32 v1, v4, v3 offset1:1
	v_perm_b32 v3, v15, v21, s0
	v_perm_b32 v4, v14, v20, s0
	ds_write2_b32 v1, v4, v3 offset0:2 offset1:3
	v_perm_b32 v3, v17, v23, s0
	v_perm_b32 v4, v16, v22, s0
	ds_write2_b32 v1, v4, v3 offset0:4 offset1:5
	v_perm_b32 v3, v12, v24, s0
	ds_write_b32 v1, v3 offset:24
	s_waitcnt lgkmcnt(0)
	s_barrier
	ds_read_u16 v3, v2
	ds_read_u16 v4, v2 offset:256
	ds_read_u16 v5, v2 offset:512
	ds_read_u16 v6, v2 offset:768
	ds_read_u16 v7, v2 offset:1024
	ds_read_u16 v8, v2 offset:1280
	ds_read_u16 v9, v2 offset:1536
	ds_read_u16 v18, v2 offset:1792
	ds_read_u16 v19, v2 offset:2048
	ds_read_u16 v25, v2 offset:2304
	ds_read_u16 v26, v2 offset:2560
	ds_read_u16 v27, v2 offset:2816
	ds_read_u16 v28, v2 offset:3072
	ds_read_u16 v29, v2 offset:3328
	s_waitcnt lgkmcnt(13)
	global_store_short v2, v3, s[2:3]
	s_waitcnt lgkmcnt(12)
	global_store_short v2, v4, s[2:3] offset:256
	s_waitcnt lgkmcnt(11)
	global_store_short v2, v5, s[2:3] offset:512
	;; [unrolled: 2-line block ×13, first 2 shown]
	s_mov_b64 s[4:5], 0
.LBB416_305:
	s_andn2_b64 vcc, exec, s[4:5]
	s_cbranch_vccnz .LBB416_385
; %bb.306:
	s_mov_b32 s0, 0x5040100
	v_perm_b32 v3, v13, v31, s0
	v_perm_b32 v4, v11, v10, s0
	ds_write2_b32 v1, v4, v3 offset1:1
	v_perm_b32 v3, v15, v21, s0
	v_perm_b32 v4, v14, v20, s0
	ds_write2_b32 v1, v4, v3 offset0:2 offset1:3
	v_perm_b32 v3, v17, v23, s0
	v_perm_b32 v4, v16, v22, s0
	ds_write2_b32 v1, v4, v3 offset0:4 offset1:5
	v_perm_b32 v3, v12, v24, s0
	ds_write_b32 v1, v3 offset:24
	s_waitcnt lgkmcnt(0)
	s_barrier
	ds_read_u16 v8, v2
	ds_read_u16 v7, v2 offset:256
	ds_read_u16 v9, v2 offset:512
	;; [unrolled: 1-line block ×13, first 2 shown]
	v_mov_b32_e32 v3, 0
	v_lshl_add_u64 v[4:5], s[2:3], 0, v[2:3]
	v_cmp_gt_u32_e32 vcc, s33, v0
	s_and_saveexec_b64 s[0:1], vcc
	s_cbranch_execz .LBB416_308
; %bb.307:
	s_waitcnt lgkmcnt(13)
	global_store_short v[4:5], v8, off
.LBB416_308:
	s_or_b64 exec, exec, s[0:1]
	v_or_b32_e32 v1, 0x80, v0
	v_cmp_gt_u32_e32 vcc, s33, v1
	s_and_saveexec_b64 s[0:1], vcc
	s_cbranch_execz .LBB416_310
; %bb.309:
	s_waitcnt lgkmcnt(12)
	global_store_short v[4:5], v7, off offset:256
.LBB416_310:
	s_or_b64 exec, exec, s[0:1]
	v_or_b32_e32 v1, 0x100, v0
	v_cmp_gt_u32_e32 vcc, s33, v1
	s_and_saveexec_b64 s[0:1], vcc
	s_cbranch_execz .LBB416_312
; %bb.311:
	s_waitcnt lgkmcnt(11)
	global_store_short v[4:5], v9, off offset:512
.LBB416_312:
	s_or_b64 exec, exec, s[0:1]
	v_or_b32_e32 v1, 0x180, v0
	v_cmp_gt_u32_e32 vcc, s33, v1
	s_and_saveexec_b64 s[0:1], vcc
	s_cbranch_execz .LBB416_314
; %bb.313:
	s_waitcnt lgkmcnt(10)
	global_store_short v[4:5], v10, off offset:768
.LBB416_314:
	s_or_b64 exec, exec, s[0:1]
	v_or_b32_e32 v1, 0x200, v0
	v_cmp_gt_u32_e32 vcc, s33, v1
	s_and_saveexec_b64 s[0:1], vcc
	s_cbranch_execz .LBB416_316
; %bb.315:
	s_waitcnt lgkmcnt(9)
	global_store_short v[4:5], v12, off offset:1024
.LBB416_316:
	s_or_b64 exec, exec, s[0:1]
	v_or_b32_e32 v1, 0x280, v0
	v_cmp_gt_u32_e32 vcc, s33, v1
	s_and_saveexec_b64 s[0:1], vcc
	s_cbranch_execz .LBB416_318
; %bb.317:
	s_waitcnt lgkmcnt(8)
	global_store_short v[4:5], v11, off offset:1280
.LBB416_318:
	s_or_b64 exec, exec, s[0:1]
	v_or_b32_e32 v1, 0x300, v0
	v_cmp_gt_u32_e32 vcc, s33, v1
	s_and_saveexec_b64 s[0:1], vcc
	s_cbranch_execz .LBB416_320
; %bb.319:
	s_waitcnt lgkmcnt(7)
	global_store_short v[4:5], v15, off offset:1536
.LBB416_320:
	s_or_b64 exec, exec, s[0:1]
	v_or_b32_e32 v1, 0x380, v0
	v_cmp_gt_u32_e32 vcc, s33, v1
	s_and_saveexec_b64 s[0:1], vcc
	s_cbranch_execz .LBB416_322
; %bb.321:
	s_waitcnt lgkmcnt(6)
	global_store_short v[4:5], v16, off offset:1792
.LBB416_322:
	s_or_b64 exec, exec, s[0:1]
	v_or_b32_e32 v1, 0x400, v0
	v_cmp_gt_u32_e32 vcc, s33, v1
	s_and_saveexec_b64 s[0:1], vcc
	s_cbranch_execz .LBB416_324
; %bb.323:
	s_waitcnt lgkmcnt(5)
	global_store_short v[4:5], v14, off offset:2048
.LBB416_324:
	s_or_b64 exec, exec, s[0:1]
	v_or_b32_e32 v1, 0x480, v0
	v_cmp_gt_u32_e32 vcc, s33, v1
	s_and_saveexec_b64 s[0:1], vcc
	s_cbranch_execz .LBB416_326
; %bb.325:
	s_waitcnt lgkmcnt(4)
	global_store_short v[4:5], v17, off offset:2304
.LBB416_326:
	s_or_b64 exec, exec, s[0:1]
	v_or_b32_e32 v1, 0x500, v0
	v_cmp_gt_u32_e32 vcc, s33, v1
	s_and_saveexec_b64 s[0:1], vcc
	s_cbranch_execz .LBB416_328
; %bb.327:
	s_waitcnt lgkmcnt(3)
	global_store_short v[4:5], v13, off offset:2560
.LBB416_328:
	s_or_b64 exec, exec, s[0:1]
	v_or_b32_e32 v1, 0x580, v0
	v_cmp_gt_u32_e32 vcc, s33, v1
	s_and_saveexec_b64 s[0:1], vcc
	s_cbranch_execz .LBB416_330
; %bb.329:
	s_waitcnt lgkmcnt(2)
	global_store_short v[4:5], v18, off offset:2816
.LBB416_330:
	s_or_b64 exec, exec, s[0:1]
	v_or_b32_e32 v1, 0x600, v0
	v_cmp_gt_u32_e32 vcc, s33, v1
	s_and_saveexec_b64 s[0:1], vcc
	s_cbranch_execz .LBB416_332
; %bb.331:
	s_waitcnt lgkmcnt(1)
	global_store_short v[4:5], v19, off offset:3072
.LBB416_332:
	s_or_b64 exec, exec, s[0:1]
	v_or_b32_e32 v1, 0x680, v0
	v_cmp_gt_u32_e32 vcc, s33, v1
	s_and_saveexec_b64 s[0:1], vcc
	s_cbranch_execz .LBB416_334
; %bb.333:
	s_waitcnt lgkmcnt(0)
	global_store_short v[4:5], v6, off offset:3328
.LBB416_334:
	s_or_b64 exec, exec, s[0:1]
	v_cmp_lt_u64_e64 s[0:1], s[46:47], 2
	s_and_b64 vcc, exec, s[0:1]
	s_cbranch_vccnz .LBB416_385
; %bb.335:
	s_add_u32 s0, s33, -1
	s_addc_u32 s1, s60, -1
	s_lshr_b64 s[2:3], s[0:1], 1
	s_lshr_b32 s5, s1, 1
	s_mul_hi_u32 s3, s2, 0x49249249
	s_mul_i32 s4, s2, 0x49249249
	s_mul_i32 s7, s5, 0x24924925
	s_mul_hi_u32 s2, s2, 0x24924925
	s_mul_hi_u32 s6, s5, 0x24924925
	s_add_u32 s2, s7, s2
	s_addc_u32 s6, s6, 0
	s_add_u32 s2, s4, s2
	s_addc_u32 s2, s3, 0
	;; [unrolled: 2-line block ×3, first 2 shown]
	s_mul_hi_u32 s4, s5, 0x49249249
	s_mul_i32 s5, s5, 0x49249249
	s_add_u32 s2, s5, s2
	s_addc_u32 s3, s4, s3
	v_mov_b32_e32 v1, v3
	s_lshr_b64 s[2:3], s[2:3], 1
	v_cmp_eq_u64_e32 vcc, s[2:3], v[0:1]
	s_and_saveexec_b64 s[2:3], vcc
	s_cbranch_execz .LBB416_385
; %bb.336:
	v_mul_hi_u32_u24_e32 v1, 14, v0
	v_mul_u32_u24_e32 v0, 14, v0
	v_mov_b32_e32 v2, s1
	v_sub_co_u32_e32 v0, vcc, s0, v0
	s_nop 1
	v_subb_co_u32_e32 v1, vcc, v2, v1, vcc
	v_cmp_lt_i64_e32 vcc, 6, v[0:1]
	s_and_saveexec_b64 s[0:1], vcc
	s_xor_b64 s[0:1], exec, s[0:1]
	s_cbranch_execz .LBB416_362
; %bb.337:
	v_cmp_lt_i64_e32 vcc, 9, v[0:1]
	s_and_saveexec_b64 s[2:3], vcc
	s_xor_b64 s[2:3], exec, s[2:3]
	s_cbranch_execz .LBB416_351
; %bb.338:
	v_cmp_lt_i64_e32 vcc, 11, v[0:1]
	s_and_saveexec_b64 s[4:5], vcc
	s_xor_b64 s[4:5], exec, s[4:5]
	s_cbranch_execz .LBB416_344
; %bb.339:
	v_cmp_lt_i64_e32 vcc, 12, v[0:1]
	s_and_saveexec_b64 s[6:7], vcc
	s_xor_b64 s[6:7], exec, s[6:7]
	s_cbranch_execz .LBB416_341
; %bb.340:
	v_mov_b32_e32 v0, 0
	s_waitcnt lgkmcnt(0)
	global_store_short v0, v6, s[42:43]
                                        ; implicit-def: $vgpr19
.LBB416_341:
	s_andn2_saveexec_b64 s[6:7], s[6:7]
	s_cbranch_execz .LBB416_343
; %bb.342:
	v_mov_b32_e32 v0, 0
	s_waitcnt lgkmcnt(1)
	global_store_short v0, v19, s[42:43]
.LBB416_343:
	s_or_b64 exec, exec, s[6:7]
                                        ; implicit-def: $vgpr13
                                        ; implicit-def: $vgpr0_vgpr1
                                        ; implicit-def: $vgpr18
.LBB416_344:
	s_andn2_saveexec_b64 s[4:5], s[4:5]
	s_cbranch_execz .LBB416_350
; %bb.345:
	v_cmp_lt_i64_e32 vcc, 10, v[0:1]
	s_and_saveexec_b64 s[6:7], vcc
	s_xor_b64 s[6:7], exec, s[6:7]
	s_cbranch_execz .LBB416_347
; %bb.346:
	v_mov_b32_e32 v0, 0
	s_waitcnt lgkmcnt(2)
	global_store_short v0, v18, s[42:43]
                                        ; implicit-def: $vgpr13
.LBB416_347:
	s_andn2_saveexec_b64 s[6:7], s[6:7]
	s_cbranch_execz .LBB416_349
; %bb.348:
	v_mov_b32_e32 v0, 0
	s_waitcnt lgkmcnt(3)
	global_store_short v0, v13, s[42:43]
.LBB416_349:
	s_or_b64 exec, exec, s[6:7]
.LBB416_350:
	s_or_b64 exec, exec, s[4:5]
                                        ; implicit-def: $vgpr16
                                        ; implicit-def: $vgpr0_vgpr1
                                        ; implicit-def: $vgpr14
                                        ; implicit-def: $vgpr17
.LBB416_351:
	s_andn2_saveexec_b64 s[2:3], s[2:3]
	s_cbranch_execz .LBB416_361
; %bb.352:
	v_cmp_lt_i64_e32 vcc, 7, v[0:1]
	s_and_saveexec_b64 s[4:5], vcc
	s_xor_b64 s[4:5], exec, s[4:5]
	s_cbranch_execz .LBB416_358
; %bb.353:
	v_cmp_lt_i64_e32 vcc, 8, v[0:1]
	s_and_saveexec_b64 s[6:7], vcc
	s_xor_b64 s[6:7], exec, s[6:7]
	s_cbranch_execz .LBB416_355
; %bb.354:
	v_mov_b32_e32 v0, 0
	s_waitcnt lgkmcnt(4)
	global_store_short v0, v17, s[42:43]
                                        ; implicit-def: $vgpr14
.LBB416_355:
	s_andn2_saveexec_b64 s[6:7], s[6:7]
	s_cbranch_execz .LBB416_357
; %bb.356:
	v_mov_b32_e32 v0, 0
	s_waitcnt lgkmcnt(5)
	global_store_short v0, v14, s[42:43]
.LBB416_357:
	s_or_b64 exec, exec, s[6:7]
                                        ; implicit-def: $vgpr16
.LBB416_358:
	s_andn2_saveexec_b64 s[4:5], s[4:5]
	s_cbranch_execz .LBB416_360
; %bb.359:
	v_mov_b32_e32 v0, 0
	s_waitcnt lgkmcnt(6)
	global_store_short v0, v16, s[42:43]
.LBB416_360:
	s_or_b64 exec, exec, s[4:5]
.LBB416_361:
	s_or_b64 exec, exec, s[2:3]
                                        ; implicit-def: $vgpr0_vgpr1
                                        ; implicit-def: $vgpr12
                                        ; implicit-def: $vgpr7
                                        ; implicit-def: $vgpr9
                                        ; implicit-def: $vgpr8
                                        ; implicit-def: $vgpr11
                                        ; implicit-def: $vgpr10
                                        ; implicit-def: $vgpr15
.LBB416_362:
	s_andn2_saveexec_b64 s[0:1], s[0:1]
	s_cbranch_execz .LBB416_385
; %bb.363:
	v_cmp_lt_i64_e32 vcc, 3, v[0:1]
	s_and_saveexec_b64 s[0:1], vcc
	s_xor_b64 s[0:1], exec, s[0:1]
	s_cbranch_execz .LBB416_373
; %bb.364:
	v_cmp_lt_i64_e32 vcc, 4, v[0:1]
	s_and_saveexec_b64 s[2:3], vcc
	s_xor_b64 s[2:3], exec, s[2:3]
	;; [unrolled: 5-line block ×3, first 2 shown]
	s_cbranch_execz .LBB416_367
; %bb.366:
	v_mov_b32_e32 v0, 0
	s_waitcnt lgkmcnt(7)
	global_store_short v0, v15, s[42:43]
                                        ; implicit-def: $vgpr11
.LBB416_367:
	s_andn2_saveexec_b64 s[4:5], s[4:5]
	s_cbranch_execz .LBB416_369
; %bb.368:
	v_mov_b32_e32 v0, 0
	s_waitcnt lgkmcnt(8)
	global_store_short v0, v11, s[42:43]
.LBB416_369:
	s_or_b64 exec, exec, s[4:5]
                                        ; implicit-def: $vgpr12
.LBB416_370:
	s_andn2_saveexec_b64 s[2:3], s[2:3]
	s_cbranch_execz .LBB416_372
; %bb.371:
	v_mov_b32_e32 v0, 0
	s_waitcnt lgkmcnt(9)
	global_store_short v0, v12, s[42:43]
.LBB416_372:
	s_or_b64 exec, exec, s[2:3]
                                        ; implicit-def: $vgpr0_vgpr1
                                        ; implicit-def: $vgpr7
                                        ; implicit-def: $vgpr9
                                        ; implicit-def: $vgpr8
                                        ; implicit-def: $vgpr10
.LBB416_373:
	s_andn2_saveexec_b64 s[0:1], s[0:1]
	s_cbranch_execz .LBB416_385
; %bb.374:
	v_cmp_lt_i64_e32 vcc, 1, v[0:1]
	s_and_saveexec_b64 s[0:1], vcc
	s_xor_b64 s[0:1], exec, s[0:1]
	s_cbranch_execz .LBB416_380
; %bb.375:
	v_cmp_lt_i64_e32 vcc, 2, v[0:1]
	s_and_saveexec_b64 s[2:3], vcc
	s_xor_b64 s[2:3], exec, s[2:3]
	s_cbranch_execz .LBB416_377
; %bb.376:
	v_mov_b32_e32 v0, 0
	s_waitcnt lgkmcnt(10)
	global_store_short v0, v10, s[42:43]
                                        ; implicit-def: $vgpr9
.LBB416_377:
	s_andn2_saveexec_b64 s[2:3], s[2:3]
	s_cbranch_execz .LBB416_379
; %bb.378:
	v_mov_b32_e32 v0, 0
	s_waitcnt lgkmcnt(11)
	global_store_short v0, v9, s[42:43]
.LBB416_379:
	s_or_b64 exec, exec, s[2:3]
                                        ; implicit-def: $vgpr7
                                        ; implicit-def: $vgpr0_vgpr1
                                        ; implicit-def: $vgpr8
.LBB416_380:
	s_andn2_saveexec_b64 s[0:1], s[0:1]
	s_cbranch_execz .LBB416_385
; %bb.381:
	v_cmp_ne_u64_e32 vcc, 1, v[0:1]
	s_and_saveexec_b64 s[0:1], vcc
	s_xor_b64 s[0:1], exec, s[0:1]
	s_cbranch_execz .LBB416_383
; %bb.382:
	v_mov_b32_e32 v0, 0
	s_waitcnt lgkmcnt(13)
	global_store_short v0, v8, s[42:43]
                                        ; implicit-def: $vgpr7
.LBB416_383:
	s_andn2_saveexec_b64 s[0:1], s[0:1]
	s_cbranch_execz .LBB416_385
; %bb.384:
	v_mov_b32_e32 v0, 0
	s_waitcnt lgkmcnt(12)
	global_store_short v0, v7, s[42:43]
.LBB416_385:
	s_endpgm
	.section	.rodata,"a",@progbits
	.p2align	6, 0x0
	.amdhsa_kernel _ZN7rocprim17ROCPRIM_400000_NS6detail17trampoline_kernelINS0_14default_configENS1_20scan_config_selectorIN3c104HalfEEEZZNS1_9scan_implILNS1_25lookback_scan_determinismE0ELb0ELb0ES3_PKS6_PS6_S6_ZZZN2at6native31launch_logcumsumexp_cuda_kernelERKNSD_10TensorBaseESH_lENKUlvE_clEvENKUlvE3_clEvEUlS6_S6_E_S6_EEDaPvRmT3_T4_T5_mT6_P12ihipStream_tbENKUlT_T0_E_clISt17integral_constantIbLb0EESX_IbLb1EEEEDaST_SU_EUlST_E_NS1_11comp_targetILNS1_3genE0ELNS1_11target_archE4294967295ELNS1_3gpuE0ELNS1_3repE0EEENS1_30default_config_static_selectorELNS0_4arch9wavefront6targetE1EEEvT1_
		.amdhsa_group_segment_fixed_size 3584
		.amdhsa_private_segment_fixed_size 0
		.amdhsa_kernarg_size 96
		.amdhsa_user_sgpr_count 2
		.amdhsa_user_sgpr_dispatch_ptr 0
		.amdhsa_user_sgpr_queue_ptr 0
		.amdhsa_user_sgpr_kernarg_segment_ptr 1
		.amdhsa_user_sgpr_dispatch_id 0
		.amdhsa_user_sgpr_kernarg_preload_length 0
		.amdhsa_user_sgpr_kernarg_preload_offset 0
		.amdhsa_user_sgpr_private_segment_size 0
		.amdhsa_uses_dynamic_stack 0
		.amdhsa_enable_private_segment 0
		.amdhsa_system_sgpr_workgroup_id_x 1
		.amdhsa_system_sgpr_workgroup_id_y 0
		.amdhsa_system_sgpr_workgroup_id_z 0
		.amdhsa_system_sgpr_workgroup_info 0
		.amdhsa_system_vgpr_workitem_id 0
		.amdhsa_next_free_vgpr 67
		.amdhsa_next_free_sgpr 72
		.amdhsa_accum_offset 68
		.amdhsa_reserve_vcc 1
		.amdhsa_float_round_mode_32 0
		.amdhsa_float_round_mode_16_64 0
		.amdhsa_float_denorm_mode_32 3
		.amdhsa_float_denorm_mode_16_64 3
		.amdhsa_dx10_clamp 1
		.amdhsa_ieee_mode 1
		.amdhsa_fp16_overflow 0
		.amdhsa_tg_split 0
		.amdhsa_exception_fp_ieee_invalid_op 0
		.amdhsa_exception_fp_denorm_src 0
		.amdhsa_exception_fp_ieee_div_zero 0
		.amdhsa_exception_fp_ieee_overflow 0
		.amdhsa_exception_fp_ieee_underflow 0
		.amdhsa_exception_fp_ieee_inexact 0
		.amdhsa_exception_int_div_zero 0
	.end_amdhsa_kernel
	.section	.text._ZN7rocprim17ROCPRIM_400000_NS6detail17trampoline_kernelINS0_14default_configENS1_20scan_config_selectorIN3c104HalfEEEZZNS1_9scan_implILNS1_25lookback_scan_determinismE0ELb0ELb0ES3_PKS6_PS6_S6_ZZZN2at6native31launch_logcumsumexp_cuda_kernelERKNSD_10TensorBaseESH_lENKUlvE_clEvENKUlvE3_clEvEUlS6_S6_E_S6_EEDaPvRmT3_T4_T5_mT6_P12ihipStream_tbENKUlT_T0_E_clISt17integral_constantIbLb0EESX_IbLb1EEEEDaST_SU_EUlST_E_NS1_11comp_targetILNS1_3genE0ELNS1_11target_archE4294967295ELNS1_3gpuE0ELNS1_3repE0EEENS1_30default_config_static_selectorELNS0_4arch9wavefront6targetE1EEEvT1_,"axG",@progbits,_ZN7rocprim17ROCPRIM_400000_NS6detail17trampoline_kernelINS0_14default_configENS1_20scan_config_selectorIN3c104HalfEEEZZNS1_9scan_implILNS1_25lookback_scan_determinismE0ELb0ELb0ES3_PKS6_PS6_S6_ZZZN2at6native31launch_logcumsumexp_cuda_kernelERKNSD_10TensorBaseESH_lENKUlvE_clEvENKUlvE3_clEvEUlS6_S6_E_S6_EEDaPvRmT3_T4_T5_mT6_P12ihipStream_tbENKUlT_T0_E_clISt17integral_constantIbLb0EESX_IbLb1EEEEDaST_SU_EUlST_E_NS1_11comp_targetILNS1_3genE0ELNS1_11target_archE4294967295ELNS1_3gpuE0ELNS1_3repE0EEENS1_30default_config_static_selectorELNS0_4arch9wavefront6targetE1EEEvT1_,comdat
.Lfunc_end416:
	.size	_ZN7rocprim17ROCPRIM_400000_NS6detail17trampoline_kernelINS0_14default_configENS1_20scan_config_selectorIN3c104HalfEEEZZNS1_9scan_implILNS1_25lookback_scan_determinismE0ELb0ELb0ES3_PKS6_PS6_S6_ZZZN2at6native31launch_logcumsumexp_cuda_kernelERKNSD_10TensorBaseESH_lENKUlvE_clEvENKUlvE3_clEvEUlS6_S6_E_S6_EEDaPvRmT3_T4_T5_mT6_P12ihipStream_tbENKUlT_T0_E_clISt17integral_constantIbLb0EESX_IbLb1EEEEDaST_SU_EUlST_E_NS1_11comp_targetILNS1_3genE0ELNS1_11target_archE4294967295ELNS1_3gpuE0ELNS1_3repE0EEENS1_30default_config_static_selectorELNS0_4arch9wavefront6targetE1EEEvT1_, .Lfunc_end416-_ZN7rocprim17ROCPRIM_400000_NS6detail17trampoline_kernelINS0_14default_configENS1_20scan_config_selectorIN3c104HalfEEEZZNS1_9scan_implILNS1_25lookback_scan_determinismE0ELb0ELb0ES3_PKS6_PS6_S6_ZZZN2at6native31launch_logcumsumexp_cuda_kernelERKNSD_10TensorBaseESH_lENKUlvE_clEvENKUlvE3_clEvEUlS6_S6_E_S6_EEDaPvRmT3_T4_T5_mT6_P12ihipStream_tbENKUlT_T0_E_clISt17integral_constantIbLb0EESX_IbLb1EEEEDaST_SU_EUlST_E_NS1_11comp_targetILNS1_3genE0ELNS1_11target_archE4294967295ELNS1_3gpuE0ELNS1_3repE0EEENS1_30default_config_static_selectorELNS0_4arch9wavefront6targetE1EEEvT1_
                                        ; -- End function
	.set _ZN7rocprim17ROCPRIM_400000_NS6detail17trampoline_kernelINS0_14default_configENS1_20scan_config_selectorIN3c104HalfEEEZZNS1_9scan_implILNS1_25lookback_scan_determinismE0ELb0ELb0ES3_PKS6_PS6_S6_ZZZN2at6native31launch_logcumsumexp_cuda_kernelERKNSD_10TensorBaseESH_lENKUlvE_clEvENKUlvE3_clEvEUlS6_S6_E_S6_EEDaPvRmT3_T4_T5_mT6_P12ihipStream_tbENKUlT_T0_E_clISt17integral_constantIbLb0EESX_IbLb1EEEEDaST_SU_EUlST_E_NS1_11comp_targetILNS1_3genE0ELNS1_11target_archE4294967295ELNS1_3gpuE0ELNS1_3repE0EEENS1_30default_config_static_selectorELNS0_4arch9wavefront6targetE1EEEvT1_.num_vgpr, 67
	.set _ZN7rocprim17ROCPRIM_400000_NS6detail17trampoline_kernelINS0_14default_configENS1_20scan_config_selectorIN3c104HalfEEEZZNS1_9scan_implILNS1_25lookback_scan_determinismE0ELb0ELb0ES3_PKS6_PS6_S6_ZZZN2at6native31launch_logcumsumexp_cuda_kernelERKNSD_10TensorBaseESH_lENKUlvE_clEvENKUlvE3_clEvEUlS6_S6_E_S6_EEDaPvRmT3_T4_T5_mT6_P12ihipStream_tbENKUlT_T0_E_clISt17integral_constantIbLb0EESX_IbLb1EEEEDaST_SU_EUlST_E_NS1_11comp_targetILNS1_3genE0ELNS1_11target_archE4294967295ELNS1_3gpuE0ELNS1_3repE0EEENS1_30default_config_static_selectorELNS0_4arch9wavefront6targetE1EEEvT1_.num_agpr, 0
	.set _ZN7rocprim17ROCPRIM_400000_NS6detail17trampoline_kernelINS0_14default_configENS1_20scan_config_selectorIN3c104HalfEEEZZNS1_9scan_implILNS1_25lookback_scan_determinismE0ELb0ELb0ES3_PKS6_PS6_S6_ZZZN2at6native31launch_logcumsumexp_cuda_kernelERKNSD_10TensorBaseESH_lENKUlvE_clEvENKUlvE3_clEvEUlS6_S6_E_S6_EEDaPvRmT3_T4_T5_mT6_P12ihipStream_tbENKUlT_T0_E_clISt17integral_constantIbLb0EESX_IbLb1EEEEDaST_SU_EUlST_E_NS1_11comp_targetILNS1_3genE0ELNS1_11target_archE4294967295ELNS1_3gpuE0ELNS1_3repE0EEENS1_30default_config_static_selectorELNS0_4arch9wavefront6targetE1EEEvT1_.numbered_sgpr, 72
	.set _ZN7rocprim17ROCPRIM_400000_NS6detail17trampoline_kernelINS0_14default_configENS1_20scan_config_selectorIN3c104HalfEEEZZNS1_9scan_implILNS1_25lookback_scan_determinismE0ELb0ELb0ES3_PKS6_PS6_S6_ZZZN2at6native31launch_logcumsumexp_cuda_kernelERKNSD_10TensorBaseESH_lENKUlvE_clEvENKUlvE3_clEvEUlS6_S6_E_S6_EEDaPvRmT3_T4_T5_mT6_P12ihipStream_tbENKUlT_T0_E_clISt17integral_constantIbLb0EESX_IbLb1EEEEDaST_SU_EUlST_E_NS1_11comp_targetILNS1_3genE0ELNS1_11target_archE4294967295ELNS1_3gpuE0ELNS1_3repE0EEENS1_30default_config_static_selectorELNS0_4arch9wavefront6targetE1EEEvT1_.num_named_barrier, 0
	.set _ZN7rocprim17ROCPRIM_400000_NS6detail17trampoline_kernelINS0_14default_configENS1_20scan_config_selectorIN3c104HalfEEEZZNS1_9scan_implILNS1_25lookback_scan_determinismE0ELb0ELb0ES3_PKS6_PS6_S6_ZZZN2at6native31launch_logcumsumexp_cuda_kernelERKNSD_10TensorBaseESH_lENKUlvE_clEvENKUlvE3_clEvEUlS6_S6_E_S6_EEDaPvRmT3_T4_T5_mT6_P12ihipStream_tbENKUlT_T0_E_clISt17integral_constantIbLb0EESX_IbLb1EEEEDaST_SU_EUlST_E_NS1_11comp_targetILNS1_3genE0ELNS1_11target_archE4294967295ELNS1_3gpuE0ELNS1_3repE0EEENS1_30default_config_static_selectorELNS0_4arch9wavefront6targetE1EEEvT1_.private_seg_size, 0
	.set _ZN7rocprim17ROCPRIM_400000_NS6detail17trampoline_kernelINS0_14default_configENS1_20scan_config_selectorIN3c104HalfEEEZZNS1_9scan_implILNS1_25lookback_scan_determinismE0ELb0ELb0ES3_PKS6_PS6_S6_ZZZN2at6native31launch_logcumsumexp_cuda_kernelERKNSD_10TensorBaseESH_lENKUlvE_clEvENKUlvE3_clEvEUlS6_S6_E_S6_EEDaPvRmT3_T4_T5_mT6_P12ihipStream_tbENKUlT_T0_E_clISt17integral_constantIbLb0EESX_IbLb1EEEEDaST_SU_EUlST_E_NS1_11comp_targetILNS1_3genE0ELNS1_11target_archE4294967295ELNS1_3gpuE0ELNS1_3repE0EEENS1_30default_config_static_selectorELNS0_4arch9wavefront6targetE1EEEvT1_.uses_vcc, 1
	.set _ZN7rocprim17ROCPRIM_400000_NS6detail17trampoline_kernelINS0_14default_configENS1_20scan_config_selectorIN3c104HalfEEEZZNS1_9scan_implILNS1_25lookback_scan_determinismE0ELb0ELb0ES3_PKS6_PS6_S6_ZZZN2at6native31launch_logcumsumexp_cuda_kernelERKNSD_10TensorBaseESH_lENKUlvE_clEvENKUlvE3_clEvEUlS6_S6_E_S6_EEDaPvRmT3_T4_T5_mT6_P12ihipStream_tbENKUlT_T0_E_clISt17integral_constantIbLb0EESX_IbLb1EEEEDaST_SU_EUlST_E_NS1_11comp_targetILNS1_3genE0ELNS1_11target_archE4294967295ELNS1_3gpuE0ELNS1_3repE0EEENS1_30default_config_static_selectorELNS0_4arch9wavefront6targetE1EEEvT1_.uses_flat_scratch, 0
	.set _ZN7rocprim17ROCPRIM_400000_NS6detail17trampoline_kernelINS0_14default_configENS1_20scan_config_selectorIN3c104HalfEEEZZNS1_9scan_implILNS1_25lookback_scan_determinismE0ELb0ELb0ES3_PKS6_PS6_S6_ZZZN2at6native31launch_logcumsumexp_cuda_kernelERKNSD_10TensorBaseESH_lENKUlvE_clEvENKUlvE3_clEvEUlS6_S6_E_S6_EEDaPvRmT3_T4_T5_mT6_P12ihipStream_tbENKUlT_T0_E_clISt17integral_constantIbLb0EESX_IbLb1EEEEDaST_SU_EUlST_E_NS1_11comp_targetILNS1_3genE0ELNS1_11target_archE4294967295ELNS1_3gpuE0ELNS1_3repE0EEENS1_30default_config_static_selectorELNS0_4arch9wavefront6targetE1EEEvT1_.has_dyn_sized_stack, 0
	.set _ZN7rocprim17ROCPRIM_400000_NS6detail17trampoline_kernelINS0_14default_configENS1_20scan_config_selectorIN3c104HalfEEEZZNS1_9scan_implILNS1_25lookback_scan_determinismE0ELb0ELb0ES3_PKS6_PS6_S6_ZZZN2at6native31launch_logcumsumexp_cuda_kernelERKNSD_10TensorBaseESH_lENKUlvE_clEvENKUlvE3_clEvEUlS6_S6_E_S6_EEDaPvRmT3_T4_T5_mT6_P12ihipStream_tbENKUlT_T0_E_clISt17integral_constantIbLb0EESX_IbLb1EEEEDaST_SU_EUlST_E_NS1_11comp_targetILNS1_3genE0ELNS1_11target_archE4294967295ELNS1_3gpuE0ELNS1_3repE0EEENS1_30default_config_static_selectorELNS0_4arch9wavefront6targetE1EEEvT1_.has_recursion, 0
	.set _ZN7rocprim17ROCPRIM_400000_NS6detail17trampoline_kernelINS0_14default_configENS1_20scan_config_selectorIN3c104HalfEEEZZNS1_9scan_implILNS1_25lookback_scan_determinismE0ELb0ELb0ES3_PKS6_PS6_S6_ZZZN2at6native31launch_logcumsumexp_cuda_kernelERKNSD_10TensorBaseESH_lENKUlvE_clEvENKUlvE3_clEvEUlS6_S6_E_S6_EEDaPvRmT3_T4_T5_mT6_P12ihipStream_tbENKUlT_T0_E_clISt17integral_constantIbLb0EESX_IbLb1EEEEDaST_SU_EUlST_E_NS1_11comp_targetILNS1_3genE0ELNS1_11target_archE4294967295ELNS1_3gpuE0ELNS1_3repE0EEENS1_30default_config_static_selectorELNS0_4arch9wavefront6targetE1EEEvT1_.has_indirect_call, 0
	.section	.AMDGPU.csdata,"",@progbits
; Kernel info:
; codeLenInByte = 77568
; TotalNumSgprs: 78
; NumVgprs: 67
; NumAgprs: 0
; TotalNumVgprs: 67
; ScratchSize: 0
; MemoryBound: 0
; FloatMode: 240
; IeeeMode: 1
; LDSByteSize: 3584 bytes/workgroup (compile time only)
; SGPRBlocks: 9
; VGPRBlocks: 8
; NumSGPRsForWavesPerEU: 78
; NumVGPRsForWavesPerEU: 67
; AccumOffset: 68
; Occupancy: 7
; WaveLimiterHint : 1
; COMPUTE_PGM_RSRC2:SCRATCH_EN: 0
; COMPUTE_PGM_RSRC2:USER_SGPR: 2
; COMPUTE_PGM_RSRC2:TRAP_HANDLER: 0
; COMPUTE_PGM_RSRC2:TGID_X_EN: 1
; COMPUTE_PGM_RSRC2:TGID_Y_EN: 0
; COMPUTE_PGM_RSRC2:TGID_Z_EN: 0
; COMPUTE_PGM_RSRC2:TIDIG_COMP_CNT: 0
; COMPUTE_PGM_RSRC3_GFX90A:ACCUM_OFFSET: 16
; COMPUTE_PGM_RSRC3_GFX90A:TG_SPLIT: 0
	.section	.text._ZN7rocprim17ROCPRIM_400000_NS6detail17trampoline_kernelINS0_14default_configENS1_20scan_config_selectorIN3c104HalfEEEZZNS1_9scan_implILNS1_25lookback_scan_determinismE0ELb0ELb0ES3_PKS6_PS6_S6_ZZZN2at6native31launch_logcumsumexp_cuda_kernelERKNSD_10TensorBaseESH_lENKUlvE_clEvENKUlvE3_clEvEUlS6_S6_E_S6_EEDaPvRmT3_T4_T5_mT6_P12ihipStream_tbENKUlT_T0_E_clISt17integral_constantIbLb0EESX_IbLb1EEEEDaST_SU_EUlST_E_NS1_11comp_targetILNS1_3genE5ELNS1_11target_archE942ELNS1_3gpuE9ELNS1_3repE0EEENS1_30default_config_static_selectorELNS0_4arch9wavefront6targetE1EEEvT1_,"axG",@progbits,_ZN7rocprim17ROCPRIM_400000_NS6detail17trampoline_kernelINS0_14default_configENS1_20scan_config_selectorIN3c104HalfEEEZZNS1_9scan_implILNS1_25lookback_scan_determinismE0ELb0ELb0ES3_PKS6_PS6_S6_ZZZN2at6native31launch_logcumsumexp_cuda_kernelERKNSD_10TensorBaseESH_lENKUlvE_clEvENKUlvE3_clEvEUlS6_S6_E_S6_EEDaPvRmT3_T4_T5_mT6_P12ihipStream_tbENKUlT_T0_E_clISt17integral_constantIbLb0EESX_IbLb1EEEEDaST_SU_EUlST_E_NS1_11comp_targetILNS1_3genE5ELNS1_11target_archE942ELNS1_3gpuE9ELNS1_3repE0EEENS1_30default_config_static_selectorELNS0_4arch9wavefront6targetE1EEEvT1_,comdat
	.globl	_ZN7rocprim17ROCPRIM_400000_NS6detail17trampoline_kernelINS0_14default_configENS1_20scan_config_selectorIN3c104HalfEEEZZNS1_9scan_implILNS1_25lookback_scan_determinismE0ELb0ELb0ES3_PKS6_PS6_S6_ZZZN2at6native31launch_logcumsumexp_cuda_kernelERKNSD_10TensorBaseESH_lENKUlvE_clEvENKUlvE3_clEvEUlS6_S6_E_S6_EEDaPvRmT3_T4_T5_mT6_P12ihipStream_tbENKUlT_T0_E_clISt17integral_constantIbLb0EESX_IbLb1EEEEDaST_SU_EUlST_E_NS1_11comp_targetILNS1_3genE5ELNS1_11target_archE942ELNS1_3gpuE9ELNS1_3repE0EEENS1_30default_config_static_selectorELNS0_4arch9wavefront6targetE1EEEvT1_ ; -- Begin function _ZN7rocprim17ROCPRIM_400000_NS6detail17trampoline_kernelINS0_14default_configENS1_20scan_config_selectorIN3c104HalfEEEZZNS1_9scan_implILNS1_25lookback_scan_determinismE0ELb0ELb0ES3_PKS6_PS6_S6_ZZZN2at6native31launch_logcumsumexp_cuda_kernelERKNSD_10TensorBaseESH_lENKUlvE_clEvENKUlvE3_clEvEUlS6_S6_E_S6_EEDaPvRmT3_T4_T5_mT6_P12ihipStream_tbENKUlT_T0_E_clISt17integral_constantIbLb0EESX_IbLb1EEEEDaST_SU_EUlST_E_NS1_11comp_targetILNS1_3genE5ELNS1_11target_archE942ELNS1_3gpuE9ELNS1_3repE0EEENS1_30default_config_static_selectorELNS0_4arch9wavefront6targetE1EEEvT1_
	.p2align	8
	.type	_ZN7rocprim17ROCPRIM_400000_NS6detail17trampoline_kernelINS0_14default_configENS1_20scan_config_selectorIN3c104HalfEEEZZNS1_9scan_implILNS1_25lookback_scan_determinismE0ELb0ELb0ES3_PKS6_PS6_S6_ZZZN2at6native31launch_logcumsumexp_cuda_kernelERKNSD_10TensorBaseESH_lENKUlvE_clEvENKUlvE3_clEvEUlS6_S6_E_S6_EEDaPvRmT3_T4_T5_mT6_P12ihipStream_tbENKUlT_T0_E_clISt17integral_constantIbLb0EESX_IbLb1EEEEDaST_SU_EUlST_E_NS1_11comp_targetILNS1_3genE5ELNS1_11target_archE942ELNS1_3gpuE9ELNS1_3repE0EEENS1_30default_config_static_selectorELNS0_4arch9wavefront6targetE1EEEvT1_,@function
_ZN7rocprim17ROCPRIM_400000_NS6detail17trampoline_kernelINS0_14default_configENS1_20scan_config_selectorIN3c104HalfEEEZZNS1_9scan_implILNS1_25lookback_scan_determinismE0ELb0ELb0ES3_PKS6_PS6_S6_ZZZN2at6native31launch_logcumsumexp_cuda_kernelERKNSD_10TensorBaseESH_lENKUlvE_clEvENKUlvE3_clEvEUlS6_S6_E_S6_EEDaPvRmT3_T4_T5_mT6_P12ihipStream_tbENKUlT_T0_E_clISt17integral_constantIbLb0EESX_IbLb1EEEEDaST_SU_EUlST_E_NS1_11comp_targetILNS1_3genE5ELNS1_11target_archE942ELNS1_3gpuE9ELNS1_3repE0EEENS1_30default_config_static_selectorELNS0_4arch9wavefront6targetE1EEEvT1_: ; @_ZN7rocprim17ROCPRIM_400000_NS6detail17trampoline_kernelINS0_14default_configENS1_20scan_config_selectorIN3c104HalfEEEZZNS1_9scan_implILNS1_25lookback_scan_determinismE0ELb0ELb0ES3_PKS6_PS6_S6_ZZZN2at6native31launch_logcumsumexp_cuda_kernelERKNSD_10TensorBaseESH_lENKUlvE_clEvENKUlvE3_clEvEUlS6_S6_E_S6_EEDaPvRmT3_T4_T5_mT6_P12ihipStream_tbENKUlT_T0_E_clISt17integral_constantIbLb0EESX_IbLb1EEEEDaST_SU_EUlST_E_NS1_11comp_targetILNS1_3genE5ELNS1_11target_archE942ELNS1_3gpuE9ELNS1_3repE0EEENS1_30default_config_static_selectorELNS0_4arch9wavefront6targetE1EEEvT1_
; %bb.0:
	.section	.rodata,"a",@progbits
	.p2align	6, 0x0
	.amdhsa_kernel _ZN7rocprim17ROCPRIM_400000_NS6detail17trampoline_kernelINS0_14default_configENS1_20scan_config_selectorIN3c104HalfEEEZZNS1_9scan_implILNS1_25lookback_scan_determinismE0ELb0ELb0ES3_PKS6_PS6_S6_ZZZN2at6native31launch_logcumsumexp_cuda_kernelERKNSD_10TensorBaseESH_lENKUlvE_clEvENKUlvE3_clEvEUlS6_S6_E_S6_EEDaPvRmT3_T4_T5_mT6_P12ihipStream_tbENKUlT_T0_E_clISt17integral_constantIbLb0EESX_IbLb1EEEEDaST_SU_EUlST_E_NS1_11comp_targetILNS1_3genE5ELNS1_11target_archE942ELNS1_3gpuE9ELNS1_3repE0EEENS1_30default_config_static_selectorELNS0_4arch9wavefront6targetE1EEEvT1_
		.amdhsa_group_segment_fixed_size 0
		.amdhsa_private_segment_fixed_size 0
		.amdhsa_kernarg_size 96
		.amdhsa_user_sgpr_count 2
		.amdhsa_user_sgpr_dispatch_ptr 0
		.amdhsa_user_sgpr_queue_ptr 0
		.amdhsa_user_sgpr_kernarg_segment_ptr 1
		.amdhsa_user_sgpr_dispatch_id 0
		.amdhsa_user_sgpr_kernarg_preload_length 0
		.amdhsa_user_sgpr_kernarg_preload_offset 0
		.amdhsa_user_sgpr_private_segment_size 0
		.amdhsa_uses_dynamic_stack 0
		.amdhsa_enable_private_segment 0
		.amdhsa_system_sgpr_workgroup_id_x 1
		.amdhsa_system_sgpr_workgroup_id_y 0
		.amdhsa_system_sgpr_workgroup_id_z 0
		.amdhsa_system_sgpr_workgroup_info 0
		.amdhsa_system_vgpr_workitem_id 0
		.amdhsa_next_free_vgpr 1
		.amdhsa_next_free_sgpr 0
		.amdhsa_accum_offset 4
		.amdhsa_reserve_vcc 0
		.amdhsa_float_round_mode_32 0
		.amdhsa_float_round_mode_16_64 0
		.amdhsa_float_denorm_mode_32 3
		.amdhsa_float_denorm_mode_16_64 3
		.amdhsa_dx10_clamp 1
		.amdhsa_ieee_mode 1
		.amdhsa_fp16_overflow 0
		.amdhsa_tg_split 0
		.amdhsa_exception_fp_ieee_invalid_op 0
		.amdhsa_exception_fp_denorm_src 0
		.amdhsa_exception_fp_ieee_div_zero 0
		.amdhsa_exception_fp_ieee_overflow 0
		.amdhsa_exception_fp_ieee_underflow 0
		.amdhsa_exception_fp_ieee_inexact 0
		.amdhsa_exception_int_div_zero 0
	.end_amdhsa_kernel
	.section	.text._ZN7rocprim17ROCPRIM_400000_NS6detail17trampoline_kernelINS0_14default_configENS1_20scan_config_selectorIN3c104HalfEEEZZNS1_9scan_implILNS1_25lookback_scan_determinismE0ELb0ELb0ES3_PKS6_PS6_S6_ZZZN2at6native31launch_logcumsumexp_cuda_kernelERKNSD_10TensorBaseESH_lENKUlvE_clEvENKUlvE3_clEvEUlS6_S6_E_S6_EEDaPvRmT3_T4_T5_mT6_P12ihipStream_tbENKUlT_T0_E_clISt17integral_constantIbLb0EESX_IbLb1EEEEDaST_SU_EUlST_E_NS1_11comp_targetILNS1_3genE5ELNS1_11target_archE942ELNS1_3gpuE9ELNS1_3repE0EEENS1_30default_config_static_selectorELNS0_4arch9wavefront6targetE1EEEvT1_,"axG",@progbits,_ZN7rocprim17ROCPRIM_400000_NS6detail17trampoline_kernelINS0_14default_configENS1_20scan_config_selectorIN3c104HalfEEEZZNS1_9scan_implILNS1_25lookback_scan_determinismE0ELb0ELb0ES3_PKS6_PS6_S6_ZZZN2at6native31launch_logcumsumexp_cuda_kernelERKNSD_10TensorBaseESH_lENKUlvE_clEvENKUlvE3_clEvEUlS6_S6_E_S6_EEDaPvRmT3_T4_T5_mT6_P12ihipStream_tbENKUlT_T0_E_clISt17integral_constantIbLb0EESX_IbLb1EEEEDaST_SU_EUlST_E_NS1_11comp_targetILNS1_3genE5ELNS1_11target_archE942ELNS1_3gpuE9ELNS1_3repE0EEENS1_30default_config_static_selectorELNS0_4arch9wavefront6targetE1EEEvT1_,comdat
.Lfunc_end417:
	.size	_ZN7rocprim17ROCPRIM_400000_NS6detail17trampoline_kernelINS0_14default_configENS1_20scan_config_selectorIN3c104HalfEEEZZNS1_9scan_implILNS1_25lookback_scan_determinismE0ELb0ELb0ES3_PKS6_PS6_S6_ZZZN2at6native31launch_logcumsumexp_cuda_kernelERKNSD_10TensorBaseESH_lENKUlvE_clEvENKUlvE3_clEvEUlS6_S6_E_S6_EEDaPvRmT3_T4_T5_mT6_P12ihipStream_tbENKUlT_T0_E_clISt17integral_constantIbLb0EESX_IbLb1EEEEDaST_SU_EUlST_E_NS1_11comp_targetILNS1_3genE5ELNS1_11target_archE942ELNS1_3gpuE9ELNS1_3repE0EEENS1_30default_config_static_selectorELNS0_4arch9wavefront6targetE1EEEvT1_, .Lfunc_end417-_ZN7rocprim17ROCPRIM_400000_NS6detail17trampoline_kernelINS0_14default_configENS1_20scan_config_selectorIN3c104HalfEEEZZNS1_9scan_implILNS1_25lookback_scan_determinismE0ELb0ELb0ES3_PKS6_PS6_S6_ZZZN2at6native31launch_logcumsumexp_cuda_kernelERKNSD_10TensorBaseESH_lENKUlvE_clEvENKUlvE3_clEvEUlS6_S6_E_S6_EEDaPvRmT3_T4_T5_mT6_P12ihipStream_tbENKUlT_T0_E_clISt17integral_constantIbLb0EESX_IbLb1EEEEDaST_SU_EUlST_E_NS1_11comp_targetILNS1_3genE5ELNS1_11target_archE942ELNS1_3gpuE9ELNS1_3repE0EEENS1_30default_config_static_selectorELNS0_4arch9wavefront6targetE1EEEvT1_
                                        ; -- End function
	.set _ZN7rocprim17ROCPRIM_400000_NS6detail17trampoline_kernelINS0_14default_configENS1_20scan_config_selectorIN3c104HalfEEEZZNS1_9scan_implILNS1_25lookback_scan_determinismE0ELb0ELb0ES3_PKS6_PS6_S6_ZZZN2at6native31launch_logcumsumexp_cuda_kernelERKNSD_10TensorBaseESH_lENKUlvE_clEvENKUlvE3_clEvEUlS6_S6_E_S6_EEDaPvRmT3_T4_T5_mT6_P12ihipStream_tbENKUlT_T0_E_clISt17integral_constantIbLb0EESX_IbLb1EEEEDaST_SU_EUlST_E_NS1_11comp_targetILNS1_3genE5ELNS1_11target_archE942ELNS1_3gpuE9ELNS1_3repE0EEENS1_30default_config_static_selectorELNS0_4arch9wavefront6targetE1EEEvT1_.num_vgpr, 0
	.set _ZN7rocprim17ROCPRIM_400000_NS6detail17trampoline_kernelINS0_14default_configENS1_20scan_config_selectorIN3c104HalfEEEZZNS1_9scan_implILNS1_25lookback_scan_determinismE0ELb0ELb0ES3_PKS6_PS6_S6_ZZZN2at6native31launch_logcumsumexp_cuda_kernelERKNSD_10TensorBaseESH_lENKUlvE_clEvENKUlvE3_clEvEUlS6_S6_E_S6_EEDaPvRmT3_T4_T5_mT6_P12ihipStream_tbENKUlT_T0_E_clISt17integral_constantIbLb0EESX_IbLb1EEEEDaST_SU_EUlST_E_NS1_11comp_targetILNS1_3genE5ELNS1_11target_archE942ELNS1_3gpuE9ELNS1_3repE0EEENS1_30default_config_static_selectorELNS0_4arch9wavefront6targetE1EEEvT1_.num_agpr, 0
	.set _ZN7rocprim17ROCPRIM_400000_NS6detail17trampoline_kernelINS0_14default_configENS1_20scan_config_selectorIN3c104HalfEEEZZNS1_9scan_implILNS1_25lookback_scan_determinismE0ELb0ELb0ES3_PKS6_PS6_S6_ZZZN2at6native31launch_logcumsumexp_cuda_kernelERKNSD_10TensorBaseESH_lENKUlvE_clEvENKUlvE3_clEvEUlS6_S6_E_S6_EEDaPvRmT3_T4_T5_mT6_P12ihipStream_tbENKUlT_T0_E_clISt17integral_constantIbLb0EESX_IbLb1EEEEDaST_SU_EUlST_E_NS1_11comp_targetILNS1_3genE5ELNS1_11target_archE942ELNS1_3gpuE9ELNS1_3repE0EEENS1_30default_config_static_selectorELNS0_4arch9wavefront6targetE1EEEvT1_.numbered_sgpr, 0
	.set _ZN7rocprim17ROCPRIM_400000_NS6detail17trampoline_kernelINS0_14default_configENS1_20scan_config_selectorIN3c104HalfEEEZZNS1_9scan_implILNS1_25lookback_scan_determinismE0ELb0ELb0ES3_PKS6_PS6_S6_ZZZN2at6native31launch_logcumsumexp_cuda_kernelERKNSD_10TensorBaseESH_lENKUlvE_clEvENKUlvE3_clEvEUlS6_S6_E_S6_EEDaPvRmT3_T4_T5_mT6_P12ihipStream_tbENKUlT_T0_E_clISt17integral_constantIbLb0EESX_IbLb1EEEEDaST_SU_EUlST_E_NS1_11comp_targetILNS1_3genE5ELNS1_11target_archE942ELNS1_3gpuE9ELNS1_3repE0EEENS1_30default_config_static_selectorELNS0_4arch9wavefront6targetE1EEEvT1_.num_named_barrier, 0
	.set _ZN7rocprim17ROCPRIM_400000_NS6detail17trampoline_kernelINS0_14default_configENS1_20scan_config_selectorIN3c104HalfEEEZZNS1_9scan_implILNS1_25lookback_scan_determinismE0ELb0ELb0ES3_PKS6_PS6_S6_ZZZN2at6native31launch_logcumsumexp_cuda_kernelERKNSD_10TensorBaseESH_lENKUlvE_clEvENKUlvE3_clEvEUlS6_S6_E_S6_EEDaPvRmT3_T4_T5_mT6_P12ihipStream_tbENKUlT_T0_E_clISt17integral_constantIbLb0EESX_IbLb1EEEEDaST_SU_EUlST_E_NS1_11comp_targetILNS1_3genE5ELNS1_11target_archE942ELNS1_3gpuE9ELNS1_3repE0EEENS1_30default_config_static_selectorELNS0_4arch9wavefront6targetE1EEEvT1_.private_seg_size, 0
	.set _ZN7rocprim17ROCPRIM_400000_NS6detail17trampoline_kernelINS0_14default_configENS1_20scan_config_selectorIN3c104HalfEEEZZNS1_9scan_implILNS1_25lookback_scan_determinismE0ELb0ELb0ES3_PKS6_PS6_S6_ZZZN2at6native31launch_logcumsumexp_cuda_kernelERKNSD_10TensorBaseESH_lENKUlvE_clEvENKUlvE3_clEvEUlS6_S6_E_S6_EEDaPvRmT3_T4_T5_mT6_P12ihipStream_tbENKUlT_T0_E_clISt17integral_constantIbLb0EESX_IbLb1EEEEDaST_SU_EUlST_E_NS1_11comp_targetILNS1_3genE5ELNS1_11target_archE942ELNS1_3gpuE9ELNS1_3repE0EEENS1_30default_config_static_selectorELNS0_4arch9wavefront6targetE1EEEvT1_.uses_vcc, 0
	.set _ZN7rocprim17ROCPRIM_400000_NS6detail17trampoline_kernelINS0_14default_configENS1_20scan_config_selectorIN3c104HalfEEEZZNS1_9scan_implILNS1_25lookback_scan_determinismE0ELb0ELb0ES3_PKS6_PS6_S6_ZZZN2at6native31launch_logcumsumexp_cuda_kernelERKNSD_10TensorBaseESH_lENKUlvE_clEvENKUlvE3_clEvEUlS6_S6_E_S6_EEDaPvRmT3_T4_T5_mT6_P12ihipStream_tbENKUlT_T0_E_clISt17integral_constantIbLb0EESX_IbLb1EEEEDaST_SU_EUlST_E_NS1_11comp_targetILNS1_3genE5ELNS1_11target_archE942ELNS1_3gpuE9ELNS1_3repE0EEENS1_30default_config_static_selectorELNS0_4arch9wavefront6targetE1EEEvT1_.uses_flat_scratch, 0
	.set _ZN7rocprim17ROCPRIM_400000_NS6detail17trampoline_kernelINS0_14default_configENS1_20scan_config_selectorIN3c104HalfEEEZZNS1_9scan_implILNS1_25lookback_scan_determinismE0ELb0ELb0ES3_PKS6_PS6_S6_ZZZN2at6native31launch_logcumsumexp_cuda_kernelERKNSD_10TensorBaseESH_lENKUlvE_clEvENKUlvE3_clEvEUlS6_S6_E_S6_EEDaPvRmT3_T4_T5_mT6_P12ihipStream_tbENKUlT_T0_E_clISt17integral_constantIbLb0EESX_IbLb1EEEEDaST_SU_EUlST_E_NS1_11comp_targetILNS1_3genE5ELNS1_11target_archE942ELNS1_3gpuE9ELNS1_3repE0EEENS1_30default_config_static_selectorELNS0_4arch9wavefront6targetE1EEEvT1_.has_dyn_sized_stack, 0
	.set _ZN7rocprim17ROCPRIM_400000_NS6detail17trampoline_kernelINS0_14default_configENS1_20scan_config_selectorIN3c104HalfEEEZZNS1_9scan_implILNS1_25lookback_scan_determinismE0ELb0ELb0ES3_PKS6_PS6_S6_ZZZN2at6native31launch_logcumsumexp_cuda_kernelERKNSD_10TensorBaseESH_lENKUlvE_clEvENKUlvE3_clEvEUlS6_S6_E_S6_EEDaPvRmT3_T4_T5_mT6_P12ihipStream_tbENKUlT_T0_E_clISt17integral_constantIbLb0EESX_IbLb1EEEEDaST_SU_EUlST_E_NS1_11comp_targetILNS1_3genE5ELNS1_11target_archE942ELNS1_3gpuE9ELNS1_3repE0EEENS1_30default_config_static_selectorELNS0_4arch9wavefront6targetE1EEEvT1_.has_recursion, 0
	.set _ZN7rocprim17ROCPRIM_400000_NS6detail17trampoline_kernelINS0_14default_configENS1_20scan_config_selectorIN3c104HalfEEEZZNS1_9scan_implILNS1_25lookback_scan_determinismE0ELb0ELb0ES3_PKS6_PS6_S6_ZZZN2at6native31launch_logcumsumexp_cuda_kernelERKNSD_10TensorBaseESH_lENKUlvE_clEvENKUlvE3_clEvEUlS6_S6_E_S6_EEDaPvRmT3_T4_T5_mT6_P12ihipStream_tbENKUlT_T0_E_clISt17integral_constantIbLb0EESX_IbLb1EEEEDaST_SU_EUlST_E_NS1_11comp_targetILNS1_3genE5ELNS1_11target_archE942ELNS1_3gpuE9ELNS1_3repE0EEENS1_30default_config_static_selectorELNS0_4arch9wavefront6targetE1EEEvT1_.has_indirect_call, 0
	.section	.AMDGPU.csdata,"",@progbits
; Kernel info:
; codeLenInByte = 0
; TotalNumSgprs: 6
; NumVgprs: 0
; NumAgprs: 0
; TotalNumVgprs: 0
; ScratchSize: 0
; MemoryBound: 0
; FloatMode: 240
; IeeeMode: 1
; LDSByteSize: 0 bytes/workgroup (compile time only)
; SGPRBlocks: 0
; VGPRBlocks: 0
; NumSGPRsForWavesPerEU: 6
; NumVGPRsForWavesPerEU: 1
; AccumOffset: 4
; Occupancy: 8
; WaveLimiterHint : 0
; COMPUTE_PGM_RSRC2:SCRATCH_EN: 0
; COMPUTE_PGM_RSRC2:USER_SGPR: 2
; COMPUTE_PGM_RSRC2:TRAP_HANDLER: 0
; COMPUTE_PGM_RSRC2:TGID_X_EN: 1
; COMPUTE_PGM_RSRC2:TGID_Y_EN: 0
; COMPUTE_PGM_RSRC2:TGID_Z_EN: 0
; COMPUTE_PGM_RSRC2:TIDIG_COMP_CNT: 0
; COMPUTE_PGM_RSRC3_GFX90A:ACCUM_OFFSET: 0
; COMPUTE_PGM_RSRC3_GFX90A:TG_SPLIT: 0
	.section	.text._ZN7rocprim17ROCPRIM_400000_NS6detail17trampoline_kernelINS0_14default_configENS1_20scan_config_selectorIN3c104HalfEEEZZNS1_9scan_implILNS1_25lookback_scan_determinismE0ELb0ELb0ES3_PKS6_PS6_S6_ZZZN2at6native31launch_logcumsumexp_cuda_kernelERKNSD_10TensorBaseESH_lENKUlvE_clEvENKUlvE3_clEvEUlS6_S6_E_S6_EEDaPvRmT3_T4_T5_mT6_P12ihipStream_tbENKUlT_T0_E_clISt17integral_constantIbLb0EESX_IbLb1EEEEDaST_SU_EUlST_E_NS1_11comp_targetILNS1_3genE4ELNS1_11target_archE910ELNS1_3gpuE8ELNS1_3repE0EEENS1_30default_config_static_selectorELNS0_4arch9wavefront6targetE1EEEvT1_,"axG",@progbits,_ZN7rocprim17ROCPRIM_400000_NS6detail17trampoline_kernelINS0_14default_configENS1_20scan_config_selectorIN3c104HalfEEEZZNS1_9scan_implILNS1_25lookback_scan_determinismE0ELb0ELb0ES3_PKS6_PS6_S6_ZZZN2at6native31launch_logcumsumexp_cuda_kernelERKNSD_10TensorBaseESH_lENKUlvE_clEvENKUlvE3_clEvEUlS6_S6_E_S6_EEDaPvRmT3_T4_T5_mT6_P12ihipStream_tbENKUlT_T0_E_clISt17integral_constantIbLb0EESX_IbLb1EEEEDaST_SU_EUlST_E_NS1_11comp_targetILNS1_3genE4ELNS1_11target_archE910ELNS1_3gpuE8ELNS1_3repE0EEENS1_30default_config_static_selectorELNS0_4arch9wavefront6targetE1EEEvT1_,comdat
	.globl	_ZN7rocprim17ROCPRIM_400000_NS6detail17trampoline_kernelINS0_14default_configENS1_20scan_config_selectorIN3c104HalfEEEZZNS1_9scan_implILNS1_25lookback_scan_determinismE0ELb0ELb0ES3_PKS6_PS6_S6_ZZZN2at6native31launch_logcumsumexp_cuda_kernelERKNSD_10TensorBaseESH_lENKUlvE_clEvENKUlvE3_clEvEUlS6_S6_E_S6_EEDaPvRmT3_T4_T5_mT6_P12ihipStream_tbENKUlT_T0_E_clISt17integral_constantIbLb0EESX_IbLb1EEEEDaST_SU_EUlST_E_NS1_11comp_targetILNS1_3genE4ELNS1_11target_archE910ELNS1_3gpuE8ELNS1_3repE0EEENS1_30default_config_static_selectorELNS0_4arch9wavefront6targetE1EEEvT1_ ; -- Begin function _ZN7rocprim17ROCPRIM_400000_NS6detail17trampoline_kernelINS0_14default_configENS1_20scan_config_selectorIN3c104HalfEEEZZNS1_9scan_implILNS1_25lookback_scan_determinismE0ELb0ELb0ES3_PKS6_PS6_S6_ZZZN2at6native31launch_logcumsumexp_cuda_kernelERKNSD_10TensorBaseESH_lENKUlvE_clEvENKUlvE3_clEvEUlS6_S6_E_S6_EEDaPvRmT3_T4_T5_mT6_P12ihipStream_tbENKUlT_T0_E_clISt17integral_constantIbLb0EESX_IbLb1EEEEDaST_SU_EUlST_E_NS1_11comp_targetILNS1_3genE4ELNS1_11target_archE910ELNS1_3gpuE8ELNS1_3repE0EEENS1_30default_config_static_selectorELNS0_4arch9wavefront6targetE1EEEvT1_
	.p2align	8
	.type	_ZN7rocprim17ROCPRIM_400000_NS6detail17trampoline_kernelINS0_14default_configENS1_20scan_config_selectorIN3c104HalfEEEZZNS1_9scan_implILNS1_25lookback_scan_determinismE0ELb0ELb0ES3_PKS6_PS6_S6_ZZZN2at6native31launch_logcumsumexp_cuda_kernelERKNSD_10TensorBaseESH_lENKUlvE_clEvENKUlvE3_clEvEUlS6_S6_E_S6_EEDaPvRmT3_T4_T5_mT6_P12ihipStream_tbENKUlT_T0_E_clISt17integral_constantIbLb0EESX_IbLb1EEEEDaST_SU_EUlST_E_NS1_11comp_targetILNS1_3genE4ELNS1_11target_archE910ELNS1_3gpuE8ELNS1_3repE0EEENS1_30default_config_static_selectorELNS0_4arch9wavefront6targetE1EEEvT1_,@function
_ZN7rocprim17ROCPRIM_400000_NS6detail17trampoline_kernelINS0_14default_configENS1_20scan_config_selectorIN3c104HalfEEEZZNS1_9scan_implILNS1_25lookback_scan_determinismE0ELb0ELb0ES3_PKS6_PS6_S6_ZZZN2at6native31launch_logcumsumexp_cuda_kernelERKNSD_10TensorBaseESH_lENKUlvE_clEvENKUlvE3_clEvEUlS6_S6_E_S6_EEDaPvRmT3_T4_T5_mT6_P12ihipStream_tbENKUlT_T0_E_clISt17integral_constantIbLb0EESX_IbLb1EEEEDaST_SU_EUlST_E_NS1_11comp_targetILNS1_3genE4ELNS1_11target_archE910ELNS1_3gpuE8ELNS1_3repE0EEENS1_30default_config_static_selectorELNS0_4arch9wavefront6targetE1EEEvT1_: ; @_ZN7rocprim17ROCPRIM_400000_NS6detail17trampoline_kernelINS0_14default_configENS1_20scan_config_selectorIN3c104HalfEEEZZNS1_9scan_implILNS1_25lookback_scan_determinismE0ELb0ELb0ES3_PKS6_PS6_S6_ZZZN2at6native31launch_logcumsumexp_cuda_kernelERKNSD_10TensorBaseESH_lENKUlvE_clEvENKUlvE3_clEvEUlS6_S6_E_S6_EEDaPvRmT3_T4_T5_mT6_P12ihipStream_tbENKUlT_T0_E_clISt17integral_constantIbLb0EESX_IbLb1EEEEDaST_SU_EUlST_E_NS1_11comp_targetILNS1_3genE4ELNS1_11target_archE910ELNS1_3gpuE8ELNS1_3repE0EEENS1_30default_config_static_selectorELNS0_4arch9wavefront6targetE1EEEvT1_
; %bb.0:
	.section	.rodata,"a",@progbits
	.p2align	6, 0x0
	.amdhsa_kernel _ZN7rocprim17ROCPRIM_400000_NS6detail17trampoline_kernelINS0_14default_configENS1_20scan_config_selectorIN3c104HalfEEEZZNS1_9scan_implILNS1_25lookback_scan_determinismE0ELb0ELb0ES3_PKS6_PS6_S6_ZZZN2at6native31launch_logcumsumexp_cuda_kernelERKNSD_10TensorBaseESH_lENKUlvE_clEvENKUlvE3_clEvEUlS6_S6_E_S6_EEDaPvRmT3_T4_T5_mT6_P12ihipStream_tbENKUlT_T0_E_clISt17integral_constantIbLb0EESX_IbLb1EEEEDaST_SU_EUlST_E_NS1_11comp_targetILNS1_3genE4ELNS1_11target_archE910ELNS1_3gpuE8ELNS1_3repE0EEENS1_30default_config_static_selectorELNS0_4arch9wavefront6targetE1EEEvT1_
		.amdhsa_group_segment_fixed_size 0
		.amdhsa_private_segment_fixed_size 0
		.amdhsa_kernarg_size 96
		.amdhsa_user_sgpr_count 2
		.amdhsa_user_sgpr_dispatch_ptr 0
		.amdhsa_user_sgpr_queue_ptr 0
		.amdhsa_user_sgpr_kernarg_segment_ptr 1
		.amdhsa_user_sgpr_dispatch_id 0
		.amdhsa_user_sgpr_kernarg_preload_length 0
		.amdhsa_user_sgpr_kernarg_preload_offset 0
		.amdhsa_user_sgpr_private_segment_size 0
		.amdhsa_uses_dynamic_stack 0
		.amdhsa_enable_private_segment 0
		.amdhsa_system_sgpr_workgroup_id_x 1
		.amdhsa_system_sgpr_workgroup_id_y 0
		.amdhsa_system_sgpr_workgroup_id_z 0
		.amdhsa_system_sgpr_workgroup_info 0
		.amdhsa_system_vgpr_workitem_id 0
		.amdhsa_next_free_vgpr 1
		.amdhsa_next_free_sgpr 0
		.amdhsa_accum_offset 4
		.amdhsa_reserve_vcc 0
		.amdhsa_float_round_mode_32 0
		.amdhsa_float_round_mode_16_64 0
		.amdhsa_float_denorm_mode_32 3
		.amdhsa_float_denorm_mode_16_64 3
		.amdhsa_dx10_clamp 1
		.amdhsa_ieee_mode 1
		.amdhsa_fp16_overflow 0
		.amdhsa_tg_split 0
		.amdhsa_exception_fp_ieee_invalid_op 0
		.amdhsa_exception_fp_denorm_src 0
		.amdhsa_exception_fp_ieee_div_zero 0
		.amdhsa_exception_fp_ieee_overflow 0
		.amdhsa_exception_fp_ieee_underflow 0
		.amdhsa_exception_fp_ieee_inexact 0
		.amdhsa_exception_int_div_zero 0
	.end_amdhsa_kernel
	.section	.text._ZN7rocprim17ROCPRIM_400000_NS6detail17trampoline_kernelINS0_14default_configENS1_20scan_config_selectorIN3c104HalfEEEZZNS1_9scan_implILNS1_25lookback_scan_determinismE0ELb0ELb0ES3_PKS6_PS6_S6_ZZZN2at6native31launch_logcumsumexp_cuda_kernelERKNSD_10TensorBaseESH_lENKUlvE_clEvENKUlvE3_clEvEUlS6_S6_E_S6_EEDaPvRmT3_T4_T5_mT6_P12ihipStream_tbENKUlT_T0_E_clISt17integral_constantIbLb0EESX_IbLb1EEEEDaST_SU_EUlST_E_NS1_11comp_targetILNS1_3genE4ELNS1_11target_archE910ELNS1_3gpuE8ELNS1_3repE0EEENS1_30default_config_static_selectorELNS0_4arch9wavefront6targetE1EEEvT1_,"axG",@progbits,_ZN7rocprim17ROCPRIM_400000_NS6detail17trampoline_kernelINS0_14default_configENS1_20scan_config_selectorIN3c104HalfEEEZZNS1_9scan_implILNS1_25lookback_scan_determinismE0ELb0ELb0ES3_PKS6_PS6_S6_ZZZN2at6native31launch_logcumsumexp_cuda_kernelERKNSD_10TensorBaseESH_lENKUlvE_clEvENKUlvE3_clEvEUlS6_S6_E_S6_EEDaPvRmT3_T4_T5_mT6_P12ihipStream_tbENKUlT_T0_E_clISt17integral_constantIbLb0EESX_IbLb1EEEEDaST_SU_EUlST_E_NS1_11comp_targetILNS1_3genE4ELNS1_11target_archE910ELNS1_3gpuE8ELNS1_3repE0EEENS1_30default_config_static_selectorELNS0_4arch9wavefront6targetE1EEEvT1_,comdat
.Lfunc_end418:
	.size	_ZN7rocprim17ROCPRIM_400000_NS6detail17trampoline_kernelINS0_14default_configENS1_20scan_config_selectorIN3c104HalfEEEZZNS1_9scan_implILNS1_25lookback_scan_determinismE0ELb0ELb0ES3_PKS6_PS6_S6_ZZZN2at6native31launch_logcumsumexp_cuda_kernelERKNSD_10TensorBaseESH_lENKUlvE_clEvENKUlvE3_clEvEUlS6_S6_E_S6_EEDaPvRmT3_T4_T5_mT6_P12ihipStream_tbENKUlT_T0_E_clISt17integral_constantIbLb0EESX_IbLb1EEEEDaST_SU_EUlST_E_NS1_11comp_targetILNS1_3genE4ELNS1_11target_archE910ELNS1_3gpuE8ELNS1_3repE0EEENS1_30default_config_static_selectorELNS0_4arch9wavefront6targetE1EEEvT1_, .Lfunc_end418-_ZN7rocprim17ROCPRIM_400000_NS6detail17trampoline_kernelINS0_14default_configENS1_20scan_config_selectorIN3c104HalfEEEZZNS1_9scan_implILNS1_25lookback_scan_determinismE0ELb0ELb0ES3_PKS6_PS6_S6_ZZZN2at6native31launch_logcumsumexp_cuda_kernelERKNSD_10TensorBaseESH_lENKUlvE_clEvENKUlvE3_clEvEUlS6_S6_E_S6_EEDaPvRmT3_T4_T5_mT6_P12ihipStream_tbENKUlT_T0_E_clISt17integral_constantIbLb0EESX_IbLb1EEEEDaST_SU_EUlST_E_NS1_11comp_targetILNS1_3genE4ELNS1_11target_archE910ELNS1_3gpuE8ELNS1_3repE0EEENS1_30default_config_static_selectorELNS0_4arch9wavefront6targetE1EEEvT1_
                                        ; -- End function
	.set _ZN7rocprim17ROCPRIM_400000_NS6detail17trampoline_kernelINS0_14default_configENS1_20scan_config_selectorIN3c104HalfEEEZZNS1_9scan_implILNS1_25lookback_scan_determinismE0ELb0ELb0ES3_PKS6_PS6_S6_ZZZN2at6native31launch_logcumsumexp_cuda_kernelERKNSD_10TensorBaseESH_lENKUlvE_clEvENKUlvE3_clEvEUlS6_S6_E_S6_EEDaPvRmT3_T4_T5_mT6_P12ihipStream_tbENKUlT_T0_E_clISt17integral_constantIbLb0EESX_IbLb1EEEEDaST_SU_EUlST_E_NS1_11comp_targetILNS1_3genE4ELNS1_11target_archE910ELNS1_3gpuE8ELNS1_3repE0EEENS1_30default_config_static_selectorELNS0_4arch9wavefront6targetE1EEEvT1_.num_vgpr, 0
	.set _ZN7rocprim17ROCPRIM_400000_NS6detail17trampoline_kernelINS0_14default_configENS1_20scan_config_selectorIN3c104HalfEEEZZNS1_9scan_implILNS1_25lookback_scan_determinismE0ELb0ELb0ES3_PKS6_PS6_S6_ZZZN2at6native31launch_logcumsumexp_cuda_kernelERKNSD_10TensorBaseESH_lENKUlvE_clEvENKUlvE3_clEvEUlS6_S6_E_S6_EEDaPvRmT3_T4_T5_mT6_P12ihipStream_tbENKUlT_T0_E_clISt17integral_constantIbLb0EESX_IbLb1EEEEDaST_SU_EUlST_E_NS1_11comp_targetILNS1_3genE4ELNS1_11target_archE910ELNS1_3gpuE8ELNS1_3repE0EEENS1_30default_config_static_selectorELNS0_4arch9wavefront6targetE1EEEvT1_.num_agpr, 0
	.set _ZN7rocprim17ROCPRIM_400000_NS6detail17trampoline_kernelINS0_14default_configENS1_20scan_config_selectorIN3c104HalfEEEZZNS1_9scan_implILNS1_25lookback_scan_determinismE0ELb0ELb0ES3_PKS6_PS6_S6_ZZZN2at6native31launch_logcumsumexp_cuda_kernelERKNSD_10TensorBaseESH_lENKUlvE_clEvENKUlvE3_clEvEUlS6_S6_E_S6_EEDaPvRmT3_T4_T5_mT6_P12ihipStream_tbENKUlT_T0_E_clISt17integral_constantIbLb0EESX_IbLb1EEEEDaST_SU_EUlST_E_NS1_11comp_targetILNS1_3genE4ELNS1_11target_archE910ELNS1_3gpuE8ELNS1_3repE0EEENS1_30default_config_static_selectorELNS0_4arch9wavefront6targetE1EEEvT1_.numbered_sgpr, 0
	.set _ZN7rocprim17ROCPRIM_400000_NS6detail17trampoline_kernelINS0_14default_configENS1_20scan_config_selectorIN3c104HalfEEEZZNS1_9scan_implILNS1_25lookback_scan_determinismE0ELb0ELb0ES3_PKS6_PS6_S6_ZZZN2at6native31launch_logcumsumexp_cuda_kernelERKNSD_10TensorBaseESH_lENKUlvE_clEvENKUlvE3_clEvEUlS6_S6_E_S6_EEDaPvRmT3_T4_T5_mT6_P12ihipStream_tbENKUlT_T0_E_clISt17integral_constantIbLb0EESX_IbLb1EEEEDaST_SU_EUlST_E_NS1_11comp_targetILNS1_3genE4ELNS1_11target_archE910ELNS1_3gpuE8ELNS1_3repE0EEENS1_30default_config_static_selectorELNS0_4arch9wavefront6targetE1EEEvT1_.num_named_barrier, 0
	.set _ZN7rocprim17ROCPRIM_400000_NS6detail17trampoline_kernelINS0_14default_configENS1_20scan_config_selectorIN3c104HalfEEEZZNS1_9scan_implILNS1_25lookback_scan_determinismE0ELb0ELb0ES3_PKS6_PS6_S6_ZZZN2at6native31launch_logcumsumexp_cuda_kernelERKNSD_10TensorBaseESH_lENKUlvE_clEvENKUlvE3_clEvEUlS6_S6_E_S6_EEDaPvRmT3_T4_T5_mT6_P12ihipStream_tbENKUlT_T0_E_clISt17integral_constantIbLb0EESX_IbLb1EEEEDaST_SU_EUlST_E_NS1_11comp_targetILNS1_3genE4ELNS1_11target_archE910ELNS1_3gpuE8ELNS1_3repE0EEENS1_30default_config_static_selectorELNS0_4arch9wavefront6targetE1EEEvT1_.private_seg_size, 0
	.set _ZN7rocprim17ROCPRIM_400000_NS6detail17trampoline_kernelINS0_14default_configENS1_20scan_config_selectorIN3c104HalfEEEZZNS1_9scan_implILNS1_25lookback_scan_determinismE0ELb0ELb0ES3_PKS6_PS6_S6_ZZZN2at6native31launch_logcumsumexp_cuda_kernelERKNSD_10TensorBaseESH_lENKUlvE_clEvENKUlvE3_clEvEUlS6_S6_E_S6_EEDaPvRmT3_T4_T5_mT6_P12ihipStream_tbENKUlT_T0_E_clISt17integral_constantIbLb0EESX_IbLb1EEEEDaST_SU_EUlST_E_NS1_11comp_targetILNS1_3genE4ELNS1_11target_archE910ELNS1_3gpuE8ELNS1_3repE0EEENS1_30default_config_static_selectorELNS0_4arch9wavefront6targetE1EEEvT1_.uses_vcc, 0
	.set _ZN7rocprim17ROCPRIM_400000_NS6detail17trampoline_kernelINS0_14default_configENS1_20scan_config_selectorIN3c104HalfEEEZZNS1_9scan_implILNS1_25lookback_scan_determinismE0ELb0ELb0ES3_PKS6_PS6_S6_ZZZN2at6native31launch_logcumsumexp_cuda_kernelERKNSD_10TensorBaseESH_lENKUlvE_clEvENKUlvE3_clEvEUlS6_S6_E_S6_EEDaPvRmT3_T4_T5_mT6_P12ihipStream_tbENKUlT_T0_E_clISt17integral_constantIbLb0EESX_IbLb1EEEEDaST_SU_EUlST_E_NS1_11comp_targetILNS1_3genE4ELNS1_11target_archE910ELNS1_3gpuE8ELNS1_3repE0EEENS1_30default_config_static_selectorELNS0_4arch9wavefront6targetE1EEEvT1_.uses_flat_scratch, 0
	.set _ZN7rocprim17ROCPRIM_400000_NS6detail17trampoline_kernelINS0_14default_configENS1_20scan_config_selectorIN3c104HalfEEEZZNS1_9scan_implILNS1_25lookback_scan_determinismE0ELb0ELb0ES3_PKS6_PS6_S6_ZZZN2at6native31launch_logcumsumexp_cuda_kernelERKNSD_10TensorBaseESH_lENKUlvE_clEvENKUlvE3_clEvEUlS6_S6_E_S6_EEDaPvRmT3_T4_T5_mT6_P12ihipStream_tbENKUlT_T0_E_clISt17integral_constantIbLb0EESX_IbLb1EEEEDaST_SU_EUlST_E_NS1_11comp_targetILNS1_3genE4ELNS1_11target_archE910ELNS1_3gpuE8ELNS1_3repE0EEENS1_30default_config_static_selectorELNS0_4arch9wavefront6targetE1EEEvT1_.has_dyn_sized_stack, 0
	.set _ZN7rocprim17ROCPRIM_400000_NS6detail17trampoline_kernelINS0_14default_configENS1_20scan_config_selectorIN3c104HalfEEEZZNS1_9scan_implILNS1_25lookback_scan_determinismE0ELb0ELb0ES3_PKS6_PS6_S6_ZZZN2at6native31launch_logcumsumexp_cuda_kernelERKNSD_10TensorBaseESH_lENKUlvE_clEvENKUlvE3_clEvEUlS6_S6_E_S6_EEDaPvRmT3_T4_T5_mT6_P12ihipStream_tbENKUlT_T0_E_clISt17integral_constantIbLb0EESX_IbLb1EEEEDaST_SU_EUlST_E_NS1_11comp_targetILNS1_3genE4ELNS1_11target_archE910ELNS1_3gpuE8ELNS1_3repE0EEENS1_30default_config_static_selectorELNS0_4arch9wavefront6targetE1EEEvT1_.has_recursion, 0
	.set _ZN7rocprim17ROCPRIM_400000_NS6detail17trampoline_kernelINS0_14default_configENS1_20scan_config_selectorIN3c104HalfEEEZZNS1_9scan_implILNS1_25lookback_scan_determinismE0ELb0ELb0ES3_PKS6_PS6_S6_ZZZN2at6native31launch_logcumsumexp_cuda_kernelERKNSD_10TensorBaseESH_lENKUlvE_clEvENKUlvE3_clEvEUlS6_S6_E_S6_EEDaPvRmT3_T4_T5_mT6_P12ihipStream_tbENKUlT_T0_E_clISt17integral_constantIbLb0EESX_IbLb1EEEEDaST_SU_EUlST_E_NS1_11comp_targetILNS1_3genE4ELNS1_11target_archE910ELNS1_3gpuE8ELNS1_3repE0EEENS1_30default_config_static_selectorELNS0_4arch9wavefront6targetE1EEEvT1_.has_indirect_call, 0
	.section	.AMDGPU.csdata,"",@progbits
; Kernel info:
; codeLenInByte = 0
; TotalNumSgprs: 6
; NumVgprs: 0
; NumAgprs: 0
; TotalNumVgprs: 0
; ScratchSize: 0
; MemoryBound: 0
; FloatMode: 240
; IeeeMode: 1
; LDSByteSize: 0 bytes/workgroup (compile time only)
; SGPRBlocks: 0
; VGPRBlocks: 0
; NumSGPRsForWavesPerEU: 6
; NumVGPRsForWavesPerEU: 1
; AccumOffset: 4
; Occupancy: 8
; WaveLimiterHint : 0
; COMPUTE_PGM_RSRC2:SCRATCH_EN: 0
; COMPUTE_PGM_RSRC2:USER_SGPR: 2
; COMPUTE_PGM_RSRC2:TRAP_HANDLER: 0
; COMPUTE_PGM_RSRC2:TGID_X_EN: 1
; COMPUTE_PGM_RSRC2:TGID_Y_EN: 0
; COMPUTE_PGM_RSRC2:TGID_Z_EN: 0
; COMPUTE_PGM_RSRC2:TIDIG_COMP_CNT: 0
; COMPUTE_PGM_RSRC3_GFX90A:ACCUM_OFFSET: 0
; COMPUTE_PGM_RSRC3_GFX90A:TG_SPLIT: 0
	.section	.text._ZN7rocprim17ROCPRIM_400000_NS6detail17trampoline_kernelINS0_14default_configENS1_20scan_config_selectorIN3c104HalfEEEZZNS1_9scan_implILNS1_25lookback_scan_determinismE0ELb0ELb0ES3_PKS6_PS6_S6_ZZZN2at6native31launch_logcumsumexp_cuda_kernelERKNSD_10TensorBaseESH_lENKUlvE_clEvENKUlvE3_clEvEUlS6_S6_E_S6_EEDaPvRmT3_T4_T5_mT6_P12ihipStream_tbENKUlT_T0_E_clISt17integral_constantIbLb0EESX_IbLb1EEEEDaST_SU_EUlST_E_NS1_11comp_targetILNS1_3genE3ELNS1_11target_archE908ELNS1_3gpuE7ELNS1_3repE0EEENS1_30default_config_static_selectorELNS0_4arch9wavefront6targetE1EEEvT1_,"axG",@progbits,_ZN7rocprim17ROCPRIM_400000_NS6detail17trampoline_kernelINS0_14default_configENS1_20scan_config_selectorIN3c104HalfEEEZZNS1_9scan_implILNS1_25lookback_scan_determinismE0ELb0ELb0ES3_PKS6_PS6_S6_ZZZN2at6native31launch_logcumsumexp_cuda_kernelERKNSD_10TensorBaseESH_lENKUlvE_clEvENKUlvE3_clEvEUlS6_S6_E_S6_EEDaPvRmT3_T4_T5_mT6_P12ihipStream_tbENKUlT_T0_E_clISt17integral_constantIbLb0EESX_IbLb1EEEEDaST_SU_EUlST_E_NS1_11comp_targetILNS1_3genE3ELNS1_11target_archE908ELNS1_3gpuE7ELNS1_3repE0EEENS1_30default_config_static_selectorELNS0_4arch9wavefront6targetE1EEEvT1_,comdat
	.globl	_ZN7rocprim17ROCPRIM_400000_NS6detail17trampoline_kernelINS0_14default_configENS1_20scan_config_selectorIN3c104HalfEEEZZNS1_9scan_implILNS1_25lookback_scan_determinismE0ELb0ELb0ES3_PKS6_PS6_S6_ZZZN2at6native31launch_logcumsumexp_cuda_kernelERKNSD_10TensorBaseESH_lENKUlvE_clEvENKUlvE3_clEvEUlS6_S6_E_S6_EEDaPvRmT3_T4_T5_mT6_P12ihipStream_tbENKUlT_T0_E_clISt17integral_constantIbLb0EESX_IbLb1EEEEDaST_SU_EUlST_E_NS1_11comp_targetILNS1_3genE3ELNS1_11target_archE908ELNS1_3gpuE7ELNS1_3repE0EEENS1_30default_config_static_selectorELNS0_4arch9wavefront6targetE1EEEvT1_ ; -- Begin function _ZN7rocprim17ROCPRIM_400000_NS6detail17trampoline_kernelINS0_14default_configENS1_20scan_config_selectorIN3c104HalfEEEZZNS1_9scan_implILNS1_25lookback_scan_determinismE0ELb0ELb0ES3_PKS6_PS6_S6_ZZZN2at6native31launch_logcumsumexp_cuda_kernelERKNSD_10TensorBaseESH_lENKUlvE_clEvENKUlvE3_clEvEUlS6_S6_E_S6_EEDaPvRmT3_T4_T5_mT6_P12ihipStream_tbENKUlT_T0_E_clISt17integral_constantIbLb0EESX_IbLb1EEEEDaST_SU_EUlST_E_NS1_11comp_targetILNS1_3genE3ELNS1_11target_archE908ELNS1_3gpuE7ELNS1_3repE0EEENS1_30default_config_static_selectorELNS0_4arch9wavefront6targetE1EEEvT1_
	.p2align	8
	.type	_ZN7rocprim17ROCPRIM_400000_NS6detail17trampoline_kernelINS0_14default_configENS1_20scan_config_selectorIN3c104HalfEEEZZNS1_9scan_implILNS1_25lookback_scan_determinismE0ELb0ELb0ES3_PKS6_PS6_S6_ZZZN2at6native31launch_logcumsumexp_cuda_kernelERKNSD_10TensorBaseESH_lENKUlvE_clEvENKUlvE3_clEvEUlS6_S6_E_S6_EEDaPvRmT3_T4_T5_mT6_P12ihipStream_tbENKUlT_T0_E_clISt17integral_constantIbLb0EESX_IbLb1EEEEDaST_SU_EUlST_E_NS1_11comp_targetILNS1_3genE3ELNS1_11target_archE908ELNS1_3gpuE7ELNS1_3repE0EEENS1_30default_config_static_selectorELNS0_4arch9wavefront6targetE1EEEvT1_,@function
_ZN7rocprim17ROCPRIM_400000_NS6detail17trampoline_kernelINS0_14default_configENS1_20scan_config_selectorIN3c104HalfEEEZZNS1_9scan_implILNS1_25lookback_scan_determinismE0ELb0ELb0ES3_PKS6_PS6_S6_ZZZN2at6native31launch_logcumsumexp_cuda_kernelERKNSD_10TensorBaseESH_lENKUlvE_clEvENKUlvE3_clEvEUlS6_S6_E_S6_EEDaPvRmT3_T4_T5_mT6_P12ihipStream_tbENKUlT_T0_E_clISt17integral_constantIbLb0EESX_IbLb1EEEEDaST_SU_EUlST_E_NS1_11comp_targetILNS1_3genE3ELNS1_11target_archE908ELNS1_3gpuE7ELNS1_3repE0EEENS1_30default_config_static_selectorELNS0_4arch9wavefront6targetE1EEEvT1_: ; @_ZN7rocprim17ROCPRIM_400000_NS6detail17trampoline_kernelINS0_14default_configENS1_20scan_config_selectorIN3c104HalfEEEZZNS1_9scan_implILNS1_25lookback_scan_determinismE0ELb0ELb0ES3_PKS6_PS6_S6_ZZZN2at6native31launch_logcumsumexp_cuda_kernelERKNSD_10TensorBaseESH_lENKUlvE_clEvENKUlvE3_clEvEUlS6_S6_E_S6_EEDaPvRmT3_T4_T5_mT6_P12ihipStream_tbENKUlT_T0_E_clISt17integral_constantIbLb0EESX_IbLb1EEEEDaST_SU_EUlST_E_NS1_11comp_targetILNS1_3genE3ELNS1_11target_archE908ELNS1_3gpuE7ELNS1_3repE0EEENS1_30default_config_static_selectorELNS0_4arch9wavefront6targetE1EEEvT1_
; %bb.0:
	.section	.rodata,"a",@progbits
	.p2align	6, 0x0
	.amdhsa_kernel _ZN7rocprim17ROCPRIM_400000_NS6detail17trampoline_kernelINS0_14default_configENS1_20scan_config_selectorIN3c104HalfEEEZZNS1_9scan_implILNS1_25lookback_scan_determinismE0ELb0ELb0ES3_PKS6_PS6_S6_ZZZN2at6native31launch_logcumsumexp_cuda_kernelERKNSD_10TensorBaseESH_lENKUlvE_clEvENKUlvE3_clEvEUlS6_S6_E_S6_EEDaPvRmT3_T4_T5_mT6_P12ihipStream_tbENKUlT_T0_E_clISt17integral_constantIbLb0EESX_IbLb1EEEEDaST_SU_EUlST_E_NS1_11comp_targetILNS1_3genE3ELNS1_11target_archE908ELNS1_3gpuE7ELNS1_3repE0EEENS1_30default_config_static_selectorELNS0_4arch9wavefront6targetE1EEEvT1_
		.amdhsa_group_segment_fixed_size 0
		.amdhsa_private_segment_fixed_size 0
		.amdhsa_kernarg_size 96
		.amdhsa_user_sgpr_count 2
		.amdhsa_user_sgpr_dispatch_ptr 0
		.amdhsa_user_sgpr_queue_ptr 0
		.amdhsa_user_sgpr_kernarg_segment_ptr 1
		.amdhsa_user_sgpr_dispatch_id 0
		.amdhsa_user_sgpr_kernarg_preload_length 0
		.amdhsa_user_sgpr_kernarg_preload_offset 0
		.amdhsa_user_sgpr_private_segment_size 0
		.amdhsa_uses_dynamic_stack 0
		.amdhsa_enable_private_segment 0
		.amdhsa_system_sgpr_workgroup_id_x 1
		.amdhsa_system_sgpr_workgroup_id_y 0
		.amdhsa_system_sgpr_workgroup_id_z 0
		.amdhsa_system_sgpr_workgroup_info 0
		.amdhsa_system_vgpr_workitem_id 0
		.amdhsa_next_free_vgpr 1
		.amdhsa_next_free_sgpr 0
		.amdhsa_accum_offset 4
		.amdhsa_reserve_vcc 0
		.amdhsa_float_round_mode_32 0
		.amdhsa_float_round_mode_16_64 0
		.amdhsa_float_denorm_mode_32 3
		.amdhsa_float_denorm_mode_16_64 3
		.amdhsa_dx10_clamp 1
		.amdhsa_ieee_mode 1
		.amdhsa_fp16_overflow 0
		.amdhsa_tg_split 0
		.amdhsa_exception_fp_ieee_invalid_op 0
		.amdhsa_exception_fp_denorm_src 0
		.amdhsa_exception_fp_ieee_div_zero 0
		.amdhsa_exception_fp_ieee_overflow 0
		.amdhsa_exception_fp_ieee_underflow 0
		.amdhsa_exception_fp_ieee_inexact 0
		.amdhsa_exception_int_div_zero 0
	.end_amdhsa_kernel
	.section	.text._ZN7rocprim17ROCPRIM_400000_NS6detail17trampoline_kernelINS0_14default_configENS1_20scan_config_selectorIN3c104HalfEEEZZNS1_9scan_implILNS1_25lookback_scan_determinismE0ELb0ELb0ES3_PKS6_PS6_S6_ZZZN2at6native31launch_logcumsumexp_cuda_kernelERKNSD_10TensorBaseESH_lENKUlvE_clEvENKUlvE3_clEvEUlS6_S6_E_S6_EEDaPvRmT3_T4_T5_mT6_P12ihipStream_tbENKUlT_T0_E_clISt17integral_constantIbLb0EESX_IbLb1EEEEDaST_SU_EUlST_E_NS1_11comp_targetILNS1_3genE3ELNS1_11target_archE908ELNS1_3gpuE7ELNS1_3repE0EEENS1_30default_config_static_selectorELNS0_4arch9wavefront6targetE1EEEvT1_,"axG",@progbits,_ZN7rocprim17ROCPRIM_400000_NS6detail17trampoline_kernelINS0_14default_configENS1_20scan_config_selectorIN3c104HalfEEEZZNS1_9scan_implILNS1_25lookback_scan_determinismE0ELb0ELb0ES3_PKS6_PS6_S6_ZZZN2at6native31launch_logcumsumexp_cuda_kernelERKNSD_10TensorBaseESH_lENKUlvE_clEvENKUlvE3_clEvEUlS6_S6_E_S6_EEDaPvRmT3_T4_T5_mT6_P12ihipStream_tbENKUlT_T0_E_clISt17integral_constantIbLb0EESX_IbLb1EEEEDaST_SU_EUlST_E_NS1_11comp_targetILNS1_3genE3ELNS1_11target_archE908ELNS1_3gpuE7ELNS1_3repE0EEENS1_30default_config_static_selectorELNS0_4arch9wavefront6targetE1EEEvT1_,comdat
.Lfunc_end419:
	.size	_ZN7rocprim17ROCPRIM_400000_NS6detail17trampoline_kernelINS0_14default_configENS1_20scan_config_selectorIN3c104HalfEEEZZNS1_9scan_implILNS1_25lookback_scan_determinismE0ELb0ELb0ES3_PKS6_PS6_S6_ZZZN2at6native31launch_logcumsumexp_cuda_kernelERKNSD_10TensorBaseESH_lENKUlvE_clEvENKUlvE3_clEvEUlS6_S6_E_S6_EEDaPvRmT3_T4_T5_mT6_P12ihipStream_tbENKUlT_T0_E_clISt17integral_constantIbLb0EESX_IbLb1EEEEDaST_SU_EUlST_E_NS1_11comp_targetILNS1_3genE3ELNS1_11target_archE908ELNS1_3gpuE7ELNS1_3repE0EEENS1_30default_config_static_selectorELNS0_4arch9wavefront6targetE1EEEvT1_, .Lfunc_end419-_ZN7rocprim17ROCPRIM_400000_NS6detail17trampoline_kernelINS0_14default_configENS1_20scan_config_selectorIN3c104HalfEEEZZNS1_9scan_implILNS1_25lookback_scan_determinismE0ELb0ELb0ES3_PKS6_PS6_S6_ZZZN2at6native31launch_logcumsumexp_cuda_kernelERKNSD_10TensorBaseESH_lENKUlvE_clEvENKUlvE3_clEvEUlS6_S6_E_S6_EEDaPvRmT3_T4_T5_mT6_P12ihipStream_tbENKUlT_T0_E_clISt17integral_constantIbLb0EESX_IbLb1EEEEDaST_SU_EUlST_E_NS1_11comp_targetILNS1_3genE3ELNS1_11target_archE908ELNS1_3gpuE7ELNS1_3repE0EEENS1_30default_config_static_selectorELNS0_4arch9wavefront6targetE1EEEvT1_
                                        ; -- End function
	.set _ZN7rocprim17ROCPRIM_400000_NS6detail17trampoline_kernelINS0_14default_configENS1_20scan_config_selectorIN3c104HalfEEEZZNS1_9scan_implILNS1_25lookback_scan_determinismE0ELb0ELb0ES3_PKS6_PS6_S6_ZZZN2at6native31launch_logcumsumexp_cuda_kernelERKNSD_10TensorBaseESH_lENKUlvE_clEvENKUlvE3_clEvEUlS6_S6_E_S6_EEDaPvRmT3_T4_T5_mT6_P12ihipStream_tbENKUlT_T0_E_clISt17integral_constantIbLb0EESX_IbLb1EEEEDaST_SU_EUlST_E_NS1_11comp_targetILNS1_3genE3ELNS1_11target_archE908ELNS1_3gpuE7ELNS1_3repE0EEENS1_30default_config_static_selectorELNS0_4arch9wavefront6targetE1EEEvT1_.num_vgpr, 0
	.set _ZN7rocprim17ROCPRIM_400000_NS6detail17trampoline_kernelINS0_14default_configENS1_20scan_config_selectorIN3c104HalfEEEZZNS1_9scan_implILNS1_25lookback_scan_determinismE0ELb0ELb0ES3_PKS6_PS6_S6_ZZZN2at6native31launch_logcumsumexp_cuda_kernelERKNSD_10TensorBaseESH_lENKUlvE_clEvENKUlvE3_clEvEUlS6_S6_E_S6_EEDaPvRmT3_T4_T5_mT6_P12ihipStream_tbENKUlT_T0_E_clISt17integral_constantIbLb0EESX_IbLb1EEEEDaST_SU_EUlST_E_NS1_11comp_targetILNS1_3genE3ELNS1_11target_archE908ELNS1_3gpuE7ELNS1_3repE0EEENS1_30default_config_static_selectorELNS0_4arch9wavefront6targetE1EEEvT1_.num_agpr, 0
	.set _ZN7rocprim17ROCPRIM_400000_NS6detail17trampoline_kernelINS0_14default_configENS1_20scan_config_selectorIN3c104HalfEEEZZNS1_9scan_implILNS1_25lookback_scan_determinismE0ELb0ELb0ES3_PKS6_PS6_S6_ZZZN2at6native31launch_logcumsumexp_cuda_kernelERKNSD_10TensorBaseESH_lENKUlvE_clEvENKUlvE3_clEvEUlS6_S6_E_S6_EEDaPvRmT3_T4_T5_mT6_P12ihipStream_tbENKUlT_T0_E_clISt17integral_constantIbLb0EESX_IbLb1EEEEDaST_SU_EUlST_E_NS1_11comp_targetILNS1_3genE3ELNS1_11target_archE908ELNS1_3gpuE7ELNS1_3repE0EEENS1_30default_config_static_selectorELNS0_4arch9wavefront6targetE1EEEvT1_.numbered_sgpr, 0
	.set _ZN7rocprim17ROCPRIM_400000_NS6detail17trampoline_kernelINS0_14default_configENS1_20scan_config_selectorIN3c104HalfEEEZZNS1_9scan_implILNS1_25lookback_scan_determinismE0ELb0ELb0ES3_PKS6_PS6_S6_ZZZN2at6native31launch_logcumsumexp_cuda_kernelERKNSD_10TensorBaseESH_lENKUlvE_clEvENKUlvE3_clEvEUlS6_S6_E_S6_EEDaPvRmT3_T4_T5_mT6_P12ihipStream_tbENKUlT_T0_E_clISt17integral_constantIbLb0EESX_IbLb1EEEEDaST_SU_EUlST_E_NS1_11comp_targetILNS1_3genE3ELNS1_11target_archE908ELNS1_3gpuE7ELNS1_3repE0EEENS1_30default_config_static_selectorELNS0_4arch9wavefront6targetE1EEEvT1_.num_named_barrier, 0
	.set _ZN7rocprim17ROCPRIM_400000_NS6detail17trampoline_kernelINS0_14default_configENS1_20scan_config_selectorIN3c104HalfEEEZZNS1_9scan_implILNS1_25lookback_scan_determinismE0ELb0ELb0ES3_PKS6_PS6_S6_ZZZN2at6native31launch_logcumsumexp_cuda_kernelERKNSD_10TensorBaseESH_lENKUlvE_clEvENKUlvE3_clEvEUlS6_S6_E_S6_EEDaPvRmT3_T4_T5_mT6_P12ihipStream_tbENKUlT_T0_E_clISt17integral_constantIbLb0EESX_IbLb1EEEEDaST_SU_EUlST_E_NS1_11comp_targetILNS1_3genE3ELNS1_11target_archE908ELNS1_3gpuE7ELNS1_3repE0EEENS1_30default_config_static_selectorELNS0_4arch9wavefront6targetE1EEEvT1_.private_seg_size, 0
	.set _ZN7rocprim17ROCPRIM_400000_NS6detail17trampoline_kernelINS0_14default_configENS1_20scan_config_selectorIN3c104HalfEEEZZNS1_9scan_implILNS1_25lookback_scan_determinismE0ELb0ELb0ES3_PKS6_PS6_S6_ZZZN2at6native31launch_logcumsumexp_cuda_kernelERKNSD_10TensorBaseESH_lENKUlvE_clEvENKUlvE3_clEvEUlS6_S6_E_S6_EEDaPvRmT3_T4_T5_mT6_P12ihipStream_tbENKUlT_T0_E_clISt17integral_constantIbLb0EESX_IbLb1EEEEDaST_SU_EUlST_E_NS1_11comp_targetILNS1_3genE3ELNS1_11target_archE908ELNS1_3gpuE7ELNS1_3repE0EEENS1_30default_config_static_selectorELNS0_4arch9wavefront6targetE1EEEvT1_.uses_vcc, 0
	.set _ZN7rocprim17ROCPRIM_400000_NS6detail17trampoline_kernelINS0_14default_configENS1_20scan_config_selectorIN3c104HalfEEEZZNS1_9scan_implILNS1_25lookback_scan_determinismE0ELb0ELb0ES3_PKS6_PS6_S6_ZZZN2at6native31launch_logcumsumexp_cuda_kernelERKNSD_10TensorBaseESH_lENKUlvE_clEvENKUlvE3_clEvEUlS6_S6_E_S6_EEDaPvRmT3_T4_T5_mT6_P12ihipStream_tbENKUlT_T0_E_clISt17integral_constantIbLb0EESX_IbLb1EEEEDaST_SU_EUlST_E_NS1_11comp_targetILNS1_3genE3ELNS1_11target_archE908ELNS1_3gpuE7ELNS1_3repE0EEENS1_30default_config_static_selectorELNS0_4arch9wavefront6targetE1EEEvT1_.uses_flat_scratch, 0
	.set _ZN7rocprim17ROCPRIM_400000_NS6detail17trampoline_kernelINS0_14default_configENS1_20scan_config_selectorIN3c104HalfEEEZZNS1_9scan_implILNS1_25lookback_scan_determinismE0ELb0ELb0ES3_PKS6_PS6_S6_ZZZN2at6native31launch_logcumsumexp_cuda_kernelERKNSD_10TensorBaseESH_lENKUlvE_clEvENKUlvE3_clEvEUlS6_S6_E_S6_EEDaPvRmT3_T4_T5_mT6_P12ihipStream_tbENKUlT_T0_E_clISt17integral_constantIbLb0EESX_IbLb1EEEEDaST_SU_EUlST_E_NS1_11comp_targetILNS1_3genE3ELNS1_11target_archE908ELNS1_3gpuE7ELNS1_3repE0EEENS1_30default_config_static_selectorELNS0_4arch9wavefront6targetE1EEEvT1_.has_dyn_sized_stack, 0
	.set _ZN7rocprim17ROCPRIM_400000_NS6detail17trampoline_kernelINS0_14default_configENS1_20scan_config_selectorIN3c104HalfEEEZZNS1_9scan_implILNS1_25lookback_scan_determinismE0ELb0ELb0ES3_PKS6_PS6_S6_ZZZN2at6native31launch_logcumsumexp_cuda_kernelERKNSD_10TensorBaseESH_lENKUlvE_clEvENKUlvE3_clEvEUlS6_S6_E_S6_EEDaPvRmT3_T4_T5_mT6_P12ihipStream_tbENKUlT_T0_E_clISt17integral_constantIbLb0EESX_IbLb1EEEEDaST_SU_EUlST_E_NS1_11comp_targetILNS1_3genE3ELNS1_11target_archE908ELNS1_3gpuE7ELNS1_3repE0EEENS1_30default_config_static_selectorELNS0_4arch9wavefront6targetE1EEEvT1_.has_recursion, 0
	.set _ZN7rocprim17ROCPRIM_400000_NS6detail17trampoline_kernelINS0_14default_configENS1_20scan_config_selectorIN3c104HalfEEEZZNS1_9scan_implILNS1_25lookback_scan_determinismE0ELb0ELb0ES3_PKS6_PS6_S6_ZZZN2at6native31launch_logcumsumexp_cuda_kernelERKNSD_10TensorBaseESH_lENKUlvE_clEvENKUlvE3_clEvEUlS6_S6_E_S6_EEDaPvRmT3_T4_T5_mT6_P12ihipStream_tbENKUlT_T0_E_clISt17integral_constantIbLb0EESX_IbLb1EEEEDaST_SU_EUlST_E_NS1_11comp_targetILNS1_3genE3ELNS1_11target_archE908ELNS1_3gpuE7ELNS1_3repE0EEENS1_30default_config_static_selectorELNS0_4arch9wavefront6targetE1EEEvT1_.has_indirect_call, 0
	.section	.AMDGPU.csdata,"",@progbits
; Kernel info:
; codeLenInByte = 0
; TotalNumSgprs: 6
; NumVgprs: 0
; NumAgprs: 0
; TotalNumVgprs: 0
; ScratchSize: 0
; MemoryBound: 0
; FloatMode: 240
; IeeeMode: 1
; LDSByteSize: 0 bytes/workgroup (compile time only)
; SGPRBlocks: 0
; VGPRBlocks: 0
; NumSGPRsForWavesPerEU: 6
; NumVGPRsForWavesPerEU: 1
; AccumOffset: 4
; Occupancy: 8
; WaveLimiterHint : 0
; COMPUTE_PGM_RSRC2:SCRATCH_EN: 0
; COMPUTE_PGM_RSRC2:USER_SGPR: 2
; COMPUTE_PGM_RSRC2:TRAP_HANDLER: 0
; COMPUTE_PGM_RSRC2:TGID_X_EN: 1
; COMPUTE_PGM_RSRC2:TGID_Y_EN: 0
; COMPUTE_PGM_RSRC2:TGID_Z_EN: 0
; COMPUTE_PGM_RSRC2:TIDIG_COMP_CNT: 0
; COMPUTE_PGM_RSRC3_GFX90A:ACCUM_OFFSET: 0
; COMPUTE_PGM_RSRC3_GFX90A:TG_SPLIT: 0
	.section	.text._ZN7rocprim17ROCPRIM_400000_NS6detail17trampoline_kernelINS0_14default_configENS1_20scan_config_selectorIN3c104HalfEEEZZNS1_9scan_implILNS1_25lookback_scan_determinismE0ELb0ELb0ES3_PKS6_PS6_S6_ZZZN2at6native31launch_logcumsumexp_cuda_kernelERKNSD_10TensorBaseESH_lENKUlvE_clEvENKUlvE3_clEvEUlS6_S6_E_S6_EEDaPvRmT3_T4_T5_mT6_P12ihipStream_tbENKUlT_T0_E_clISt17integral_constantIbLb0EESX_IbLb1EEEEDaST_SU_EUlST_E_NS1_11comp_targetILNS1_3genE2ELNS1_11target_archE906ELNS1_3gpuE6ELNS1_3repE0EEENS1_30default_config_static_selectorELNS0_4arch9wavefront6targetE1EEEvT1_,"axG",@progbits,_ZN7rocprim17ROCPRIM_400000_NS6detail17trampoline_kernelINS0_14default_configENS1_20scan_config_selectorIN3c104HalfEEEZZNS1_9scan_implILNS1_25lookback_scan_determinismE0ELb0ELb0ES3_PKS6_PS6_S6_ZZZN2at6native31launch_logcumsumexp_cuda_kernelERKNSD_10TensorBaseESH_lENKUlvE_clEvENKUlvE3_clEvEUlS6_S6_E_S6_EEDaPvRmT3_T4_T5_mT6_P12ihipStream_tbENKUlT_T0_E_clISt17integral_constantIbLb0EESX_IbLb1EEEEDaST_SU_EUlST_E_NS1_11comp_targetILNS1_3genE2ELNS1_11target_archE906ELNS1_3gpuE6ELNS1_3repE0EEENS1_30default_config_static_selectorELNS0_4arch9wavefront6targetE1EEEvT1_,comdat
	.globl	_ZN7rocprim17ROCPRIM_400000_NS6detail17trampoline_kernelINS0_14default_configENS1_20scan_config_selectorIN3c104HalfEEEZZNS1_9scan_implILNS1_25lookback_scan_determinismE0ELb0ELb0ES3_PKS6_PS6_S6_ZZZN2at6native31launch_logcumsumexp_cuda_kernelERKNSD_10TensorBaseESH_lENKUlvE_clEvENKUlvE3_clEvEUlS6_S6_E_S6_EEDaPvRmT3_T4_T5_mT6_P12ihipStream_tbENKUlT_T0_E_clISt17integral_constantIbLb0EESX_IbLb1EEEEDaST_SU_EUlST_E_NS1_11comp_targetILNS1_3genE2ELNS1_11target_archE906ELNS1_3gpuE6ELNS1_3repE0EEENS1_30default_config_static_selectorELNS0_4arch9wavefront6targetE1EEEvT1_ ; -- Begin function _ZN7rocprim17ROCPRIM_400000_NS6detail17trampoline_kernelINS0_14default_configENS1_20scan_config_selectorIN3c104HalfEEEZZNS1_9scan_implILNS1_25lookback_scan_determinismE0ELb0ELb0ES3_PKS6_PS6_S6_ZZZN2at6native31launch_logcumsumexp_cuda_kernelERKNSD_10TensorBaseESH_lENKUlvE_clEvENKUlvE3_clEvEUlS6_S6_E_S6_EEDaPvRmT3_T4_T5_mT6_P12ihipStream_tbENKUlT_T0_E_clISt17integral_constantIbLb0EESX_IbLb1EEEEDaST_SU_EUlST_E_NS1_11comp_targetILNS1_3genE2ELNS1_11target_archE906ELNS1_3gpuE6ELNS1_3repE0EEENS1_30default_config_static_selectorELNS0_4arch9wavefront6targetE1EEEvT1_
	.p2align	8
	.type	_ZN7rocprim17ROCPRIM_400000_NS6detail17trampoline_kernelINS0_14default_configENS1_20scan_config_selectorIN3c104HalfEEEZZNS1_9scan_implILNS1_25lookback_scan_determinismE0ELb0ELb0ES3_PKS6_PS6_S6_ZZZN2at6native31launch_logcumsumexp_cuda_kernelERKNSD_10TensorBaseESH_lENKUlvE_clEvENKUlvE3_clEvEUlS6_S6_E_S6_EEDaPvRmT3_T4_T5_mT6_P12ihipStream_tbENKUlT_T0_E_clISt17integral_constantIbLb0EESX_IbLb1EEEEDaST_SU_EUlST_E_NS1_11comp_targetILNS1_3genE2ELNS1_11target_archE906ELNS1_3gpuE6ELNS1_3repE0EEENS1_30default_config_static_selectorELNS0_4arch9wavefront6targetE1EEEvT1_,@function
_ZN7rocprim17ROCPRIM_400000_NS6detail17trampoline_kernelINS0_14default_configENS1_20scan_config_selectorIN3c104HalfEEEZZNS1_9scan_implILNS1_25lookback_scan_determinismE0ELb0ELb0ES3_PKS6_PS6_S6_ZZZN2at6native31launch_logcumsumexp_cuda_kernelERKNSD_10TensorBaseESH_lENKUlvE_clEvENKUlvE3_clEvEUlS6_S6_E_S6_EEDaPvRmT3_T4_T5_mT6_P12ihipStream_tbENKUlT_T0_E_clISt17integral_constantIbLb0EESX_IbLb1EEEEDaST_SU_EUlST_E_NS1_11comp_targetILNS1_3genE2ELNS1_11target_archE906ELNS1_3gpuE6ELNS1_3repE0EEENS1_30default_config_static_selectorELNS0_4arch9wavefront6targetE1EEEvT1_: ; @_ZN7rocprim17ROCPRIM_400000_NS6detail17trampoline_kernelINS0_14default_configENS1_20scan_config_selectorIN3c104HalfEEEZZNS1_9scan_implILNS1_25lookback_scan_determinismE0ELb0ELb0ES3_PKS6_PS6_S6_ZZZN2at6native31launch_logcumsumexp_cuda_kernelERKNSD_10TensorBaseESH_lENKUlvE_clEvENKUlvE3_clEvEUlS6_S6_E_S6_EEDaPvRmT3_T4_T5_mT6_P12ihipStream_tbENKUlT_T0_E_clISt17integral_constantIbLb0EESX_IbLb1EEEEDaST_SU_EUlST_E_NS1_11comp_targetILNS1_3genE2ELNS1_11target_archE906ELNS1_3gpuE6ELNS1_3repE0EEENS1_30default_config_static_selectorELNS0_4arch9wavefront6targetE1EEEvT1_
; %bb.0:
	.section	.rodata,"a",@progbits
	.p2align	6, 0x0
	.amdhsa_kernel _ZN7rocprim17ROCPRIM_400000_NS6detail17trampoline_kernelINS0_14default_configENS1_20scan_config_selectorIN3c104HalfEEEZZNS1_9scan_implILNS1_25lookback_scan_determinismE0ELb0ELb0ES3_PKS6_PS6_S6_ZZZN2at6native31launch_logcumsumexp_cuda_kernelERKNSD_10TensorBaseESH_lENKUlvE_clEvENKUlvE3_clEvEUlS6_S6_E_S6_EEDaPvRmT3_T4_T5_mT6_P12ihipStream_tbENKUlT_T0_E_clISt17integral_constantIbLb0EESX_IbLb1EEEEDaST_SU_EUlST_E_NS1_11comp_targetILNS1_3genE2ELNS1_11target_archE906ELNS1_3gpuE6ELNS1_3repE0EEENS1_30default_config_static_selectorELNS0_4arch9wavefront6targetE1EEEvT1_
		.amdhsa_group_segment_fixed_size 0
		.amdhsa_private_segment_fixed_size 0
		.amdhsa_kernarg_size 96
		.amdhsa_user_sgpr_count 2
		.amdhsa_user_sgpr_dispatch_ptr 0
		.amdhsa_user_sgpr_queue_ptr 0
		.amdhsa_user_sgpr_kernarg_segment_ptr 1
		.amdhsa_user_sgpr_dispatch_id 0
		.amdhsa_user_sgpr_kernarg_preload_length 0
		.amdhsa_user_sgpr_kernarg_preload_offset 0
		.amdhsa_user_sgpr_private_segment_size 0
		.amdhsa_uses_dynamic_stack 0
		.amdhsa_enable_private_segment 0
		.amdhsa_system_sgpr_workgroup_id_x 1
		.amdhsa_system_sgpr_workgroup_id_y 0
		.amdhsa_system_sgpr_workgroup_id_z 0
		.amdhsa_system_sgpr_workgroup_info 0
		.amdhsa_system_vgpr_workitem_id 0
		.amdhsa_next_free_vgpr 1
		.amdhsa_next_free_sgpr 0
		.amdhsa_accum_offset 4
		.amdhsa_reserve_vcc 0
		.amdhsa_float_round_mode_32 0
		.amdhsa_float_round_mode_16_64 0
		.amdhsa_float_denorm_mode_32 3
		.amdhsa_float_denorm_mode_16_64 3
		.amdhsa_dx10_clamp 1
		.amdhsa_ieee_mode 1
		.amdhsa_fp16_overflow 0
		.amdhsa_tg_split 0
		.amdhsa_exception_fp_ieee_invalid_op 0
		.amdhsa_exception_fp_denorm_src 0
		.amdhsa_exception_fp_ieee_div_zero 0
		.amdhsa_exception_fp_ieee_overflow 0
		.amdhsa_exception_fp_ieee_underflow 0
		.amdhsa_exception_fp_ieee_inexact 0
		.amdhsa_exception_int_div_zero 0
	.end_amdhsa_kernel
	.section	.text._ZN7rocprim17ROCPRIM_400000_NS6detail17trampoline_kernelINS0_14default_configENS1_20scan_config_selectorIN3c104HalfEEEZZNS1_9scan_implILNS1_25lookback_scan_determinismE0ELb0ELb0ES3_PKS6_PS6_S6_ZZZN2at6native31launch_logcumsumexp_cuda_kernelERKNSD_10TensorBaseESH_lENKUlvE_clEvENKUlvE3_clEvEUlS6_S6_E_S6_EEDaPvRmT3_T4_T5_mT6_P12ihipStream_tbENKUlT_T0_E_clISt17integral_constantIbLb0EESX_IbLb1EEEEDaST_SU_EUlST_E_NS1_11comp_targetILNS1_3genE2ELNS1_11target_archE906ELNS1_3gpuE6ELNS1_3repE0EEENS1_30default_config_static_selectorELNS0_4arch9wavefront6targetE1EEEvT1_,"axG",@progbits,_ZN7rocprim17ROCPRIM_400000_NS6detail17trampoline_kernelINS0_14default_configENS1_20scan_config_selectorIN3c104HalfEEEZZNS1_9scan_implILNS1_25lookback_scan_determinismE0ELb0ELb0ES3_PKS6_PS6_S6_ZZZN2at6native31launch_logcumsumexp_cuda_kernelERKNSD_10TensorBaseESH_lENKUlvE_clEvENKUlvE3_clEvEUlS6_S6_E_S6_EEDaPvRmT3_T4_T5_mT6_P12ihipStream_tbENKUlT_T0_E_clISt17integral_constantIbLb0EESX_IbLb1EEEEDaST_SU_EUlST_E_NS1_11comp_targetILNS1_3genE2ELNS1_11target_archE906ELNS1_3gpuE6ELNS1_3repE0EEENS1_30default_config_static_selectorELNS0_4arch9wavefront6targetE1EEEvT1_,comdat
.Lfunc_end420:
	.size	_ZN7rocprim17ROCPRIM_400000_NS6detail17trampoline_kernelINS0_14default_configENS1_20scan_config_selectorIN3c104HalfEEEZZNS1_9scan_implILNS1_25lookback_scan_determinismE0ELb0ELb0ES3_PKS6_PS6_S6_ZZZN2at6native31launch_logcumsumexp_cuda_kernelERKNSD_10TensorBaseESH_lENKUlvE_clEvENKUlvE3_clEvEUlS6_S6_E_S6_EEDaPvRmT3_T4_T5_mT6_P12ihipStream_tbENKUlT_T0_E_clISt17integral_constantIbLb0EESX_IbLb1EEEEDaST_SU_EUlST_E_NS1_11comp_targetILNS1_3genE2ELNS1_11target_archE906ELNS1_3gpuE6ELNS1_3repE0EEENS1_30default_config_static_selectorELNS0_4arch9wavefront6targetE1EEEvT1_, .Lfunc_end420-_ZN7rocprim17ROCPRIM_400000_NS6detail17trampoline_kernelINS0_14default_configENS1_20scan_config_selectorIN3c104HalfEEEZZNS1_9scan_implILNS1_25lookback_scan_determinismE0ELb0ELb0ES3_PKS6_PS6_S6_ZZZN2at6native31launch_logcumsumexp_cuda_kernelERKNSD_10TensorBaseESH_lENKUlvE_clEvENKUlvE3_clEvEUlS6_S6_E_S6_EEDaPvRmT3_T4_T5_mT6_P12ihipStream_tbENKUlT_T0_E_clISt17integral_constantIbLb0EESX_IbLb1EEEEDaST_SU_EUlST_E_NS1_11comp_targetILNS1_3genE2ELNS1_11target_archE906ELNS1_3gpuE6ELNS1_3repE0EEENS1_30default_config_static_selectorELNS0_4arch9wavefront6targetE1EEEvT1_
                                        ; -- End function
	.set _ZN7rocprim17ROCPRIM_400000_NS6detail17trampoline_kernelINS0_14default_configENS1_20scan_config_selectorIN3c104HalfEEEZZNS1_9scan_implILNS1_25lookback_scan_determinismE0ELb0ELb0ES3_PKS6_PS6_S6_ZZZN2at6native31launch_logcumsumexp_cuda_kernelERKNSD_10TensorBaseESH_lENKUlvE_clEvENKUlvE3_clEvEUlS6_S6_E_S6_EEDaPvRmT3_T4_T5_mT6_P12ihipStream_tbENKUlT_T0_E_clISt17integral_constantIbLb0EESX_IbLb1EEEEDaST_SU_EUlST_E_NS1_11comp_targetILNS1_3genE2ELNS1_11target_archE906ELNS1_3gpuE6ELNS1_3repE0EEENS1_30default_config_static_selectorELNS0_4arch9wavefront6targetE1EEEvT1_.num_vgpr, 0
	.set _ZN7rocprim17ROCPRIM_400000_NS6detail17trampoline_kernelINS0_14default_configENS1_20scan_config_selectorIN3c104HalfEEEZZNS1_9scan_implILNS1_25lookback_scan_determinismE0ELb0ELb0ES3_PKS6_PS6_S6_ZZZN2at6native31launch_logcumsumexp_cuda_kernelERKNSD_10TensorBaseESH_lENKUlvE_clEvENKUlvE3_clEvEUlS6_S6_E_S6_EEDaPvRmT3_T4_T5_mT6_P12ihipStream_tbENKUlT_T0_E_clISt17integral_constantIbLb0EESX_IbLb1EEEEDaST_SU_EUlST_E_NS1_11comp_targetILNS1_3genE2ELNS1_11target_archE906ELNS1_3gpuE6ELNS1_3repE0EEENS1_30default_config_static_selectorELNS0_4arch9wavefront6targetE1EEEvT1_.num_agpr, 0
	.set _ZN7rocprim17ROCPRIM_400000_NS6detail17trampoline_kernelINS0_14default_configENS1_20scan_config_selectorIN3c104HalfEEEZZNS1_9scan_implILNS1_25lookback_scan_determinismE0ELb0ELb0ES3_PKS6_PS6_S6_ZZZN2at6native31launch_logcumsumexp_cuda_kernelERKNSD_10TensorBaseESH_lENKUlvE_clEvENKUlvE3_clEvEUlS6_S6_E_S6_EEDaPvRmT3_T4_T5_mT6_P12ihipStream_tbENKUlT_T0_E_clISt17integral_constantIbLb0EESX_IbLb1EEEEDaST_SU_EUlST_E_NS1_11comp_targetILNS1_3genE2ELNS1_11target_archE906ELNS1_3gpuE6ELNS1_3repE0EEENS1_30default_config_static_selectorELNS0_4arch9wavefront6targetE1EEEvT1_.numbered_sgpr, 0
	.set _ZN7rocprim17ROCPRIM_400000_NS6detail17trampoline_kernelINS0_14default_configENS1_20scan_config_selectorIN3c104HalfEEEZZNS1_9scan_implILNS1_25lookback_scan_determinismE0ELb0ELb0ES3_PKS6_PS6_S6_ZZZN2at6native31launch_logcumsumexp_cuda_kernelERKNSD_10TensorBaseESH_lENKUlvE_clEvENKUlvE3_clEvEUlS6_S6_E_S6_EEDaPvRmT3_T4_T5_mT6_P12ihipStream_tbENKUlT_T0_E_clISt17integral_constantIbLb0EESX_IbLb1EEEEDaST_SU_EUlST_E_NS1_11comp_targetILNS1_3genE2ELNS1_11target_archE906ELNS1_3gpuE6ELNS1_3repE0EEENS1_30default_config_static_selectorELNS0_4arch9wavefront6targetE1EEEvT1_.num_named_barrier, 0
	.set _ZN7rocprim17ROCPRIM_400000_NS6detail17trampoline_kernelINS0_14default_configENS1_20scan_config_selectorIN3c104HalfEEEZZNS1_9scan_implILNS1_25lookback_scan_determinismE0ELb0ELb0ES3_PKS6_PS6_S6_ZZZN2at6native31launch_logcumsumexp_cuda_kernelERKNSD_10TensorBaseESH_lENKUlvE_clEvENKUlvE3_clEvEUlS6_S6_E_S6_EEDaPvRmT3_T4_T5_mT6_P12ihipStream_tbENKUlT_T0_E_clISt17integral_constantIbLb0EESX_IbLb1EEEEDaST_SU_EUlST_E_NS1_11comp_targetILNS1_3genE2ELNS1_11target_archE906ELNS1_3gpuE6ELNS1_3repE0EEENS1_30default_config_static_selectorELNS0_4arch9wavefront6targetE1EEEvT1_.private_seg_size, 0
	.set _ZN7rocprim17ROCPRIM_400000_NS6detail17trampoline_kernelINS0_14default_configENS1_20scan_config_selectorIN3c104HalfEEEZZNS1_9scan_implILNS1_25lookback_scan_determinismE0ELb0ELb0ES3_PKS6_PS6_S6_ZZZN2at6native31launch_logcumsumexp_cuda_kernelERKNSD_10TensorBaseESH_lENKUlvE_clEvENKUlvE3_clEvEUlS6_S6_E_S6_EEDaPvRmT3_T4_T5_mT6_P12ihipStream_tbENKUlT_T0_E_clISt17integral_constantIbLb0EESX_IbLb1EEEEDaST_SU_EUlST_E_NS1_11comp_targetILNS1_3genE2ELNS1_11target_archE906ELNS1_3gpuE6ELNS1_3repE0EEENS1_30default_config_static_selectorELNS0_4arch9wavefront6targetE1EEEvT1_.uses_vcc, 0
	.set _ZN7rocprim17ROCPRIM_400000_NS6detail17trampoline_kernelINS0_14default_configENS1_20scan_config_selectorIN3c104HalfEEEZZNS1_9scan_implILNS1_25lookback_scan_determinismE0ELb0ELb0ES3_PKS6_PS6_S6_ZZZN2at6native31launch_logcumsumexp_cuda_kernelERKNSD_10TensorBaseESH_lENKUlvE_clEvENKUlvE3_clEvEUlS6_S6_E_S6_EEDaPvRmT3_T4_T5_mT6_P12ihipStream_tbENKUlT_T0_E_clISt17integral_constantIbLb0EESX_IbLb1EEEEDaST_SU_EUlST_E_NS1_11comp_targetILNS1_3genE2ELNS1_11target_archE906ELNS1_3gpuE6ELNS1_3repE0EEENS1_30default_config_static_selectorELNS0_4arch9wavefront6targetE1EEEvT1_.uses_flat_scratch, 0
	.set _ZN7rocprim17ROCPRIM_400000_NS6detail17trampoline_kernelINS0_14default_configENS1_20scan_config_selectorIN3c104HalfEEEZZNS1_9scan_implILNS1_25lookback_scan_determinismE0ELb0ELb0ES3_PKS6_PS6_S6_ZZZN2at6native31launch_logcumsumexp_cuda_kernelERKNSD_10TensorBaseESH_lENKUlvE_clEvENKUlvE3_clEvEUlS6_S6_E_S6_EEDaPvRmT3_T4_T5_mT6_P12ihipStream_tbENKUlT_T0_E_clISt17integral_constantIbLb0EESX_IbLb1EEEEDaST_SU_EUlST_E_NS1_11comp_targetILNS1_3genE2ELNS1_11target_archE906ELNS1_3gpuE6ELNS1_3repE0EEENS1_30default_config_static_selectorELNS0_4arch9wavefront6targetE1EEEvT1_.has_dyn_sized_stack, 0
	.set _ZN7rocprim17ROCPRIM_400000_NS6detail17trampoline_kernelINS0_14default_configENS1_20scan_config_selectorIN3c104HalfEEEZZNS1_9scan_implILNS1_25lookback_scan_determinismE0ELb0ELb0ES3_PKS6_PS6_S6_ZZZN2at6native31launch_logcumsumexp_cuda_kernelERKNSD_10TensorBaseESH_lENKUlvE_clEvENKUlvE3_clEvEUlS6_S6_E_S6_EEDaPvRmT3_T4_T5_mT6_P12ihipStream_tbENKUlT_T0_E_clISt17integral_constantIbLb0EESX_IbLb1EEEEDaST_SU_EUlST_E_NS1_11comp_targetILNS1_3genE2ELNS1_11target_archE906ELNS1_3gpuE6ELNS1_3repE0EEENS1_30default_config_static_selectorELNS0_4arch9wavefront6targetE1EEEvT1_.has_recursion, 0
	.set _ZN7rocprim17ROCPRIM_400000_NS6detail17trampoline_kernelINS0_14default_configENS1_20scan_config_selectorIN3c104HalfEEEZZNS1_9scan_implILNS1_25lookback_scan_determinismE0ELb0ELb0ES3_PKS6_PS6_S6_ZZZN2at6native31launch_logcumsumexp_cuda_kernelERKNSD_10TensorBaseESH_lENKUlvE_clEvENKUlvE3_clEvEUlS6_S6_E_S6_EEDaPvRmT3_T4_T5_mT6_P12ihipStream_tbENKUlT_T0_E_clISt17integral_constantIbLb0EESX_IbLb1EEEEDaST_SU_EUlST_E_NS1_11comp_targetILNS1_3genE2ELNS1_11target_archE906ELNS1_3gpuE6ELNS1_3repE0EEENS1_30default_config_static_selectorELNS0_4arch9wavefront6targetE1EEEvT1_.has_indirect_call, 0
	.section	.AMDGPU.csdata,"",@progbits
; Kernel info:
; codeLenInByte = 0
; TotalNumSgprs: 6
; NumVgprs: 0
; NumAgprs: 0
; TotalNumVgprs: 0
; ScratchSize: 0
; MemoryBound: 0
; FloatMode: 240
; IeeeMode: 1
; LDSByteSize: 0 bytes/workgroup (compile time only)
; SGPRBlocks: 0
; VGPRBlocks: 0
; NumSGPRsForWavesPerEU: 6
; NumVGPRsForWavesPerEU: 1
; AccumOffset: 4
; Occupancy: 8
; WaveLimiterHint : 0
; COMPUTE_PGM_RSRC2:SCRATCH_EN: 0
; COMPUTE_PGM_RSRC2:USER_SGPR: 2
; COMPUTE_PGM_RSRC2:TRAP_HANDLER: 0
; COMPUTE_PGM_RSRC2:TGID_X_EN: 1
; COMPUTE_PGM_RSRC2:TGID_Y_EN: 0
; COMPUTE_PGM_RSRC2:TGID_Z_EN: 0
; COMPUTE_PGM_RSRC2:TIDIG_COMP_CNT: 0
; COMPUTE_PGM_RSRC3_GFX90A:ACCUM_OFFSET: 0
; COMPUTE_PGM_RSRC3_GFX90A:TG_SPLIT: 0
	.section	.text._ZN7rocprim17ROCPRIM_400000_NS6detail17trampoline_kernelINS0_14default_configENS1_20scan_config_selectorIN3c104HalfEEEZZNS1_9scan_implILNS1_25lookback_scan_determinismE0ELb0ELb0ES3_PKS6_PS6_S6_ZZZN2at6native31launch_logcumsumexp_cuda_kernelERKNSD_10TensorBaseESH_lENKUlvE_clEvENKUlvE3_clEvEUlS6_S6_E_S6_EEDaPvRmT3_T4_T5_mT6_P12ihipStream_tbENKUlT_T0_E_clISt17integral_constantIbLb0EESX_IbLb1EEEEDaST_SU_EUlST_E_NS1_11comp_targetILNS1_3genE10ELNS1_11target_archE1201ELNS1_3gpuE5ELNS1_3repE0EEENS1_30default_config_static_selectorELNS0_4arch9wavefront6targetE1EEEvT1_,"axG",@progbits,_ZN7rocprim17ROCPRIM_400000_NS6detail17trampoline_kernelINS0_14default_configENS1_20scan_config_selectorIN3c104HalfEEEZZNS1_9scan_implILNS1_25lookback_scan_determinismE0ELb0ELb0ES3_PKS6_PS6_S6_ZZZN2at6native31launch_logcumsumexp_cuda_kernelERKNSD_10TensorBaseESH_lENKUlvE_clEvENKUlvE3_clEvEUlS6_S6_E_S6_EEDaPvRmT3_T4_T5_mT6_P12ihipStream_tbENKUlT_T0_E_clISt17integral_constantIbLb0EESX_IbLb1EEEEDaST_SU_EUlST_E_NS1_11comp_targetILNS1_3genE10ELNS1_11target_archE1201ELNS1_3gpuE5ELNS1_3repE0EEENS1_30default_config_static_selectorELNS0_4arch9wavefront6targetE1EEEvT1_,comdat
	.globl	_ZN7rocprim17ROCPRIM_400000_NS6detail17trampoline_kernelINS0_14default_configENS1_20scan_config_selectorIN3c104HalfEEEZZNS1_9scan_implILNS1_25lookback_scan_determinismE0ELb0ELb0ES3_PKS6_PS6_S6_ZZZN2at6native31launch_logcumsumexp_cuda_kernelERKNSD_10TensorBaseESH_lENKUlvE_clEvENKUlvE3_clEvEUlS6_S6_E_S6_EEDaPvRmT3_T4_T5_mT6_P12ihipStream_tbENKUlT_T0_E_clISt17integral_constantIbLb0EESX_IbLb1EEEEDaST_SU_EUlST_E_NS1_11comp_targetILNS1_3genE10ELNS1_11target_archE1201ELNS1_3gpuE5ELNS1_3repE0EEENS1_30default_config_static_selectorELNS0_4arch9wavefront6targetE1EEEvT1_ ; -- Begin function _ZN7rocprim17ROCPRIM_400000_NS6detail17trampoline_kernelINS0_14default_configENS1_20scan_config_selectorIN3c104HalfEEEZZNS1_9scan_implILNS1_25lookback_scan_determinismE0ELb0ELb0ES3_PKS6_PS6_S6_ZZZN2at6native31launch_logcumsumexp_cuda_kernelERKNSD_10TensorBaseESH_lENKUlvE_clEvENKUlvE3_clEvEUlS6_S6_E_S6_EEDaPvRmT3_T4_T5_mT6_P12ihipStream_tbENKUlT_T0_E_clISt17integral_constantIbLb0EESX_IbLb1EEEEDaST_SU_EUlST_E_NS1_11comp_targetILNS1_3genE10ELNS1_11target_archE1201ELNS1_3gpuE5ELNS1_3repE0EEENS1_30default_config_static_selectorELNS0_4arch9wavefront6targetE1EEEvT1_
	.p2align	8
	.type	_ZN7rocprim17ROCPRIM_400000_NS6detail17trampoline_kernelINS0_14default_configENS1_20scan_config_selectorIN3c104HalfEEEZZNS1_9scan_implILNS1_25lookback_scan_determinismE0ELb0ELb0ES3_PKS6_PS6_S6_ZZZN2at6native31launch_logcumsumexp_cuda_kernelERKNSD_10TensorBaseESH_lENKUlvE_clEvENKUlvE3_clEvEUlS6_S6_E_S6_EEDaPvRmT3_T4_T5_mT6_P12ihipStream_tbENKUlT_T0_E_clISt17integral_constantIbLb0EESX_IbLb1EEEEDaST_SU_EUlST_E_NS1_11comp_targetILNS1_3genE10ELNS1_11target_archE1201ELNS1_3gpuE5ELNS1_3repE0EEENS1_30default_config_static_selectorELNS0_4arch9wavefront6targetE1EEEvT1_,@function
_ZN7rocprim17ROCPRIM_400000_NS6detail17trampoline_kernelINS0_14default_configENS1_20scan_config_selectorIN3c104HalfEEEZZNS1_9scan_implILNS1_25lookback_scan_determinismE0ELb0ELb0ES3_PKS6_PS6_S6_ZZZN2at6native31launch_logcumsumexp_cuda_kernelERKNSD_10TensorBaseESH_lENKUlvE_clEvENKUlvE3_clEvEUlS6_S6_E_S6_EEDaPvRmT3_T4_T5_mT6_P12ihipStream_tbENKUlT_T0_E_clISt17integral_constantIbLb0EESX_IbLb1EEEEDaST_SU_EUlST_E_NS1_11comp_targetILNS1_3genE10ELNS1_11target_archE1201ELNS1_3gpuE5ELNS1_3repE0EEENS1_30default_config_static_selectorELNS0_4arch9wavefront6targetE1EEEvT1_: ; @_ZN7rocprim17ROCPRIM_400000_NS6detail17trampoline_kernelINS0_14default_configENS1_20scan_config_selectorIN3c104HalfEEEZZNS1_9scan_implILNS1_25lookback_scan_determinismE0ELb0ELb0ES3_PKS6_PS6_S6_ZZZN2at6native31launch_logcumsumexp_cuda_kernelERKNSD_10TensorBaseESH_lENKUlvE_clEvENKUlvE3_clEvEUlS6_S6_E_S6_EEDaPvRmT3_T4_T5_mT6_P12ihipStream_tbENKUlT_T0_E_clISt17integral_constantIbLb0EESX_IbLb1EEEEDaST_SU_EUlST_E_NS1_11comp_targetILNS1_3genE10ELNS1_11target_archE1201ELNS1_3gpuE5ELNS1_3repE0EEENS1_30default_config_static_selectorELNS0_4arch9wavefront6targetE1EEEvT1_
; %bb.0:
	.section	.rodata,"a",@progbits
	.p2align	6, 0x0
	.amdhsa_kernel _ZN7rocprim17ROCPRIM_400000_NS6detail17trampoline_kernelINS0_14default_configENS1_20scan_config_selectorIN3c104HalfEEEZZNS1_9scan_implILNS1_25lookback_scan_determinismE0ELb0ELb0ES3_PKS6_PS6_S6_ZZZN2at6native31launch_logcumsumexp_cuda_kernelERKNSD_10TensorBaseESH_lENKUlvE_clEvENKUlvE3_clEvEUlS6_S6_E_S6_EEDaPvRmT3_T4_T5_mT6_P12ihipStream_tbENKUlT_T0_E_clISt17integral_constantIbLb0EESX_IbLb1EEEEDaST_SU_EUlST_E_NS1_11comp_targetILNS1_3genE10ELNS1_11target_archE1201ELNS1_3gpuE5ELNS1_3repE0EEENS1_30default_config_static_selectorELNS0_4arch9wavefront6targetE1EEEvT1_
		.amdhsa_group_segment_fixed_size 0
		.amdhsa_private_segment_fixed_size 0
		.amdhsa_kernarg_size 96
		.amdhsa_user_sgpr_count 2
		.amdhsa_user_sgpr_dispatch_ptr 0
		.amdhsa_user_sgpr_queue_ptr 0
		.amdhsa_user_sgpr_kernarg_segment_ptr 1
		.amdhsa_user_sgpr_dispatch_id 0
		.amdhsa_user_sgpr_kernarg_preload_length 0
		.amdhsa_user_sgpr_kernarg_preload_offset 0
		.amdhsa_user_sgpr_private_segment_size 0
		.amdhsa_uses_dynamic_stack 0
		.amdhsa_enable_private_segment 0
		.amdhsa_system_sgpr_workgroup_id_x 1
		.amdhsa_system_sgpr_workgroup_id_y 0
		.amdhsa_system_sgpr_workgroup_id_z 0
		.amdhsa_system_sgpr_workgroup_info 0
		.amdhsa_system_vgpr_workitem_id 0
		.amdhsa_next_free_vgpr 1
		.amdhsa_next_free_sgpr 0
		.amdhsa_accum_offset 4
		.amdhsa_reserve_vcc 0
		.amdhsa_float_round_mode_32 0
		.amdhsa_float_round_mode_16_64 0
		.amdhsa_float_denorm_mode_32 3
		.amdhsa_float_denorm_mode_16_64 3
		.amdhsa_dx10_clamp 1
		.amdhsa_ieee_mode 1
		.amdhsa_fp16_overflow 0
		.amdhsa_tg_split 0
		.amdhsa_exception_fp_ieee_invalid_op 0
		.amdhsa_exception_fp_denorm_src 0
		.amdhsa_exception_fp_ieee_div_zero 0
		.amdhsa_exception_fp_ieee_overflow 0
		.amdhsa_exception_fp_ieee_underflow 0
		.amdhsa_exception_fp_ieee_inexact 0
		.amdhsa_exception_int_div_zero 0
	.end_amdhsa_kernel
	.section	.text._ZN7rocprim17ROCPRIM_400000_NS6detail17trampoline_kernelINS0_14default_configENS1_20scan_config_selectorIN3c104HalfEEEZZNS1_9scan_implILNS1_25lookback_scan_determinismE0ELb0ELb0ES3_PKS6_PS6_S6_ZZZN2at6native31launch_logcumsumexp_cuda_kernelERKNSD_10TensorBaseESH_lENKUlvE_clEvENKUlvE3_clEvEUlS6_S6_E_S6_EEDaPvRmT3_T4_T5_mT6_P12ihipStream_tbENKUlT_T0_E_clISt17integral_constantIbLb0EESX_IbLb1EEEEDaST_SU_EUlST_E_NS1_11comp_targetILNS1_3genE10ELNS1_11target_archE1201ELNS1_3gpuE5ELNS1_3repE0EEENS1_30default_config_static_selectorELNS0_4arch9wavefront6targetE1EEEvT1_,"axG",@progbits,_ZN7rocprim17ROCPRIM_400000_NS6detail17trampoline_kernelINS0_14default_configENS1_20scan_config_selectorIN3c104HalfEEEZZNS1_9scan_implILNS1_25lookback_scan_determinismE0ELb0ELb0ES3_PKS6_PS6_S6_ZZZN2at6native31launch_logcumsumexp_cuda_kernelERKNSD_10TensorBaseESH_lENKUlvE_clEvENKUlvE3_clEvEUlS6_S6_E_S6_EEDaPvRmT3_T4_T5_mT6_P12ihipStream_tbENKUlT_T0_E_clISt17integral_constantIbLb0EESX_IbLb1EEEEDaST_SU_EUlST_E_NS1_11comp_targetILNS1_3genE10ELNS1_11target_archE1201ELNS1_3gpuE5ELNS1_3repE0EEENS1_30default_config_static_selectorELNS0_4arch9wavefront6targetE1EEEvT1_,comdat
.Lfunc_end421:
	.size	_ZN7rocprim17ROCPRIM_400000_NS6detail17trampoline_kernelINS0_14default_configENS1_20scan_config_selectorIN3c104HalfEEEZZNS1_9scan_implILNS1_25lookback_scan_determinismE0ELb0ELb0ES3_PKS6_PS6_S6_ZZZN2at6native31launch_logcumsumexp_cuda_kernelERKNSD_10TensorBaseESH_lENKUlvE_clEvENKUlvE3_clEvEUlS6_S6_E_S6_EEDaPvRmT3_T4_T5_mT6_P12ihipStream_tbENKUlT_T0_E_clISt17integral_constantIbLb0EESX_IbLb1EEEEDaST_SU_EUlST_E_NS1_11comp_targetILNS1_3genE10ELNS1_11target_archE1201ELNS1_3gpuE5ELNS1_3repE0EEENS1_30default_config_static_selectorELNS0_4arch9wavefront6targetE1EEEvT1_, .Lfunc_end421-_ZN7rocprim17ROCPRIM_400000_NS6detail17trampoline_kernelINS0_14default_configENS1_20scan_config_selectorIN3c104HalfEEEZZNS1_9scan_implILNS1_25lookback_scan_determinismE0ELb0ELb0ES3_PKS6_PS6_S6_ZZZN2at6native31launch_logcumsumexp_cuda_kernelERKNSD_10TensorBaseESH_lENKUlvE_clEvENKUlvE3_clEvEUlS6_S6_E_S6_EEDaPvRmT3_T4_T5_mT6_P12ihipStream_tbENKUlT_T0_E_clISt17integral_constantIbLb0EESX_IbLb1EEEEDaST_SU_EUlST_E_NS1_11comp_targetILNS1_3genE10ELNS1_11target_archE1201ELNS1_3gpuE5ELNS1_3repE0EEENS1_30default_config_static_selectorELNS0_4arch9wavefront6targetE1EEEvT1_
                                        ; -- End function
	.set _ZN7rocprim17ROCPRIM_400000_NS6detail17trampoline_kernelINS0_14default_configENS1_20scan_config_selectorIN3c104HalfEEEZZNS1_9scan_implILNS1_25lookback_scan_determinismE0ELb0ELb0ES3_PKS6_PS6_S6_ZZZN2at6native31launch_logcumsumexp_cuda_kernelERKNSD_10TensorBaseESH_lENKUlvE_clEvENKUlvE3_clEvEUlS6_S6_E_S6_EEDaPvRmT3_T4_T5_mT6_P12ihipStream_tbENKUlT_T0_E_clISt17integral_constantIbLb0EESX_IbLb1EEEEDaST_SU_EUlST_E_NS1_11comp_targetILNS1_3genE10ELNS1_11target_archE1201ELNS1_3gpuE5ELNS1_3repE0EEENS1_30default_config_static_selectorELNS0_4arch9wavefront6targetE1EEEvT1_.num_vgpr, 0
	.set _ZN7rocprim17ROCPRIM_400000_NS6detail17trampoline_kernelINS0_14default_configENS1_20scan_config_selectorIN3c104HalfEEEZZNS1_9scan_implILNS1_25lookback_scan_determinismE0ELb0ELb0ES3_PKS6_PS6_S6_ZZZN2at6native31launch_logcumsumexp_cuda_kernelERKNSD_10TensorBaseESH_lENKUlvE_clEvENKUlvE3_clEvEUlS6_S6_E_S6_EEDaPvRmT3_T4_T5_mT6_P12ihipStream_tbENKUlT_T0_E_clISt17integral_constantIbLb0EESX_IbLb1EEEEDaST_SU_EUlST_E_NS1_11comp_targetILNS1_3genE10ELNS1_11target_archE1201ELNS1_3gpuE5ELNS1_3repE0EEENS1_30default_config_static_selectorELNS0_4arch9wavefront6targetE1EEEvT1_.num_agpr, 0
	.set _ZN7rocprim17ROCPRIM_400000_NS6detail17trampoline_kernelINS0_14default_configENS1_20scan_config_selectorIN3c104HalfEEEZZNS1_9scan_implILNS1_25lookback_scan_determinismE0ELb0ELb0ES3_PKS6_PS6_S6_ZZZN2at6native31launch_logcumsumexp_cuda_kernelERKNSD_10TensorBaseESH_lENKUlvE_clEvENKUlvE3_clEvEUlS6_S6_E_S6_EEDaPvRmT3_T4_T5_mT6_P12ihipStream_tbENKUlT_T0_E_clISt17integral_constantIbLb0EESX_IbLb1EEEEDaST_SU_EUlST_E_NS1_11comp_targetILNS1_3genE10ELNS1_11target_archE1201ELNS1_3gpuE5ELNS1_3repE0EEENS1_30default_config_static_selectorELNS0_4arch9wavefront6targetE1EEEvT1_.numbered_sgpr, 0
	.set _ZN7rocprim17ROCPRIM_400000_NS6detail17trampoline_kernelINS0_14default_configENS1_20scan_config_selectorIN3c104HalfEEEZZNS1_9scan_implILNS1_25lookback_scan_determinismE0ELb0ELb0ES3_PKS6_PS6_S6_ZZZN2at6native31launch_logcumsumexp_cuda_kernelERKNSD_10TensorBaseESH_lENKUlvE_clEvENKUlvE3_clEvEUlS6_S6_E_S6_EEDaPvRmT3_T4_T5_mT6_P12ihipStream_tbENKUlT_T0_E_clISt17integral_constantIbLb0EESX_IbLb1EEEEDaST_SU_EUlST_E_NS1_11comp_targetILNS1_3genE10ELNS1_11target_archE1201ELNS1_3gpuE5ELNS1_3repE0EEENS1_30default_config_static_selectorELNS0_4arch9wavefront6targetE1EEEvT1_.num_named_barrier, 0
	.set _ZN7rocprim17ROCPRIM_400000_NS6detail17trampoline_kernelINS0_14default_configENS1_20scan_config_selectorIN3c104HalfEEEZZNS1_9scan_implILNS1_25lookback_scan_determinismE0ELb0ELb0ES3_PKS6_PS6_S6_ZZZN2at6native31launch_logcumsumexp_cuda_kernelERKNSD_10TensorBaseESH_lENKUlvE_clEvENKUlvE3_clEvEUlS6_S6_E_S6_EEDaPvRmT3_T4_T5_mT6_P12ihipStream_tbENKUlT_T0_E_clISt17integral_constantIbLb0EESX_IbLb1EEEEDaST_SU_EUlST_E_NS1_11comp_targetILNS1_3genE10ELNS1_11target_archE1201ELNS1_3gpuE5ELNS1_3repE0EEENS1_30default_config_static_selectorELNS0_4arch9wavefront6targetE1EEEvT1_.private_seg_size, 0
	.set _ZN7rocprim17ROCPRIM_400000_NS6detail17trampoline_kernelINS0_14default_configENS1_20scan_config_selectorIN3c104HalfEEEZZNS1_9scan_implILNS1_25lookback_scan_determinismE0ELb0ELb0ES3_PKS6_PS6_S6_ZZZN2at6native31launch_logcumsumexp_cuda_kernelERKNSD_10TensorBaseESH_lENKUlvE_clEvENKUlvE3_clEvEUlS6_S6_E_S6_EEDaPvRmT3_T4_T5_mT6_P12ihipStream_tbENKUlT_T0_E_clISt17integral_constantIbLb0EESX_IbLb1EEEEDaST_SU_EUlST_E_NS1_11comp_targetILNS1_3genE10ELNS1_11target_archE1201ELNS1_3gpuE5ELNS1_3repE0EEENS1_30default_config_static_selectorELNS0_4arch9wavefront6targetE1EEEvT1_.uses_vcc, 0
	.set _ZN7rocprim17ROCPRIM_400000_NS6detail17trampoline_kernelINS0_14default_configENS1_20scan_config_selectorIN3c104HalfEEEZZNS1_9scan_implILNS1_25lookback_scan_determinismE0ELb0ELb0ES3_PKS6_PS6_S6_ZZZN2at6native31launch_logcumsumexp_cuda_kernelERKNSD_10TensorBaseESH_lENKUlvE_clEvENKUlvE3_clEvEUlS6_S6_E_S6_EEDaPvRmT3_T4_T5_mT6_P12ihipStream_tbENKUlT_T0_E_clISt17integral_constantIbLb0EESX_IbLb1EEEEDaST_SU_EUlST_E_NS1_11comp_targetILNS1_3genE10ELNS1_11target_archE1201ELNS1_3gpuE5ELNS1_3repE0EEENS1_30default_config_static_selectorELNS0_4arch9wavefront6targetE1EEEvT1_.uses_flat_scratch, 0
	.set _ZN7rocprim17ROCPRIM_400000_NS6detail17trampoline_kernelINS0_14default_configENS1_20scan_config_selectorIN3c104HalfEEEZZNS1_9scan_implILNS1_25lookback_scan_determinismE0ELb0ELb0ES3_PKS6_PS6_S6_ZZZN2at6native31launch_logcumsumexp_cuda_kernelERKNSD_10TensorBaseESH_lENKUlvE_clEvENKUlvE3_clEvEUlS6_S6_E_S6_EEDaPvRmT3_T4_T5_mT6_P12ihipStream_tbENKUlT_T0_E_clISt17integral_constantIbLb0EESX_IbLb1EEEEDaST_SU_EUlST_E_NS1_11comp_targetILNS1_3genE10ELNS1_11target_archE1201ELNS1_3gpuE5ELNS1_3repE0EEENS1_30default_config_static_selectorELNS0_4arch9wavefront6targetE1EEEvT1_.has_dyn_sized_stack, 0
	.set _ZN7rocprim17ROCPRIM_400000_NS6detail17trampoline_kernelINS0_14default_configENS1_20scan_config_selectorIN3c104HalfEEEZZNS1_9scan_implILNS1_25lookback_scan_determinismE0ELb0ELb0ES3_PKS6_PS6_S6_ZZZN2at6native31launch_logcumsumexp_cuda_kernelERKNSD_10TensorBaseESH_lENKUlvE_clEvENKUlvE3_clEvEUlS6_S6_E_S6_EEDaPvRmT3_T4_T5_mT6_P12ihipStream_tbENKUlT_T0_E_clISt17integral_constantIbLb0EESX_IbLb1EEEEDaST_SU_EUlST_E_NS1_11comp_targetILNS1_3genE10ELNS1_11target_archE1201ELNS1_3gpuE5ELNS1_3repE0EEENS1_30default_config_static_selectorELNS0_4arch9wavefront6targetE1EEEvT1_.has_recursion, 0
	.set _ZN7rocprim17ROCPRIM_400000_NS6detail17trampoline_kernelINS0_14default_configENS1_20scan_config_selectorIN3c104HalfEEEZZNS1_9scan_implILNS1_25lookback_scan_determinismE0ELb0ELb0ES3_PKS6_PS6_S6_ZZZN2at6native31launch_logcumsumexp_cuda_kernelERKNSD_10TensorBaseESH_lENKUlvE_clEvENKUlvE3_clEvEUlS6_S6_E_S6_EEDaPvRmT3_T4_T5_mT6_P12ihipStream_tbENKUlT_T0_E_clISt17integral_constantIbLb0EESX_IbLb1EEEEDaST_SU_EUlST_E_NS1_11comp_targetILNS1_3genE10ELNS1_11target_archE1201ELNS1_3gpuE5ELNS1_3repE0EEENS1_30default_config_static_selectorELNS0_4arch9wavefront6targetE1EEEvT1_.has_indirect_call, 0
	.section	.AMDGPU.csdata,"",@progbits
; Kernel info:
; codeLenInByte = 0
; TotalNumSgprs: 6
; NumVgprs: 0
; NumAgprs: 0
; TotalNumVgprs: 0
; ScratchSize: 0
; MemoryBound: 0
; FloatMode: 240
; IeeeMode: 1
; LDSByteSize: 0 bytes/workgroup (compile time only)
; SGPRBlocks: 0
; VGPRBlocks: 0
; NumSGPRsForWavesPerEU: 6
; NumVGPRsForWavesPerEU: 1
; AccumOffset: 4
; Occupancy: 8
; WaveLimiterHint : 0
; COMPUTE_PGM_RSRC2:SCRATCH_EN: 0
; COMPUTE_PGM_RSRC2:USER_SGPR: 2
; COMPUTE_PGM_RSRC2:TRAP_HANDLER: 0
; COMPUTE_PGM_RSRC2:TGID_X_EN: 1
; COMPUTE_PGM_RSRC2:TGID_Y_EN: 0
; COMPUTE_PGM_RSRC2:TGID_Z_EN: 0
; COMPUTE_PGM_RSRC2:TIDIG_COMP_CNT: 0
; COMPUTE_PGM_RSRC3_GFX90A:ACCUM_OFFSET: 0
; COMPUTE_PGM_RSRC3_GFX90A:TG_SPLIT: 0
	.section	.text._ZN7rocprim17ROCPRIM_400000_NS6detail17trampoline_kernelINS0_14default_configENS1_20scan_config_selectorIN3c104HalfEEEZZNS1_9scan_implILNS1_25lookback_scan_determinismE0ELb0ELb0ES3_PKS6_PS6_S6_ZZZN2at6native31launch_logcumsumexp_cuda_kernelERKNSD_10TensorBaseESH_lENKUlvE_clEvENKUlvE3_clEvEUlS6_S6_E_S6_EEDaPvRmT3_T4_T5_mT6_P12ihipStream_tbENKUlT_T0_E_clISt17integral_constantIbLb0EESX_IbLb1EEEEDaST_SU_EUlST_E_NS1_11comp_targetILNS1_3genE10ELNS1_11target_archE1200ELNS1_3gpuE4ELNS1_3repE0EEENS1_30default_config_static_selectorELNS0_4arch9wavefront6targetE1EEEvT1_,"axG",@progbits,_ZN7rocprim17ROCPRIM_400000_NS6detail17trampoline_kernelINS0_14default_configENS1_20scan_config_selectorIN3c104HalfEEEZZNS1_9scan_implILNS1_25lookback_scan_determinismE0ELb0ELb0ES3_PKS6_PS6_S6_ZZZN2at6native31launch_logcumsumexp_cuda_kernelERKNSD_10TensorBaseESH_lENKUlvE_clEvENKUlvE3_clEvEUlS6_S6_E_S6_EEDaPvRmT3_T4_T5_mT6_P12ihipStream_tbENKUlT_T0_E_clISt17integral_constantIbLb0EESX_IbLb1EEEEDaST_SU_EUlST_E_NS1_11comp_targetILNS1_3genE10ELNS1_11target_archE1200ELNS1_3gpuE4ELNS1_3repE0EEENS1_30default_config_static_selectorELNS0_4arch9wavefront6targetE1EEEvT1_,comdat
	.globl	_ZN7rocprim17ROCPRIM_400000_NS6detail17trampoline_kernelINS0_14default_configENS1_20scan_config_selectorIN3c104HalfEEEZZNS1_9scan_implILNS1_25lookback_scan_determinismE0ELb0ELb0ES3_PKS6_PS6_S6_ZZZN2at6native31launch_logcumsumexp_cuda_kernelERKNSD_10TensorBaseESH_lENKUlvE_clEvENKUlvE3_clEvEUlS6_S6_E_S6_EEDaPvRmT3_T4_T5_mT6_P12ihipStream_tbENKUlT_T0_E_clISt17integral_constantIbLb0EESX_IbLb1EEEEDaST_SU_EUlST_E_NS1_11comp_targetILNS1_3genE10ELNS1_11target_archE1200ELNS1_3gpuE4ELNS1_3repE0EEENS1_30default_config_static_selectorELNS0_4arch9wavefront6targetE1EEEvT1_ ; -- Begin function _ZN7rocprim17ROCPRIM_400000_NS6detail17trampoline_kernelINS0_14default_configENS1_20scan_config_selectorIN3c104HalfEEEZZNS1_9scan_implILNS1_25lookback_scan_determinismE0ELb0ELb0ES3_PKS6_PS6_S6_ZZZN2at6native31launch_logcumsumexp_cuda_kernelERKNSD_10TensorBaseESH_lENKUlvE_clEvENKUlvE3_clEvEUlS6_S6_E_S6_EEDaPvRmT3_T4_T5_mT6_P12ihipStream_tbENKUlT_T0_E_clISt17integral_constantIbLb0EESX_IbLb1EEEEDaST_SU_EUlST_E_NS1_11comp_targetILNS1_3genE10ELNS1_11target_archE1200ELNS1_3gpuE4ELNS1_3repE0EEENS1_30default_config_static_selectorELNS0_4arch9wavefront6targetE1EEEvT1_
	.p2align	8
	.type	_ZN7rocprim17ROCPRIM_400000_NS6detail17trampoline_kernelINS0_14default_configENS1_20scan_config_selectorIN3c104HalfEEEZZNS1_9scan_implILNS1_25lookback_scan_determinismE0ELb0ELb0ES3_PKS6_PS6_S6_ZZZN2at6native31launch_logcumsumexp_cuda_kernelERKNSD_10TensorBaseESH_lENKUlvE_clEvENKUlvE3_clEvEUlS6_S6_E_S6_EEDaPvRmT3_T4_T5_mT6_P12ihipStream_tbENKUlT_T0_E_clISt17integral_constantIbLb0EESX_IbLb1EEEEDaST_SU_EUlST_E_NS1_11comp_targetILNS1_3genE10ELNS1_11target_archE1200ELNS1_3gpuE4ELNS1_3repE0EEENS1_30default_config_static_selectorELNS0_4arch9wavefront6targetE1EEEvT1_,@function
_ZN7rocprim17ROCPRIM_400000_NS6detail17trampoline_kernelINS0_14default_configENS1_20scan_config_selectorIN3c104HalfEEEZZNS1_9scan_implILNS1_25lookback_scan_determinismE0ELb0ELb0ES3_PKS6_PS6_S6_ZZZN2at6native31launch_logcumsumexp_cuda_kernelERKNSD_10TensorBaseESH_lENKUlvE_clEvENKUlvE3_clEvEUlS6_S6_E_S6_EEDaPvRmT3_T4_T5_mT6_P12ihipStream_tbENKUlT_T0_E_clISt17integral_constantIbLb0EESX_IbLb1EEEEDaST_SU_EUlST_E_NS1_11comp_targetILNS1_3genE10ELNS1_11target_archE1200ELNS1_3gpuE4ELNS1_3repE0EEENS1_30default_config_static_selectorELNS0_4arch9wavefront6targetE1EEEvT1_: ; @_ZN7rocprim17ROCPRIM_400000_NS6detail17trampoline_kernelINS0_14default_configENS1_20scan_config_selectorIN3c104HalfEEEZZNS1_9scan_implILNS1_25lookback_scan_determinismE0ELb0ELb0ES3_PKS6_PS6_S6_ZZZN2at6native31launch_logcumsumexp_cuda_kernelERKNSD_10TensorBaseESH_lENKUlvE_clEvENKUlvE3_clEvEUlS6_S6_E_S6_EEDaPvRmT3_T4_T5_mT6_P12ihipStream_tbENKUlT_T0_E_clISt17integral_constantIbLb0EESX_IbLb1EEEEDaST_SU_EUlST_E_NS1_11comp_targetILNS1_3genE10ELNS1_11target_archE1200ELNS1_3gpuE4ELNS1_3repE0EEENS1_30default_config_static_selectorELNS0_4arch9wavefront6targetE1EEEvT1_
; %bb.0:
	.section	.rodata,"a",@progbits
	.p2align	6, 0x0
	.amdhsa_kernel _ZN7rocprim17ROCPRIM_400000_NS6detail17trampoline_kernelINS0_14default_configENS1_20scan_config_selectorIN3c104HalfEEEZZNS1_9scan_implILNS1_25lookback_scan_determinismE0ELb0ELb0ES3_PKS6_PS6_S6_ZZZN2at6native31launch_logcumsumexp_cuda_kernelERKNSD_10TensorBaseESH_lENKUlvE_clEvENKUlvE3_clEvEUlS6_S6_E_S6_EEDaPvRmT3_T4_T5_mT6_P12ihipStream_tbENKUlT_T0_E_clISt17integral_constantIbLb0EESX_IbLb1EEEEDaST_SU_EUlST_E_NS1_11comp_targetILNS1_3genE10ELNS1_11target_archE1200ELNS1_3gpuE4ELNS1_3repE0EEENS1_30default_config_static_selectorELNS0_4arch9wavefront6targetE1EEEvT1_
		.amdhsa_group_segment_fixed_size 0
		.amdhsa_private_segment_fixed_size 0
		.amdhsa_kernarg_size 96
		.amdhsa_user_sgpr_count 2
		.amdhsa_user_sgpr_dispatch_ptr 0
		.amdhsa_user_sgpr_queue_ptr 0
		.amdhsa_user_sgpr_kernarg_segment_ptr 1
		.amdhsa_user_sgpr_dispatch_id 0
		.amdhsa_user_sgpr_kernarg_preload_length 0
		.amdhsa_user_sgpr_kernarg_preload_offset 0
		.amdhsa_user_sgpr_private_segment_size 0
		.amdhsa_uses_dynamic_stack 0
		.amdhsa_enable_private_segment 0
		.amdhsa_system_sgpr_workgroup_id_x 1
		.amdhsa_system_sgpr_workgroup_id_y 0
		.amdhsa_system_sgpr_workgroup_id_z 0
		.amdhsa_system_sgpr_workgroup_info 0
		.amdhsa_system_vgpr_workitem_id 0
		.amdhsa_next_free_vgpr 1
		.amdhsa_next_free_sgpr 0
		.amdhsa_accum_offset 4
		.amdhsa_reserve_vcc 0
		.amdhsa_float_round_mode_32 0
		.amdhsa_float_round_mode_16_64 0
		.amdhsa_float_denorm_mode_32 3
		.amdhsa_float_denorm_mode_16_64 3
		.amdhsa_dx10_clamp 1
		.amdhsa_ieee_mode 1
		.amdhsa_fp16_overflow 0
		.amdhsa_tg_split 0
		.amdhsa_exception_fp_ieee_invalid_op 0
		.amdhsa_exception_fp_denorm_src 0
		.amdhsa_exception_fp_ieee_div_zero 0
		.amdhsa_exception_fp_ieee_overflow 0
		.amdhsa_exception_fp_ieee_underflow 0
		.amdhsa_exception_fp_ieee_inexact 0
		.amdhsa_exception_int_div_zero 0
	.end_amdhsa_kernel
	.section	.text._ZN7rocprim17ROCPRIM_400000_NS6detail17trampoline_kernelINS0_14default_configENS1_20scan_config_selectorIN3c104HalfEEEZZNS1_9scan_implILNS1_25lookback_scan_determinismE0ELb0ELb0ES3_PKS6_PS6_S6_ZZZN2at6native31launch_logcumsumexp_cuda_kernelERKNSD_10TensorBaseESH_lENKUlvE_clEvENKUlvE3_clEvEUlS6_S6_E_S6_EEDaPvRmT3_T4_T5_mT6_P12ihipStream_tbENKUlT_T0_E_clISt17integral_constantIbLb0EESX_IbLb1EEEEDaST_SU_EUlST_E_NS1_11comp_targetILNS1_3genE10ELNS1_11target_archE1200ELNS1_3gpuE4ELNS1_3repE0EEENS1_30default_config_static_selectorELNS0_4arch9wavefront6targetE1EEEvT1_,"axG",@progbits,_ZN7rocprim17ROCPRIM_400000_NS6detail17trampoline_kernelINS0_14default_configENS1_20scan_config_selectorIN3c104HalfEEEZZNS1_9scan_implILNS1_25lookback_scan_determinismE0ELb0ELb0ES3_PKS6_PS6_S6_ZZZN2at6native31launch_logcumsumexp_cuda_kernelERKNSD_10TensorBaseESH_lENKUlvE_clEvENKUlvE3_clEvEUlS6_S6_E_S6_EEDaPvRmT3_T4_T5_mT6_P12ihipStream_tbENKUlT_T0_E_clISt17integral_constantIbLb0EESX_IbLb1EEEEDaST_SU_EUlST_E_NS1_11comp_targetILNS1_3genE10ELNS1_11target_archE1200ELNS1_3gpuE4ELNS1_3repE0EEENS1_30default_config_static_selectorELNS0_4arch9wavefront6targetE1EEEvT1_,comdat
.Lfunc_end422:
	.size	_ZN7rocprim17ROCPRIM_400000_NS6detail17trampoline_kernelINS0_14default_configENS1_20scan_config_selectorIN3c104HalfEEEZZNS1_9scan_implILNS1_25lookback_scan_determinismE0ELb0ELb0ES3_PKS6_PS6_S6_ZZZN2at6native31launch_logcumsumexp_cuda_kernelERKNSD_10TensorBaseESH_lENKUlvE_clEvENKUlvE3_clEvEUlS6_S6_E_S6_EEDaPvRmT3_T4_T5_mT6_P12ihipStream_tbENKUlT_T0_E_clISt17integral_constantIbLb0EESX_IbLb1EEEEDaST_SU_EUlST_E_NS1_11comp_targetILNS1_3genE10ELNS1_11target_archE1200ELNS1_3gpuE4ELNS1_3repE0EEENS1_30default_config_static_selectorELNS0_4arch9wavefront6targetE1EEEvT1_, .Lfunc_end422-_ZN7rocprim17ROCPRIM_400000_NS6detail17trampoline_kernelINS0_14default_configENS1_20scan_config_selectorIN3c104HalfEEEZZNS1_9scan_implILNS1_25lookback_scan_determinismE0ELb0ELb0ES3_PKS6_PS6_S6_ZZZN2at6native31launch_logcumsumexp_cuda_kernelERKNSD_10TensorBaseESH_lENKUlvE_clEvENKUlvE3_clEvEUlS6_S6_E_S6_EEDaPvRmT3_T4_T5_mT6_P12ihipStream_tbENKUlT_T0_E_clISt17integral_constantIbLb0EESX_IbLb1EEEEDaST_SU_EUlST_E_NS1_11comp_targetILNS1_3genE10ELNS1_11target_archE1200ELNS1_3gpuE4ELNS1_3repE0EEENS1_30default_config_static_selectorELNS0_4arch9wavefront6targetE1EEEvT1_
                                        ; -- End function
	.set _ZN7rocprim17ROCPRIM_400000_NS6detail17trampoline_kernelINS0_14default_configENS1_20scan_config_selectorIN3c104HalfEEEZZNS1_9scan_implILNS1_25lookback_scan_determinismE0ELb0ELb0ES3_PKS6_PS6_S6_ZZZN2at6native31launch_logcumsumexp_cuda_kernelERKNSD_10TensorBaseESH_lENKUlvE_clEvENKUlvE3_clEvEUlS6_S6_E_S6_EEDaPvRmT3_T4_T5_mT6_P12ihipStream_tbENKUlT_T0_E_clISt17integral_constantIbLb0EESX_IbLb1EEEEDaST_SU_EUlST_E_NS1_11comp_targetILNS1_3genE10ELNS1_11target_archE1200ELNS1_3gpuE4ELNS1_3repE0EEENS1_30default_config_static_selectorELNS0_4arch9wavefront6targetE1EEEvT1_.num_vgpr, 0
	.set _ZN7rocprim17ROCPRIM_400000_NS6detail17trampoline_kernelINS0_14default_configENS1_20scan_config_selectorIN3c104HalfEEEZZNS1_9scan_implILNS1_25lookback_scan_determinismE0ELb0ELb0ES3_PKS6_PS6_S6_ZZZN2at6native31launch_logcumsumexp_cuda_kernelERKNSD_10TensorBaseESH_lENKUlvE_clEvENKUlvE3_clEvEUlS6_S6_E_S6_EEDaPvRmT3_T4_T5_mT6_P12ihipStream_tbENKUlT_T0_E_clISt17integral_constantIbLb0EESX_IbLb1EEEEDaST_SU_EUlST_E_NS1_11comp_targetILNS1_3genE10ELNS1_11target_archE1200ELNS1_3gpuE4ELNS1_3repE0EEENS1_30default_config_static_selectorELNS0_4arch9wavefront6targetE1EEEvT1_.num_agpr, 0
	.set _ZN7rocprim17ROCPRIM_400000_NS6detail17trampoline_kernelINS0_14default_configENS1_20scan_config_selectorIN3c104HalfEEEZZNS1_9scan_implILNS1_25lookback_scan_determinismE0ELb0ELb0ES3_PKS6_PS6_S6_ZZZN2at6native31launch_logcumsumexp_cuda_kernelERKNSD_10TensorBaseESH_lENKUlvE_clEvENKUlvE3_clEvEUlS6_S6_E_S6_EEDaPvRmT3_T4_T5_mT6_P12ihipStream_tbENKUlT_T0_E_clISt17integral_constantIbLb0EESX_IbLb1EEEEDaST_SU_EUlST_E_NS1_11comp_targetILNS1_3genE10ELNS1_11target_archE1200ELNS1_3gpuE4ELNS1_3repE0EEENS1_30default_config_static_selectorELNS0_4arch9wavefront6targetE1EEEvT1_.numbered_sgpr, 0
	.set _ZN7rocprim17ROCPRIM_400000_NS6detail17trampoline_kernelINS0_14default_configENS1_20scan_config_selectorIN3c104HalfEEEZZNS1_9scan_implILNS1_25lookback_scan_determinismE0ELb0ELb0ES3_PKS6_PS6_S6_ZZZN2at6native31launch_logcumsumexp_cuda_kernelERKNSD_10TensorBaseESH_lENKUlvE_clEvENKUlvE3_clEvEUlS6_S6_E_S6_EEDaPvRmT3_T4_T5_mT6_P12ihipStream_tbENKUlT_T0_E_clISt17integral_constantIbLb0EESX_IbLb1EEEEDaST_SU_EUlST_E_NS1_11comp_targetILNS1_3genE10ELNS1_11target_archE1200ELNS1_3gpuE4ELNS1_3repE0EEENS1_30default_config_static_selectorELNS0_4arch9wavefront6targetE1EEEvT1_.num_named_barrier, 0
	.set _ZN7rocprim17ROCPRIM_400000_NS6detail17trampoline_kernelINS0_14default_configENS1_20scan_config_selectorIN3c104HalfEEEZZNS1_9scan_implILNS1_25lookback_scan_determinismE0ELb0ELb0ES3_PKS6_PS6_S6_ZZZN2at6native31launch_logcumsumexp_cuda_kernelERKNSD_10TensorBaseESH_lENKUlvE_clEvENKUlvE3_clEvEUlS6_S6_E_S6_EEDaPvRmT3_T4_T5_mT6_P12ihipStream_tbENKUlT_T0_E_clISt17integral_constantIbLb0EESX_IbLb1EEEEDaST_SU_EUlST_E_NS1_11comp_targetILNS1_3genE10ELNS1_11target_archE1200ELNS1_3gpuE4ELNS1_3repE0EEENS1_30default_config_static_selectorELNS0_4arch9wavefront6targetE1EEEvT1_.private_seg_size, 0
	.set _ZN7rocprim17ROCPRIM_400000_NS6detail17trampoline_kernelINS0_14default_configENS1_20scan_config_selectorIN3c104HalfEEEZZNS1_9scan_implILNS1_25lookback_scan_determinismE0ELb0ELb0ES3_PKS6_PS6_S6_ZZZN2at6native31launch_logcumsumexp_cuda_kernelERKNSD_10TensorBaseESH_lENKUlvE_clEvENKUlvE3_clEvEUlS6_S6_E_S6_EEDaPvRmT3_T4_T5_mT6_P12ihipStream_tbENKUlT_T0_E_clISt17integral_constantIbLb0EESX_IbLb1EEEEDaST_SU_EUlST_E_NS1_11comp_targetILNS1_3genE10ELNS1_11target_archE1200ELNS1_3gpuE4ELNS1_3repE0EEENS1_30default_config_static_selectorELNS0_4arch9wavefront6targetE1EEEvT1_.uses_vcc, 0
	.set _ZN7rocprim17ROCPRIM_400000_NS6detail17trampoline_kernelINS0_14default_configENS1_20scan_config_selectorIN3c104HalfEEEZZNS1_9scan_implILNS1_25lookback_scan_determinismE0ELb0ELb0ES3_PKS6_PS6_S6_ZZZN2at6native31launch_logcumsumexp_cuda_kernelERKNSD_10TensorBaseESH_lENKUlvE_clEvENKUlvE3_clEvEUlS6_S6_E_S6_EEDaPvRmT3_T4_T5_mT6_P12ihipStream_tbENKUlT_T0_E_clISt17integral_constantIbLb0EESX_IbLb1EEEEDaST_SU_EUlST_E_NS1_11comp_targetILNS1_3genE10ELNS1_11target_archE1200ELNS1_3gpuE4ELNS1_3repE0EEENS1_30default_config_static_selectorELNS0_4arch9wavefront6targetE1EEEvT1_.uses_flat_scratch, 0
	.set _ZN7rocprim17ROCPRIM_400000_NS6detail17trampoline_kernelINS0_14default_configENS1_20scan_config_selectorIN3c104HalfEEEZZNS1_9scan_implILNS1_25lookback_scan_determinismE0ELb0ELb0ES3_PKS6_PS6_S6_ZZZN2at6native31launch_logcumsumexp_cuda_kernelERKNSD_10TensorBaseESH_lENKUlvE_clEvENKUlvE3_clEvEUlS6_S6_E_S6_EEDaPvRmT3_T4_T5_mT6_P12ihipStream_tbENKUlT_T0_E_clISt17integral_constantIbLb0EESX_IbLb1EEEEDaST_SU_EUlST_E_NS1_11comp_targetILNS1_3genE10ELNS1_11target_archE1200ELNS1_3gpuE4ELNS1_3repE0EEENS1_30default_config_static_selectorELNS0_4arch9wavefront6targetE1EEEvT1_.has_dyn_sized_stack, 0
	.set _ZN7rocprim17ROCPRIM_400000_NS6detail17trampoline_kernelINS0_14default_configENS1_20scan_config_selectorIN3c104HalfEEEZZNS1_9scan_implILNS1_25lookback_scan_determinismE0ELb0ELb0ES3_PKS6_PS6_S6_ZZZN2at6native31launch_logcumsumexp_cuda_kernelERKNSD_10TensorBaseESH_lENKUlvE_clEvENKUlvE3_clEvEUlS6_S6_E_S6_EEDaPvRmT3_T4_T5_mT6_P12ihipStream_tbENKUlT_T0_E_clISt17integral_constantIbLb0EESX_IbLb1EEEEDaST_SU_EUlST_E_NS1_11comp_targetILNS1_3genE10ELNS1_11target_archE1200ELNS1_3gpuE4ELNS1_3repE0EEENS1_30default_config_static_selectorELNS0_4arch9wavefront6targetE1EEEvT1_.has_recursion, 0
	.set _ZN7rocprim17ROCPRIM_400000_NS6detail17trampoline_kernelINS0_14default_configENS1_20scan_config_selectorIN3c104HalfEEEZZNS1_9scan_implILNS1_25lookback_scan_determinismE0ELb0ELb0ES3_PKS6_PS6_S6_ZZZN2at6native31launch_logcumsumexp_cuda_kernelERKNSD_10TensorBaseESH_lENKUlvE_clEvENKUlvE3_clEvEUlS6_S6_E_S6_EEDaPvRmT3_T4_T5_mT6_P12ihipStream_tbENKUlT_T0_E_clISt17integral_constantIbLb0EESX_IbLb1EEEEDaST_SU_EUlST_E_NS1_11comp_targetILNS1_3genE10ELNS1_11target_archE1200ELNS1_3gpuE4ELNS1_3repE0EEENS1_30default_config_static_selectorELNS0_4arch9wavefront6targetE1EEEvT1_.has_indirect_call, 0
	.section	.AMDGPU.csdata,"",@progbits
; Kernel info:
; codeLenInByte = 0
; TotalNumSgprs: 6
; NumVgprs: 0
; NumAgprs: 0
; TotalNumVgprs: 0
; ScratchSize: 0
; MemoryBound: 0
; FloatMode: 240
; IeeeMode: 1
; LDSByteSize: 0 bytes/workgroup (compile time only)
; SGPRBlocks: 0
; VGPRBlocks: 0
; NumSGPRsForWavesPerEU: 6
; NumVGPRsForWavesPerEU: 1
; AccumOffset: 4
; Occupancy: 8
; WaveLimiterHint : 0
; COMPUTE_PGM_RSRC2:SCRATCH_EN: 0
; COMPUTE_PGM_RSRC2:USER_SGPR: 2
; COMPUTE_PGM_RSRC2:TRAP_HANDLER: 0
; COMPUTE_PGM_RSRC2:TGID_X_EN: 1
; COMPUTE_PGM_RSRC2:TGID_Y_EN: 0
; COMPUTE_PGM_RSRC2:TGID_Z_EN: 0
; COMPUTE_PGM_RSRC2:TIDIG_COMP_CNT: 0
; COMPUTE_PGM_RSRC3_GFX90A:ACCUM_OFFSET: 0
; COMPUTE_PGM_RSRC3_GFX90A:TG_SPLIT: 0
	.section	.text._ZN7rocprim17ROCPRIM_400000_NS6detail17trampoline_kernelINS0_14default_configENS1_20scan_config_selectorIN3c104HalfEEEZZNS1_9scan_implILNS1_25lookback_scan_determinismE0ELb0ELb0ES3_PKS6_PS6_S6_ZZZN2at6native31launch_logcumsumexp_cuda_kernelERKNSD_10TensorBaseESH_lENKUlvE_clEvENKUlvE3_clEvEUlS6_S6_E_S6_EEDaPvRmT3_T4_T5_mT6_P12ihipStream_tbENKUlT_T0_E_clISt17integral_constantIbLb0EESX_IbLb1EEEEDaST_SU_EUlST_E_NS1_11comp_targetILNS1_3genE9ELNS1_11target_archE1100ELNS1_3gpuE3ELNS1_3repE0EEENS1_30default_config_static_selectorELNS0_4arch9wavefront6targetE1EEEvT1_,"axG",@progbits,_ZN7rocprim17ROCPRIM_400000_NS6detail17trampoline_kernelINS0_14default_configENS1_20scan_config_selectorIN3c104HalfEEEZZNS1_9scan_implILNS1_25lookback_scan_determinismE0ELb0ELb0ES3_PKS6_PS6_S6_ZZZN2at6native31launch_logcumsumexp_cuda_kernelERKNSD_10TensorBaseESH_lENKUlvE_clEvENKUlvE3_clEvEUlS6_S6_E_S6_EEDaPvRmT3_T4_T5_mT6_P12ihipStream_tbENKUlT_T0_E_clISt17integral_constantIbLb0EESX_IbLb1EEEEDaST_SU_EUlST_E_NS1_11comp_targetILNS1_3genE9ELNS1_11target_archE1100ELNS1_3gpuE3ELNS1_3repE0EEENS1_30default_config_static_selectorELNS0_4arch9wavefront6targetE1EEEvT1_,comdat
	.globl	_ZN7rocprim17ROCPRIM_400000_NS6detail17trampoline_kernelINS0_14default_configENS1_20scan_config_selectorIN3c104HalfEEEZZNS1_9scan_implILNS1_25lookback_scan_determinismE0ELb0ELb0ES3_PKS6_PS6_S6_ZZZN2at6native31launch_logcumsumexp_cuda_kernelERKNSD_10TensorBaseESH_lENKUlvE_clEvENKUlvE3_clEvEUlS6_S6_E_S6_EEDaPvRmT3_T4_T5_mT6_P12ihipStream_tbENKUlT_T0_E_clISt17integral_constantIbLb0EESX_IbLb1EEEEDaST_SU_EUlST_E_NS1_11comp_targetILNS1_3genE9ELNS1_11target_archE1100ELNS1_3gpuE3ELNS1_3repE0EEENS1_30default_config_static_selectorELNS0_4arch9wavefront6targetE1EEEvT1_ ; -- Begin function _ZN7rocprim17ROCPRIM_400000_NS6detail17trampoline_kernelINS0_14default_configENS1_20scan_config_selectorIN3c104HalfEEEZZNS1_9scan_implILNS1_25lookback_scan_determinismE0ELb0ELb0ES3_PKS6_PS6_S6_ZZZN2at6native31launch_logcumsumexp_cuda_kernelERKNSD_10TensorBaseESH_lENKUlvE_clEvENKUlvE3_clEvEUlS6_S6_E_S6_EEDaPvRmT3_T4_T5_mT6_P12ihipStream_tbENKUlT_T0_E_clISt17integral_constantIbLb0EESX_IbLb1EEEEDaST_SU_EUlST_E_NS1_11comp_targetILNS1_3genE9ELNS1_11target_archE1100ELNS1_3gpuE3ELNS1_3repE0EEENS1_30default_config_static_selectorELNS0_4arch9wavefront6targetE1EEEvT1_
	.p2align	8
	.type	_ZN7rocprim17ROCPRIM_400000_NS6detail17trampoline_kernelINS0_14default_configENS1_20scan_config_selectorIN3c104HalfEEEZZNS1_9scan_implILNS1_25lookback_scan_determinismE0ELb0ELb0ES3_PKS6_PS6_S6_ZZZN2at6native31launch_logcumsumexp_cuda_kernelERKNSD_10TensorBaseESH_lENKUlvE_clEvENKUlvE3_clEvEUlS6_S6_E_S6_EEDaPvRmT3_T4_T5_mT6_P12ihipStream_tbENKUlT_T0_E_clISt17integral_constantIbLb0EESX_IbLb1EEEEDaST_SU_EUlST_E_NS1_11comp_targetILNS1_3genE9ELNS1_11target_archE1100ELNS1_3gpuE3ELNS1_3repE0EEENS1_30default_config_static_selectorELNS0_4arch9wavefront6targetE1EEEvT1_,@function
_ZN7rocprim17ROCPRIM_400000_NS6detail17trampoline_kernelINS0_14default_configENS1_20scan_config_selectorIN3c104HalfEEEZZNS1_9scan_implILNS1_25lookback_scan_determinismE0ELb0ELb0ES3_PKS6_PS6_S6_ZZZN2at6native31launch_logcumsumexp_cuda_kernelERKNSD_10TensorBaseESH_lENKUlvE_clEvENKUlvE3_clEvEUlS6_S6_E_S6_EEDaPvRmT3_T4_T5_mT6_P12ihipStream_tbENKUlT_T0_E_clISt17integral_constantIbLb0EESX_IbLb1EEEEDaST_SU_EUlST_E_NS1_11comp_targetILNS1_3genE9ELNS1_11target_archE1100ELNS1_3gpuE3ELNS1_3repE0EEENS1_30default_config_static_selectorELNS0_4arch9wavefront6targetE1EEEvT1_: ; @_ZN7rocprim17ROCPRIM_400000_NS6detail17trampoline_kernelINS0_14default_configENS1_20scan_config_selectorIN3c104HalfEEEZZNS1_9scan_implILNS1_25lookback_scan_determinismE0ELb0ELb0ES3_PKS6_PS6_S6_ZZZN2at6native31launch_logcumsumexp_cuda_kernelERKNSD_10TensorBaseESH_lENKUlvE_clEvENKUlvE3_clEvEUlS6_S6_E_S6_EEDaPvRmT3_T4_T5_mT6_P12ihipStream_tbENKUlT_T0_E_clISt17integral_constantIbLb0EESX_IbLb1EEEEDaST_SU_EUlST_E_NS1_11comp_targetILNS1_3genE9ELNS1_11target_archE1100ELNS1_3gpuE3ELNS1_3repE0EEENS1_30default_config_static_selectorELNS0_4arch9wavefront6targetE1EEEvT1_
; %bb.0:
	.section	.rodata,"a",@progbits
	.p2align	6, 0x0
	.amdhsa_kernel _ZN7rocprim17ROCPRIM_400000_NS6detail17trampoline_kernelINS0_14default_configENS1_20scan_config_selectorIN3c104HalfEEEZZNS1_9scan_implILNS1_25lookback_scan_determinismE0ELb0ELb0ES3_PKS6_PS6_S6_ZZZN2at6native31launch_logcumsumexp_cuda_kernelERKNSD_10TensorBaseESH_lENKUlvE_clEvENKUlvE3_clEvEUlS6_S6_E_S6_EEDaPvRmT3_T4_T5_mT6_P12ihipStream_tbENKUlT_T0_E_clISt17integral_constantIbLb0EESX_IbLb1EEEEDaST_SU_EUlST_E_NS1_11comp_targetILNS1_3genE9ELNS1_11target_archE1100ELNS1_3gpuE3ELNS1_3repE0EEENS1_30default_config_static_selectorELNS0_4arch9wavefront6targetE1EEEvT1_
		.amdhsa_group_segment_fixed_size 0
		.amdhsa_private_segment_fixed_size 0
		.amdhsa_kernarg_size 96
		.amdhsa_user_sgpr_count 2
		.amdhsa_user_sgpr_dispatch_ptr 0
		.amdhsa_user_sgpr_queue_ptr 0
		.amdhsa_user_sgpr_kernarg_segment_ptr 1
		.amdhsa_user_sgpr_dispatch_id 0
		.amdhsa_user_sgpr_kernarg_preload_length 0
		.amdhsa_user_sgpr_kernarg_preload_offset 0
		.amdhsa_user_sgpr_private_segment_size 0
		.amdhsa_uses_dynamic_stack 0
		.amdhsa_enable_private_segment 0
		.amdhsa_system_sgpr_workgroup_id_x 1
		.amdhsa_system_sgpr_workgroup_id_y 0
		.amdhsa_system_sgpr_workgroup_id_z 0
		.amdhsa_system_sgpr_workgroup_info 0
		.amdhsa_system_vgpr_workitem_id 0
		.amdhsa_next_free_vgpr 1
		.amdhsa_next_free_sgpr 0
		.amdhsa_accum_offset 4
		.amdhsa_reserve_vcc 0
		.amdhsa_float_round_mode_32 0
		.amdhsa_float_round_mode_16_64 0
		.amdhsa_float_denorm_mode_32 3
		.amdhsa_float_denorm_mode_16_64 3
		.amdhsa_dx10_clamp 1
		.amdhsa_ieee_mode 1
		.amdhsa_fp16_overflow 0
		.amdhsa_tg_split 0
		.amdhsa_exception_fp_ieee_invalid_op 0
		.amdhsa_exception_fp_denorm_src 0
		.amdhsa_exception_fp_ieee_div_zero 0
		.amdhsa_exception_fp_ieee_overflow 0
		.amdhsa_exception_fp_ieee_underflow 0
		.amdhsa_exception_fp_ieee_inexact 0
		.amdhsa_exception_int_div_zero 0
	.end_amdhsa_kernel
	.section	.text._ZN7rocprim17ROCPRIM_400000_NS6detail17trampoline_kernelINS0_14default_configENS1_20scan_config_selectorIN3c104HalfEEEZZNS1_9scan_implILNS1_25lookback_scan_determinismE0ELb0ELb0ES3_PKS6_PS6_S6_ZZZN2at6native31launch_logcumsumexp_cuda_kernelERKNSD_10TensorBaseESH_lENKUlvE_clEvENKUlvE3_clEvEUlS6_S6_E_S6_EEDaPvRmT3_T4_T5_mT6_P12ihipStream_tbENKUlT_T0_E_clISt17integral_constantIbLb0EESX_IbLb1EEEEDaST_SU_EUlST_E_NS1_11comp_targetILNS1_3genE9ELNS1_11target_archE1100ELNS1_3gpuE3ELNS1_3repE0EEENS1_30default_config_static_selectorELNS0_4arch9wavefront6targetE1EEEvT1_,"axG",@progbits,_ZN7rocprim17ROCPRIM_400000_NS6detail17trampoline_kernelINS0_14default_configENS1_20scan_config_selectorIN3c104HalfEEEZZNS1_9scan_implILNS1_25lookback_scan_determinismE0ELb0ELb0ES3_PKS6_PS6_S6_ZZZN2at6native31launch_logcumsumexp_cuda_kernelERKNSD_10TensorBaseESH_lENKUlvE_clEvENKUlvE3_clEvEUlS6_S6_E_S6_EEDaPvRmT3_T4_T5_mT6_P12ihipStream_tbENKUlT_T0_E_clISt17integral_constantIbLb0EESX_IbLb1EEEEDaST_SU_EUlST_E_NS1_11comp_targetILNS1_3genE9ELNS1_11target_archE1100ELNS1_3gpuE3ELNS1_3repE0EEENS1_30default_config_static_selectorELNS0_4arch9wavefront6targetE1EEEvT1_,comdat
.Lfunc_end423:
	.size	_ZN7rocprim17ROCPRIM_400000_NS6detail17trampoline_kernelINS0_14default_configENS1_20scan_config_selectorIN3c104HalfEEEZZNS1_9scan_implILNS1_25lookback_scan_determinismE0ELb0ELb0ES3_PKS6_PS6_S6_ZZZN2at6native31launch_logcumsumexp_cuda_kernelERKNSD_10TensorBaseESH_lENKUlvE_clEvENKUlvE3_clEvEUlS6_S6_E_S6_EEDaPvRmT3_T4_T5_mT6_P12ihipStream_tbENKUlT_T0_E_clISt17integral_constantIbLb0EESX_IbLb1EEEEDaST_SU_EUlST_E_NS1_11comp_targetILNS1_3genE9ELNS1_11target_archE1100ELNS1_3gpuE3ELNS1_3repE0EEENS1_30default_config_static_selectorELNS0_4arch9wavefront6targetE1EEEvT1_, .Lfunc_end423-_ZN7rocprim17ROCPRIM_400000_NS6detail17trampoline_kernelINS0_14default_configENS1_20scan_config_selectorIN3c104HalfEEEZZNS1_9scan_implILNS1_25lookback_scan_determinismE0ELb0ELb0ES3_PKS6_PS6_S6_ZZZN2at6native31launch_logcumsumexp_cuda_kernelERKNSD_10TensorBaseESH_lENKUlvE_clEvENKUlvE3_clEvEUlS6_S6_E_S6_EEDaPvRmT3_T4_T5_mT6_P12ihipStream_tbENKUlT_T0_E_clISt17integral_constantIbLb0EESX_IbLb1EEEEDaST_SU_EUlST_E_NS1_11comp_targetILNS1_3genE9ELNS1_11target_archE1100ELNS1_3gpuE3ELNS1_3repE0EEENS1_30default_config_static_selectorELNS0_4arch9wavefront6targetE1EEEvT1_
                                        ; -- End function
	.set _ZN7rocprim17ROCPRIM_400000_NS6detail17trampoline_kernelINS0_14default_configENS1_20scan_config_selectorIN3c104HalfEEEZZNS1_9scan_implILNS1_25lookback_scan_determinismE0ELb0ELb0ES3_PKS6_PS6_S6_ZZZN2at6native31launch_logcumsumexp_cuda_kernelERKNSD_10TensorBaseESH_lENKUlvE_clEvENKUlvE3_clEvEUlS6_S6_E_S6_EEDaPvRmT3_T4_T5_mT6_P12ihipStream_tbENKUlT_T0_E_clISt17integral_constantIbLb0EESX_IbLb1EEEEDaST_SU_EUlST_E_NS1_11comp_targetILNS1_3genE9ELNS1_11target_archE1100ELNS1_3gpuE3ELNS1_3repE0EEENS1_30default_config_static_selectorELNS0_4arch9wavefront6targetE1EEEvT1_.num_vgpr, 0
	.set _ZN7rocprim17ROCPRIM_400000_NS6detail17trampoline_kernelINS0_14default_configENS1_20scan_config_selectorIN3c104HalfEEEZZNS1_9scan_implILNS1_25lookback_scan_determinismE0ELb0ELb0ES3_PKS6_PS6_S6_ZZZN2at6native31launch_logcumsumexp_cuda_kernelERKNSD_10TensorBaseESH_lENKUlvE_clEvENKUlvE3_clEvEUlS6_S6_E_S6_EEDaPvRmT3_T4_T5_mT6_P12ihipStream_tbENKUlT_T0_E_clISt17integral_constantIbLb0EESX_IbLb1EEEEDaST_SU_EUlST_E_NS1_11comp_targetILNS1_3genE9ELNS1_11target_archE1100ELNS1_3gpuE3ELNS1_3repE0EEENS1_30default_config_static_selectorELNS0_4arch9wavefront6targetE1EEEvT1_.num_agpr, 0
	.set _ZN7rocprim17ROCPRIM_400000_NS6detail17trampoline_kernelINS0_14default_configENS1_20scan_config_selectorIN3c104HalfEEEZZNS1_9scan_implILNS1_25lookback_scan_determinismE0ELb0ELb0ES3_PKS6_PS6_S6_ZZZN2at6native31launch_logcumsumexp_cuda_kernelERKNSD_10TensorBaseESH_lENKUlvE_clEvENKUlvE3_clEvEUlS6_S6_E_S6_EEDaPvRmT3_T4_T5_mT6_P12ihipStream_tbENKUlT_T0_E_clISt17integral_constantIbLb0EESX_IbLb1EEEEDaST_SU_EUlST_E_NS1_11comp_targetILNS1_3genE9ELNS1_11target_archE1100ELNS1_3gpuE3ELNS1_3repE0EEENS1_30default_config_static_selectorELNS0_4arch9wavefront6targetE1EEEvT1_.numbered_sgpr, 0
	.set _ZN7rocprim17ROCPRIM_400000_NS6detail17trampoline_kernelINS0_14default_configENS1_20scan_config_selectorIN3c104HalfEEEZZNS1_9scan_implILNS1_25lookback_scan_determinismE0ELb0ELb0ES3_PKS6_PS6_S6_ZZZN2at6native31launch_logcumsumexp_cuda_kernelERKNSD_10TensorBaseESH_lENKUlvE_clEvENKUlvE3_clEvEUlS6_S6_E_S6_EEDaPvRmT3_T4_T5_mT6_P12ihipStream_tbENKUlT_T0_E_clISt17integral_constantIbLb0EESX_IbLb1EEEEDaST_SU_EUlST_E_NS1_11comp_targetILNS1_3genE9ELNS1_11target_archE1100ELNS1_3gpuE3ELNS1_3repE0EEENS1_30default_config_static_selectorELNS0_4arch9wavefront6targetE1EEEvT1_.num_named_barrier, 0
	.set _ZN7rocprim17ROCPRIM_400000_NS6detail17trampoline_kernelINS0_14default_configENS1_20scan_config_selectorIN3c104HalfEEEZZNS1_9scan_implILNS1_25lookback_scan_determinismE0ELb0ELb0ES3_PKS6_PS6_S6_ZZZN2at6native31launch_logcumsumexp_cuda_kernelERKNSD_10TensorBaseESH_lENKUlvE_clEvENKUlvE3_clEvEUlS6_S6_E_S6_EEDaPvRmT3_T4_T5_mT6_P12ihipStream_tbENKUlT_T0_E_clISt17integral_constantIbLb0EESX_IbLb1EEEEDaST_SU_EUlST_E_NS1_11comp_targetILNS1_3genE9ELNS1_11target_archE1100ELNS1_3gpuE3ELNS1_3repE0EEENS1_30default_config_static_selectorELNS0_4arch9wavefront6targetE1EEEvT1_.private_seg_size, 0
	.set _ZN7rocprim17ROCPRIM_400000_NS6detail17trampoline_kernelINS0_14default_configENS1_20scan_config_selectorIN3c104HalfEEEZZNS1_9scan_implILNS1_25lookback_scan_determinismE0ELb0ELb0ES3_PKS6_PS6_S6_ZZZN2at6native31launch_logcumsumexp_cuda_kernelERKNSD_10TensorBaseESH_lENKUlvE_clEvENKUlvE3_clEvEUlS6_S6_E_S6_EEDaPvRmT3_T4_T5_mT6_P12ihipStream_tbENKUlT_T0_E_clISt17integral_constantIbLb0EESX_IbLb1EEEEDaST_SU_EUlST_E_NS1_11comp_targetILNS1_3genE9ELNS1_11target_archE1100ELNS1_3gpuE3ELNS1_3repE0EEENS1_30default_config_static_selectorELNS0_4arch9wavefront6targetE1EEEvT1_.uses_vcc, 0
	.set _ZN7rocprim17ROCPRIM_400000_NS6detail17trampoline_kernelINS0_14default_configENS1_20scan_config_selectorIN3c104HalfEEEZZNS1_9scan_implILNS1_25lookback_scan_determinismE0ELb0ELb0ES3_PKS6_PS6_S6_ZZZN2at6native31launch_logcumsumexp_cuda_kernelERKNSD_10TensorBaseESH_lENKUlvE_clEvENKUlvE3_clEvEUlS6_S6_E_S6_EEDaPvRmT3_T4_T5_mT6_P12ihipStream_tbENKUlT_T0_E_clISt17integral_constantIbLb0EESX_IbLb1EEEEDaST_SU_EUlST_E_NS1_11comp_targetILNS1_3genE9ELNS1_11target_archE1100ELNS1_3gpuE3ELNS1_3repE0EEENS1_30default_config_static_selectorELNS0_4arch9wavefront6targetE1EEEvT1_.uses_flat_scratch, 0
	.set _ZN7rocprim17ROCPRIM_400000_NS6detail17trampoline_kernelINS0_14default_configENS1_20scan_config_selectorIN3c104HalfEEEZZNS1_9scan_implILNS1_25lookback_scan_determinismE0ELb0ELb0ES3_PKS6_PS6_S6_ZZZN2at6native31launch_logcumsumexp_cuda_kernelERKNSD_10TensorBaseESH_lENKUlvE_clEvENKUlvE3_clEvEUlS6_S6_E_S6_EEDaPvRmT3_T4_T5_mT6_P12ihipStream_tbENKUlT_T0_E_clISt17integral_constantIbLb0EESX_IbLb1EEEEDaST_SU_EUlST_E_NS1_11comp_targetILNS1_3genE9ELNS1_11target_archE1100ELNS1_3gpuE3ELNS1_3repE0EEENS1_30default_config_static_selectorELNS0_4arch9wavefront6targetE1EEEvT1_.has_dyn_sized_stack, 0
	.set _ZN7rocprim17ROCPRIM_400000_NS6detail17trampoline_kernelINS0_14default_configENS1_20scan_config_selectorIN3c104HalfEEEZZNS1_9scan_implILNS1_25lookback_scan_determinismE0ELb0ELb0ES3_PKS6_PS6_S6_ZZZN2at6native31launch_logcumsumexp_cuda_kernelERKNSD_10TensorBaseESH_lENKUlvE_clEvENKUlvE3_clEvEUlS6_S6_E_S6_EEDaPvRmT3_T4_T5_mT6_P12ihipStream_tbENKUlT_T0_E_clISt17integral_constantIbLb0EESX_IbLb1EEEEDaST_SU_EUlST_E_NS1_11comp_targetILNS1_3genE9ELNS1_11target_archE1100ELNS1_3gpuE3ELNS1_3repE0EEENS1_30default_config_static_selectorELNS0_4arch9wavefront6targetE1EEEvT1_.has_recursion, 0
	.set _ZN7rocprim17ROCPRIM_400000_NS6detail17trampoline_kernelINS0_14default_configENS1_20scan_config_selectorIN3c104HalfEEEZZNS1_9scan_implILNS1_25lookback_scan_determinismE0ELb0ELb0ES3_PKS6_PS6_S6_ZZZN2at6native31launch_logcumsumexp_cuda_kernelERKNSD_10TensorBaseESH_lENKUlvE_clEvENKUlvE3_clEvEUlS6_S6_E_S6_EEDaPvRmT3_T4_T5_mT6_P12ihipStream_tbENKUlT_T0_E_clISt17integral_constantIbLb0EESX_IbLb1EEEEDaST_SU_EUlST_E_NS1_11comp_targetILNS1_3genE9ELNS1_11target_archE1100ELNS1_3gpuE3ELNS1_3repE0EEENS1_30default_config_static_selectorELNS0_4arch9wavefront6targetE1EEEvT1_.has_indirect_call, 0
	.section	.AMDGPU.csdata,"",@progbits
; Kernel info:
; codeLenInByte = 0
; TotalNumSgprs: 6
; NumVgprs: 0
; NumAgprs: 0
; TotalNumVgprs: 0
; ScratchSize: 0
; MemoryBound: 0
; FloatMode: 240
; IeeeMode: 1
; LDSByteSize: 0 bytes/workgroup (compile time only)
; SGPRBlocks: 0
; VGPRBlocks: 0
; NumSGPRsForWavesPerEU: 6
; NumVGPRsForWavesPerEU: 1
; AccumOffset: 4
; Occupancy: 8
; WaveLimiterHint : 0
; COMPUTE_PGM_RSRC2:SCRATCH_EN: 0
; COMPUTE_PGM_RSRC2:USER_SGPR: 2
; COMPUTE_PGM_RSRC2:TRAP_HANDLER: 0
; COMPUTE_PGM_RSRC2:TGID_X_EN: 1
; COMPUTE_PGM_RSRC2:TGID_Y_EN: 0
; COMPUTE_PGM_RSRC2:TGID_Z_EN: 0
; COMPUTE_PGM_RSRC2:TIDIG_COMP_CNT: 0
; COMPUTE_PGM_RSRC3_GFX90A:ACCUM_OFFSET: 0
; COMPUTE_PGM_RSRC3_GFX90A:TG_SPLIT: 0
	.section	.text._ZN7rocprim17ROCPRIM_400000_NS6detail17trampoline_kernelINS0_14default_configENS1_20scan_config_selectorIN3c104HalfEEEZZNS1_9scan_implILNS1_25lookback_scan_determinismE0ELb0ELb0ES3_PKS6_PS6_S6_ZZZN2at6native31launch_logcumsumexp_cuda_kernelERKNSD_10TensorBaseESH_lENKUlvE_clEvENKUlvE3_clEvEUlS6_S6_E_S6_EEDaPvRmT3_T4_T5_mT6_P12ihipStream_tbENKUlT_T0_E_clISt17integral_constantIbLb0EESX_IbLb1EEEEDaST_SU_EUlST_E_NS1_11comp_targetILNS1_3genE8ELNS1_11target_archE1030ELNS1_3gpuE2ELNS1_3repE0EEENS1_30default_config_static_selectorELNS0_4arch9wavefront6targetE1EEEvT1_,"axG",@progbits,_ZN7rocprim17ROCPRIM_400000_NS6detail17trampoline_kernelINS0_14default_configENS1_20scan_config_selectorIN3c104HalfEEEZZNS1_9scan_implILNS1_25lookback_scan_determinismE0ELb0ELb0ES3_PKS6_PS6_S6_ZZZN2at6native31launch_logcumsumexp_cuda_kernelERKNSD_10TensorBaseESH_lENKUlvE_clEvENKUlvE3_clEvEUlS6_S6_E_S6_EEDaPvRmT3_T4_T5_mT6_P12ihipStream_tbENKUlT_T0_E_clISt17integral_constantIbLb0EESX_IbLb1EEEEDaST_SU_EUlST_E_NS1_11comp_targetILNS1_3genE8ELNS1_11target_archE1030ELNS1_3gpuE2ELNS1_3repE0EEENS1_30default_config_static_selectorELNS0_4arch9wavefront6targetE1EEEvT1_,comdat
	.globl	_ZN7rocprim17ROCPRIM_400000_NS6detail17trampoline_kernelINS0_14default_configENS1_20scan_config_selectorIN3c104HalfEEEZZNS1_9scan_implILNS1_25lookback_scan_determinismE0ELb0ELb0ES3_PKS6_PS6_S6_ZZZN2at6native31launch_logcumsumexp_cuda_kernelERKNSD_10TensorBaseESH_lENKUlvE_clEvENKUlvE3_clEvEUlS6_S6_E_S6_EEDaPvRmT3_T4_T5_mT6_P12ihipStream_tbENKUlT_T0_E_clISt17integral_constantIbLb0EESX_IbLb1EEEEDaST_SU_EUlST_E_NS1_11comp_targetILNS1_3genE8ELNS1_11target_archE1030ELNS1_3gpuE2ELNS1_3repE0EEENS1_30default_config_static_selectorELNS0_4arch9wavefront6targetE1EEEvT1_ ; -- Begin function _ZN7rocprim17ROCPRIM_400000_NS6detail17trampoline_kernelINS0_14default_configENS1_20scan_config_selectorIN3c104HalfEEEZZNS1_9scan_implILNS1_25lookback_scan_determinismE0ELb0ELb0ES3_PKS6_PS6_S6_ZZZN2at6native31launch_logcumsumexp_cuda_kernelERKNSD_10TensorBaseESH_lENKUlvE_clEvENKUlvE3_clEvEUlS6_S6_E_S6_EEDaPvRmT3_T4_T5_mT6_P12ihipStream_tbENKUlT_T0_E_clISt17integral_constantIbLb0EESX_IbLb1EEEEDaST_SU_EUlST_E_NS1_11comp_targetILNS1_3genE8ELNS1_11target_archE1030ELNS1_3gpuE2ELNS1_3repE0EEENS1_30default_config_static_selectorELNS0_4arch9wavefront6targetE1EEEvT1_
	.p2align	8
	.type	_ZN7rocprim17ROCPRIM_400000_NS6detail17trampoline_kernelINS0_14default_configENS1_20scan_config_selectorIN3c104HalfEEEZZNS1_9scan_implILNS1_25lookback_scan_determinismE0ELb0ELb0ES3_PKS6_PS6_S6_ZZZN2at6native31launch_logcumsumexp_cuda_kernelERKNSD_10TensorBaseESH_lENKUlvE_clEvENKUlvE3_clEvEUlS6_S6_E_S6_EEDaPvRmT3_T4_T5_mT6_P12ihipStream_tbENKUlT_T0_E_clISt17integral_constantIbLb0EESX_IbLb1EEEEDaST_SU_EUlST_E_NS1_11comp_targetILNS1_3genE8ELNS1_11target_archE1030ELNS1_3gpuE2ELNS1_3repE0EEENS1_30default_config_static_selectorELNS0_4arch9wavefront6targetE1EEEvT1_,@function
_ZN7rocprim17ROCPRIM_400000_NS6detail17trampoline_kernelINS0_14default_configENS1_20scan_config_selectorIN3c104HalfEEEZZNS1_9scan_implILNS1_25lookback_scan_determinismE0ELb0ELb0ES3_PKS6_PS6_S6_ZZZN2at6native31launch_logcumsumexp_cuda_kernelERKNSD_10TensorBaseESH_lENKUlvE_clEvENKUlvE3_clEvEUlS6_S6_E_S6_EEDaPvRmT3_T4_T5_mT6_P12ihipStream_tbENKUlT_T0_E_clISt17integral_constantIbLb0EESX_IbLb1EEEEDaST_SU_EUlST_E_NS1_11comp_targetILNS1_3genE8ELNS1_11target_archE1030ELNS1_3gpuE2ELNS1_3repE0EEENS1_30default_config_static_selectorELNS0_4arch9wavefront6targetE1EEEvT1_: ; @_ZN7rocprim17ROCPRIM_400000_NS6detail17trampoline_kernelINS0_14default_configENS1_20scan_config_selectorIN3c104HalfEEEZZNS1_9scan_implILNS1_25lookback_scan_determinismE0ELb0ELb0ES3_PKS6_PS6_S6_ZZZN2at6native31launch_logcumsumexp_cuda_kernelERKNSD_10TensorBaseESH_lENKUlvE_clEvENKUlvE3_clEvEUlS6_S6_E_S6_EEDaPvRmT3_T4_T5_mT6_P12ihipStream_tbENKUlT_T0_E_clISt17integral_constantIbLb0EESX_IbLb1EEEEDaST_SU_EUlST_E_NS1_11comp_targetILNS1_3genE8ELNS1_11target_archE1030ELNS1_3gpuE2ELNS1_3repE0EEENS1_30default_config_static_selectorELNS0_4arch9wavefront6targetE1EEEvT1_
; %bb.0:
	.section	.rodata,"a",@progbits
	.p2align	6, 0x0
	.amdhsa_kernel _ZN7rocprim17ROCPRIM_400000_NS6detail17trampoline_kernelINS0_14default_configENS1_20scan_config_selectorIN3c104HalfEEEZZNS1_9scan_implILNS1_25lookback_scan_determinismE0ELb0ELb0ES3_PKS6_PS6_S6_ZZZN2at6native31launch_logcumsumexp_cuda_kernelERKNSD_10TensorBaseESH_lENKUlvE_clEvENKUlvE3_clEvEUlS6_S6_E_S6_EEDaPvRmT3_T4_T5_mT6_P12ihipStream_tbENKUlT_T0_E_clISt17integral_constantIbLb0EESX_IbLb1EEEEDaST_SU_EUlST_E_NS1_11comp_targetILNS1_3genE8ELNS1_11target_archE1030ELNS1_3gpuE2ELNS1_3repE0EEENS1_30default_config_static_selectorELNS0_4arch9wavefront6targetE1EEEvT1_
		.amdhsa_group_segment_fixed_size 0
		.amdhsa_private_segment_fixed_size 0
		.amdhsa_kernarg_size 96
		.amdhsa_user_sgpr_count 2
		.amdhsa_user_sgpr_dispatch_ptr 0
		.amdhsa_user_sgpr_queue_ptr 0
		.amdhsa_user_sgpr_kernarg_segment_ptr 1
		.amdhsa_user_sgpr_dispatch_id 0
		.amdhsa_user_sgpr_kernarg_preload_length 0
		.amdhsa_user_sgpr_kernarg_preload_offset 0
		.amdhsa_user_sgpr_private_segment_size 0
		.amdhsa_uses_dynamic_stack 0
		.amdhsa_enable_private_segment 0
		.amdhsa_system_sgpr_workgroup_id_x 1
		.amdhsa_system_sgpr_workgroup_id_y 0
		.amdhsa_system_sgpr_workgroup_id_z 0
		.amdhsa_system_sgpr_workgroup_info 0
		.amdhsa_system_vgpr_workitem_id 0
		.amdhsa_next_free_vgpr 1
		.amdhsa_next_free_sgpr 0
		.amdhsa_accum_offset 4
		.amdhsa_reserve_vcc 0
		.amdhsa_float_round_mode_32 0
		.amdhsa_float_round_mode_16_64 0
		.amdhsa_float_denorm_mode_32 3
		.amdhsa_float_denorm_mode_16_64 3
		.amdhsa_dx10_clamp 1
		.amdhsa_ieee_mode 1
		.amdhsa_fp16_overflow 0
		.amdhsa_tg_split 0
		.amdhsa_exception_fp_ieee_invalid_op 0
		.amdhsa_exception_fp_denorm_src 0
		.amdhsa_exception_fp_ieee_div_zero 0
		.amdhsa_exception_fp_ieee_overflow 0
		.amdhsa_exception_fp_ieee_underflow 0
		.amdhsa_exception_fp_ieee_inexact 0
		.amdhsa_exception_int_div_zero 0
	.end_amdhsa_kernel
	.section	.text._ZN7rocprim17ROCPRIM_400000_NS6detail17trampoline_kernelINS0_14default_configENS1_20scan_config_selectorIN3c104HalfEEEZZNS1_9scan_implILNS1_25lookback_scan_determinismE0ELb0ELb0ES3_PKS6_PS6_S6_ZZZN2at6native31launch_logcumsumexp_cuda_kernelERKNSD_10TensorBaseESH_lENKUlvE_clEvENKUlvE3_clEvEUlS6_S6_E_S6_EEDaPvRmT3_T4_T5_mT6_P12ihipStream_tbENKUlT_T0_E_clISt17integral_constantIbLb0EESX_IbLb1EEEEDaST_SU_EUlST_E_NS1_11comp_targetILNS1_3genE8ELNS1_11target_archE1030ELNS1_3gpuE2ELNS1_3repE0EEENS1_30default_config_static_selectorELNS0_4arch9wavefront6targetE1EEEvT1_,"axG",@progbits,_ZN7rocprim17ROCPRIM_400000_NS6detail17trampoline_kernelINS0_14default_configENS1_20scan_config_selectorIN3c104HalfEEEZZNS1_9scan_implILNS1_25lookback_scan_determinismE0ELb0ELb0ES3_PKS6_PS6_S6_ZZZN2at6native31launch_logcumsumexp_cuda_kernelERKNSD_10TensorBaseESH_lENKUlvE_clEvENKUlvE3_clEvEUlS6_S6_E_S6_EEDaPvRmT3_T4_T5_mT6_P12ihipStream_tbENKUlT_T0_E_clISt17integral_constantIbLb0EESX_IbLb1EEEEDaST_SU_EUlST_E_NS1_11comp_targetILNS1_3genE8ELNS1_11target_archE1030ELNS1_3gpuE2ELNS1_3repE0EEENS1_30default_config_static_selectorELNS0_4arch9wavefront6targetE1EEEvT1_,comdat
.Lfunc_end424:
	.size	_ZN7rocprim17ROCPRIM_400000_NS6detail17trampoline_kernelINS0_14default_configENS1_20scan_config_selectorIN3c104HalfEEEZZNS1_9scan_implILNS1_25lookback_scan_determinismE0ELb0ELb0ES3_PKS6_PS6_S6_ZZZN2at6native31launch_logcumsumexp_cuda_kernelERKNSD_10TensorBaseESH_lENKUlvE_clEvENKUlvE3_clEvEUlS6_S6_E_S6_EEDaPvRmT3_T4_T5_mT6_P12ihipStream_tbENKUlT_T0_E_clISt17integral_constantIbLb0EESX_IbLb1EEEEDaST_SU_EUlST_E_NS1_11comp_targetILNS1_3genE8ELNS1_11target_archE1030ELNS1_3gpuE2ELNS1_3repE0EEENS1_30default_config_static_selectorELNS0_4arch9wavefront6targetE1EEEvT1_, .Lfunc_end424-_ZN7rocprim17ROCPRIM_400000_NS6detail17trampoline_kernelINS0_14default_configENS1_20scan_config_selectorIN3c104HalfEEEZZNS1_9scan_implILNS1_25lookback_scan_determinismE0ELb0ELb0ES3_PKS6_PS6_S6_ZZZN2at6native31launch_logcumsumexp_cuda_kernelERKNSD_10TensorBaseESH_lENKUlvE_clEvENKUlvE3_clEvEUlS6_S6_E_S6_EEDaPvRmT3_T4_T5_mT6_P12ihipStream_tbENKUlT_T0_E_clISt17integral_constantIbLb0EESX_IbLb1EEEEDaST_SU_EUlST_E_NS1_11comp_targetILNS1_3genE8ELNS1_11target_archE1030ELNS1_3gpuE2ELNS1_3repE0EEENS1_30default_config_static_selectorELNS0_4arch9wavefront6targetE1EEEvT1_
                                        ; -- End function
	.set _ZN7rocprim17ROCPRIM_400000_NS6detail17trampoline_kernelINS0_14default_configENS1_20scan_config_selectorIN3c104HalfEEEZZNS1_9scan_implILNS1_25lookback_scan_determinismE0ELb0ELb0ES3_PKS6_PS6_S6_ZZZN2at6native31launch_logcumsumexp_cuda_kernelERKNSD_10TensorBaseESH_lENKUlvE_clEvENKUlvE3_clEvEUlS6_S6_E_S6_EEDaPvRmT3_T4_T5_mT6_P12ihipStream_tbENKUlT_T0_E_clISt17integral_constantIbLb0EESX_IbLb1EEEEDaST_SU_EUlST_E_NS1_11comp_targetILNS1_3genE8ELNS1_11target_archE1030ELNS1_3gpuE2ELNS1_3repE0EEENS1_30default_config_static_selectorELNS0_4arch9wavefront6targetE1EEEvT1_.num_vgpr, 0
	.set _ZN7rocprim17ROCPRIM_400000_NS6detail17trampoline_kernelINS0_14default_configENS1_20scan_config_selectorIN3c104HalfEEEZZNS1_9scan_implILNS1_25lookback_scan_determinismE0ELb0ELb0ES3_PKS6_PS6_S6_ZZZN2at6native31launch_logcumsumexp_cuda_kernelERKNSD_10TensorBaseESH_lENKUlvE_clEvENKUlvE3_clEvEUlS6_S6_E_S6_EEDaPvRmT3_T4_T5_mT6_P12ihipStream_tbENKUlT_T0_E_clISt17integral_constantIbLb0EESX_IbLb1EEEEDaST_SU_EUlST_E_NS1_11comp_targetILNS1_3genE8ELNS1_11target_archE1030ELNS1_3gpuE2ELNS1_3repE0EEENS1_30default_config_static_selectorELNS0_4arch9wavefront6targetE1EEEvT1_.num_agpr, 0
	.set _ZN7rocprim17ROCPRIM_400000_NS6detail17trampoline_kernelINS0_14default_configENS1_20scan_config_selectorIN3c104HalfEEEZZNS1_9scan_implILNS1_25lookback_scan_determinismE0ELb0ELb0ES3_PKS6_PS6_S6_ZZZN2at6native31launch_logcumsumexp_cuda_kernelERKNSD_10TensorBaseESH_lENKUlvE_clEvENKUlvE3_clEvEUlS6_S6_E_S6_EEDaPvRmT3_T4_T5_mT6_P12ihipStream_tbENKUlT_T0_E_clISt17integral_constantIbLb0EESX_IbLb1EEEEDaST_SU_EUlST_E_NS1_11comp_targetILNS1_3genE8ELNS1_11target_archE1030ELNS1_3gpuE2ELNS1_3repE0EEENS1_30default_config_static_selectorELNS0_4arch9wavefront6targetE1EEEvT1_.numbered_sgpr, 0
	.set _ZN7rocprim17ROCPRIM_400000_NS6detail17trampoline_kernelINS0_14default_configENS1_20scan_config_selectorIN3c104HalfEEEZZNS1_9scan_implILNS1_25lookback_scan_determinismE0ELb0ELb0ES3_PKS6_PS6_S6_ZZZN2at6native31launch_logcumsumexp_cuda_kernelERKNSD_10TensorBaseESH_lENKUlvE_clEvENKUlvE3_clEvEUlS6_S6_E_S6_EEDaPvRmT3_T4_T5_mT6_P12ihipStream_tbENKUlT_T0_E_clISt17integral_constantIbLb0EESX_IbLb1EEEEDaST_SU_EUlST_E_NS1_11comp_targetILNS1_3genE8ELNS1_11target_archE1030ELNS1_3gpuE2ELNS1_3repE0EEENS1_30default_config_static_selectorELNS0_4arch9wavefront6targetE1EEEvT1_.num_named_barrier, 0
	.set _ZN7rocprim17ROCPRIM_400000_NS6detail17trampoline_kernelINS0_14default_configENS1_20scan_config_selectorIN3c104HalfEEEZZNS1_9scan_implILNS1_25lookback_scan_determinismE0ELb0ELb0ES3_PKS6_PS6_S6_ZZZN2at6native31launch_logcumsumexp_cuda_kernelERKNSD_10TensorBaseESH_lENKUlvE_clEvENKUlvE3_clEvEUlS6_S6_E_S6_EEDaPvRmT3_T4_T5_mT6_P12ihipStream_tbENKUlT_T0_E_clISt17integral_constantIbLb0EESX_IbLb1EEEEDaST_SU_EUlST_E_NS1_11comp_targetILNS1_3genE8ELNS1_11target_archE1030ELNS1_3gpuE2ELNS1_3repE0EEENS1_30default_config_static_selectorELNS0_4arch9wavefront6targetE1EEEvT1_.private_seg_size, 0
	.set _ZN7rocprim17ROCPRIM_400000_NS6detail17trampoline_kernelINS0_14default_configENS1_20scan_config_selectorIN3c104HalfEEEZZNS1_9scan_implILNS1_25lookback_scan_determinismE0ELb0ELb0ES3_PKS6_PS6_S6_ZZZN2at6native31launch_logcumsumexp_cuda_kernelERKNSD_10TensorBaseESH_lENKUlvE_clEvENKUlvE3_clEvEUlS6_S6_E_S6_EEDaPvRmT3_T4_T5_mT6_P12ihipStream_tbENKUlT_T0_E_clISt17integral_constantIbLb0EESX_IbLb1EEEEDaST_SU_EUlST_E_NS1_11comp_targetILNS1_3genE8ELNS1_11target_archE1030ELNS1_3gpuE2ELNS1_3repE0EEENS1_30default_config_static_selectorELNS0_4arch9wavefront6targetE1EEEvT1_.uses_vcc, 0
	.set _ZN7rocprim17ROCPRIM_400000_NS6detail17trampoline_kernelINS0_14default_configENS1_20scan_config_selectorIN3c104HalfEEEZZNS1_9scan_implILNS1_25lookback_scan_determinismE0ELb0ELb0ES3_PKS6_PS6_S6_ZZZN2at6native31launch_logcumsumexp_cuda_kernelERKNSD_10TensorBaseESH_lENKUlvE_clEvENKUlvE3_clEvEUlS6_S6_E_S6_EEDaPvRmT3_T4_T5_mT6_P12ihipStream_tbENKUlT_T0_E_clISt17integral_constantIbLb0EESX_IbLb1EEEEDaST_SU_EUlST_E_NS1_11comp_targetILNS1_3genE8ELNS1_11target_archE1030ELNS1_3gpuE2ELNS1_3repE0EEENS1_30default_config_static_selectorELNS0_4arch9wavefront6targetE1EEEvT1_.uses_flat_scratch, 0
	.set _ZN7rocprim17ROCPRIM_400000_NS6detail17trampoline_kernelINS0_14default_configENS1_20scan_config_selectorIN3c104HalfEEEZZNS1_9scan_implILNS1_25lookback_scan_determinismE0ELb0ELb0ES3_PKS6_PS6_S6_ZZZN2at6native31launch_logcumsumexp_cuda_kernelERKNSD_10TensorBaseESH_lENKUlvE_clEvENKUlvE3_clEvEUlS6_S6_E_S6_EEDaPvRmT3_T4_T5_mT6_P12ihipStream_tbENKUlT_T0_E_clISt17integral_constantIbLb0EESX_IbLb1EEEEDaST_SU_EUlST_E_NS1_11comp_targetILNS1_3genE8ELNS1_11target_archE1030ELNS1_3gpuE2ELNS1_3repE0EEENS1_30default_config_static_selectorELNS0_4arch9wavefront6targetE1EEEvT1_.has_dyn_sized_stack, 0
	.set _ZN7rocprim17ROCPRIM_400000_NS6detail17trampoline_kernelINS0_14default_configENS1_20scan_config_selectorIN3c104HalfEEEZZNS1_9scan_implILNS1_25lookback_scan_determinismE0ELb0ELb0ES3_PKS6_PS6_S6_ZZZN2at6native31launch_logcumsumexp_cuda_kernelERKNSD_10TensorBaseESH_lENKUlvE_clEvENKUlvE3_clEvEUlS6_S6_E_S6_EEDaPvRmT3_T4_T5_mT6_P12ihipStream_tbENKUlT_T0_E_clISt17integral_constantIbLb0EESX_IbLb1EEEEDaST_SU_EUlST_E_NS1_11comp_targetILNS1_3genE8ELNS1_11target_archE1030ELNS1_3gpuE2ELNS1_3repE0EEENS1_30default_config_static_selectorELNS0_4arch9wavefront6targetE1EEEvT1_.has_recursion, 0
	.set _ZN7rocprim17ROCPRIM_400000_NS6detail17trampoline_kernelINS0_14default_configENS1_20scan_config_selectorIN3c104HalfEEEZZNS1_9scan_implILNS1_25lookback_scan_determinismE0ELb0ELb0ES3_PKS6_PS6_S6_ZZZN2at6native31launch_logcumsumexp_cuda_kernelERKNSD_10TensorBaseESH_lENKUlvE_clEvENKUlvE3_clEvEUlS6_S6_E_S6_EEDaPvRmT3_T4_T5_mT6_P12ihipStream_tbENKUlT_T0_E_clISt17integral_constantIbLb0EESX_IbLb1EEEEDaST_SU_EUlST_E_NS1_11comp_targetILNS1_3genE8ELNS1_11target_archE1030ELNS1_3gpuE2ELNS1_3repE0EEENS1_30default_config_static_selectorELNS0_4arch9wavefront6targetE1EEEvT1_.has_indirect_call, 0
	.section	.AMDGPU.csdata,"",@progbits
; Kernel info:
; codeLenInByte = 0
; TotalNumSgprs: 6
; NumVgprs: 0
; NumAgprs: 0
; TotalNumVgprs: 0
; ScratchSize: 0
; MemoryBound: 0
; FloatMode: 240
; IeeeMode: 1
; LDSByteSize: 0 bytes/workgroup (compile time only)
; SGPRBlocks: 0
; VGPRBlocks: 0
; NumSGPRsForWavesPerEU: 6
; NumVGPRsForWavesPerEU: 1
; AccumOffset: 4
; Occupancy: 8
; WaveLimiterHint : 0
; COMPUTE_PGM_RSRC2:SCRATCH_EN: 0
; COMPUTE_PGM_RSRC2:USER_SGPR: 2
; COMPUTE_PGM_RSRC2:TRAP_HANDLER: 0
; COMPUTE_PGM_RSRC2:TGID_X_EN: 1
; COMPUTE_PGM_RSRC2:TGID_Y_EN: 0
; COMPUTE_PGM_RSRC2:TGID_Z_EN: 0
; COMPUTE_PGM_RSRC2:TIDIG_COMP_CNT: 0
; COMPUTE_PGM_RSRC3_GFX90A:ACCUM_OFFSET: 0
; COMPUTE_PGM_RSRC3_GFX90A:TG_SPLIT: 0
	.section	.text._ZN7rocprim17ROCPRIM_400000_NS6detail17trampoline_kernelINS0_14default_configENS1_20scan_config_selectorIN3c104HalfEEEZZNS1_9scan_implILNS1_25lookback_scan_determinismE0ELb0ELb0ES3_PKS6_PS6_S6_ZZZN2at6native31launch_logcumsumexp_cuda_kernelERKNSD_10TensorBaseESH_lENKUlvE_clEvENKUlvE3_clEvEUlS6_S6_E_S6_EEDaPvRmT3_T4_T5_mT6_P12ihipStream_tbENKUlT_T0_E_clISt17integral_constantIbLb0EESX_IbLb1EEEEDaST_SU_EUlST_E0_NS1_11comp_targetILNS1_3genE0ELNS1_11target_archE4294967295ELNS1_3gpuE0ELNS1_3repE0EEENS1_30default_config_static_selectorELNS0_4arch9wavefront6targetE1EEEvT1_,"axG",@progbits,_ZN7rocprim17ROCPRIM_400000_NS6detail17trampoline_kernelINS0_14default_configENS1_20scan_config_selectorIN3c104HalfEEEZZNS1_9scan_implILNS1_25lookback_scan_determinismE0ELb0ELb0ES3_PKS6_PS6_S6_ZZZN2at6native31launch_logcumsumexp_cuda_kernelERKNSD_10TensorBaseESH_lENKUlvE_clEvENKUlvE3_clEvEUlS6_S6_E_S6_EEDaPvRmT3_T4_T5_mT6_P12ihipStream_tbENKUlT_T0_E_clISt17integral_constantIbLb0EESX_IbLb1EEEEDaST_SU_EUlST_E0_NS1_11comp_targetILNS1_3genE0ELNS1_11target_archE4294967295ELNS1_3gpuE0ELNS1_3repE0EEENS1_30default_config_static_selectorELNS0_4arch9wavefront6targetE1EEEvT1_,comdat
	.globl	_ZN7rocprim17ROCPRIM_400000_NS6detail17trampoline_kernelINS0_14default_configENS1_20scan_config_selectorIN3c104HalfEEEZZNS1_9scan_implILNS1_25lookback_scan_determinismE0ELb0ELb0ES3_PKS6_PS6_S6_ZZZN2at6native31launch_logcumsumexp_cuda_kernelERKNSD_10TensorBaseESH_lENKUlvE_clEvENKUlvE3_clEvEUlS6_S6_E_S6_EEDaPvRmT3_T4_T5_mT6_P12ihipStream_tbENKUlT_T0_E_clISt17integral_constantIbLb0EESX_IbLb1EEEEDaST_SU_EUlST_E0_NS1_11comp_targetILNS1_3genE0ELNS1_11target_archE4294967295ELNS1_3gpuE0ELNS1_3repE0EEENS1_30default_config_static_selectorELNS0_4arch9wavefront6targetE1EEEvT1_ ; -- Begin function _ZN7rocprim17ROCPRIM_400000_NS6detail17trampoline_kernelINS0_14default_configENS1_20scan_config_selectorIN3c104HalfEEEZZNS1_9scan_implILNS1_25lookback_scan_determinismE0ELb0ELb0ES3_PKS6_PS6_S6_ZZZN2at6native31launch_logcumsumexp_cuda_kernelERKNSD_10TensorBaseESH_lENKUlvE_clEvENKUlvE3_clEvEUlS6_S6_E_S6_EEDaPvRmT3_T4_T5_mT6_P12ihipStream_tbENKUlT_T0_E_clISt17integral_constantIbLb0EESX_IbLb1EEEEDaST_SU_EUlST_E0_NS1_11comp_targetILNS1_3genE0ELNS1_11target_archE4294967295ELNS1_3gpuE0ELNS1_3repE0EEENS1_30default_config_static_selectorELNS0_4arch9wavefront6targetE1EEEvT1_
	.p2align	8
	.type	_ZN7rocprim17ROCPRIM_400000_NS6detail17trampoline_kernelINS0_14default_configENS1_20scan_config_selectorIN3c104HalfEEEZZNS1_9scan_implILNS1_25lookback_scan_determinismE0ELb0ELb0ES3_PKS6_PS6_S6_ZZZN2at6native31launch_logcumsumexp_cuda_kernelERKNSD_10TensorBaseESH_lENKUlvE_clEvENKUlvE3_clEvEUlS6_S6_E_S6_EEDaPvRmT3_T4_T5_mT6_P12ihipStream_tbENKUlT_T0_E_clISt17integral_constantIbLb0EESX_IbLb1EEEEDaST_SU_EUlST_E0_NS1_11comp_targetILNS1_3genE0ELNS1_11target_archE4294967295ELNS1_3gpuE0ELNS1_3repE0EEENS1_30default_config_static_selectorELNS0_4arch9wavefront6targetE1EEEvT1_,@function
_ZN7rocprim17ROCPRIM_400000_NS6detail17trampoline_kernelINS0_14default_configENS1_20scan_config_selectorIN3c104HalfEEEZZNS1_9scan_implILNS1_25lookback_scan_determinismE0ELb0ELb0ES3_PKS6_PS6_S6_ZZZN2at6native31launch_logcumsumexp_cuda_kernelERKNSD_10TensorBaseESH_lENKUlvE_clEvENKUlvE3_clEvEUlS6_S6_E_S6_EEDaPvRmT3_T4_T5_mT6_P12ihipStream_tbENKUlT_T0_E_clISt17integral_constantIbLb0EESX_IbLb1EEEEDaST_SU_EUlST_E0_NS1_11comp_targetILNS1_3genE0ELNS1_11target_archE4294967295ELNS1_3gpuE0ELNS1_3repE0EEENS1_30default_config_static_selectorELNS0_4arch9wavefront6targetE1EEEvT1_: ; @_ZN7rocprim17ROCPRIM_400000_NS6detail17trampoline_kernelINS0_14default_configENS1_20scan_config_selectorIN3c104HalfEEEZZNS1_9scan_implILNS1_25lookback_scan_determinismE0ELb0ELb0ES3_PKS6_PS6_S6_ZZZN2at6native31launch_logcumsumexp_cuda_kernelERKNSD_10TensorBaseESH_lENKUlvE_clEvENKUlvE3_clEvEUlS6_S6_E_S6_EEDaPvRmT3_T4_T5_mT6_P12ihipStream_tbENKUlT_T0_E_clISt17integral_constantIbLb0EESX_IbLb1EEEEDaST_SU_EUlST_E0_NS1_11comp_targetILNS1_3genE0ELNS1_11target_archE4294967295ELNS1_3gpuE0ELNS1_3repE0EEENS1_30default_config_static_selectorELNS0_4arch9wavefront6targetE1EEEvT1_
; %bb.0:
	s_load_dwordx4 s[28:31], s[0:1], 0x0
	v_mov_b32_e32 v1, 0
	v_lshlrev_b32_e32 v8, 1, v0
	s_waitcnt lgkmcnt(0)
	global_load_ushort v1, v1, s[28:29]
	v_cmp_gt_u32_e32 vcc, s30, v0
	s_waitcnt vmcnt(0)
	v_mov_b32_e32 v2, v1
	s_and_saveexec_b64 s[2:3], vcc
	s_cbranch_execz .LBB425_2
; %bb.1:
	global_load_ushort v2, v8, s[28:29]
.LBB425_2:
	s_or_b64 exec, exec, s[2:3]
	v_or_b32_e32 v3, 0x80, v0
	v_cmp_gt_u32_e64 s[56:57], s30, v3
	v_mov_b32_e32 v3, v1
	s_and_saveexec_b64 s[2:3], s[56:57]
	s_cbranch_execz .LBB425_4
; %bb.3:
	global_load_ushort v3, v8, s[28:29] offset:256
.LBB425_4:
	s_or_b64 exec, exec, s[2:3]
	v_or_b32_e32 v4, 0x100, v0
	v_cmp_gt_u32_e64 s[2:3], s30, v4
	v_mov_b32_e32 v4, v1
	s_and_saveexec_b64 s[4:5], s[2:3]
	s_cbranch_execz .LBB425_6
; %bb.5:
	global_load_ushort v4, v8, s[28:29] offset:512
.LBB425_6:
	;; [unrolled: 9-line block ×12, first 2 shown]
	s_or_b64 exec, exec, s[24:25]
	v_or_b32_e32 v16, 0x680, v0
	v_cmp_gt_u32_e64 s[24:25], s30, v16
	v_cmp_le_u32_e64 s[26:27], s30, v16
	s_and_saveexec_b64 s[30:31], s[26:27]
	s_xor_b64 s[26:27], exec, s[30:31]
	s_andn2_saveexec_b64 s[26:27], s[26:27]
	s_cbranch_execz .LBB425_28
; %bb.27:
	v_lshlrev_b32_e32 v1, 1, v0
	global_load_ushort v1, v1, s[28:29] offset:3328
.LBB425_28:
	s_or_b64 exec, exec, s[26:27]
	s_waitcnt vmcnt(0)
	ds_write_b16 v8, v2
	ds_write_b16 v8, v3 offset:256
	ds_write_b16 v8, v4 offset:512
	;; [unrolled: 1-line block ×13, first 2 shown]
	v_mad_u32_u24 v1, v0, 26, v8
	s_waitcnt lgkmcnt(0)
	s_barrier
	ds_read2_b32 v[2:3], v1 offset1:1
	ds_read2_b32 v[6:7], v1 offset0:2 offset1:3
	ds_read2_b32 v[4:5], v1 offset0:4 offset1:5
	ds_read_b32 v19, v1 offset:24
	s_movk_i32 s33, 0x1f8
	s_waitcnt lgkmcnt(3)
	v_cvt_f32_f16_e32 v1, v2
	v_cvt_f32_f16_sdwa v9, v2 dst_sel:DWORD dst_unused:UNUSED_PAD src0_sel:WORD_1
	v_cmp_u_f16_e64 s[54:55], v2, v2
	v_cmp_u_f16_sdwa s[26:27], v2, v2 src0_sel:WORD_1 src1_sel:WORD_1
	v_mov_b32_e32 v22, v1
	v_min_f32_e32 v17, v1, v9
	v_cndmask_b32_e64 v10, v17, v1, s[54:55]
	v_max_f32_e32 v18, v1, v9
	v_cndmask_b32_e64 v11, v10, v9, s[26:27]
	v_cndmask_b32_e64 v10, v18, v1, s[54:55]
	;; [unrolled: 1-line block ×3, first 2 shown]
	v_cmp_neq_f32_e64 s[28:29], v11, v10
	v_cmp_class_f32_e64 s[30:31], v11, s33
	s_or_b64 s[28:29], s[28:29], s[30:31]
	v_mov_b32_e32 v20, v2
	v_mov_b32_e32 v21, v2
	s_waitcnt lgkmcnt(0)
	s_barrier
	s_and_saveexec_b64 s[30:31], s[28:29]
	s_cbranch_execz .LBB425_30
; %bb.29:
	v_sub_f32_e32 v11, v11, v10
	s_mov_b32 s28, 0x3fb8aa3b
	v_mul_f32_e32 v12, 0x3fb8aa3b, v11
	v_fma_f32 v13, v11, s28, -v12
	v_rndne_f32_e32 v14, v12
	v_fmamk_f32 v13, v11, 0x32a5705f, v13
	v_sub_f32_e32 v12, v12, v14
	v_add_f32_e32 v12, v12, v13
	v_exp_f32_e32 v12, v12
	v_cvt_i32_f32_e32 v13, v14
	s_mov_b32 s28, 0xc2ce8ed0
	v_cmp_ngt_f32_e64 s[28:29], s28, v11
	v_mov_b32_e32 v16, 0x7f800000
	v_ldexp_f32 v12, v12, v13
	v_cndmask_b32_e64 v12, 0, v12, s[28:29]
	s_mov_b32 s28, 0x42b17218
	v_cmp_nlt_f32_e64 s[28:29], s28, v11
	s_mov_b32 s34, 0x7f800000
	s_nop 0
	v_cndmask_b32_e64 v11, v16, v12, s[28:29]
	v_add_f32_e32 v14, 1.0, v11
	v_add_f32_e32 v12, -1.0, v14
	v_sub_f32_e32 v13, v12, v14
	v_add_f32_e32 v13, 1.0, v13
	v_sub_f32_e32 v12, v11, v12
	v_add_f32_e32 v15, v12, v13
	v_frexp_mant_f32_e32 v20, v14
	s_mov_b32 s28, 0x3f2aaaab
	v_cvt_f64_f32_e32 v[12:13], v14
	v_frexp_exp_i32_f64_e32 v12, v[12:13]
	v_cmp_gt_f32_e64 s[28:29], s28, v20
	s_nop 1
	v_subbrev_co_u32_e64 v24, s[28:29], 0, v12, s[28:29]
	v_sub_u32_e32 v12, 0, v24
	v_ldexp_f32 v13, v14, v12
	v_add_f32_e32 v14, -1.0, v13
	v_add_f32_e32 v20, 1.0, v13
	v_ldexp_f32 v12, v15, v12
	v_add_f32_e32 v15, 1.0, v14
	v_add_f32_e32 v21, -1.0, v20
	v_sub_f32_e32 v15, v13, v15
	v_sub_f32_e32 v13, v13, v21
	v_add_f32_e32 v15, v12, v15
	v_add_f32_e32 v12, v12, v13
	;; [unrolled: 1-line block ×3, first 2 shown]
	v_rcp_f32_e32 v27, v25
	v_sub_f32_e32 v13, v20, v25
	v_add_f32_e32 v26, v12, v13
	v_add_f32_e32 v13, v14, v15
	v_mul_f32_e32 v29, v13, v27
	v_sub_f32_e32 v12, v14, v13
	v_mul_f32_e32 v14, v25, v29
	v_fma_f32 v20, v29, v25, -v14
	v_fmac_f32_e32 v20, v29, v26
	v_add_f32_e32 v28, v15, v12
	v_add_f32_e32 v12, v14, v20
	v_sub_f32_e32 v15, v13, v12
	v_pk_add_f32 v[22:23], v[12:13], v[14:15] neg_lo:[0,1] neg_hi:[0,1]
	v_mov_b32_e32 v21, v12
	v_pk_add_f32 v[12:13], v[22:23], v[20:21] neg_lo:[0,1] neg_hi:[0,1]
	s_mov_b32 s28, 0x3f317218
	v_add_f32_e32 v13, v28, v13
	v_add_f32_e32 v12, v12, v13
	;; [unrolled: 1-line block ×3, first 2 shown]
	v_mul_f32_e32 v28, v27, v13
	v_mul_f32_e32 v14, v25, v28
	v_fma_f32 v20, v28, v25, -v14
	v_fmac_f32_e32 v20, v28, v26
	v_sub_f32_e32 v15, v15, v13
	v_add_f32_e32 v25, v12, v15
	v_add_f32_e32 v12, v14, v20
	v_sub_f32_e32 v15, v13, v12
	v_pk_add_f32 v[22:23], v[12:13], v[14:15] neg_lo:[0,1] neg_hi:[0,1]
	v_mov_b32_e32 v21, v12
	v_pk_add_f32 v[12:13], v[22:23], v[20:21] neg_lo:[0,1] neg_hi:[0,1]
	v_cvt_f32_i32_e32 v14, v24
	v_add_f32_e32 v13, v25, v13
	v_add_f32_e32 v12, v12, v13
	;; [unrolled: 1-line block ×4, first 2 shown]
	v_sub_f32_e32 v13, v15, v29
	v_mul_f32_e32 v12, v27, v12
	v_sub_f32_e32 v13, v28, v13
	v_add_f32_e32 v12, v13, v12
	v_add_f32_e32 v20, v15, v12
	v_mul_f32_e32 v22, v20, v20
	v_mov_b32_e32 v13, 0x3ecc95a3
	v_sub_f32_e32 v15, v20, v15
	v_fmac_f32_e32 v13, 0x3e9b6dac, v22
	v_sub_f32_e32 v12, v12, v15
	v_fmaak_f32 v13, v22, v13, 0x3f2aaada
	v_ldexp_f32 v23, v12, 1
	v_mul_f32_e32 v15, v20, v22
	v_mov_b32_e32 v12, 0x3f317218
	v_pk_mul_f32 v[12:13], v[14:15], v[12:13]
	v_ldexp_f32 v21, v20, 1
	v_fma_f32 v15, v14, s28, -v12
	v_fmamk_f32 v20, v14, 0xb102e308, v15
	v_pk_add_f32 v[14:15], v[12:13], v[20:21]
	v_mov_b32_e32 v22, v12
	v_sub_f32_e32 v21, v15, v21
	v_sub_f32_e32 v21, v13, v21
	v_add_f32_e32 v23, v23, v21
	v_pk_add_f32 v[12:13], v[14:15], v[12:13] neg_lo:[0,1] neg_hi:[0,1]
	v_pk_add_f32 v[24:25], v[14:15], v[22:23]
	v_mov_b32_e32 v21, v14
	v_mov_b32_e32 v13, v25
	v_pk_add_f32 v[26:27], v[20:21], v[12:13] neg_lo:[0,1] neg_hi:[0,1]
	v_pk_add_f32 v[12:13], v[20:21], v[12:13]
	v_mov_b32_e32 v22, v23
	v_pk_add_f32 v[20:21], v[12:13], v[14:15] op_sel:[1,0] op_sel_hi:[0,1] neg_lo:[0,1] neg_hi:[0,1]
	v_pk_add_f32 v[28:29], v[24:25], v[20:21] op_sel_hi:[1,0] neg_lo:[0,1] neg_hi:[0,1]
	v_mov_b32_e32 v24, v25
	v_mov_b32_e32 v25, v13
	v_pk_mov_b32 v[20:21], v[14:15], v[20:21] op_sel:[1,0]
	v_mov_b32_e32 v23, v14
	v_pk_add_f32 v[20:21], v[24:25], v[20:21] neg_lo:[0,1] neg_hi:[0,1]
	v_mov_b32_e32 v28, v26
	v_pk_add_f32 v[14:15], v[22:23], v[20:21] neg_lo:[0,1] neg_hi:[0,1]
	v_mov_b32_e32 v27, v13
	v_pk_add_f32 v[20:21], v[28:29], v[14:15]
	v_cmp_neq_f32_e64 s[28:29], s34, v11
	v_pk_add_f32 v[22:23], v[20:21], v[20:21] op_sel:[0,1] op_sel_hi:[1,0]
	s_nop 0
	v_pk_add_f32 v[12:13], v[12:13], v[22:23] op_sel:[1,0] op_sel_hi:[0,1]
	v_mov_b32_e32 v21, v12
	v_pk_add_f32 v[24:25], v[20:21], v[26:27] neg_lo:[0,1] neg_hi:[0,1]
	v_mov_b32_e32 v15, v22
	v_sub_f32_e32 v13, v20, v24
	v_pk_add_f32 v[14:15], v[14:15], v[24:25] neg_lo:[0,1] neg_hi:[0,1]
	v_sub_f32_e32 v13, v26, v13
	v_add_f32_e32 v13, v14, v13
	v_add_f32_e32 v13, v13, v15
	v_add_f32_e32 v12, v12, v13
	v_cndmask_b32_e64 v12, v16, v12, s[28:29]
	s_mov_b32 s28, 0x33800000
	v_cmp_lt_f32_e64 s[28:29], |v11|, s28
	s_nop 1
	v_cndmask_b32_e64 v11, v12, v11, s[28:29]
	v_add_f32_e32 v10, v10, v11
	v_cvt_f16_f32_e32 v20, v10
	v_cvt_f32_f16_e32 v22, v20
	v_mov_b32_e32 v21, v20
.LBB425_30:
	s_or_b64 exec, exec, s[30:31]
	v_cvt_f32_f16_e32 v10, v3
	v_max_f32_e32 v11, v22, v22
	v_cmp_u_f16_e64 s[30:31], v20, v20
	v_cmp_u_f16_e64 s[28:29], v3, v3
	v_min_f32_e32 v12, v11, v10
	v_max_f32_e32 v11, v11, v10
	v_cndmask_b32_e64 v12, v12, v22, s[30:31]
	v_cndmask_b32_e64 v11, v11, v22, s[30:31]
	;; [unrolled: 1-line block ×4, first 2 shown]
	v_cmp_neq_f32_e64 s[30:31], v12, v11
	v_cmp_class_f32_e64 s[34:35], v12, s33
	s_or_b64 s[30:31], s[30:31], s[34:35]
	s_and_saveexec_b64 s[34:35], s[30:31]
	s_cbranch_execz .LBB425_32
; %bb.31:
	v_sub_f32_e32 v12, v12, v11
	s_mov_b32 s30, 0x3fb8aa3b
	v_mul_f32_e32 v13, 0x3fb8aa3b, v12
	v_fma_f32 v14, v12, s30, -v13
	v_rndne_f32_e32 v15, v13
	v_fmamk_f32 v14, v12, 0x32a5705f, v14
	v_sub_f32_e32 v13, v13, v15
	v_add_f32_e32 v13, v13, v14
	v_exp_f32_e32 v13, v13
	v_cvt_i32_f32_e32 v14, v15
	s_mov_b32 s30, 0xc2ce8ed0
	v_cmp_ngt_f32_e64 s[30:31], s30, v12
	v_mov_b32_e32 v16, 0x7f800000
	v_ldexp_f32 v13, v13, v14
	v_cndmask_b32_e64 v13, 0, v13, s[30:31]
	s_mov_b32 s30, 0x42b17218
	v_cmp_nlt_f32_e64 s[30:31], s30, v12
	s_mov_b32 s33, 0x7f800000
	s_nop 0
	v_cndmask_b32_e64 v30, v16, v13, s[30:31]
	v_add_f32_e32 v14, 1.0, v30
	v_add_f32_e32 v12, -1.0, v14
	v_sub_f32_e32 v13, v12, v14
	v_add_f32_e32 v13, 1.0, v13
	v_sub_f32_e32 v12, v30, v12
	v_add_f32_e32 v15, v12, v13
	v_frexp_mant_f32_e32 v20, v14
	s_mov_b32 s30, 0x3f2aaaab
	v_cvt_f64_f32_e32 v[12:13], v14
	v_frexp_exp_i32_f64_e32 v12, v[12:13]
	v_cmp_gt_f32_e64 s[30:31], s30, v20
	s_nop 1
	v_subbrev_co_u32_e64 v24, s[30:31], 0, v12, s[30:31]
	v_sub_u32_e32 v12, 0, v24
	v_ldexp_f32 v13, v14, v12
	v_add_f32_e32 v14, -1.0, v13
	v_add_f32_e32 v20, 1.0, v13
	v_ldexp_f32 v12, v15, v12
	v_add_f32_e32 v15, 1.0, v14
	v_add_f32_e32 v21, -1.0, v20
	v_sub_f32_e32 v15, v13, v15
	v_sub_f32_e32 v13, v13, v21
	v_add_f32_e32 v15, v12, v15
	v_add_f32_e32 v12, v12, v13
	;; [unrolled: 1-line block ×3, first 2 shown]
	v_rcp_f32_e32 v27, v25
	v_sub_f32_e32 v13, v20, v25
	v_add_f32_e32 v26, v12, v13
	v_add_f32_e32 v13, v14, v15
	v_mul_f32_e32 v29, v13, v27
	v_sub_f32_e32 v12, v14, v13
	v_mul_f32_e32 v14, v25, v29
	v_fma_f32 v20, v29, v25, -v14
	v_fmac_f32_e32 v20, v29, v26
	v_add_f32_e32 v28, v15, v12
	v_add_f32_e32 v12, v14, v20
	v_sub_f32_e32 v15, v13, v12
	v_pk_add_f32 v[22:23], v[12:13], v[14:15] neg_lo:[0,1] neg_hi:[0,1]
	v_mov_b32_e32 v21, v12
	v_pk_add_f32 v[12:13], v[22:23], v[20:21] neg_lo:[0,1] neg_hi:[0,1]
	s_mov_b32 s30, 0x3f317218
	v_add_f32_e32 v13, v28, v13
	v_add_f32_e32 v12, v12, v13
	;; [unrolled: 1-line block ×3, first 2 shown]
	v_mul_f32_e32 v28, v27, v13
	v_mul_f32_e32 v14, v25, v28
	v_fma_f32 v20, v28, v25, -v14
	v_fmac_f32_e32 v20, v28, v26
	v_sub_f32_e32 v15, v15, v13
	v_add_f32_e32 v25, v12, v15
	v_add_f32_e32 v12, v14, v20
	v_sub_f32_e32 v15, v13, v12
	v_pk_add_f32 v[22:23], v[12:13], v[14:15] neg_lo:[0,1] neg_hi:[0,1]
	v_mov_b32_e32 v21, v12
	v_pk_add_f32 v[12:13], v[22:23], v[20:21] neg_lo:[0,1] neg_hi:[0,1]
	v_cvt_f32_i32_e32 v14, v24
	v_add_f32_e32 v13, v25, v13
	v_add_f32_e32 v12, v12, v13
	v_add_f32_e32 v12, v15, v12
	v_add_f32_e32 v15, v29, v28
	v_sub_f32_e32 v13, v15, v29
	v_mul_f32_e32 v12, v27, v12
	v_sub_f32_e32 v13, v28, v13
	v_add_f32_e32 v12, v13, v12
	v_add_f32_e32 v20, v15, v12
	v_mul_f32_e32 v22, v20, v20
	v_mov_b32_e32 v13, 0x3ecc95a3
	v_sub_f32_e32 v15, v20, v15
	v_fmac_f32_e32 v13, 0x3e9b6dac, v22
	v_sub_f32_e32 v12, v12, v15
	v_fmaak_f32 v13, v22, v13, 0x3f2aaada
	v_ldexp_f32 v23, v12, 1
	v_mul_f32_e32 v15, v20, v22
	v_mov_b32_e32 v12, 0x3f317218
	v_pk_mul_f32 v[12:13], v[14:15], v[12:13]
	v_ldexp_f32 v21, v20, 1
	v_fma_f32 v15, v14, s30, -v12
	v_fmamk_f32 v20, v14, 0xb102e308, v15
	v_pk_add_f32 v[14:15], v[12:13], v[20:21]
	v_mov_b32_e32 v22, v12
	v_sub_f32_e32 v21, v15, v21
	v_sub_f32_e32 v21, v13, v21
	v_add_f32_e32 v23, v23, v21
	v_pk_add_f32 v[12:13], v[14:15], v[12:13] neg_lo:[0,1] neg_hi:[0,1]
	v_pk_add_f32 v[24:25], v[14:15], v[22:23]
	v_mov_b32_e32 v21, v14
	v_mov_b32_e32 v13, v25
	v_pk_add_f32 v[26:27], v[20:21], v[12:13] neg_lo:[0,1] neg_hi:[0,1]
	v_pk_add_f32 v[12:13], v[20:21], v[12:13]
	v_mov_b32_e32 v22, v23
	v_pk_add_f32 v[20:21], v[12:13], v[14:15] op_sel:[1,0] op_sel_hi:[0,1] neg_lo:[0,1] neg_hi:[0,1]
	v_pk_add_f32 v[28:29], v[24:25], v[20:21] op_sel_hi:[1,0] neg_lo:[0,1] neg_hi:[0,1]
	v_mov_b32_e32 v24, v25
	v_mov_b32_e32 v25, v13
	v_pk_mov_b32 v[20:21], v[14:15], v[20:21] op_sel:[1,0]
	v_mov_b32_e32 v23, v14
	v_pk_add_f32 v[20:21], v[24:25], v[20:21] neg_lo:[0,1] neg_hi:[0,1]
	v_mov_b32_e32 v28, v26
	v_pk_add_f32 v[14:15], v[22:23], v[20:21] neg_lo:[0,1] neg_hi:[0,1]
	v_mov_b32_e32 v27, v13
	v_pk_add_f32 v[20:21], v[28:29], v[14:15]
	v_cmp_neq_f32_e64 s[30:31], s33, v30
	v_pk_add_f32 v[22:23], v[20:21], v[20:21] op_sel:[0,1] op_sel_hi:[1,0]
	s_nop 0
	v_pk_add_f32 v[12:13], v[12:13], v[22:23] op_sel:[1,0] op_sel_hi:[0,1]
	v_mov_b32_e32 v21, v12
	v_pk_add_f32 v[24:25], v[20:21], v[26:27] neg_lo:[0,1] neg_hi:[0,1]
	v_mov_b32_e32 v15, v22
	v_sub_f32_e32 v13, v20, v24
	v_pk_add_f32 v[14:15], v[14:15], v[24:25] neg_lo:[0,1] neg_hi:[0,1]
	v_sub_f32_e32 v13, v26, v13
	v_add_f32_e32 v13, v14, v13
	v_add_f32_e32 v13, v13, v15
	;; [unrolled: 1-line block ×3, first 2 shown]
	v_cndmask_b32_e64 v12, v16, v12, s[30:31]
	s_mov_b32 s30, 0x33800000
	v_cmp_lt_f32_e64 s[30:31], |v30|, s30
	s_nop 1
	v_cndmask_b32_e64 v12, v12, v30, s[30:31]
	v_add_f32_e32 v11, v11, v12
	v_cvt_f16_f32_e32 v20, v11
	v_cvt_f32_f16_e32 v22, v20
	v_mov_b32_e32 v21, v20
.LBB425_32:
	s_or_b64 exec, exec, s[34:35]
	v_cvt_f32_f16_sdwa v11, v3 dst_sel:DWORD dst_unused:UNUSED_PAD src0_sel:WORD_1
	v_max_f32_e32 v13, v22, v22
	v_cmp_u_f16_e64 s[34:35], v20, v20
	v_cmp_u_f16_sdwa s[30:31], v3, v3 src0_sel:WORD_1 src1_sel:WORD_1
	v_min_f32_e32 v12, v13, v11
	v_max_f32_e32 v3, v13, v11
	v_cndmask_b32_e64 v12, v12, v22, s[34:35]
	v_cndmask_b32_e64 v3, v3, v22, s[34:35]
	;; [unrolled: 1-line block ×4, first 2 shown]
	s_movk_i32 s33, 0x1f8
	v_cmp_neq_f32_e64 s[34:35], v12, v3
	v_cmp_class_f32_e64 s[36:37], v12, s33
	s_or_b64 s[34:35], s[34:35], s[36:37]
	s_and_saveexec_b64 s[36:37], s[34:35]
	s_cbranch_execz .LBB425_34
; %bb.33:
	v_sub_f32_e32 v12, v12, v3
	s_mov_b32 s34, 0x3fb8aa3b
	v_mul_f32_e32 v13, 0x3fb8aa3b, v12
	v_fma_f32 v14, v12, s34, -v13
	v_rndne_f32_e32 v15, v13
	v_fmamk_f32 v14, v12, 0x32a5705f, v14
	v_sub_f32_e32 v13, v13, v15
	v_add_f32_e32 v13, v13, v14
	v_exp_f32_e32 v13, v13
	v_cvt_i32_f32_e32 v14, v15
	s_mov_b32 s34, 0xc2ce8ed0
	v_cmp_ngt_f32_e64 s[34:35], s34, v12
	v_mov_b32_e32 v16, 0x7f800000
	v_ldexp_f32 v13, v13, v14
	v_cndmask_b32_e64 v13, 0, v13, s[34:35]
	s_mov_b32 s34, 0x42b17218
	v_cmp_nlt_f32_e64 s[34:35], s34, v12
	s_mov_b32 s38, 0x7f800000
	s_nop 0
	v_cndmask_b32_e64 v30, v16, v13, s[34:35]
	v_add_f32_e32 v14, 1.0, v30
	v_add_f32_e32 v12, -1.0, v14
	v_sub_f32_e32 v13, v12, v14
	v_add_f32_e32 v13, 1.0, v13
	v_sub_f32_e32 v12, v30, v12
	v_add_f32_e32 v15, v12, v13
	v_frexp_mant_f32_e32 v20, v14
	s_mov_b32 s34, 0x3f2aaaab
	v_cvt_f64_f32_e32 v[12:13], v14
	v_frexp_exp_i32_f64_e32 v12, v[12:13]
	v_cmp_gt_f32_e64 s[34:35], s34, v20
	s_nop 1
	v_subbrev_co_u32_e64 v24, s[34:35], 0, v12, s[34:35]
	v_sub_u32_e32 v12, 0, v24
	v_ldexp_f32 v13, v14, v12
	v_add_f32_e32 v14, -1.0, v13
	v_add_f32_e32 v20, 1.0, v13
	v_ldexp_f32 v12, v15, v12
	v_add_f32_e32 v15, 1.0, v14
	v_add_f32_e32 v21, -1.0, v20
	v_sub_f32_e32 v15, v13, v15
	v_sub_f32_e32 v13, v13, v21
	v_add_f32_e32 v15, v12, v15
	v_add_f32_e32 v12, v12, v13
	;; [unrolled: 1-line block ×3, first 2 shown]
	v_rcp_f32_e32 v27, v25
	v_sub_f32_e32 v13, v20, v25
	v_add_f32_e32 v26, v12, v13
	v_add_f32_e32 v13, v14, v15
	v_mul_f32_e32 v29, v13, v27
	v_sub_f32_e32 v12, v14, v13
	v_mul_f32_e32 v14, v25, v29
	v_fma_f32 v20, v29, v25, -v14
	v_fmac_f32_e32 v20, v29, v26
	v_add_f32_e32 v28, v15, v12
	v_add_f32_e32 v12, v14, v20
	v_sub_f32_e32 v15, v13, v12
	v_pk_add_f32 v[22:23], v[12:13], v[14:15] neg_lo:[0,1] neg_hi:[0,1]
	v_mov_b32_e32 v21, v12
	v_pk_add_f32 v[12:13], v[22:23], v[20:21] neg_lo:[0,1] neg_hi:[0,1]
	s_mov_b32 s34, 0x3f317218
	v_add_f32_e32 v13, v28, v13
	v_add_f32_e32 v12, v12, v13
	;; [unrolled: 1-line block ×3, first 2 shown]
	v_mul_f32_e32 v28, v27, v13
	v_mul_f32_e32 v14, v25, v28
	v_fma_f32 v20, v28, v25, -v14
	v_fmac_f32_e32 v20, v28, v26
	v_sub_f32_e32 v15, v15, v13
	v_add_f32_e32 v25, v12, v15
	v_add_f32_e32 v12, v14, v20
	v_sub_f32_e32 v15, v13, v12
	v_pk_add_f32 v[22:23], v[12:13], v[14:15] neg_lo:[0,1] neg_hi:[0,1]
	v_mov_b32_e32 v21, v12
	v_pk_add_f32 v[12:13], v[22:23], v[20:21] neg_lo:[0,1] neg_hi:[0,1]
	v_cvt_f32_i32_e32 v14, v24
	v_add_f32_e32 v13, v25, v13
	v_add_f32_e32 v12, v12, v13
	;; [unrolled: 1-line block ×4, first 2 shown]
	v_sub_f32_e32 v13, v15, v29
	v_mul_f32_e32 v12, v27, v12
	v_sub_f32_e32 v13, v28, v13
	v_add_f32_e32 v12, v13, v12
	v_add_f32_e32 v20, v15, v12
	v_mul_f32_e32 v22, v20, v20
	v_mov_b32_e32 v13, 0x3ecc95a3
	v_sub_f32_e32 v15, v20, v15
	v_fmac_f32_e32 v13, 0x3e9b6dac, v22
	v_sub_f32_e32 v12, v12, v15
	v_fmaak_f32 v13, v22, v13, 0x3f2aaada
	v_ldexp_f32 v23, v12, 1
	v_mul_f32_e32 v15, v20, v22
	v_mov_b32_e32 v12, 0x3f317218
	v_pk_mul_f32 v[12:13], v[14:15], v[12:13]
	v_ldexp_f32 v21, v20, 1
	v_fma_f32 v15, v14, s34, -v12
	v_fmamk_f32 v20, v14, 0xb102e308, v15
	v_pk_add_f32 v[14:15], v[12:13], v[20:21]
	v_mov_b32_e32 v22, v12
	v_sub_f32_e32 v21, v15, v21
	v_sub_f32_e32 v21, v13, v21
	v_add_f32_e32 v23, v23, v21
	v_pk_add_f32 v[12:13], v[14:15], v[12:13] neg_lo:[0,1] neg_hi:[0,1]
	v_pk_add_f32 v[24:25], v[14:15], v[22:23]
	v_mov_b32_e32 v21, v14
	v_mov_b32_e32 v13, v25
	v_pk_add_f32 v[26:27], v[20:21], v[12:13] neg_lo:[0,1] neg_hi:[0,1]
	v_pk_add_f32 v[12:13], v[20:21], v[12:13]
	v_mov_b32_e32 v22, v23
	v_pk_add_f32 v[20:21], v[12:13], v[14:15] op_sel:[1,0] op_sel_hi:[0,1] neg_lo:[0,1] neg_hi:[0,1]
	v_pk_add_f32 v[28:29], v[24:25], v[20:21] op_sel_hi:[1,0] neg_lo:[0,1] neg_hi:[0,1]
	v_mov_b32_e32 v24, v25
	v_mov_b32_e32 v25, v13
	v_pk_mov_b32 v[20:21], v[14:15], v[20:21] op_sel:[1,0]
	v_mov_b32_e32 v23, v14
	v_pk_add_f32 v[20:21], v[24:25], v[20:21] neg_lo:[0,1] neg_hi:[0,1]
	v_mov_b32_e32 v28, v26
	v_pk_add_f32 v[14:15], v[22:23], v[20:21] neg_lo:[0,1] neg_hi:[0,1]
	v_mov_b32_e32 v27, v13
	v_pk_add_f32 v[20:21], v[28:29], v[14:15]
	v_cmp_neq_f32_e64 s[34:35], s38, v30
	v_pk_add_f32 v[22:23], v[20:21], v[20:21] op_sel:[0,1] op_sel_hi:[1,0]
	s_nop 0
	v_pk_add_f32 v[12:13], v[12:13], v[22:23] op_sel:[1,0] op_sel_hi:[0,1]
	v_mov_b32_e32 v21, v12
	v_pk_add_f32 v[24:25], v[20:21], v[26:27] neg_lo:[0,1] neg_hi:[0,1]
	v_mov_b32_e32 v15, v22
	v_sub_f32_e32 v13, v20, v24
	v_pk_add_f32 v[14:15], v[14:15], v[24:25] neg_lo:[0,1] neg_hi:[0,1]
	v_sub_f32_e32 v13, v26, v13
	v_add_f32_e32 v13, v14, v13
	v_add_f32_e32 v13, v13, v15
	;; [unrolled: 1-line block ×3, first 2 shown]
	v_cndmask_b32_e64 v12, v16, v12, s[34:35]
	s_mov_b32 s34, 0x33800000
	v_cmp_lt_f32_e64 s[34:35], |v30|, s34
	s_nop 1
	v_cndmask_b32_e64 v12, v12, v30, s[34:35]
	v_add_f32_e32 v3, v3, v12
	v_cvt_f16_f32_e32 v20, v3
	v_cvt_f32_f16_e32 v22, v20
	v_mov_b32_e32 v21, v20
.LBB425_34:
	s_or_b64 exec, exec, s[36:37]
	v_cvt_f32_f16_e32 v3, v6
	v_max_f32_e32 v12, v22, v22
	v_cmp_u_f16_e64 s[36:37], v20, v20
	v_cmp_u_f16_e64 s[34:35], v6, v6
	v_min_f32_e32 v13, v12, v3
	v_max_f32_e32 v12, v12, v3
	v_cndmask_b32_e64 v13, v13, v22, s[36:37]
	v_cndmask_b32_e64 v12, v12, v22, s[36:37]
	;; [unrolled: 1-line block ×4, first 2 shown]
	v_cmp_neq_f32_e64 s[36:37], v13, v12
	v_cmp_class_f32_e64 s[38:39], v13, s33
	s_or_b64 s[36:37], s[36:37], s[38:39]
	s_and_saveexec_b64 s[38:39], s[36:37]
	s_cbranch_execz .LBB425_36
; %bb.35:
	v_sub_f32_e32 v13, v13, v12
	s_mov_b32 s33, 0x3fb8aa3b
	v_mul_f32_e32 v14, 0x3fb8aa3b, v13
	v_fma_f32 v15, v13, s33, -v14
	v_rndne_f32_e32 v16, v14
	v_fmamk_f32 v15, v13, 0x32a5705f, v15
	v_sub_f32_e32 v14, v14, v16
	v_add_f32_e32 v14, v14, v15
	v_exp_f32_e32 v14, v14
	v_cvt_i32_f32_e32 v15, v16
	s_mov_b32 s33, 0xc2ce8ed0
	v_cmp_ngt_f32_e64 s[36:37], s33, v13
	s_mov_b32 s33, 0x42b17218
	v_ldexp_f32 v14, v14, v15
	v_cndmask_b32_e64 v14, 0, v14, s[36:37]
	v_mov_b32_e32 v16, 0x7f800000
	v_cmp_nlt_f32_e64 s[36:37], s33, v13
	s_mov_b32 s33, 0x3f2aaaab
	s_mov_b32 s40, 0x7f800000
	v_cndmask_b32_e64 v13, v16, v14, s[36:37]
	v_add_f32_e32 v20, 1.0, v13
	v_add_f32_e32 v14, -1.0, v20
	v_sub_f32_e32 v15, v14, v20
	v_add_f32_e32 v15, 1.0, v15
	v_sub_f32_e32 v14, v13, v14
	v_add_f32_e32 v21, v14, v15
	v_frexp_mant_f32_e32 v22, v20
	v_cvt_f64_f32_e32 v[14:15], v20
	v_frexp_exp_i32_f64_e32 v14, v[14:15]
	v_cmp_gt_f32_e64 s[36:37], s33, v22
	s_mov_b32 s33, 0x3f317218
	s_nop 0
	v_subbrev_co_u32_e64 v26, s[36:37], 0, v14, s[36:37]
	v_sub_u32_e32 v14, 0, v26
	v_ldexp_f32 v15, v20, v14
	v_add_f32_e32 v20, -1.0, v15
	v_add_f32_e32 v22, 1.0, v15
	v_ldexp_f32 v14, v21, v14
	v_add_f32_e32 v21, 1.0, v20
	v_add_f32_e32 v23, -1.0, v22
	v_sub_f32_e32 v21, v15, v21
	v_sub_f32_e32 v15, v15, v23
	v_add_f32_e32 v21, v14, v21
	v_add_f32_e32 v14, v14, v15
	;; [unrolled: 1-line block ×3, first 2 shown]
	v_rcp_f32_e32 v29, v27
	v_sub_f32_e32 v15, v22, v27
	v_add_f32_e32 v28, v14, v15
	v_add_f32_e32 v15, v20, v21
	v_mul_f32_e32 v31, v15, v29
	v_sub_f32_e32 v14, v20, v15
	v_mul_f32_e32 v20, v27, v31
	v_fma_f32 v22, v31, v27, -v20
	v_fmac_f32_e32 v22, v31, v28
	v_add_f32_e32 v30, v21, v14
	v_add_f32_e32 v14, v20, v22
	v_sub_f32_e32 v21, v15, v14
	v_pk_add_f32 v[24:25], v[14:15], v[20:21] neg_lo:[0,1] neg_hi:[0,1]
	v_mov_b32_e32 v23, v14
	v_pk_add_f32 v[14:15], v[24:25], v[22:23] neg_lo:[0,1] neg_hi:[0,1]
	v_cmp_neq_f32_e64 s[36:37], s40, v13
	v_add_f32_e32 v15, v30, v15
	v_add_f32_e32 v14, v14, v15
	;; [unrolled: 1-line block ×3, first 2 shown]
	v_mul_f32_e32 v30, v29, v15
	v_mul_f32_e32 v20, v27, v30
	v_fma_f32 v22, v30, v27, -v20
	v_fmac_f32_e32 v22, v30, v28
	v_sub_f32_e32 v21, v21, v15
	v_add_f32_e32 v27, v14, v21
	v_add_f32_e32 v14, v20, v22
	v_sub_f32_e32 v21, v15, v14
	v_pk_add_f32 v[24:25], v[14:15], v[20:21] neg_lo:[0,1] neg_hi:[0,1]
	v_mov_b32_e32 v23, v14
	v_pk_add_f32 v[14:15], v[24:25], v[22:23] neg_lo:[0,1] neg_hi:[0,1]
	v_cvt_f32_i32_e32 v20, v26
	v_add_f32_e32 v15, v27, v15
	v_add_f32_e32 v14, v14, v15
	;; [unrolled: 1-line block ×4, first 2 shown]
	v_sub_f32_e32 v15, v21, v31
	v_mul_f32_e32 v14, v29, v14
	v_sub_f32_e32 v15, v30, v15
	v_add_f32_e32 v14, v15, v14
	v_add_f32_e32 v22, v21, v14
	v_mul_f32_e32 v24, v22, v22
	v_mov_b32_e32 v15, 0x3ecc95a3
	v_sub_f32_e32 v21, v22, v21
	v_fmac_f32_e32 v15, 0x3e9b6dac, v24
	v_sub_f32_e32 v14, v14, v21
	v_fmaak_f32 v15, v24, v15, 0x3f2aaada
	v_ldexp_f32 v25, v14, 1
	v_mul_f32_e32 v21, v22, v24
	v_mov_b32_e32 v14, 0x3f317218
	v_pk_mul_f32 v[14:15], v[20:21], v[14:15]
	v_ldexp_f32 v23, v22, 1
	v_fma_f32 v21, v20, s33, -v14
	v_fmamk_f32 v22, v20, 0xb102e308, v21
	v_pk_add_f32 v[20:21], v[14:15], v[22:23]
	v_mov_b32_e32 v24, v14
	v_sub_f32_e32 v23, v21, v23
	v_sub_f32_e32 v23, v15, v23
	v_add_f32_e32 v25, v25, v23
	v_pk_add_f32 v[14:15], v[20:21], v[14:15] neg_lo:[0,1] neg_hi:[0,1]
	v_pk_add_f32 v[26:27], v[20:21], v[24:25]
	v_mov_b32_e32 v23, v20
	v_mov_b32_e32 v15, v27
	v_pk_add_f32 v[28:29], v[22:23], v[14:15] neg_lo:[0,1] neg_hi:[0,1]
	v_pk_add_f32 v[14:15], v[22:23], v[14:15]
	v_mov_b32_e32 v24, v25
	v_pk_add_f32 v[22:23], v[14:15], v[20:21] op_sel:[1,0] op_sel_hi:[0,1] neg_lo:[0,1] neg_hi:[0,1]
	v_pk_add_f32 v[30:31], v[26:27], v[22:23] op_sel_hi:[1,0] neg_lo:[0,1] neg_hi:[0,1]
	v_mov_b32_e32 v26, v27
	v_mov_b32_e32 v27, v15
	v_pk_mov_b32 v[22:23], v[20:21], v[22:23] op_sel:[1,0]
	v_mov_b32_e32 v25, v20
	v_pk_add_f32 v[22:23], v[26:27], v[22:23] neg_lo:[0,1] neg_hi:[0,1]
	v_mov_b32_e32 v30, v28
	v_pk_add_f32 v[20:21], v[24:25], v[22:23] neg_lo:[0,1] neg_hi:[0,1]
	v_mov_b32_e32 v29, v15
	v_pk_add_f32 v[22:23], v[30:31], v[20:21]
	s_mov_b32 s33, 0x33800000
	v_pk_add_f32 v[24:25], v[22:23], v[22:23] op_sel:[0,1] op_sel_hi:[1,0]
	s_nop 0
	v_pk_add_f32 v[14:15], v[14:15], v[24:25] op_sel:[1,0] op_sel_hi:[0,1]
	v_mov_b32_e32 v23, v14
	v_pk_add_f32 v[26:27], v[22:23], v[28:29] neg_lo:[0,1] neg_hi:[0,1]
	v_mov_b32_e32 v21, v24
	v_sub_f32_e32 v15, v22, v26
	v_pk_add_f32 v[20:21], v[20:21], v[26:27] neg_lo:[0,1] neg_hi:[0,1]
	v_sub_f32_e32 v15, v28, v15
	v_add_f32_e32 v15, v20, v15
	v_add_f32_e32 v15, v15, v21
	;; [unrolled: 1-line block ×3, first 2 shown]
	v_cndmask_b32_e64 v14, v16, v14, s[36:37]
	v_cmp_lt_f32_e64 s[36:37], |v13|, s33
	s_nop 1
	v_cndmask_b32_e64 v13, v14, v13, s[36:37]
	v_add_f32_e32 v12, v12, v13
	v_cvt_f16_f32_e32 v20, v12
	v_cvt_f32_f16_e32 v22, v20
	v_mov_b32_e32 v21, v20
.LBB425_36:
	s_or_b64 exec, exec, s[38:39]
	v_cvt_f32_f16_sdwa v12, v6 dst_sel:DWORD dst_unused:UNUSED_PAD src0_sel:WORD_1
	v_max_f32_e32 v14, v22, v22
	v_cmp_u_f16_e64 s[38:39], v20, v20
	v_cmp_u_f16_sdwa s[36:37], v6, v6 src0_sel:WORD_1 src1_sel:WORD_1
	v_min_f32_e32 v13, v14, v12
	v_max_f32_e32 v6, v14, v12
	v_cndmask_b32_e64 v13, v13, v22, s[38:39]
	v_cndmask_b32_e64 v6, v6, v22, s[38:39]
	;; [unrolled: 1-line block ×4, first 2 shown]
	s_movk_i32 s33, 0x1f8
	v_cmp_neq_f32_e64 s[38:39], v13, v6
	v_cmp_class_f32_e64 s[40:41], v13, s33
	s_or_b64 s[38:39], s[38:39], s[40:41]
	s_and_saveexec_b64 s[40:41], s[38:39]
	s_cbranch_execz .LBB425_38
; %bb.37:
	v_sub_f32_e32 v13, v13, v6
	s_mov_b32 s38, 0x3fb8aa3b
	v_mul_f32_e32 v14, 0x3fb8aa3b, v13
	v_fma_f32 v15, v13, s38, -v14
	v_rndne_f32_e32 v16, v14
	v_fmamk_f32 v15, v13, 0x32a5705f, v15
	v_sub_f32_e32 v14, v14, v16
	v_add_f32_e32 v14, v14, v15
	v_exp_f32_e32 v14, v14
	v_cvt_i32_f32_e32 v15, v16
	s_mov_b32 s38, 0xc2ce8ed0
	v_cmp_ngt_f32_e64 s[38:39], s38, v13
	v_mov_b32_e32 v16, 0x7f800000
	v_ldexp_f32 v14, v14, v15
	v_cndmask_b32_e64 v14, 0, v14, s[38:39]
	s_mov_b32 s38, 0x42b17218
	v_cmp_nlt_f32_e64 s[38:39], s38, v13
	s_mov_b32 s42, 0x7f800000
	s_nop 0
	v_cndmask_b32_e64 v13, v16, v14, s[38:39]
	v_add_f32_e32 v20, 1.0, v13
	v_add_f32_e32 v14, -1.0, v20
	v_sub_f32_e32 v15, v14, v20
	v_add_f32_e32 v15, 1.0, v15
	v_sub_f32_e32 v14, v13, v14
	v_add_f32_e32 v21, v14, v15
	v_frexp_mant_f32_e32 v22, v20
	s_mov_b32 s38, 0x3f2aaaab
	v_cvt_f64_f32_e32 v[14:15], v20
	v_frexp_exp_i32_f64_e32 v14, v[14:15]
	v_cmp_gt_f32_e64 s[38:39], s38, v22
	s_nop 1
	v_subbrev_co_u32_e64 v26, s[38:39], 0, v14, s[38:39]
	v_sub_u32_e32 v14, 0, v26
	v_ldexp_f32 v15, v20, v14
	v_add_f32_e32 v20, -1.0, v15
	v_add_f32_e32 v22, 1.0, v15
	v_ldexp_f32 v14, v21, v14
	v_add_f32_e32 v21, 1.0, v20
	v_add_f32_e32 v23, -1.0, v22
	v_sub_f32_e32 v21, v15, v21
	v_sub_f32_e32 v15, v15, v23
	v_add_f32_e32 v21, v14, v21
	v_add_f32_e32 v14, v14, v15
	;; [unrolled: 1-line block ×3, first 2 shown]
	v_rcp_f32_e32 v29, v27
	v_sub_f32_e32 v15, v22, v27
	v_add_f32_e32 v28, v14, v15
	v_add_f32_e32 v15, v20, v21
	v_mul_f32_e32 v31, v15, v29
	v_sub_f32_e32 v14, v20, v15
	v_mul_f32_e32 v20, v27, v31
	v_fma_f32 v22, v31, v27, -v20
	v_fmac_f32_e32 v22, v31, v28
	v_add_f32_e32 v30, v21, v14
	v_add_f32_e32 v14, v20, v22
	v_sub_f32_e32 v21, v15, v14
	v_pk_add_f32 v[24:25], v[14:15], v[20:21] neg_lo:[0,1] neg_hi:[0,1]
	v_mov_b32_e32 v23, v14
	v_pk_add_f32 v[14:15], v[24:25], v[22:23] neg_lo:[0,1] neg_hi:[0,1]
	s_mov_b32 s38, 0x3f317218
	v_add_f32_e32 v15, v30, v15
	v_add_f32_e32 v14, v14, v15
	;; [unrolled: 1-line block ×3, first 2 shown]
	v_mul_f32_e32 v30, v29, v15
	v_mul_f32_e32 v20, v27, v30
	v_fma_f32 v22, v30, v27, -v20
	v_fmac_f32_e32 v22, v30, v28
	v_sub_f32_e32 v21, v21, v15
	v_add_f32_e32 v27, v14, v21
	v_add_f32_e32 v14, v20, v22
	v_sub_f32_e32 v21, v15, v14
	v_pk_add_f32 v[24:25], v[14:15], v[20:21] neg_lo:[0,1] neg_hi:[0,1]
	v_mov_b32_e32 v23, v14
	v_pk_add_f32 v[14:15], v[24:25], v[22:23] neg_lo:[0,1] neg_hi:[0,1]
	v_cvt_f32_i32_e32 v20, v26
	v_add_f32_e32 v15, v27, v15
	v_add_f32_e32 v14, v14, v15
	;; [unrolled: 1-line block ×4, first 2 shown]
	v_sub_f32_e32 v15, v21, v31
	v_mul_f32_e32 v14, v29, v14
	v_sub_f32_e32 v15, v30, v15
	v_add_f32_e32 v14, v15, v14
	v_add_f32_e32 v22, v21, v14
	v_mul_f32_e32 v24, v22, v22
	v_mov_b32_e32 v15, 0x3ecc95a3
	v_sub_f32_e32 v21, v22, v21
	v_fmac_f32_e32 v15, 0x3e9b6dac, v24
	v_sub_f32_e32 v14, v14, v21
	v_fmaak_f32 v15, v24, v15, 0x3f2aaada
	v_ldexp_f32 v25, v14, 1
	v_mul_f32_e32 v21, v22, v24
	v_mov_b32_e32 v14, 0x3f317218
	v_pk_mul_f32 v[14:15], v[20:21], v[14:15]
	v_ldexp_f32 v23, v22, 1
	v_fma_f32 v21, v20, s38, -v14
	v_fmamk_f32 v22, v20, 0xb102e308, v21
	v_pk_add_f32 v[20:21], v[14:15], v[22:23]
	v_mov_b32_e32 v24, v14
	v_sub_f32_e32 v23, v21, v23
	v_sub_f32_e32 v23, v15, v23
	v_add_f32_e32 v25, v25, v23
	v_pk_add_f32 v[14:15], v[20:21], v[14:15] neg_lo:[0,1] neg_hi:[0,1]
	v_pk_add_f32 v[26:27], v[20:21], v[24:25]
	v_mov_b32_e32 v23, v20
	v_mov_b32_e32 v15, v27
	v_pk_add_f32 v[28:29], v[22:23], v[14:15] neg_lo:[0,1] neg_hi:[0,1]
	v_pk_add_f32 v[14:15], v[22:23], v[14:15]
	v_mov_b32_e32 v24, v25
	v_pk_add_f32 v[22:23], v[14:15], v[20:21] op_sel:[1,0] op_sel_hi:[0,1] neg_lo:[0,1] neg_hi:[0,1]
	v_pk_add_f32 v[30:31], v[26:27], v[22:23] op_sel_hi:[1,0] neg_lo:[0,1] neg_hi:[0,1]
	v_mov_b32_e32 v26, v27
	v_mov_b32_e32 v27, v15
	v_pk_mov_b32 v[22:23], v[20:21], v[22:23] op_sel:[1,0]
	v_mov_b32_e32 v25, v20
	v_pk_add_f32 v[22:23], v[26:27], v[22:23] neg_lo:[0,1] neg_hi:[0,1]
	v_mov_b32_e32 v30, v28
	v_pk_add_f32 v[20:21], v[24:25], v[22:23] neg_lo:[0,1] neg_hi:[0,1]
	v_mov_b32_e32 v29, v15
	v_pk_add_f32 v[22:23], v[30:31], v[20:21]
	v_cmp_neq_f32_e64 s[38:39], s42, v13
	v_pk_add_f32 v[24:25], v[22:23], v[22:23] op_sel:[0,1] op_sel_hi:[1,0]
	s_nop 0
	v_pk_add_f32 v[14:15], v[14:15], v[24:25] op_sel:[1,0] op_sel_hi:[0,1]
	v_mov_b32_e32 v23, v14
	v_pk_add_f32 v[26:27], v[22:23], v[28:29] neg_lo:[0,1] neg_hi:[0,1]
	v_mov_b32_e32 v21, v24
	v_sub_f32_e32 v15, v22, v26
	v_pk_add_f32 v[20:21], v[20:21], v[26:27] neg_lo:[0,1] neg_hi:[0,1]
	v_sub_f32_e32 v15, v28, v15
	v_add_f32_e32 v15, v20, v15
	v_add_f32_e32 v15, v15, v21
	;; [unrolled: 1-line block ×3, first 2 shown]
	v_cndmask_b32_e64 v14, v16, v14, s[38:39]
	s_mov_b32 s38, 0x33800000
	v_cmp_lt_f32_e64 s[38:39], |v13|, s38
	s_nop 1
	v_cndmask_b32_e64 v13, v14, v13, s[38:39]
	v_add_f32_e32 v6, v6, v13
	v_cvt_f16_f32_e32 v20, v6
	v_cvt_f32_f16_e32 v22, v20
	v_mov_b32_e32 v21, v20
.LBB425_38:
	s_or_b64 exec, exec, s[40:41]
	v_cvt_f32_f16_e32 v6, v7
	v_max_f32_e32 v13, v22, v22
	v_cmp_u_f16_e64 s[40:41], v20, v20
	v_cmp_u_f16_e64 s[38:39], v7, v7
	v_min_f32_e32 v14, v13, v6
	v_max_f32_e32 v13, v13, v6
	v_cndmask_b32_e64 v14, v14, v22, s[40:41]
	v_cndmask_b32_e64 v13, v13, v22, s[40:41]
	;; [unrolled: 1-line block ×4, first 2 shown]
	v_cmp_neq_f32_e64 s[40:41], v14, v13
	v_cmp_class_f32_e64 s[42:43], v14, s33
	s_or_b64 s[40:41], s[40:41], s[42:43]
	s_and_saveexec_b64 s[42:43], s[40:41]
	s_cbranch_execz .LBB425_40
; %bb.39:
	v_sub_f32_e32 v14, v14, v13
	s_mov_b32 s33, 0x3fb8aa3b
	v_mul_f32_e32 v15, 0x3fb8aa3b, v14
	v_fma_f32 v16, v14, s33, -v15
	v_rndne_f32_e32 v20, v15
	v_fmamk_f32 v16, v14, 0x32a5705f, v16
	v_sub_f32_e32 v15, v15, v20
	v_add_f32_e32 v15, v15, v16
	v_exp_f32_e32 v15, v15
	v_cvt_i32_f32_e32 v16, v20
	s_mov_b32 s33, 0xc2ce8ed0
	v_cmp_ngt_f32_e64 s[40:41], s33, v14
	s_mov_b32 s33, 0x42b17218
	v_ldexp_f32 v15, v15, v16
	v_cndmask_b32_e64 v15, 0, v15, s[40:41]
	v_mov_b32_e32 v16, 0x7f800000
	v_cmp_nlt_f32_e64 s[40:41], s33, v14
	s_mov_b32 s33, 0x3f2aaaab
	s_mov_b32 s44, 0x7f800000
	v_cndmask_b32_e64 v32, v16, v15, s[40:41]
	v_add_f32_e32 v20, 1.0, v32
	v_add_f32_e32 v14, -1.0, v20
	v_sub_f32_e32 v15, v14, v20
	v_add_f32_e32 v15, 1.0, v15
	v_sub_f32_e32 v14, v32, v14
	v_add_f32_e32 v21, v14, v15
	v_frexp_mant_f32_e32 v22, v20
	v_cvt_f64_f32_e32 v[14:15], v20
	v_frexp_exp_i32_f64_e32 v14, v[14:15]
	v_cmp_gt_f32_e64 s[40:41], s33, v22
	s_mov_b32 s33, 0x3f317218
	s_nop 0
	v_subbrev_co_u32_e64 v26, s[40:41], 0, v14, s[40:41]
	v_sub_u32_e32 v14, 0, v26
	v_ldexp_f32 v15, v20, v14
	v_add_f32_e32 v20, -1.0, v15
	v_add_f32_e32 v22, 1.0, v15
	v_ldexp_f32 v14, v21, v14
	v_add_f32_e32 v21, 1.0, v20
	v_add_f32_e32 v23, -1.0, v22
	v_sub_f32_e32 v21, v15, v21
	v_sub_f32_e32 v15, v15, v23
	v_add_f32_e32 v21, v14, v21
	v_add_f32_e32 v14, v14, v15
	;; [unrolled: 1-line block ×3, first 2 shown]
	v_rcp_f32_e32 v29, v27
	v_sub_f32_e32 v15, v22, v27
	v_add_f32_e32 v28, v14, v15
	v_add_f32_e32 v15, v20, v21
	v_mul_f32_e32 v31, v15, v29
	v_sub_f32_e32 v14, v20, v15
	v_mul_f32_e32 v20, v27, v31
	v_fma_f32 v22, v31, v27, -v20
	v_fmac_f32_e32 v22, v31, v28
	v_add_f32_e32 v30, v21, v14
	v_add_f32_e32 v14, v20, v22
	v_sub_f32_e32 v21, v15, v14
	v_pk_add_f32 v[24:25], v[14:15], v[20:21] neg_lo:[0,1] neg_hi:[0,1]
	v_mov_b32_e32 v23, v14
	v_pk_add_f32 v[14:15], v[24:25], v[22:23] neg_lo:[0,1] neg_hi:[0,1]
	v_cmp_neq_f32_e64 s[40:41], s44, v32
	v_add_f32_e32 v15, v30, v15
	v_add_f32_e32 v14, v14, v15
	v_add_f32_e32 v15, v21, v14
	v_mul_f32_e32 v30, v29, v15
	v_mul_f32_e32 v20, v27, v30
	v_fma_f32 v22, v30, v27, -v20
	v_fmac_f32_e32 v22, v30, v28
	v_sub_f32_e32 v21, v21, v15
	v_add_f32_e32 v27, v14, v21
	v_add_f32_e32 v14, v20, v22
	v_sub_f32_e32 v21, v15, v14
	v_pk_add_f32 v[24:25], v[14:15], v[20:21] neg_lo:[0,1] neg_hi:[0,1]
	v_mov_b32_e32 v23, v14
	v_pk_add_f32 v[14:15], v[24:25], v[22:23] neg_lo:[0,1] neg_hi:[0,1]
	v_cvt_f32_i32_e32 v20, v26
	v_add_f32_e32 v15, v27, v15
	v_add_f32_e32 v14, v14, v15
	;; [unrolled: 1-line block ×4, first 2 shown]
	v_sub_f32_e32 v15, v21, v31
	v_mul_f32_e32 v14, v29, v14
	v_sub_f32_e32 v15, v30, v15
	v_add_f32_e32 v14, v15, v14
	v_add_f32_e32 v22, v21, v14
	v_mul_f32_e32 v24, v22, v22
	v_mov_b32_e32 v15, 0x3ecc95a3
	v_sub_f32_e32 v21, v22, v21
	v_fmac_f32_e32 v15, 0x3e9b6dac, v24
	v_sub_f32_e32 v14, v14, v21
	v_fmaak_f32 v15, v24, v15, 0x3f2aaada
	v_ldexp_f32 v25, v14, 1
	v_mul_f32_e32 v21, v22, v24
	v_mov_b32_e32 v14, 0x3f317218
	v_pk_mul_f32 v[14:15], v[20:21], v[14:15]
	v_ldexp_f32 v23, v22, 1
	v_fma_f32 v21, v20, s33, -v14
	v_fmamk_f32 v22, v20, 0xb102e308, v21
	v_pk_add_f32 v[20:21], v[14:15], v[22:23]
	v_mov_b32_e32 v24, v14
	v_sub_f32_e32 v23, v21, v23
	v_sub_f32_e32 v23, v15, v23
	v_add_f32_e32 v25, v25, v23
	v_pk_add_f32 v[14:15], v[20:21], v[14:15] neg_lo:[0,1] neg_hi:[0,1]
	v_pk_add_f32 v[26:27], v[20:21], v[24:25]
	v_mov_b32_e32 v23, v20
	v_mov_b32_e32 v15, v27
	v_pk_add_f32 v[28:29], v[22:23], v[14:15] neg_lo:[0,1] neg_hi:[0,1]
	v_pk_add_f32 v[14:15], v[22:23], v[14:15]
	v_mov_b32_e32 v24, v25
	v_pk_add_f32 v[22:23], v[14:15], v[20:21] op_sel:[1,0] op_sel_hi:[0,1] neg_lo:[0,1] neg_hi:[0,1]
	v_pk_add_f32 v[30:31], v[26:27], v[22:23] op_sel_hi:[1,0] neg_lo:[0,1] neg_hi:[0,1]
	v_mov_b32_e32 v26, v27
	v_mov_b32_e32 v27, v15
	v_pk_mov_b32 v[22:23], v[20:21], v[22:23] op_sel:[1,0]
	v_mov_b32_e32 v25, v20
	v_pk_add_f32 v[22:23], v[26:27], v[22:23] neg_lo:[0,1] neg_hi:[0,1]
	v_mov_b32_e32 v30, v28
	v_pk_add_f32 v[20:21], v[24:25], v[22:23] neg_lo:[0,1] neg_hi:[0,1]
	v_mov_b32_e32 v29, v15
	v_pk_add_f32 v[22:23], v[30:31], v[20:21]
	s_mov_b32 s33, 0x33800000
	v_pk_add_f32 v[24:25], v[22:23], v[22:23] op_sel:[0,1] op_sel_hi:[1,0]
	s_nop 0
	v_pk_add_f32 v[14:15], v[14:15], v[24:25] op_sel:[1,0] op_sel_hi:[0,1]
	v_mov_b32_e32 v23, v14
	v_pk_add_f32 v[26:27], v[22:23], v[28:29] neg_lo:[0,1] neg_hi:[0,1]
	v_mov_b32_e32 v21, v24
	v_sub_f32_e32 v15, v22, v26
	v_pk_add_f32 v[20:21], v[20:21], v[26:27] neg_lo:[0,1] neg_hi:[0,1]
	v_sub_f32_e32 v15, v28, v15
	v_add_f32_e32 v15, v20, v15
	v_add_f32_e32 v15, v15, v21
	;; [unrolled: 1-line block ×3, first 2 shown]
	v_cndmask_b32_e64 v14, v16, v14, s[40:41]
	v_cmp_lt_f32_e64 s[40:41], |v32|, s33
	s_nop 1
	v_cndmask_b32_e64 v14, v14, v32, s[40:41]
	v_add_f32_e32 v13, v13, v14
	v_cvt_f16_f32_e32 v20, v13
	v_cvt_f32_f16_e32 v22, v20
	v_mov_b32_e32 v21, v20
.LBB425_40:
	s_or_b64 exec, exec, s[42:43]
	v_cvt_f32_f16_sdwa v13, v7 dst_sel:DWORD dst_unused:UNUSED_PAD src0_sel:WORD_1
	v_max_f32_e32 v15, v22, v22
	v_cmp_u_f16_e64 s[42:43], v20, v20
	v_cmp_u_f16_sdwa s[40:41], v7, v7 src0_sel:WORD_1 src1_sel:WORD_1
	v_min_f32_e32 v14, v15, v13
	v_max_f32_e32 v7, v15, v13
	v_cndmask_b32_e64 v14, v14, v22, s[42:43]
	v_cndmask_b32_e64 v7, v7, v22, s[42:43]
	;; [unrolled: 1-line block ×4, first 2 shown]
	s_movk_i32 s33, 0x1f8
	v_cmp_neq_f32_e64 s[42:43], v14, v7
	v_cmp_class_f32_e64 s[44:45], v14, s33
	s_or_b64 s[42:43], s[42:43], s[44:45]
	s_and_saveexec_b64 s[44:45], s[42:43]
	s_cbranch_execz .LBB425_42
; %bb.41:
	v_sub_f32_e32 v14, v14, v7
	s_mov_b32 s42, 0x3fb8aa3b
	v_mul_f32_e32 v15, 0x3fb8aa3b, v14
	v_fma_f32 v16, v14, s42, -v15
	v_rndne_f32_e32 v20, v15
	v_fmamk_f32 v16, v14, 0x32a5705f, v16
	v_sub_f32_e32 v15, v15, v20
	v_add_f32_e32 v15, v15, v16
	v_exp_f32_e32 v15, v15
	v_cvt_i32_f32_e32 v16, v20
	s_mov_b32 s42, 0xc2ce8ed0
	v_cmp_ngt_f32_e64 s[42:43], s42, v14
	s_mov_b32 s46, 0x7f800000
	v_ldexp_f32 v15, v15, v16
	v_cndmask_b32_e64 v15, 0, v15, s[42:43]
	s_mov_b32 s42, 0x42b17218
	v_mov_b32_e32 v16, 0x7f800000
	v_cmp_nlt_f32_e64 s[42:43], s42, v14
	s_nop 1
	v_cndmask_b32_e64 v32, v16, v15, s[42:43]
	v_add_f32_e32 v20, 1.0, v32
	v_add_f32_e32 v14, -1.0, v20
	v_sub_f32_e32 v15, v14, v20
	v_add_f32_e32 v15, 1.0, v15
	v_sub_f32_e32 v14, v32, v14
	v_add_f32_e32 v21, v14, v15
	v_frexp_mant_f32_e32 v22, v20
	s_mov_b32 s42, 0x3f2aaaab
	v_cvt_f64_f32_e32 v[14:15], v20
	v_frexp_exp_i32_f64_e32 v14, v[14:15]
	v_cmp_gt_f32_e64 s[42:43], s42, v22
	s_nop 1
	v_subbrev_co_u32_e64 v26, s[42:43], 0, v14, s[42:43]
	v_sub_u32_e32 v14, 0, v26
	v_ldexp_f32 v15, v20, v14
	v_add_f32_e32 v20, -1.0, v15
	v_add_f32_e32 v22, 1.0, v15
	v_ldexp_f32 v14, v21, v14
	v_add_f32_e32 v21, 1.0, v20
	v_add_f32_e32 v23, -1.0, v22
	v_sub_f32_e32 v21, v15, v21
	v_sub_f32_e32 v15, v15, v23
	v_add_f32_e32 v21, v14, v21
	v_add_f32_e32 v14, v14, v15
	;; [unrolled: 1-line block ×3, first 2 shown]
	v_rcp_f32_e32 v29, v27
	v_sub_f32_e32 v15, v22, v27
	v_add_f32_e32 v28, v14, v15
	v_add_f32_e32 v15, v20, v21
	v_mul_f32_e32 v31, v15, v29
	v_sub_f32_e32 v14, v20, v15
	v_mul_f32_e32 v20, v27, v31
	v_fma_f32 v22, v31, v27, -v20
	v_fmac_f32_e32 v22, v31, v28
	v_add_f32_e32 v30, v21, v14
	v_add_f32_e32 v14, v20, v22
	v_sub_f32_e32 v21, v15, v14
	v_pk_add_f32 v[24:25], v[14:15], v[20:21] neg_lo:[0,1] neg_hi:[0,1]
	v_mov_b32_e32 v23, v14
	v_pk_add_f32 v[14:15], v[24:25], v[22:23] neg_lo:[0,1] neg_hi:[0,1]
	s_mov_b32 s42, 0x3f317218
	v_add_f32_e32 v15, v30, v15
	v_add_f32_e32 v14, v14, v15
	;; [unrolled: 1-line block ×3, first 2 shown]
	v_mul_f32_e32 v30, v29, v15
	v_mul_f32_e32 v20, v27, v30
	v_fma_f32 v22, v30, v27, -v20
	v_fmac_f32_e32 v22, v30, v28
	v_sub_f32_e32 v21, v21, v15
	v_add_f32_e32 v27, v14, v21
	v_add_f32_e32 v14, v20, v22
	v_sub_f32_e32 v21, v15, v14
	v_pk_add_f32 v[24:25], v[14:15], v[20:21] neg_lo:[0,1] neg_hi:[0,1]
	v_mov_b32_e32 v23, v14
	v_pk_add_f32 v[14:15], v[24:25], v[22:23] neg_lo:[0,1] neg_hi:[0,1]
	v_cvt_f32_i32_e32 v20, v26
	v_add_f32_e32 v15, v27, v15
	v_add_f32_e32 v14, v14, v15
	v_add_f32_e32 v14, v21, v14
	v_add_f32_e32 v21, v31, v30
	v_sub_f32_e32 v15, v21, v31
	v_mul_f32_e32 v14, v29, v14
	v_sub_f32_e32 v15, v30, v15
	v_add_f32_e32 v14, v15, v14
	v_add_f32_e32 v22, v21, v14
	v_mul_f32_e32 v24, v22, v22
	v_mov_b32_e32 v15, 0x3ecc95a3
	v_sub_f32_e32 v21, v22, v21
	v_fmac_f32_e32 v15, 0x3e9b6dac, v24
	v_sub_f32_e32 v14, v14, v21
	v_fmaak_f32 v15, v24, v15, 0x3f2aaada
	v_ldexp_f32 v25, v14, 1
	v_mul_f32_e32 v21, v22, v24
	v_mov_b32_e32 v14, 0x3f317218
	v_pk_mul_f32 v[14:15], v[20:21], v[14:15]
	v_ldexp_f32 v23, v22, 1
	v_fma_f32 v21, v20, s42, -v14
	v_fmamk_f32 v22, v20, 0xb102e308, v21
	v_pk_add_f32 v[20:21], v[14:15], v[22:23]
	v_mov_b32_e32 v24, v14
	v_sub_f32_e32 v23, v21, v23
	v_sub_f32_e32 v23, v15, v23
	v_add_f32_e32 v25, v25, v23
	v_pk_add_f32 v[14:15], v[20:21], v[14:15] neg_lo:[0,1] neg_hi:[0,1]
	v_pk_add_f32 v[26:27], v[20:21], v[24:25]
	v_mov_b32_e32 v23, v20
	v_mov_b32_e32 v15, v27
	v_pk_add_f32 v[28:29], v[22:23], v[14:15] neg_lo:[0,1] neg_hi:[0,1]
	v_pk_add_f32 v[14:15], v[22:23], v[14:15]
	v_mov_b32_e32 v24, v25
	v_pk_add_f32 v[22:23], v[14:15], v[20:21] op_sel:[1,0] op_sel_hi:[0,1] neg_lo:[0,1] neg_hi:[0,1]
	v_pk_add_f32 v[30:31], v[26:27], v[22:23] op_sel_hi:[1,0] neg_lo:[0,1] neg_hi:[0,1]
	v_mov_b32_e32 v26, v27
	v_mov_b32_e32 v27, v15
	v_pk_mov_b32 v[22:23], v[20:21], v[22:23] op_sel:[1,0]
	v_mov_b32_e32 v25, v20
	v_pk_add_f32 v[22:23], v[26:27], v[22:23] neg_lo:[0,1] neg_hi:[0,1]
	v_mov_b32_e32 v30, v28
	v_pk_add_f32 v[20:21], v[24:25], v[22:23] neg_lo:[0,1] neg_hi:[0,1]
	v_mov_b32_e32 v29, v15
	v_pk_add_f32 v[22:23], v[30:31], v[20:21]
	v_cmp_neq_f32_e64 s[42:43], s46, v32
	v_pk_add_f32 v[24:25], v[22:23], v[22:23] op_sel:[0,1] op_sel_hi:[1,0]
	s_nop 0
	v_pk_add_f32 v[14:15], v[14:15], v[24:25] op_sel:[1,0] op_sel_hi:[0,1]
	v_mov_b32_e32 v23, v14
	v_pk_add_f32 v[26:27], v[22:23], v[28:29] neg_lo:[0,1] neg_hi:[0,1]
	v_mov_b32_e32 v21, v24
	v_sub_f32_e32 v15, v22, v26
	v_pk_add_f32 v[20:21], v[20:21], v[26:27] neg_lo:[0,1] neg_hi:[0,1]
	v_sub_f32_e32 v15, v28, v15
	v_add_f32_e32 v15, v20, v15
	v_add_f32_e32 v15, v15, v21
	;; [unrolled: 1-line block ×3, first 2 shown]
	v_cndmask_b32_e64 v14, v16, v14, s[42:43]
	s_mov_b32 s42, 0x33800000
	v_cmp_lt_f32_e64 s[42:43], |v32|, s42
	s_nop 1
	v_cndmask_b32_e64 v14, v14, v32, s[42:43]
	v_add_f32_e32 v7, v7, v14
	v_cvt_f16_f32_e32 v20, v7
	v_cvt_f32_f16_e32 v22, v20
	v_mov_b32_e32 v21, v20
.LBB425_42:
	s_or_b64 exec, exec, s[44:45]
	v_cvt_f32_f16_e32 v7, v4
	v_max_f32_e32 v14, v22, v22
	v_cmp_u_f16_e64 s[44:45], v20, v20
	v_cmp_u_f16_e64 s[42:43], v4, v4
	v_min_f32_e32 v15, v14, v7
	v_max_f32_e32 v14, v14, v7
	v_cndmask_b32_e64 v15, v15, v22, s[44:45]
	v_cndmask_b32_e64 v14, v14, v22, s[44:45]
	;; [unrolled: 1-line block ×4, first 2 shown]
	v_cmp_neq_f32_e64 s[44:45], v15, v14
	v_cmp_class_f32_e64 s[46:47], v15, s33
	s_or_b64 s[44:45], s[44:45], s[46:47]
	s_and_saveexec_b64 s[46:47], s[44:45]
	s_cbranch_execz .LBB425_44
; %bb.43:
	v_sub_f32_e32 v15, v15, v14
	s_mov_b32 s33, 0x3fb8aa3b
	v_mul_f32_e32 v16, 0x3fb8aa3b, v15
	v_fma_f32 v20, v15, s33, -v16
	v_rndne_f32_e32 v21, v16
	v_fmamk_f32 v20, v15, 0x32a5705f, v20
	v_sub_f32_e32 v16, v16, v21
	v_add_f32_e32 v16, v16, v20
	v_exp_f32_e32 v16, v16
	v_cvt_i32_f32_e32 v20, v21
	s_mov_b32 s33, 0xc2ce8ed0
	v_cmp_ngt_f32_e64 s[44:45], s33, v15
	s_mov_b32 s33, 0x42b17218
	v_ldexp_f32 v16, v16, v20
	v_cndmask_b32_e64 v16, 0, v16, s[44:45]
	v_mov_b32_e32 v34, 0x7f800000
	v_cmp_nlt_f32_e64 s[44:45], s33, v15
	s_mov_b32 s33, 0x3f2aaaab
	s_mov_b32 s48, 0x7f800000
	v_cndmask_b32_e64 v15, v34, v16, s[44:45]
	v_add_f32_e32 v16, 1.0, v15
	v_add_f32_e32 v20, -1.0, v16
	v_sub_f32_e32 v21, v20, v16
	v_add_f32_e32 v21, 1.0, v21
	v_sub_f32_e32 v20, v15, v20
	v_add_f32_e32 v22, v20, v21
	v_frexp_mant_f32_e32 v23, v16
	v_cvt_f64_f32_e32 v[20:21], v16
	v_frexp_exp_i32_f64_e32 v20, v[20:21]
	v_cmp_gt_f32_e64 s[44:45], s33, v23
	s_mov_b32 s33, 0x3f317218
	s_nop 0
	v_subbrev_co_u32_e64 v28, s[44:45], 0, v20, s[44:45]
	v_sub_u32_e32 v20, 0, v28
	v_ldexp_f32 v16, v16, v20
	v_ldexp_f32 v20, v22, v20
	v_add_f32_e32 v22, -1.0, v16
	v_add_f32_e32 v21, 1.0, v22
	v_sub_f32_e32 v21, v16, v21
	v_add_f32_e32 v23, v20, v21
	v_add_f32_e32 v21, 1.0, v16
	v_add_f32_e32 v24, -1.0, v21
	v_sub_f32_e32 v16, v16, v24
	v_add_f32_e32 v16, v20, v16
	v_add_f32_e32 v29, v21, v16
	v_rcp_f32_e32 v30, v29
	v_sub_f32_e32 v20, v21, v29
	v_add_f32_e32 v21, v22, v23
	v_add_f32_e32 v16, v16, v20
	v_mul_f32_e32 v32, v21, v30
	v_sub_f32_e32 v20, v22, v21
	v_mul_f32_e32 v22, v29, v32
	v_fma_f32 v24, v32, v29, -v22
	v_fmac_f32_e32 v24, v32, v16
	v_add_f32_e32 v31, v23, v20
	v_add_f32_e32 v20, v22, v24
	v_sub_f32_e32 v23, v21, v20
	v_pk_add_f32 v[26:27], v[20:21], v[22:23] neg_lo:[0,1] neg_hi:[0,1]
	v_mov_b32_e32 v25, v20
	v_pk_add_f32 v[20:21], v[26:27], v[24:25] neg_lo:[0,1] neg_hi:[0,1]
	v_cmp_neq_f32_e64 s[44:45], s48, v15
	v_add_f32_e32 v21, v31, v21
	v_add_f32_e32 v20, v20, v21
	;; [unrolled: 1-line block ×3, first 2 shown]
	v_mul_f32_e32 v31, v30, v21
	v_mul_f32_e32 v22, v29, v31
	v_fma_f32 v24, v31, v29, -v22
	v_fmac_f32_e32 v24, v31, v16
	v_sub_f32_e32 v16, v23, v21
	v_add_f32_e32 v16, v20, v16
	v_add_f32_e32 v20, v22, v24
	v_sub_f32_e32 v23, v21, v20
	v_pk_add_f32 v[26:27], v[20:21], v[22:23] neg_lo:[0,1] neg_hi:[0,1]
	v_mov_b32_e32 v25, v20
	v_pk_add_f32 v[20:21], v[26:27], v[24:25] neg_lo:[0,1] neg_hi:[0,1]
	v_cvt_f32_i32_e32 v22, v28
	v_add_f32_e32 v16, v16, v21
	v_add_f32_e32 v16, v20, v16
	;; [unrolled: 1-line block ×4, first 2 shown]
	v_sub_f32_e32 v21, v20, v32
	v_mul_f32_e32 v16, v30, v16
	v_sub_f32_e32 v21, v31, v21
	v_add_f32_e32 v16, v21, v16
	v_add_f32_e32 v23, v20, v16
	v_mul_f32_e32 v24, v23, v23
	v_mov_b32_e32 v21, 0x3ecc95a3
	v_fmac_f32_e32 v21, 0x3e9b6dac, v24
	v_sub_f32_e32 v20, v23, v20
	v_fmaak_f32 v21, v24, v21, 0x3f2aaada
	v_sub_f32_e32 v16, v16, v20
	v_ldexp_f32 v25, v23, 1
	v_mul_f32_e32 v23, v23, v24
	v_mov_b32_e32 v20, 0x3f317218
	v_pk_mul_f32 v[20:21], v[22:23], v[20:21]
	v_ldexp_f32 v16, v16, 1
	v_fma_f32 v23, v22, s33, -v20
	v_fmamk_f32 v24, v22, 0xb102e308, v23
	v_pk_add_f32 v[22:23], v[20:21], v[24:25]
	v_mov_b32_e32 v26, v20
	v_sub_f32_e32 v25, v23, v25
	v_sub_f32_e32 v25, v21, v25
	v_add_f32_e32 v27, v16, v25
	v_pk_add_f32 v[20:21], v[22:23], v[20:21] neg_lo:[0,1] neg_hi:[0,1]
	v_pk_add_f32 v[28:29], v[22:23], v[26:27]
	v_mov_b32_e32 v25, v22
	v_mov_b32_e32 v21, v29
	v_pk_add_f32 v[30:31], v[24:25], v[20:21] neg_lo:[0,1] neg_hi:[0,1]
	v_pk_add_f32 v[20:21], v[24:25], v[20:21]
	v_mov_b32_e32 v26, v27
	v_pk_add_f32 v[24:25], v[20:21], v[22:23] op_sel:[1,0] op_sel_hi:[0,1] neg_lo:[0,1] neg_hi:[0,1]
	v_pk_add_f32 v[32:33], v[28:29], v[24:25] op_sel_hi:[1,0] neg_lo:[0,1] neg_hi:[0,1]
	v_mov_b32_e32 v28, v29
	v_mov_b32_e32 v29, v21
	v_pk_mov_b32 v[24:25], v[22:23], v[24:25] op_sel:[1,0]
	v_mov_b32_e32 v27, v22
	v_pk_add_f32 v[24:25], v[28:29], v[24:25] neg_lo:[0,1] neg_hi:[0,1]
	v_mov_b32_e32 v32, v30
	v_pk_add_f32 v[22:23], v[26:27], v[24:25] neg_lo:[0,1] neg_hi:[0,1]
	v_mov_b32_e32 v31, v21
	v_pk_add_f32 v[24:25], v[32:33], v[22:23]
	s_mov_b32 s33, 0x33800000
	v_pk_add_f32 v[26:27], v[24:25], v[24:25] op_sel:[0,1] op_sel_hi:[1,0]
	s_nop 0
	v_pk_add_f32 v[20:21], v[20:21], v[26:27] op_sel:[1,0] op_sel_hi:[0,1]
	v_mov_b32_e32 v25, v20
	v_pk_add_f32 v[28:29], v[24:25], v[30:31] neg_lo:[0,1] neg_hi:[0,1]
	v_mov_b32_e32 v23, v26
	v_sub_f32_e32 v16, v24, v28
	v_pk_add_f32 v[22:23], v[22:23], v[28:29] neg_lo:[0,1] neg_hi:[0,1]
	v_sub_f32_e32 v16, v30, v16
	v_add_f32_e32 v16, v22, v16
	v_add_f32_e32 v16, v16, v23
	;; [unrolled: 1-line block ×3, first 2 shown]
	v_cndmask_b32_e64 v16, v34, v16, s[44:45]
	v_cmp_lt_f32_e64 s[44:45], |v15|, s33
	s_nop 1
	v_cndmask_b32_e64 v15, v16, v15, s[44:45]
	v_add_f32_e32 v14, v14, v15
	v_cvt_f16_f32_e32 v20, v14
	v_cvt_f32_f16_e32 v22, v20
	v_mov_b32_e32 v21, v20
.LBB425_44:
	s_or_b64 exec, exec, s[46:47]
	v_cvt_f32_f16_sdwa v14, v4 dst_sel:DWORD dst_unused:UNUSED_PAD src0_sel:WORD_1
	v_max_f32_e32 v16, v22, v22
	v_cmp_u_f16_e64 s[46:47], v20, v20
	v_cmp_u_f16_sdwa s[44:45], v4, v4 src0_sel:WORD_1 src1_sel:WORD_1
	v_min_f32_e32 v15, v16, v14
	v_max_f32_e32 v4, v16, v14
	v_cndmask_b32_e64 v15, v15, v22, s[46:47]
	v_cndmask_b32_e64 v4, v4, v22, s[46:47]
	;; [unrolled: 1-line block ×4, first 2 shown]
	s_movk_i32 s33, 0x1f8
	v_cmp_neq_f32_e64 s[46:47], v15, v4
	v_cmp_class_f32_e64 s[48:49], v15, s33
	s_or_b64 s[46:47], s[46:47], s[48:49]
	s_and_saveexec_b64 s[48:49], s[46:47]
	s_cbranch_execz .LBB425_46
; %bb.45:
	v_sub_f32_e32 v15, v15, v4
	s_mov_b32 s46, 0x3fb8aa3b
	v_mul_f32_e32 v16, 0x3fb8aa3b, v15
	v_fma_f32 v20, v15, s46, -v16
	v_rndne_f32_e32 v21, v16
	v_fmamk_f32 v20, v15, 0x32a5705f, v20
	v_sub_f32_e32 v16, v16, v21
	v_add_f32_e32 v16, v16, v20
	v_exp_f32_e32 v16, v16
	v_cvt_i32_f32_e32 v20, v21
	s_mov_b32 s46, 0xc2ce8ed0
	v_cmp_ngt_f32_e64 s[46:47], s46, v15
	v_mov_b32_e32 v34, 0x7f800000
	v_ldexp_f32 v16, v16, v20
	v_cndmask_b32_e64 v16, 0, v16, s[46:47]
	s_mov_b32 s46, 0x42b17218
	v_cmp_nlt_f32_e64 s[46:47], s46, v15
	s_mov_b32 s50, 0x7f800000
	s_nop 0
	v_cndmask_b32_e64 v15, v34, v16, s[46:47]
	v_add_f32_e32 v16, 1.0, v15
	v_add_f32_e32 v20, -1.0, v16
	v_sub_f32_e32 v21, v20, v16
	v_add_f32_e32 v21, 1.0, v21
	v_sub_f32_e32 v20, v15, v20
	v_add_f32_e32 v22, v20, v21
	v_frexp_mant_f32_e32 v23, v16
	s_mov_b32 s46, 0x3f2aaaab
	v_cvt_f64_f32_e32 v[20:21], v16
	v_frexp_exp_i32_f64_e32 v20, v[20:21]
	v_cmp_gt_f32_e64 s[46:47], s46, v23
	s_nop 1
	v_subbrev_co_u32_e64 v28, s[46:47], 0, v20, s[46:47]
	v_sub_u32_e32 v20, 0, v28
	v_ldexp_f32 v16, v16, v20
	v_ldexp_f32 v20, v22, v20
	v_add_f32_e32 v22, -1.0, v16
	v_add_f32_e32 v21, 1.0, v22
	v_sub_f32_e32 v21, v16, v21
	v_add_f32_e32 v23, v20, v21
	v_add_f32_e32 v21, 1.0, v16
	v_add_f32_e32 v24, -1.0, v21
	v_sub_f32_e32 v16, v16, v24
	v_add_f32_e32 v16, v20, v16
	v_add_f32_e32 v29, v21, v16
	v_rcp_f32_e32 v30, v29
	v_sub_f32_e32 v20, v21, v29
	v_add_f32_e32 v21, v22, v23
	v_add_f32_e32 v16, v16, v20
	v_mul_f32_e32 v32, v21, v30
	v_sub_f32_e32 v20, v22, v21
	v_mul_f32_e32 v22, v29, v32
	v_fma_f32 v24, v32, v29, -v22
	v_fmac_f32_e32 v24, v32, v16
	v_add_f32_e32 v31, v23, v20
	v_add_f32_e32 v20, v22, v24
	v_sub_f32_e32 v23, v21, v20
	v_pk_add_f32 v[26:27], v[20:21], v[22:23] neg_lo:[0,1] neg_hi:[0,1]
	v_mov_b32_e32 v25, v20
	v_pk_add_f32 v[20:21], v[26:27], v[24:25] neg_lo:[0,1] neg_hi:[0,1]
	s_mov_b32 s46, 0x3f317218
	v_add_f32_e32 v21, v31, v21
	v_add_f32_e32 v20, v20, v21
	;; [unrolled: 1-line block ×3, first 2 shown]
	v_mul_f32_e32 v31, v30, v21
	v_mul_f32_e32 v22, v29, v31
	v_fma_f32 v24, v31, v29, -v22
	v_fmac_f32_e32 v24, v31, v16
	v_sub_f32_e32 v16, v23, v21
	v_add_f32_e32 v16, v20, v16
	v_add_f32_e32 v20, v22, v24
	v_sub_f32_e32 v23, v21, v20
	v_pk_add_f32 v[26:27], v[20:21], v[22:23] neg_lo:[0,1] neg_hi:[0,1]
	v_mov_b32_e32 v25, v20
	v_pk_add_f32 v[20:21], v[26:27], v[24:25] neg_lo:[0,1] neg_hi:[0,1]
	v_cvt_f32_i32_e32 v22, v28
	v_add_f32_e32 v16, v16, v21
	v_add_f32_e32 v16, v20, v16
	;; [unrolled: 1-line block ×4, first 2 shown]
	v_sub_f32_e32 v21, v20, v32
	v_mul_f32_e32 v16, v30, v16
	v_sub_f32_e32 v21, v31, v21
	v_add_f32_e32 v16, v21, v16
	v_add_f32_e32 v23, v20, v16
	v_mul_f32_e32 v24, v23, v23
	v_mov_b32_e32 v21, 0x3ecc95a3
	v_fmac_f32_e32 v21, 0x3e9b6dac, v24
	v_sub_f32_e32 v20, v23, v20
	v_fmaak_f32 v21, v24, v21, 0x3f2aaada
	v_sub_f32_e32 v16, v16, v20
	v_ldexp_f32 v25, v23, 1
	v_mul_f32_e32 v23, v23, v24
	v_mov_b32_e32 v20, 0x3f317218
	v_pk_mul_f32 v[20:21], v[22:23], v[20:21]
	v_ldexp_f32 v16, v16, 1
	v_fma_f32 v23, v22, s46, -v20
	v_fmamk_f32 v24, v22, 0xb102e308, v23
	v_pk_add_f32 v[22:23], v[20:21], v[24:25]
	v_mov_b32_e32 v26, v20
	v_sub_f32_e32 v25, v23, v25
	v_sub_f32_e32 v25, v21, v25
	v_add_f32_e32 v27, v16, v25
	v_pk_add_f32 v[20:21], v[22:23], v[20:21] neg_lo:[0,1] neg_hi:[0,1]
	v_pk_add_f32 v[28:29], v[22:23], v[26:27]
	v_mov_b32_e32 v25, v22
	v_mov_b32_e32 v21, v29
	v_pk_add_f32 v[30:31], v[24:25], v[20:21] neg_lo:[0,1] neg_hi:[0,1]
	v_pk_add_f32 v[20:21], v[24:25], v[20:21]
	v_mov_b32_e32 v26, v27
	v_pk_add_f32 v[24:25], v[20:21], v[22:23] op_sel:[1,0] op_sel_hi:[0,1] neg_lo:[0,1] neg_hi:[0,1]
	v_pk_add_f32 v[32:33], v[28:29], v[24:25] op_sel_hi:[1,0] neg_lo:[0,1] neg_hi:[0,1]
	v_mov_b32_e32 v28, v29
	v_mov_b32_e32 v29, v21
	v_pk_mov_b32 v[24:25], v[22:23], v[24:25] op_sel:[1,0]
	v_mov_b32_e32 v27, v22
	v_pk_add_f32 v[24:25], v[28:29], v[24:25] neg_lo:[0,1] neg_hi:[0,1]
	v_mov_b32_e32 v32, v30
	v_pk_add_f32 v[22:23], v[26:27], v[24:25] neg_lo:[0,1] neg_hi:[0,1]
	v_mov_b32_e32 v31, v21
	v_pk_add_f32 v[24:25], v[32:33], v[22:23]
	v_cmp_neq_f32_e64 s[46:47], s50, v15
	v_pk_add_f32 v[26:27], v[24:25], v[24:25] op_sel:[0,1] op_sel_hi:[1,0]
	s_nop 0
	v_pk_add_f32 v[20:21], v[20:21], v[26:27] op_sel:[1,0] op_sel_hi:[0,1]
	v_mov_b32_e32 v25, v20
	v_pk_add_f32 v[28:29], v[24:25], v[30:31] neg_lo:[0,1] neg_hi:[0,1]
	v_mov_b32_e32 v23, v26
	v_sub_f32_e32 v16, v24, v28
	v_pk_add_f32 v[22:23], v[22:23], v[28:29] neg_lo:[0,1] neg_hi:[0,1]
	v_sub_f32_e32 v16, v30, v16
	v_add_f32_e32 v16, v22, v16
	v_add_f32_e32 v16, v16, v23
	;; [unrolled: 1-line block ×3, first 2 shown]
	v_cndmask_b32_e64 v16, v34, v16, s[46:47]
	s_mov_b32 s46, 0x33800000
	v_cmp_lt_f32_e64 s[46:47], |v15|, s46
	s_nop 1
	v_cndmask_b32_e64 v15, v16, v15, s[46:47]
	v_add_f32_e32 v4, v4, v15
	v_cvt_f16_f32_e32 v20, v4
	v_cvt_f32_f16_e32 v22, v20
	v_mov_b32_e32 v21, v20
.LBB425_46:
	s_or_b64 exec, exec, s[48:49]
	v_cvt_f32_f16_e32 v4, v5
	v_max_f32_e32 v15, v22, v22
	v_cmp_u_f16_e64 s[48:49], v20, v20
	v_cmp_u_f16_e64 s[46:47], v5, v5
	v_min_f32_e32 v16, v15, v4
	v_max_f32_e32 v15, v15, v4
	v_cndmask_b32_e64 v16, v16, v22, s[48:49]
	v_cndmask_b32_e64 v15, v15, v22, s[48:49]
	;; [unrolled: 1-line block ×4, first 2 shown]
	v_cmp_neq_f32_e64 s[48:49], v16, v15
	v_cmp_class_f32_e64 s[50:51], v16, s33
	s_or_b64 s[48:49], s[48:49], s[50:51]
	s_and_saveexec_b64 s[50:51], s[48:49]
	s_cbranch_execz .LBB425_48
; %bb.47:
	v_sub_f32_e32 v16, v16, v15
	s_mov_b32 s33, 0x3fb8aa3b
	v_mul_f32_e32 v20, 0x3fb8aa3b, v16
	v_fma_f32 v21, v16, s33, -v20
	v_rndne_f32_e32 v22, v20
	v_fmamk_f32 v21, v16, 0x32a5705f, v21
	v_sub_f32_e32 v20, v20, v22
	v_add_f32_e32 v20, v20, v21
	v_exp_f32_e32 v20, v20
	v_cvt_i32_f32_e32 v21, v22
	s_mov_b32 s33, 0xc2ce8ed0
	v_cmp_ngt_f32_e64 s[48:49], s33, v16
	s_mov_b32 s33, 0x42b17218
	v_ldexp_f32 v20, v20, v21
	v_cndmask_b32_e64 v20, 0, v20, s[48:49]
	v_mov_b32_e32 v34, 0x7f800000
	v_cmp_nlt_f32_e64 s[48:49], s33, v16
	s_mov_b32 s33, 0x3f2aaaab
	s_mov_b32 s52, 0x7f800000
	v_cndmask_b32_e64 v16, v34, v20, s[48:49]
	v_add_f32_e32 v22, 1.0, v16
	v_add_f32_e32 v20, -1.0, v22
	v_sub_f32_e32 v21, v20, v22
	v_add_f32_e32 v21, 1.0, v21
	v_sub_f32_e32 v20, v16, v20
	v_add_f32_e32 v23, v20, v21
	v_frexp_mant_f32_e32 v24, v22
	v_cvt_f64_f32_e32 v[20:21], v22
	v_frexp_exp_i32_f64_e32 v20, v[20:21]
	v_cmp_gt_f32_e64 s[48:49], s33, v24
	s_mov_b32 s33, 0x3f317218
	s_nop 0
	v_subbrev_co_u32_e64 v28, s[48:49], 0, v20, s[48:49]
	v_sub_u32_e32 v20, 0, v28
	v_ldexp_f32 v21, v22, v20
	v_add_f32_e32 v22, -1.0, v21
	v_add_f32_e32 v24, 1.0, v21
	v_ldexp_f32 v20, v23, v20
	v_add_f32_e32 v23, 1.0, v22
	v_add_f32_e32 v25, -1.0, v24
	v_sub_f32_e32 v23, v21, v23
	v_sub_f32_e32 v21, v21, v25
	v_add_f32_e32 v23, v20, v23
	v_add_f32_e32 v20, v20, v21
	;; [unrolled: 1-line block ×3, first 2 shown]
	v_rcp_f32_e32 v31, v29
	v_sub_f32_e32 v21, v24, v29
	v_add_f32_e32 v30, v20, v21
	v_add_f32_e32 v21, v22, v23
	v_mul_f32_e32 v33, v21, v31
	v_sub_f32_e32 v20, v22, v21
	v_mul_f32_e32 v22, v29, v33
	v_fma_f32 v24, v33, v29, -v22
	v_fmac_f32_e32 v24, v33, v30
	v_add_f32_e32 v32, v23, v20
	v_add_f32_e32 v20, v22, v24
	v_sub_f32_e32 v23, v21, v20
	v_pk_add_f32 v[26:27], v[20:21], v[22:23] neg_lo:[0,1] neg_hi:[0,1]
	v_mov_b32_e32 v25, v20
	v_pk_add_f32 v[20:21], v[26:27], v[24:25] neg_lo:[0,1] neg_hi:[0,1]
	v_cmp_neq_f32_e64 s[48:49], s52, v16
	v_add_f32_e32 v21, v32, v21
	v_add_f32_e32 v20, v20, v21
	;; [unrolled: 1-line block ×3, first 2 shown]
	v_mul_f32_e32 v32, v31, v21
	v_mul_f32_e32 v22, v29, v32
	v_fma_f32 v24, v32, v29, -v22
	v_fmac_f32_e32 v24, v32, v30
	v_sub_f32_e32 v23, v23, v21
	v_add_f32_e32 v29, v20, v23
	v_add_f32_e32 v20, v22, v24
	v_sub_f32_e32 v23, v21, v20
	v_pk_add_f32 v[26:27], v[20:21], v[22:23] neg_lo:[0,1] neg_hi:[0,1]
	v_mov_b32_e32 v25, v20
	v_pk_add_f32 v[20:21], v[26:27], v[24:25] neg_lo:[0,1] neg_hi:[0,1]
	v_cvt_f32_i32_e32 v22, v28
	v_add_f32_e32 v21, v29, v21
	v_add_f32_e32 v20, v20, v21
	;; [unrolled: 1-line block ×4, first 2 shown]
	v_sub_f32_e32 v21, v23, v33
	v_mul_f32_e32 v20, v31, v20
	v_sub_f32_e32 v21, v32, v21
	v_add_f32_e32 v20, v21, v20
	v_add_f32_e32 v24, v23, v20
	v_mul_f32_e32 v26, v24, v24
	v_mov_b32_e32 v21, 0x3ecc95a3
	v_sub_f32_e32 v23, v24, v23
	v_fmac_f32_e32 v21, 0x3e9b6dac, v26
	v_sub_f32_e32 v20, v20, v23
	v_fmaak_f32 v21, v26, v21, 0x3f2aaada
	v_ldexp_f32 v27, v20, 1
	v_mul_f32_e32 v23, v24, v26
	v_mov_b32_e32 v20, 0x3f317218
	v_pk_mul_f32 v[20:21], v[22:23], v[20:21]
	v_ldexp_f32 v25, v24, 1
	v_fma_f32 v23, v22, s33, -v20
	v_fmamk_f32 v24, v22, 0xb102e308, v23
	v_pk_add_f32 v[22:23], v[20:21], v[24:25]
	v_mov_b32_e32 v26, v20
	v_sub_f32_e32 v25, v23, v25
	v_sub_f32_e32 v25, v21, v25
	v_add_f32_e32 v27, v27, v25
	v_pk_add_f32 v[20:21], v[22:23], v[20:21] neg_lo:[0,1] neg_hi:[0,1]
	v_pk_add_f32 v[28:29], v[22:23], v[26:27]
	v_mov_b32_e32 v25, v22
	v_mov_b32_e32 v21, v29
	v_pk_add_f32 v[30:31], v[24:25], v[20:21] neg_lo:[0,1] neg_hi:[0,1]
	v_pk_add_f32 v[20:21], v[24:25], v[20:21]
	v_mov_b32_e32 v26, v27
	v_pk_add_f32 v[24:25], v[20:21], v[22:23] op_sel:[1,0] op_sel_hi:[0,1] neg_lo:[0,1] neg_hi:[0,1]
	v_pk_add_f32 v[32:33], v[28:29], v[24:25] op_sel_hi:[1,0] neg_lo:[0,1] neg_hi:[0,1]
	v_mov_b32_e32 v28, v29
	v_mov_b32_e32 v29, v21
	v_pk_mov_b32 v[24:25], v[22:23], v[24:25] op_sel:[1,0]
	v_mov_b32_e32 v27, v22
	v_pk_add_f32 v[24:25], v[28:29], v[24:25] neg_lo:[0,1] neg_hi:[0,1]
	v_mov_b32_e32 v32, v30
	v_pk_add_f32 v[22:23], v[26:27], v[24:25] neg_lo:[0,1] neg_hi:[0,1]
	v_mov_b32_e32 v31, v21
	v_pk_add_f32 v[24:25], v[32:33], v[22:23]
	s_mov_b32 s33, 0x33800000
	v_pk_add_f32 v[26:27], v[24:25], v[24:25] op_sel:[0,1] op_sel_hi:[1,0]
	s_nop 0
	v_pk_add_f32 v[20:21], v[20:21], v[26:27] op_sel:[1,0] op_sel_hi:[0,1]
	v_mov_b32_e32 v25, v20
	v_pk_add_f32 v[28:29], v[24:25], v[30:31] neg_lo:[0,1] neg_hi:[0,1]
	v_mov_b32_e32 v23, v26
	v_sub_f32_e32 v21, v24, v28
	v_pk_add_f32 v[22:23], v[22:23], v[28:29] neg_lo:[0,1] neg_hi:[0,1]
	v_sub_f32_e32 v21, v30, v21
	v_add_f32_e32 v21, v22, v21
	v_add_f32_e32 v21, v21, v23
	v_add_f32_e32 v20, v20, v21
	v_cndmask_b32_e64 v20, v34, v20, s[48:49]
	v_cmp_lt_f32_e64 s[48:49], |v16|, s33
	s_nop 1
	v_cndmask_b32_e64 v16, v20, v16, s[48:49]
	v_add_f32_e32 v15, v15, v16
	v_cvt_f16_f32_e32 v20, v15
	v_cvt_f32_f16_e32 v22, v20
	v_mov_b32_e32 v21, v20
.LBB425_48:
	s_or_b64 exec, exec, s[50:51]
	v_cvt_f32_f16_sdwa v15, v5 dst_sel:DWORD dst_unused:UNUSED_PAD src0_sel:WORD_1
	v_max_f32_e32 v23, v22, v22
	v_cmp_u_f16_e64 s[50:51], v20, v20
	v_cmp_u_f16_sdwa s[48:49], v5, v5 src0_sel:WORD_1 src1_sel:WORD_1
	v_min_f32_e32 v16, v23, v15
	v_max_f32_e32 v5, v23, v15
	v_cndmask_b32_e64 v16, v16, v22, s[50:51]
	v_cndmask_b32_e64 v5, v5, v22, s[50:51]
	;; [unrolled: 1-line block ×4, first 2 shown]
	s_movk_i32 s33, 0x1f8
	v_cmp_neq_f32_e64 s[50:51], v16, v5
	v_cmp_class_f32_e64 s[52:53], v16, s33
	s_or_b64 s[50:51], s[50:51], s[52:53]
	s_and_saveexec_b64 s[52:53], s[50:51]
	s_cbranch_execz .LBB425_50
; %bb.49:
	v_sub_f32_e32 v16, v16, v5
	s_mov_b32 s50, 0x3fb8aa3b
	v_mul_f32_e32 v20, 0x3fb8aa3b, v16
	v_fma_f32 v21, v16, s50, -v20
	v_rndne_f32_e32 v22, v20
	v_fmamk_f32 v21, v16, 0x32a5705f, v21
	v_sub_f32_e32 v20, v20, v22
	v_add_f32_e32 v20, v20, v21
	v_exp_f32_e32 v20, v20
	v_cvt_i32_f32_e32 v21, v22
	s_mov_b32 s50, 0xc2ce8ed0
	v_cmp_ngt_f32_e64 s[50:51], s50, v16
	v_mov_b32_e32 v34, 0x7f800000
	v_ldexp_f32 v20, v20, v21
	v_cndmask_b32_e64 v20, 0, v20, s[50:51]
	s_mov_b32 s50, 0x42b17218
	v_cmp_nlt_f32_e64 s[50:51], s50, v16
	s_mov_b32 s58, 0x7f800000
	s_nop 0
	v_cndmask_b32_e64 v16, v34, v20, s[50:51]
	v_add_f32_e32 v22, 1.0, v16
	v_add_f32_e32 v20, -1.0, v22
	v_sub_f32_e32 v21, v20, v22
	v_add_f32_e32 v21, 1.0, v21
	v_sub_f32_e32 v20, v16, v20
	v_add_f32_e32 v23, v20, v21
	v_frexp_mant_f32_e32 v24, v22
	s_mov_b32 s50, 0x3f2aaaab
	v_cvt_f64_f32_e32 v[20:21], v22
	v_frexp_exp_i32_f64_e32 v20, v[20:21]
	v_cmp_gt_f32_e64 s[50:51], s50, v24
	s_nop 1
	v_subbrev_co_u32_e64 v28, s[50:51], 0, v20, s[50:51]
	v_sub_u32_e32 v20, 0, v28
	v_ldexp_f32 v21, v22, v20
	v_add_f32_e32 v22, -1.0, v21
	v_add_f32_e32 v24, 1.0, v21
	v_ldexp_f32 v20, v23, v20
	v_add_f32_e32 v23, 1.0, v22
	v_add_f32_e32 v25, -1.0, v24
	v_sub_f32_e32 v23, v21, v23
	v_sub_f32_e32 v21, v21, v25
	v_add_f32_e32 v23, v20, v23
	v_add_f32_e32 v20, v20, v21
	;; [unrolled: 1-line block ×3, first 2 shown]
	v_rcp_f32_e32 v31, v29
	v_sub_f32_e32 v21, v24, v29
	v_add_f32_e32 v30, v20, v21
	v_add_f32_e32 v21, v22, v23
	v_mul_f32_e32 v33, v21, v31
	v_sub_f32_e32 v20, v22, v21
	v_mul_f32_e32 v22, v29, v33
	v_fma_f32 v24, v33, v29, -v22
	v_fmac_f32_e32 v24, v33, v30
	v_add_f32_e32 v32, v23, v20
	v_add_f32_e32 v20, v22, v24
	v_sub_f32_e32 v23, v21, v20
	v_pk_add_f32 v[26:27], v[20:21], v[22:23] neg_lo:[0,1] neg_hi:[0,1]
	v_mov_b32_e32 v25, v20
	v_pk_add_f32 v[20:21], v[26:27], v[24:25] neg_lo:[0,1] neg_hi:[0,1]
	s_mov_b32 s50, 0x3f317218
	v_add_f32_e32 v21, v32, v21
	v_add_f32_e32 v20, v20, v21
	;; [unrolled: 1-line block ×3, first 2 shown]
	v_mul_f32_e32 v32, v31, v21
	v_mul_f32_e32 v22, v29, v32
	v_fma_f32 v24, v32, v29, -v22
	v_fmac_f32_e32 v24, v32, v30
	v_sub_f32_e32 v23, v23, v21
	v_add_f32_e32 v29, v20, v23
	v_add_f32_e32 v20, v22, v24
	v_sub_f32_e32 v23, v21, v20
	v_pk_add_f32 v[26:27], v[20:21], v[22:23] neg_lo:[0,1] neg_hi:[0,1]
	v_mov_b32_e32 v25, v20
	v_pk_add_f32 v[20:21], v[26:27], v[24:25] neg_lo:[0,1] neg_hi:[0,1]
	v_cvt_f32_i32_e32 v22, v28
	v_add_f32_e32 v21, v29, v21
	v_add_f32_e32 v20, v20, v21
	;; [unrolled: 1-line block ×4, first 2 shown]
	v_sub_f32_e32 v21, v23, v33
	v_mul_f32_e32 v20, v31, v20
	v_sub_f32_e32 v21, v32, v21
	v_add_f32_e32 v20, v21, v20
	v_add_f32_e32 v24, v23, v20
	v_mul_f32_e32 v26, v24, v24
	v_mov_b32_e32 v21, 0x3ecc95a3
	v_sub_f32_e32 v23, v24, v23
	v_fmac_f32_e32 v21, 0x3e9b6dac, v26
	v_sub_f32_e32 v20, v20, v23
	v_fmaak_f32 v21, v26, v21, 0x3f2aaada
	v_ldexp_f32 v27, v20, 1
	v_mul_f32_e32 v23, v24, v26
	v_mov_b32_e32 v20, 0x3f317218
	v_pk_mul_f32 v[20:21], v[22:23], v[20:21]
	v_ldexp_f32 v25, v24, 1
	v_fma_f32 v23, v22, s50, -v20
	v_fmamk_f32 v24, v22, 0xb102e308, v23
	v_pk_add_f32 v[22:23], v[20:21], v[24:25]
	v_mov_b32_e32 v26, v20
	v_sub_f32_e32 v25, v23, v25
	v_sub_f32_e32 v25, v21, v25
	v_add_f32_e32 v27, v27, v25
	v_pk_add_f32 v[20:21], v[22:23], v[20:21] neg_lo:[0,1] neg_hi:[0,1]
	v_pk_add_f32 v[28:29], v[22:23], v[26:27]
	v_mov_b32_e32 v25, v22
	v_mov_b32_e32 v21, v29
	v_pk_add_f32 v[30:31], v[24:25], v[20:21] neg_lo:[0,1] neg_hi:[0,1]
	v_pk_add_f32 v[20:21], v[24:25], v[20:21]
	v_mov_b32_e32 v26, v27
	v_pk_add_f32 v[24:25], v[20:21], v[22:23] op_sel:[1,0] op_sel_hi:[0,1] neg_lo:[0,1] neg_hi:[0,1]
	v_pk_add_f32 v[32:33], v[28:29], v[24:25] op_sel_hi:[1,0] neg_lo:[0,1] neg_hi:[0,1]
	v_mov_b32_e32 v28, v29
	v_mov_b32_e32 v29, v21
	v_pk_mov_b32 v[24:25], v[22:23], v[24:25] op_sel:[1,0]
	v_mov_b32_e32 v27, v22
	v_pk_add_f32 v[24:25], v[28:29], v[24:25] neg_lo:[0,1] neg_hi:[0,1]
	v_mov_b32_e32 v32, v30
	v_pk_add_f32 v[22:23], v[26:27], v[24:25] neg_lo:[0,1] neg_hi:[0,1]
	v_mov_b32_e32 v31, v21
	v_pk_add_f32 v[24:25], v[32:33], v[22:23]
	v_cmp_neq_f32_e64 s[50:51], s58, v16
	v_pk_add_f32 v[26:27], v[24:25], v[24:25] op_sel:[0,1] op_sel_hi:[1,0]
	s_nop 0
	v_pk_add_f32 v[20:21], v[20:21], v[26:27] op_sel:[1,0] op_sel_hi:[0,1]
	v_mov_b32_e32 v25, v20
	v_pk_add_f32 v[28:29], v[24:25], v[30:31] neg_lo:[0,1] neg_hi:[0,1]
	v_mov_b32_e32 v23, v26
	v_sub_f32_e32 v21, v24, v28
	v_pk_add_f32 v[22:23], v[22:23], v[28:29] neg_lo:[0,1] neg_hi:[0,1]
	v_sub_f32_e32 v21, v30, v21
	v_add_f32_e32 v21, v22, v21
	v_add_f32_e32 v21, v21, v23
	;; [unrolled: 1-line block ×3, first 2 shown]
	v_cndmask_b32_e64 v20, v34, v20, s[50:51]
	s_mov_b32 s50, 0x33800000
	v_cmp_lt_f32_e64 s[50:51], |v16|, s50
	s_nop 1
	v_cndmask_b32_e64 v16, v20, v16, s[50:51]
	v_add_f32_e32 v5, v5, v16
	v_cvt_f16_f32_e32 v20, v5
	v_cvt_f32_f16_e32 v22, v20
	v_mov_b32_e32 v21, v20
.LBB425_50:
	s_or_b64 exec, exec, s[52:53]
	v_cvt_f32_f16_e32 v5, v19
	v_max_f32_e32 v16, v22, v22
	v_cmp_u_f16_e64 s[52:53], v20, v20
	v_cmp_u_f16_e64 s[50:51], v19, v19
	v_min_f32_e32 v23, v16, v5
	v_max_f32_e32 v16, v16, v5
	v_cndmask_b32_e64 v23, v23, v22, s[52:53]
	v_cndmask_b32_e64 v16, v16, v22, s[52:53]
	;; [unrolled: 1-line block ×4, first 2 shown]
	v_cmp_neq_f32_e64 s[52:53], v23, v16
	v_cmp_class_f32_e64 s[58:59], v23, s33
	s_or_b64 s[52:53], s[52:53], s[58:59]
	s_and_saveexec_b64 s[58:59], s[52:53]
	s_cbranch_execz .LBB425_52
; %bb.51:
	v_sub_f32_e32 v20, v23, v16
	s_mov_b32 s33, 0x3fb8aa3b
	v_mul_f32_e32 v21, 0x3fb8aa3b, v20
	v_fma_f32 v22, v20, s33, -v21
	v_rndne_f32_e32 v23, v21
	v_fmamk_f32 v22, v20, 0x32a5705f, v22
	v_sub_f32_e32 v21, v21, v23
	v_add_f32_e32 v21, v21, v22
	v_exp_f32_e32 v21, v21
	v_cvt_i32_f32_e32 v22, v23
	s_mov_b32 s33, 0xc2ce8ed0
	v_cmp_ngt_f32_e64 s[52:53], s33, v20
	s_mov_b32 s33, 0x42b17218
	v_ldexp_f32 v21, v21, v22
	v_cndmask_b32_e64 v21, 0, v21, s[52:53]
	v_mov_b32_e32 v34, 0x7f800000
	v_cmp_nlt_f32_e64 s[52:53], s33, v20
	s_mov_b32 s33, 0x3f2aaaab
	s_mov_b32 s60, 0x7f800000
	v_cndmask_b32_e64 v35, v34, v21, s[52:53]
	v_add_f32_e32 v22, 1.0, v35
	v_add_f32_e32 v20, -1.0, v22
	v_sub_f32_e32 v21, v20, v22
	v_add_f32_e32 v21, 1.0, v21
	v_sub_f32_e32 v20, v35, v20
	v_add_f32_e32 v23, v20, v21
	v_frexp_mant_f32_e32 v24, v22
	v_cvt_f64_f32_e32 v[20:21], v22
	v_frexp_exp_i32_f64_e32 v20, v[20:21]
	v_cmp_gt_f32_e64 s[52:53], s33, v24
	s_mov_b32 s33, 0x3f317218
	s_nop 0
	v_subbrev_co_u32_e64 v28, s[52:53], 0, v20, s[52:53]
	v_sub_u32_e32 v20, 0, v28
	v_ldexp_f32 v21, v22, v20
	v_add_f32_e32 v22, -1.0, v21
	v_add_f32_e32 v24, 1.0, v21
	v_ldexp_f32 v20, v23, v20
	v_add_f32_e32 v23, 1.0, v22
	v_add_f32_e32 v25, -1.0, v24
	v_sub_f32_e32 v23, v21, v23
	v_sub_f32_e32 v21, v21, v25
	v_add_f32_e32 v23, v20, v23
	v_add_f32_e32 v20, v20, v21
	;; [unrolled: 1-line block ×3, first 2 shown]
	v_rcp_f32_e32 v31, v29
	v_sub_f32_e32 v21, v24, v29
	v_add_f32_e32 v30, v20, v21
	v_add_f32_e32 v21, v22, v23
	v_mul_f32_e32 v33, v21, v31
	v_sub_f32_e32 v20, v22, v21
	v_mul_f32_e32 v22, v29, v33
	v_fma_f32 v24, v33, v29, -v22
	v_fmac_f32_e32 v24, v33, v30
	v_add_f32_e32 v32, v23, v20
	v_add_f32_e32 v20, v22, v24
	v_sub_f32_e32 v23, v21, v20
	v_pk_add_f32 v[26:27], v[20:21], v[22:23] neg_lo:[0,1] neg_hi:[0,1]
	v_mov_b32_e32 v25, v20
	v_pk_add_f32 v[20:21], v[26:27], v[24:25] neg_lo:[0,1] neg_hi:[0,1]
	v_cmp_neq_f32_e64 s[52:53], s60, v35
	v_add_f32_e32 v21, v32, v21
	v_add_f32_e32 v20, v20, v21
	;; [unrolled: 1-line block ×3, first 2 shown]
	v_mul_f32_e32 v32, v31, v21
	v_mul_f32_e32 v22, v29, v32
	v_fma_f32 v24, v32, v29, -v22
	v_fmac_f32_e32 v24, v32, v30
	v_sub_f32_e32 v23, v23, v21
	v_add_f32_e32 v29, v20, v23
	v_add_f32_e32 v20, v22, v24
	v_sub_f32_e32 v23, v21, v20
	v_pk_add_f32 v[26:27], v[20:21], v[22:23] neg_lo:[0,1] neg_hi:[0,1]
	v_mov_b32_e32 v25, v20
	v_pk_add_f32 v[20:21], v[26:27], v[24:25] neg_lo:[0,1] neg_hi:[0,1]
	v_cvt_f32_i32_e32 v22, v28
	v_add_f32_e32 v21, v29, v21
	v_add_f32_e32 v20, v20, v21
	;; [unrolled: 1-line block ×4, first 2 shown]
	v_sub_f32_e32 v21, v23, v33
	v_mul_f32_e32 v20, v31, v20
	v_sub_f32_e32 v21, v32, v21
	v_add_f32_e32 v20, v21, v20
	v_add_f32_e32 v24, v23, v20
	v_mul_f32_e32 v26, v24, v24
	v_mov_b32_e32 v21, 0x3ecc95a3
	v_sub_f32_e32 v23, v24, v23
	v_fmac_f32_e32 v21, 0x3e9b6dac, v26
	v_sub_f32_e32 v20, v20, v23
	v_fmaak_f32 v21, v26, v21, 0x3f2aaada
	v_ldexp_f32 v27, v20, 1
	v_mul_f32_e32 v23, v24, v26
	v_mov_b32_e32 v20, 0x3f317218
	v_pk_mul_f32 v[20:21], v[22:23], v[20:21]
	v_ldexp_f32 v25, v24, 1
	v_fma_f32 v23, v22, s33, -v20
	v_fmamk_f32 v24, v22, 0xb102e308, v23
	v_pk_add_f32 v[22:23], v[20:21], v[24:25]
	v_mov_b32_e32 v26, v20
	v_sub_f32_e32 v25, v23, v25
	v_sub_f32_e32 v25, v21, v25
	v_add_f32_e32 v27, v27, v25
	v_pk_add_f32 v[20:21], v[22:23], v[20:21] neg_lo:[0,1] neg_hi:[0,1]
	v_pk_add_f32 v[28:29], v[22:23], v[26:27]
	v_mov_b32_e32 v25, v22
	v_mov_b32_e32 v21, v29
	v_pk_add_f32 v[30:31], v[24:25], v[20:21] neg_lo:[0,1] neg_hi:[0,1]
	v_pk_add_f32 v[20:21], v[24:25], v[20:21]
	v_mov_b32_e32 v26, v27
	v_pk_add_f32 v[24:25], v[20:21], v[22:23] op_sel:[1,0] op_sel_hi:[0,1] neg_lo:[0,1] neg_hi:[0,1]
	v_pk_add_f32 v[32:33], v[28:29], v[24:25] op_sel_hi:[1,0] neg_lo:[0,1] neg_hi:[0,1]
	v_mov_b32_e32 v28, v29
	v_mov_b32_e32 v29, v21
	v_pk_mov_b32 v[24:25], v[22:23], v[24:25] op_sel:[1,0]
	v_mov_b32_e32 v27, v22
	v_pk_add_f32 v[24:25], v[28:29], v[24:25] neg_lo:[0,1] neg_hi:[0,1]
	v_mov_b32_e32 v32, v30
	v_pk_add_f32 v[22:23], v[26:27], v[24:25] neg_lo:[0,1] neg_hi:[0,1]
	v_mov_b32_e32 v31, v21
	v_pk_add_f32 v[24:25], v[32:33], v[22:23]
	s_mov_b32 s33, 0x33800000
	v_pk_add_f32 v[26:27], v[24:25], v[24:25] op_sel:[0,1] op_sel_hi:[1,0]
	s_nop 0
	v_pk_add_f32 v[20:21], v[20:21], v[26:27] op_sel:[1,0] op_sel_hi:[0,1]
	v_mov_b32_e32 v25, v20
	v_pk_add_f32 v[28:29], v[24:25], v[30:31] neg_lo:[0,1] neg_hi:[0,1]
	v_mov_b32_e32 v23, v26
	v_sub_f32_e32 v21, v24, v28
	v_pk_add_f32 v[22:23], v[22:23], v[28:29] neg_lo:[0,1] neg_hi:[0,1]
	v_sub_f32_e32 v21, v30, v21
	v_add_f32_e32 v21, v22, v21
	v_add_f32_e32 v21, v21, v23
	;; [unrolled: 1-line block ×3, first 2 shown]
	v_cndmask_b32_e64 v20, v34, v20, s[52:53]
	v_cmp_lt_f32_e64 s[52:53], |v35|, s33
	s_nop 1
	v_cndmask_b32_e64 v20, v20, v35, s[52:53]
	v_add_f32_e32 v16, v16, v20
	v_cvt_f16_f32_e32 v20, v16
	v_cvt_f32_f16_e32 v22, v20
	v_mov_b32_e32 v21, v20
.LBB425_52:
	s_or_b64 exec, exec, s[58:59]
	v_cvt_f32_f16_sdwa v16, v19 dst_sel:DWORD dst_unused:UNUSED_PAD src0_sel:WORD_1
	v_max_f32_e32 v23, v22, v22
	v_cmp_u_f16_e64 s[58:59], v20, v20
	v_cmp_u_f16_sdwa s[52:53], v19, v19 src0_sel:WORD_1 src1_sel:WORD_1
	v_min_f32_e32 v24, v23, v16
	v_max_f32_e32 v19, v23, v16
	v_cndmask_b32_e64 v20, v24, v22, s[58:59]
	v_cndmask_b32_e64 v19, v19, v22, s[58:59]
	;; [unrolled: 1-line block ×4, first 2 shown]
	s_movk_i32 s33, 0x1f8
	v_cmp_neq_f32_e64 s[58:59], v20, v19
	v_cmp_class_f32_e64 s[60:61], v20, s33
	s_or_b64 s[58:59], s[58:59], s[60:61]
	s_and_saveexec_b64 s[60:61], s[58:59]
	s_cbranch_execz .LBB425_54
; %bb.53:
	v_sub_f32_e32 v20, v20, v19
	s_mov_b32 s33, 0x3fb8aa3b
	v_mul_f32_e32 v21, 0x3fb8aa3b, v20
	v_fma_f32 v22, v20, s33, -v21
	v_rndne_f32_e32 v23, v21
	v_fmamk_f32 v22, v20, 0x32a5705f, v22
	v_sub_f32_e32 v21, v21, v23
	v_add_f32_e32 v21, v21, v22
	v_exp_f32_e32 v21, v21
	v_cvt_i32_f32_e32 v22, v23
	s_mov_b32 s33, 0xc2ce8ed0
	v_cmp_ngt_f32_e64 s[58:59], s33, v20
	s_mov_b32 s33, 0x42b17218
	v_ldexp_f32 v21, v21, v22
	v_cndmask_b32_e64 v21, 0, v21, s[58:59]
	v_mov_b32_e32 v34, 0x7f800000
	v_cmp_nlt_f32_e64 s[58:59], s33, v20
	s_mov_b32 s33, 0x3f2aaaab
	s_mov_b32 s62, 0x7f800000
	v_cndmask_b32_e64 v35, v34, v21, s[58:59]
	v_add_f32_e32 v22, 1.0, v35
	v_add_f32_e32 v20, -1.0, v22
	v_sub_f32_e32 v21, v20, v22
	v_add_f32_e32 v21, 1.0, v21
	v_sub_f32_e32 v20, v35, v20
	v_add_f32_e32 v23, v20, v21
	v_frexp_mant_f32_e32 v24, v22
	v_cvt_f64_f32_e32 v[20:21], v22
	v_frexp_exp_i32_f64_e32 v20, v[20:21]
	v_cmp_gt_f32_e64 s[58:59], s33, v24
	s_mov_b32 s33, 0x3f317218
	s_nop 0
	v_subbrev_co_u32_e64 v28, s[58:59], 0, v20, s[58:59]
	v_sub_u32_e32 v20, 0, v28
	v_ldexp_f32 v21, v22, v20
	v_add_f32_e32 v22, -1.0, v21
	v_add_f32_e32 v24, 1.0, v21
	v_ldexp_f32 v20, v23, v20
	v_add_f32_e32 v23, 1.0, v22
	v_add_f32_e32 v25, -1.0, v24
	v_sub_f32_e32 v23, v21, v23
	v_sub_f32_e32 v21, v21, v25
	v_add_f32_e32 v23, v20, v23
	v_add_f32_e32 v20, v20, v21
	;; [unrolled: 1-line block ×3, first 2 shown]
	v_rcp_f32_e32 v31, v29
	v_sub_f32_e32 v21, v24, v29
	v_add_f32_e32 v30, v20, v21
	v_add_f32_e32 v21, v22, v23
	v_mul_f32_e32 v33, v21, v31
	v_sub_f32_e32 v20, v22, v21
	v_mul_f32_e32 v22, v29, v33
	v_fma_f32 v24, v33, v29, -v22
	v_fmac_f32_e32 v24, v33, v30
	v_add_f32_e32 v32, v23, v20
	v_add_f32_e32 v20, v22, v24
	v_sub_f32_e32 v23, v21, v20
	v_pk_add_f32 v[26:27], v[20:21], v[22:23] neg_lo:[0,1] neg_hi:[0,1]
	v_mov_b32_e32 v25, v20
	v_pk_add_f32 v[20:21], v[26:27], v[24:25] neg_lo:[0,1] neg_hi:[0,1]
	v_cmp_neq_f32_e64 s[58:59], s62, v35
	v_add_f32_e32 v21, v32, v21
	v_add_f32_e32 v20, v20, v21
	;; [unrolled: 1-line block ×3, first 2 shown]
	v_mul_f32_e32 v32, v31, v21
	v_mul_f32_e32 v22, v29, v32
	v_fma_f32 v24, v32, v29, -v22
	v_fmac_f32_e32 v24, v32, v30
	v_sub_f32_e32 v23, v23, v21
	v_add_f32_e32 v29, v20, v23
	v_add_f32_e32 v20, v22, v24
	v_sub_f32_e32 v23, v21, v20
	v_pk_add_f32 v[26:27], v[20:21], v[22:23] neg_lo:[0,1] neg_hi:[0,1]
	v_mov_b32_e32 v25, v20
	v_pk_add_f32 v[20:21], v[26:27], v[24:25] neg_lo:[0,1] neg_hi:[0,1]
	v_cvt_f32_i32_e32 v22, v28
	v_add_f32_e32 v21, v29, v21
	v_add_f32_e32 v20, v20, v21
	;; [unrolled: 1-line block ×4, first 2 shown]
	v_sub_f32_e32 v21, v23, v33
	v_mul_f32_e32 v20, v31, v20
	v_sub_f32_e32 v21, v32, v21
	v_add_f32_e32 v20, v21, v20
	v_add_f32_e32 v24, v23, v20
	v_mul_f32_e32 v26, v24, v24
	v_mov_b32_e32 v21, 0x3ecc95a3
	v_sub_f32_e32 v23, v24, v23
	v_fmac_f32_e32 v21, 0x3e9b6dac, v26
	v_sub_f32_e32 v20, v20, v23
	v_fmaak_f32 v21, v26, v21, 0x3f2aaada
	v_ldexp_f32 v27, v20, 1
	v_mul_f32_e32 v23, v24, v26
	v_mov_b32_e32 v20, 0x3f317218
	v_pk_mul_f32 v[20:21], v[22:23], v[20:21]
	v_ldexp_f32 v25, v24, 1
	v_fma_f32 v23, v22, s33, -v20
	v_fmamk_f32 v24, v22, 0xb102e308, v23
	v_pk_add_f32 v[22:23], v[20:21], v[24:25]
	v_mov_b32_e32 v26, v20
	v_sub_f32_e32 v25, v23, v25
	v_sub_f32_e32 v25, v21, v25
	v_add_f32_e32 v27, v27, v25
	v_pk_add_f32 v[20:21], v[22:23], v[20:21] neg_lo:[0,1] neg_hi:[0,1]
	v_pk_add_f32 v[28:29], v[22:23], v[26:27]
	v_mov_b32_e32 v25, v22
	v_mov_b32_e32 v21, v29
	v_pk_add_f32 v[30:31], v[24:25], v[20:21] neg_lo:[0,1] neg_hi:[0,1]
	v_pk_add_f32 v[20:21], v[24:25], v[20:21]
	v_mov_b32_e32 v26, v27
	v_pk_add_f32 v[24:25], v[20:21], v[22:23] op_sel:[1,0] op_sel_hi:[0,1] neg_lo:[0,1] neg_hi:[0,1]
	v_pk_add_f32 v[32:33], v[28:29], v[24:25] op_sel_hi:[1,0] neg_lo:[0,1] neg_hi:[0,1]
	v_mov_b32_e32 v28, v29
	v_mov_b32_e32 v29, v21
	v_pk_mov_b32 v[24:25], v[22:23], v[24:25] op_sel:[1,0]
	v_mov_b32_e32 v27, v22
	v_pk_add_f32 v[24:25], v[28:29], v[24:25] neg_lo:[0,1] neg_hi:[0,1]
	v_mov_b32_e32 v32, v30
	v_pk_add_f32 v[22:23], v[26:27], v[24:25] neg_lo:[0,1] neg_hi:[0,1]
	v_mov_b32_e32 v31, v21
	v_pk_add_f32 v[24:25], v[32:33], v[22:23]
	s_mov_b32 s33, 0x33800000
	v_pk_add_f32 v[26:27], v[24:25], v[24:25] op_sel:[0,1] op_sel_hi:[1,0]
	s_nop 0
	v_pk_add_f32 v[20:21], v[20:21], v[26:27] op_sel:[1,0] op_sel_hi:[0,1]
	v_mov_b32_e32 v25, v20
	v_pk_add_f32 v[28:29], v[24:25], v[30:31] neg_lo:[0,1] neg_hi:[0,1]
	v_mov_b32_e32 v23, v26
	v_sub_f32_e32 v21, v24, v28
	v_pk_add_f32 v[22:23], v[22:23], v[28:29] neg_lo:[0,1] neg_hi:[0,1]
	v_sub_f32_e32 v21, v30, v21
	v_add_f32_e32 v21, v22, v21
	v_add_f32_e32 v21, v21, v23
	;; [unrolled: 1-line block ×3, first 2 shown]
	v_cndmask_b32_e64 v20, v34, v20, s[58:59]
	v_cmp_lt_f32_e64 s[58:59], |v35|, s33
	s_nop 1
	v_cndmask_b32_e64 v20, v20, v35, s[58:59]
	v_add_f32_e32 v19, v19, v20
	v_cvt_f16_f32_e32 v21, v19
.LBB425_54:
	s_or_b64 exec, exec, s[60:61]
	v_mbcnt_lo_u32_b32 v19, -1, 0
	v_mbcnt_hi_u32_b32 v20, -1, v19
	v_and_b32_e32 v22, 15, v20
	v_and_b32_e32 v23, 0xffff, v21
	v_cmp_ne_u32_e64 s[58:59], 0, v22
	s_nop 0
	v_mov_b32_dpp v24, v23 row_shr:1 row_mask:0xf bank_mask:0xf
	s_and_saveexec_b64 s[62:63], s[58:59]
	s_cbranch_execz .LBB425_58
; %bb.55:
	v_cvt_f32_f16_e32 v19, v24
	v_cvt_f32_f16_e32 v23, v21
	v_cmp_u_f16_e64 s[58:59], v24, v24
	v_cmp_u_f16_e64 s[60:61], v21, v21
	s_movk_i32 s33, 0x1f8
	v_min_f32_e32 v25, v19, v23
	v_cndmask_b32_e64 v25, v25, v19, s[58:59]
	v_cndmask_b32_e64 v21, v25, v23, s[60:61]
	v_max_f32_e32 v25, v19, v23
	v_cndmask_b32_e64 v19, v25, v19, s[58:59]
	v_cndmask_b32_e64 v19, v19, v23, s[60:61]
	v_cmp_neq_f32_e64 s[58:59], v21, v19
	v_cmp_class_f32_e64 s[60:61], v21, s33
	s_or_b64 s[58:59], s[58:59], s[60:61]
	s_and_saveexec_b64 s[60:61], s[58:59]
	s_cbranch_execz .LBB425_57
; %bb.56:
	v_sub_f32_e32 v21, v21, v19
	s_mov_b32 s33, 0x3fb8aa3b
	v_mul_f32_e32 v23, 0x3fb8aa3b, v21
	v_fma_f32 v24, v21, s33, -v23
	v_rndne_f32_e32 v25, v23
	v_fmamk_f32 v24, v21, 0x32a5705f, v24
	v_sub_f32_e32 v23, v23, v25
	v_add_f32_e32 v23, v23, v24
	v_exp_f32_e32 v23, v23
	v_cvt_i32_f32_e32 v24, v25
	s_mov_b32 s33, 0xc2ce8ed0
	v_cmp_ngt_f32_e64 s[58:59], s33, v21
	s_mov_b32 s33, 0x42b17218
	v_ldexp_f32 v23, v23, v24
	v_cndmask_b32_e64 v23, 0, v23, s[58:59]
	v_mov_b32_e32 v38, 0x7f800000
	v_cmp_nlt_f32_e64 s[58:59], s33, v21
	s_mov_b32 s33, 0x3f2aaaab
	s_mov_b32 s64, 0x7f800000
	v_cndmask_b32_e64 v21, v38, v23, s[58:59]
	v_add_f32_e32 v23, 1.0, v21
	v_add_f32_e32 v24, -1.0, v23
	v_sub_f32_e32 v25, v24, v23
	v_add_f32_e32 v25, 1.0, v25
	v_sub_f32_e32 v24, v21, v24
	v_add_f32_e32 v26, v24, v25
	v_frexp_mant_f32_e32 v27, v23
	v_cvt_f64_f32_e32 v[24:25], v23
	v_frexp_exp_i32_f64_e32 v24, v[24:25]
	v_cmp_gt_f32_e64 s[58:59], s33, v27
	s_mov_b32 s33, 0x3f317218
	s_nop 0
	v_subbrev_co_u32_e64 v32, s[58:59], 0, v24, s[58:59]
	v_sub_u32_e32 v24, 0, v32
	v_ldexp_f32 v23, v23, v24
	v_ldexp_f32 v24, v26, v24
	v_add_f32_e32 v26, -1.0, v23
	v_add_f32_e32 v25, 1.0, v26
	v_sub_f32_e32 v25, v23, v25
	v_add_f32_e32 v27, v24, v25
	v_add_f32_e32 v25, 1.0, v23
	v_add_f32_e32 v28, -1.0, v25
	v_sub_f32_e32 v23, v23, v28
	v_add_f32_e32 v23, v24, v23
	v_add_f32_e32 v33, v25, v23
	v_rcp_f32_e32 v34, v33
	v_sub_f32_e32 v24, v25, v33
	v_add_f32_e32 v25, v26, v27
	v_add_f32_e32 v23, v23, v24
	v_mul_f32_e32 v36, v25, v34
	v_sub_f32_e32 v24, v26, v25
	v_mul_f32_e32 v26, v33, v36
	v_fma_f32 v28, v36, v33, -v26
	v_fmac_f32_e32 v28, v36, v23
	v_add_f32_e32 v35, v27, v24
	v_add_f32_e32 v24, v26, v28
	v_sub_f32_e32 v27, v25, v24
	v_pk_add_f32 v[30:31], v[24:25], v[26:27] neg_lo:[0,1] neg_hi:[0,1]
	v_mov_b32_e32 v29, v24
	v_pk_add_f32 v[24:25], v[30:31], v[28:29] neg_lo:[0,1] neg_hi:[0,1]
	v_cmp_neq_f32_e64 s[58:59], s64, v21
	v_add_f32_e32 v25, v35, v25
	v_add_f32_e32 v24, v24, v25
	;; [unrolled: 1-line block ×3, first 2 shown]
	v_mul_f32_e32 v35, v34, v25
	v_mul_f32_e32 v26, v33, v35
	v_fma_f32 v28, v35, v33, -v26
	v_fmac_f32_e32 v28, v35, v23
	v_sub_f32_e32 v23, v27, v25
	v_add_f32_e32 v23, v24, v23
	v_add_f32_e32 v24, v26, v28
	v_sub_f32_e32 v27, v25, v24
	v_pk_add_f32 v[30:31], v[24:25], v[26:27] neg_lo:[0,1] neg_hi:[0,1]
	v_mov_b32_e32 v29, v24
	v_pk_add_f32 v[24:25], v[30:31], v[28:29] neg_lo:[0,1] neg_hi:[0,1]
	v_cvt_f32_i32_e32 v26, v32
	v_add_f32_e32 v23, v23, v25
	v_add_f32_e32 v23, v24, v23
	;; [unrolled: 1-line block ×4, first 2 shown]
	v_sub_f32_e32 v25, v24, v36
	v_mul_f32_e32 v23, v34, v23
	v_sub_f32_e32 v25, v35, v25
	v_add_f32_e32 v23, v25, v23
	v_add_f32_e32 v27, v24, v23
	v_mul_f32_e32 v28, v27, v27
	v_mov_b32_e32 v25, 0x3ecc95a3
	v_fmac_f32_e32 v25, 0x3e9b6dac, v28
	v_sub_f32_e32 v24, v27, v24
	v_fmaak_f32 v25, v28, v25, 0x3f2aaada
	v_sub_f32_e32 v23, v23, v24
	v_ldexp_f32 v29, v27, 1
	v_mul_f32_e32 v27, v27, v28
	v_mov_b32_e32 v24, 0x3f317218
	v_pk_mul_f32 v[24:25], v[26:27], v[24:25]
	v_ldexp_f32 v23, v23, 1
	v_fma_f32 v27, v26, s33, -v24
	v_fmamk_f32 v28, v26, 0xb102e308, v27
	v_pk_add_f32 v[26:27], v[24:25], v[28:29]
	v_mov_b32_e32 v30, v24
	v_sub_f32_e32 v29, v27, v29
	v_sub_f32_e32 v29, v25, v29
	v_add_f32_e32 v31, v23, v29
	v_pk_add_f32 v[24:25], v[26:27], v[24:25] neg_lo:[0,1] neg_hi:[0,1]
	v_pk_add_f32 v[32:33], v[26:27], v[30:31]
	v_mov_b32_e32 v29, v26
	v_mov_b32_e32 v25, v33
	v_pk_add_f32 v[34:35], v[28:29], v[24:25] neg_lo:[0,1] neg_hi:[0,1]
	v_pk_add_f32 v[24:25], v[28:29], v[24:25]
	v_mov_b32_e32 v30, v31
	v_pk_add_f32 v[28:29], v[24:25], v[26:27] op_sel:[1,0] op_sel_hi:[0,1] neg_lo:[0,1] neg_hi:[0,1]
	v_pk_add_f32 v[36:37], v[32:33], v[28:29] op_sel_hi:[1,0] neg_lo:[0,1] neg_hi:[0,1]
	v_mov_b32_e32 v32, v33
	v_mov_b32_e32 v33, v25
	v_pk_mov_b32 v[28:29], v[26:27], v[28:29] op_sel:[1,0]
	v_mov_b32_e32 v31, v26
	v_pk_add_f32 v[28:29], v[32:33], v[28:29] neg_lo:[0,1] neg_hi:[0,1]
	v_mov_b32_e32 v36, v34
	v_pk_add_f32 v[26:27], v[30:31], v[28:29] neg_lo:[0,1] neg_hi:[0,1]
	v_mov_b32_e32 v35, v25
	v_pk_add_f32 v[28:29], v[36:37], v[26:27]
	s_mov_b32 s33, 0x33800000
	v_pk_add_f32 v[30:31], v[28:29], v[28:29] op_sel:[0,1] op_sel_hi:[1,0]
	s_nop 0
	v_pk_add_f32 v[24:25], v[24:25], v[30:31] op_sel:[1,0] op_sel_hi:[0,1]
	v_mov_b32_e32 v29, v24
	v_pk_add_f32 v[32:33], v[28:29], v[34:35] neg_lo:[0,1] neg_hi:[0,1]
	v_mov_b32_e32 v27, v30
	v_sub_f32_e32 v23, v28, v32
	v_pk_add_f32 v[26:27], v[26:27], v[32:33] neg_lo:[0,1] neg_hi:[0,1]
	v_sub_f32_e32 v23, v34, v23
	v_add_f32_e32 v23, v26, v23
	v_add_f32_e32 v23, v23, v27
	;; [unrolled: 1-line block ×3, first 2 shown]
	v_cndmask_b32_e64 v23, v38, v23, s[58:59]
	v_cmp_lt_f32_e64 s[58:59], |v21|, s33
	s_nop 1
	v_cndmask_b32_e64 v21, v23, v21, s[58:59]
	v_add_f32_e32 v19, v19, v21
	v_cvt_f16_f32_e32 v24, v19
.LBB425_57:
	s_or_b64 exec, exec, s[60:61]
	v_and_b32_e32 v23, 0xffff, v24
	v_mov_b32_e32 v21, v24
.LBB425_58:
	s_or_b64 exec, exec, s[62:63]
	s_load_dwordx2 s[60:61], s[0:1], 0x18
	v_mul_u32_u24_e32 v19, 26, v0
	v_mov_b32_dpp v24, v23 row_shr:2 row_mask:0xf bank_mask:0xf
	v_cmp_lt_u32_e64 s[0:1], 1, v22
	s_and_saveexec_b64 s[62:63], s[0:1]
	s_cbranch_execz .LBB425_62
; %bb.59:
	v_cvt_f32_f16_e32 v25, v24
	v_cvt_f32_f16_e32 v26, v21
	v_cmp_u_f16_e64 s[0:1], v24, v24
	v_cmp_u_f16_e64 s[58:59], v21, v21
	s_movk_i32 s33, 0x1f8
	v_min_f32_e32 v23, v25, v26
	v_max_f32_e32 v21, v25, v26
	v_cndmask_b32_e64 v23, v23, v25, s[0:1]
	v_cndmask_b32_e64 v21, v21, v25, s[0:1]
	;; [unrolled: 1-line block ×4, first 2 shown]
	v_cmp_neq_f32_e64 s[0:1], v23, v21
	v_cmp_class_f32_e64 s[58:59], v23, s33
	s_or_b64 s[0:1], s[0:1], s[58:59]
	s_and_saveexec_b64 s[58:59], s[0:1]
	s_cbranch_execz .LBB425_61
; %bb.60:
	v_sub_f32_e32 v23, v23, v21
	s_mov_b32 s0, 0x3fb8aa3b
	v_mul_f32_e32 v24, 0x3fb8aa3b, v23
	v_fma_f32 v25, v23, s0, -v24
	v_rndne_f32_e32 v26, v24
	v_fmamk_f32 v25, v23, 0x32a5705f, v25
	v_sub_f32_e32 v24, v24, v26
	v_add_f32_e32 v24, v24, v25
	v_exp_f32_e32 v24, v24
	v_cvt_i32_f32_e32 v25, v26
	s_mov_b32 s0, 0xc2ce8ed0
	v_cmp_ngt_f32_e64 s[0:1], s0, v23
	v_mov_b32_e32 v38, 0x7f800000
	v_ldexp_f32 v24, v24, v25
	v_cndmask_b32_e64 v24, 0, v24, s[0:1]
	s_mov_b32 s0, 0x42b17218
	v_cmp_nlt_f32_e64 s[0:1], s0, v23
	s_mov_b32 s33, 0x7f800000
	s_nop 0
	v_cndmask_b32_e64 v23, v38, v24, s[0:1]
	v_add_f32_e32 v26, 1.0, v23
	v_add_f32_e32 v24, -1.0, v26
	v_sub_f32_e32 v25, v24, v26
	v_add_f32_e32 v25, 1.0, v25
	v_sub_f32_e32 v24, v23, v24
	v_add_f32_e32 v27, v24, v25
	v_frexp_mant_f32_e32 v28, v26
	s_mov_b32 s0, 0x3f2aaaab
	v_cvt_f64_f32_e32 v[24:25], v26
	v_frexp_exp_i32_f64_e32 v24, v[24:25]
	v_cmp_gt_f32_e64 s[0:1], s0, v28
	s_nop 1
	v_subbrev_co_u32_e64 v32, s[0:1], 0, v24, s[0:1]
	v_sub_u32_e32 v24, 0, v32
	v_ldexp_f32 v25, v26, v24
	v_add_f32_e32 v26, -1.0, v25
	v_add_f32_e32 v28, 1.0, v25
	v_ldexp_f32 v24, v27, v24
	v_add_f32_e32 v27, 1.0, v26
	v_add_f32_e32 v29, -1.0, v28
	v_sub_f32_e32 v27, v25, v27
	v_sub_f32_e32 v25, v25, v29
	v_add_f32_e32 v27, v24, v27
	v_add_f32_e32 v24, v24, v25
	;; [unrolled: 1-line block ×3, first 2 shown]
	v_rcp_f32_e32 v35, v33
	v_sub_f32_e32 v25, v28, v33
	v_add_f32_e32 v34, v24, v25
	v_add_f32_e32 v25, v26, v27
	v_mul_f32_e32 v37, v25, v35
	v_sub_f32_e32 v24, v26, v25
	v_mul_f32_e32 v26, v33, v37
	v_fma_f32 v28, v37, v33, -v26
	v_fmac_f32_e32 v28, v37, v34
	v_add_f32_e32 v36, v27, v24
	v_add_f32_e32 v24, v26, v28
	v_sub_f32_e32 v27, v25, v24
	v_pk_add_f32 v[30:31], v[24:25], v[26:27] neg_lo:[0,1] neg_hi:[0,1]
	v_mov_b32_e32 v29, v24
	v_pk_add_f32 v[24:25], v[30:31], v[28:29] neg_lo:[0,1] neg_hi:[0,1]
	s_mov_b32 s0, 0x3f317218
	v_add_f32_e32 v25, v36, v25
	v_add_f32_e32 v24, v24, v25
	;; [unrolled: 1-line block ×3, first 2 shown]
	v_mul_f32_e32 v36, v35, v25
	v_mul_f32_e32 v26, v33, v36
	v_fma_f32 v28, v36, v33, -v26
	v_fmac_f32_e32 v28, v36, v34
	v_sub_f32_e32 v27, v27, v25
	v_add_f32_e32 v33, v24, v27
	v_add_f32_e32 v24, v26, v28
	v_sub_f32_e32 v27, v25, v24
	v_pk_add_f32 v[30:31], v[24:25], v[26:27] neg_lo:[0,1] neg_hi:[0,1]
	v_mov_b32_e32 v29, v24
	v_pk_add_f32 v[24:25], v[30:31], v[28:29] neg_lo:[0,1] neg_hi:[0,1]
	v_cvt_f32_i32_e32 v26, v32
	v_add_f32_e32 v25, v33, v25
	v_add_f32_e32 v24, v24, v25
	;; [unrolled: 1-line block ×4, first 2 shown]
	v_sub_f32_e32 v25, v27, v37
	v_mul_f32_e32 v24, v35, v24
	v_sub_f32_e32 v25, v36, v25
	v_add_f32_e32 v24, v25, v24
	v_add_f32_e32 v28, v27, v24
	v_mul_f32_e32 v30, v28, v28
	v_mov_b32_e32 v25, 0x3ecc95a3
	v_sub_f32_e32 v27, v28, v27
	v_fmac_f32_e32 v25, 0x3e9b6dac, v30
	v_sub_f32_e32 v24, v24, v27
	v_fmaak_f32 v25, v30, v25, 0x3f2aaada
	v_ldexp_f32 v31, v24, 1
	v_mul_f32_e32 v27, v28, v30
	v_mov_b32_e32 v24, 0x3f317218
	v_pk_mul_f32 v[24:25], v[26:27], v[24:25]
	v_ldexp_f32 v29, v28, 1
	v_fma_f32 v27, v26, s0, -v24
	v_fmamk_f32 v28, v26, 0xb102e308, v27
	v_pk_add_f32 v[26:27], v[24:25], v[28:29]
	v_mov_b32_e32 v30, v24
	v_sub_f32_e32 v29, v27, v29
	v_sub_f32_e32 v29, v25, v29
	v_add_f32_e32 v31, v31, v29
	v_pk_add_f32 v[24:25], v[26:27], v[24:25] neg_lo:[0,1] neg_hi:[0,1]
	v_pk_add_f32 v[32:33], v[26:27], v[30:31]
	v_mov_b32_e32 v29, v26
	v_mov_b32_e32 v25, v33
	v_pk_add_f32 v[34:35], v[28:29], v[24:25] neg_lo:[0,1] neg_hi:[0,1]
	v_pk_add_f32 v[24:25], v[28:29], v[24:25]
	v_mov_b32_e32 v30, v31
	v_pk_add_f32 v[28:29], v[24:25], v[26:27] op_sel:[1,0] op_sel_hi:[0,1] neg_lo:[0,1] neg_hi:[0,1]
	v_pk_add_f32 v[36:37], v[32:33], v[28:29] op_sel_hi:[1,0] neg_lo:[0,1] neg_hi:[0,1]
	v_mov_b32_e32 v32, v33
	v_mov_b32_e32 v33, v25
	v_pk_mov_b32 v[28:29], v[26:27], v[28:29] op_sel:[1,0]
	v_mov_b32_e32 v31, v26
	v_pk_add_f32 v[28:29], v[32:33], v[28:29] neg_lo:[0,1] neg_hi:[0,1]
	v_mov_b32_e32 v36, v34
	v_pk_add_f32 v[26:27], v[30:31], v[28:29] neg_lo:[0,1] neg_hi:[0,1]
	v_mov_b32_e32 v35, v25
	v_pk_add_f32 v[28:29], v[36:37], v[26:27]
	v_cmp_neq_f32_e64 s[0:1], s33, v23
	v_pk_add_f32 v[30:31], v[28:29], v[28:29] op_sel:[0,1] op_sel_hi:[1,0]
	s_nop 0
	v_pk_add_f32 v[24:25], v[24:25], v[30:31] op_sel:[1,0] op_sel_hi:[0,1]
	v_mov_b32_e32 v29, v24
	v_pk_add_f32 v[32:33], v[28:29], v[34:35] neg_lo:[0,1] neg_hi:[0,1]
	v_mov_b32_e32 v27, v30
	v_sub_f32_e32 v25, v28, v32
	v_pk_add_f32 v[26:27], v[26:27], v[32:33] neg_lo:[0,1] neg_hi:[0,1]
	v_sub_f32_e32 v25, v34, v25
	v_add_f32_e32 v25, v26, v25
	v_add_f32_e32 v25, v25, v27
	;; [unrolled: 1-line block ×3, first 2 shown]
	v_cndmask_b32_e64 v24, v38, v24, s[0:1]
	s_mov_b32 s0, 0x33800000
	v_cmp_lt_f32_e64 s[0:1], |v23|, s0
	s_nop 1
	v_cndmask_b32_e64 v23, v24, v23, s[0:1]
	v_add_f32_e32 v21, v21, v23
	v_cvt_f16_f32_e32 v24, v21
.LBB425_61:
	s_or_b64 exec, exec, s[58:59]
	v_and_b32_e32 v23, 0xffff, v24
	v_mov_b32_e32 v21, v24
.LBB425_62:
	s_or_b64 exec, exec, s[62:63]
	v_mov_b32_dpp v24, v23 row_shr:4 row_mask:0xf bank_mask:0xf
	v_cmp_lt_u32_e64 s[0:1], 3, v22
	s_and_saveexec_b64 s[62:63], s[0:1]
	s_cbranch_execz .LBB425_66
; %bb.63:
	v_cvt_f32_f16_e32 v25, v24
	v_cvt_f32_f16_e32 v26, v21
	v_cmp_u_f16_e64 s[0:1], v24, v24
	v_cmp_u_f16_e64 s[58:59], v21, v21
	s_movk_i32 s33, 0x1f8
	v_min_f32_e32 v23, v25, v26
	v_max_f32_e32 v21, v25, v26
	v_cndmask_b32_e64 v23, v23, v25, s[0:1]
	v_cndmask_b32_e64 v21, v21, v25, s[0:1]
	v_cndmask_b32_e64 v23, v23, v26, s[58:59]
	v_cndmask_b32_e64 v21, v21, v26, s[58:59]
	v_cmp_neq_f32_e64 s[0:1], v23, v21
	v_cmp_class_f32_e64 s[58:59], v23, s33
	s_or_b64 s[0:1], s[0:1], s[58:59]
	s_and_saveexec_b64 s[58:59], s[0:1]
	s_cbranch_execz .LBB425_65
; %bb.64:
	v_sub_f32_e32 v23, v23, v21
	s_mov_b32 s0, 0x3fb8aa3b
	v_mul_f32_e32 v24, 0x3fb8aa3b, v23
	v_fma_f32 v25, v23, s0, -v24
	v_rndne_f32_e32 v26, v24
	v_fmamk_f32 v25, v23, 0x32a5705f, v25
	v_sub_f32_e32 v24, v24, v26
	v_add_f32_e32 v24, v24, v25
	v_exp_f32_e32 v24, v24
	v_cvt_i32_f32_e32 v25, v26
	s_mov_b32 s0, 0xc2ce8ed0
	v_cmp_ngt_f32_e64 s[0:1], s0, v23
	v_mov_b32_e32 v38, 0x7f800000
	v_ldexp_f32 v24, v24, v25
	v_cndmask_b32_e64 v24, 0, v24, s[0:1]
	s_mov_b32 s0, 0x42b17218
	v_cmp_nlt_f32_e64 s[0:1], s0, v23
	s_mov_b32 s33, 0x7f800000
	s_nop 0
	v_cndmask_b32_e64 v23, v38, v24, s[0:1]
	v_add_f32_e32 v26, 1.0, v23
	v_add_f32_e32 v24, -1.0, v26
	v_sub_f32_e32 v25, v24, v26
	v_add_f32_e32 v25, 1.0, v25
	v_sub_f32_e32 v24, v23, v24
	v_add_f32_e32 v27, v24, v25
	v_frexp_mant_f32_e32 v28, v26
	s_mov_b32 s0, 0x3f2aaaab
	v_cvt_f64_f32_e32 v[24:25], v26
	v_frexp_exp_i32_f64_e32 v24, v[24:25]
	v_cmp_gt_f32_e64 s[0:1], s0, v28
	s_nop 1
	v_subbrev_co_u32_e64 v32, s[0:1], 0, v24, s[0:1]
	v_sub_u32_e32 v24, 0, v32
	v_ldexp_f32 v25, v26, v24
	v_add_f32_e32 v26, -1.0, v25
	v_add_f32_e32 v28, 1.0, v25
	v_ldexp_f32 v24, v27, v24
	v_add_f32_e32 v27, 1.0, v26
	v_add_f32_e32 v29, -1.0, v28
	v_sub_f32_e32 v27, v25, v27
	v_sub_f32_e32 v25, v25, v29
	v_add_f32_e32 v27, v24, v27
	v_add_f32_e32 v24, v24, v25
	;; [unrolled: 1-line block ×3, first 2 shown]
	v_rcp_f32_e32 v35, v33
	v_sub_f32_e32 v25, v28, v33
	v_add_f32_e32 v34, v24, v25
	v_add_f32_e32 v25, v26, v27
	v_mul_f32_e32 v37, v25, v35
	v_sub_f32_e32 v24, v26, v25
	v_mul_f32_e32 v26, v33, v37
	v_fma_f32 v28, v37, v33, -v26
	v_fmac_f32_e32 v28, v37, v34
	v_add_f32_e32 v36, v27, v24
	v_add_f32_e32 v24, v26, v28
	v_sub_f32_e32 v27, v25, v24
	v_pk_add_f32 v[30:31], v[24:25], v[26:27] neg_lo:[0,1] neg_hi:[0,1]
	v_mov_b32_e32 v29, v24
	v_pk_add_f32 v[24:25], v[30:31], v[28:29] neg_lo:[0,1] neg_hi:[0,1]
	s_mov_b32 s0, 0x3f317218
	v_add_f32_e32 v25, v36, v25
	v_add_f32_e32 v24, v24, v25
	;; [unrolled: 1-line block ×3, first 2 shown]
	v_mul_f32_e32 v36, v35, v25
	v_mul_f32_e32 v26, v33, v36
	v_fma_f32 v28, v36, v33, -v26
	v_fmac_f32_e32 v28, v36, v34
	v_sub_f32_e32 v27, v27, v25
	v_add_f32_e32 v33, v24, v27
	v_add_f32_e32 v24, v26, v28
	v_sub_f32_e32 v27, v25, v24
	v_pk_add_f32 v[30:31], v[24:25], v[26:27] neg_lo:[0,1] neg_hi:[0,1]
	v_mov_b32_e32 v29, v24
	v_pk_add_f32 v[24:25], v[30:31], v[28:29] neg_lo:[0,1] neg_hi:[0,1]
	v_cvt_f32_i32_e32 v26, v32
	v_add_f32_e32 v25, v33, v25
	v_add_f32_e32 v24, v24, v25
	;; [unrolled: 1-line block ×4, first 2 shown]
	v_sub_f32_e32 v25, v27, v37
	v_mul_f32_e32 v24, v35, v24
	v_sub_f32_e32 v25, v36, v25
	v_add_f32_e32 v24, v25, v24
	v_add_f32_e32 v28, v27, v24
	v_mul_f32_e32 v30, v28, v28
	v_mov_b32_e32 v25, 0x3ecc95a3
	v_sub_f32_e32 v27, v28, v27
	v_fmac_f32_e32 v25, 0x3e9b6dac, v30
	v_sub_f32_e32 v24, v24, v27
	v_fmaak_f32 v25, v30, v25, 0x3f2aaada
	v_ldexp_f32 v31, v24, 1
	v_mul_f32_e32 v27, v28, v30
	v_mov_b32_e32 v24, 0x3f317218
	v_pk_mul_f32 v[24:25], v[26:27], v[24:25]
	v_ldexp_f32 v29, v28, 1
	v_fma_f32 v27, v26, s0, -v24
	v_fmamk_f32 v28, v26, 0xb102e308, v27
	v_pk_add_f32 v[26:27], v[24:25], v[28:29]
	v_mov_b32_e32 v30, v24
	v_sub_f32_e32 v29, v27, v29
	v_sub_f32_e32 v29, v25, v29
	v_add_f32_e32 v31, v31, v29
	v_pk_add_f32 v[24:25], v[26:27], v[24:25] neg_lo:[0,1] neg_hi:[0,1]
	v_pk_add_f32 v[32:33], v[26:27], v[30:31]
	v_mov_b32_e32 v29, v26
	v_mov_b32_e32 v25, v33
	v_pk_add_f32 v[34:35], v[28:29], v[24:25] neg_lo:[0,1] neg_hi:[0,1]
	v_pk_add_f32 v[24:25], v[28:29], v[24:25]
	v_mov_b32_e32 v30, v31
	v_pk_add_f32 v[28:29], v[24:25], v[26:27] op_sel:[1,0] op_sel_hi:[0,1] neg_lo:[0,1] neg_hi:[0,1]
	v_pk_add_f32 v[36:37], v[32:33], v[28:29] op_sel_hi:[1,0] neg_lo:[0,1] neg_hi:[0,1]
	v_mov_b32_e32 v32, v33
	v_mov_b32_e32 v33, v25
	v_pk_mov_b32 v[28:29], v[26:27], v[28:29] op_sel:[1,0]
	v_mov_b32_e32 v31, v26
	v_pk_add_f32 v[28:29], v[32:33], v[28:29] neg_lo:[0,1] neg_hi:[0,1]
	v_mov_b32_e32 v36, v34
	v_pk_add_f32 v[26:27], v[30:31], v[28:29] neg_lo:[0,1] neg_hi:[0,1]
	v_mov_b32_e32 v35, v25
	v_pk_add_f32 v[28:29], v[36:37], v[26:27]
	v_cmp_neq_f32_e64 s[0:1], s33, v23
	v_pk_add_f32 v[30:31], v[28:29], v[28:29] op_sel:[0,1] op_sel_hi:[1,0]
	s_nop 0
	v_pk_add_f32 v[24:25], v[24:25], v[30:31] op_sel:[1,0] op_sel_hi:[0,1]
	v_mov_b32_e32 v29, v24
	v_pk_add_f32 v[32:33], v[28:29], v[34:35] neg_lo:[0,1] neg_hi:[0,1]
	v_mov_b32_e32 v27, v30
	v_sub_f32_e32 v25, v28, v32
	v_pk_add_f32 v[26:27], v[26:27], v[32:33] neg_lo:[0,1] neg_hi:[0,1]
	v_sub_f32_e32 v25, v34, v25
	v_add_f32_e32 v25, v26, v25
	v_add_f32_e32 v25, v25, v27
	;; [unrolled: 1-line block ×3, first 2 shown]
	v_cndmask_b32_e64 v24, v38, v24, s[0:1]
	s_mov_b32 s0, 0x33800000
	v_cmp_lt_f32_e64 s[0:1], |v23|, s0
	s_nop 1
	v_cndmask_b32_e64 v23, v24, v23, s[0:1]
	v_add_f32_e32 v21, v21, v23
	v_cvt_f16_f32_e32 v24, v21
.LBB425_65:
	s_or_b64 exec, exec, s[58:59]
	v_and_b32_e32 v23, 0xffff, v24
	v_mov_b32_e32 v21, v24
.LBB425_66:
	s_or_b64 exec, exec, s[62:63]
	v_mov_b32_dpp v24, v23 row_shr:8 row_mask:0xf bank_mask:0xf
	v_cmp_lt_u32_e64 s[0:1], 7, v22
	s_and_saveexec_b64 s[62:63], s[0:1]
	s_cbranch_execz .LBB425_70
; %bb.67:
	v_cvt_f32_f16_e32 v23, v24
	v_cvt_f32_f16_e32 v25, v21
	v_cmp_u_f16_e64 s[0:1], v24, v24
	v_cmp_u_f16_e64 s[58:59], v21, v21
	s_movk_i32 s33, 0x1f8
	v_min_f32_e32 v22, v23, v25
	v_max_f32_e32 v21, v23, v25
	v_cndmask_b32_e64 v22, v22, v23, s[0:1]
	v_cndmask_b32_e64 v21, v21, v23, s[0:1]
	;; [unrolled: 1-line block ×4, first 2 shown]
	v_cmp_neq_f32_e64 s[0:1], v22, v21
	v_cmp_class_f32_e64 s[58:59], v22, s33
	s_or_b64 s[0:1], s[0:1], s[58:59]
	s_and_saveexec_b64 s[58:59], s[0:1]
	s_cbranch_execz .LBB425_69
; %bb.68:
	v_sub_f32_e32 v22, v22, v21
	s_mov_b32 s0, 0x3fb8aa3b
	v_mul_f32_e32 v23, 0x3fb8aa3b, v22
	v_fma_f32 v24, v22, s0, -v23
	v_rndne_f32_e32 v25, v23
	v_fmamk_f32 v24, v22, 0x32a5705f, v24
	v_sub_f32_e32 v23, v23, v25
	v_add_f32_e32 v23, v23, v24
	v_exp_f32_e32 v23, v23
	v_cvt_i32_f32_e32 v24, v25
	s_mov_b32 s0, 0xc2ce8ed0
	v_cmp_ngt_f32_e64 s[0:1], s0, v22
	v_mov_b32_e32 v36, 0x7f800000
	v_ldexp_f32 v23, v23, v24
	v_cndmask_b32_e64 v23, 0, v23, s[0:1]
	s_mov_b32 s0, 0x42b17218
	v_cmp_nlt_f32_e64 s[0:1], s0, v22
	s_mov_b32 s33, 0x7f800000
	s_nop 0
	v_cndmask_b32_e64 v37, v36, v23, s[0:1]
	v_add_f32_e32 v24, 1.0, v37
	v_add_f32_e32 v22, -1.0, v24
	v_sub_f32_e32 v23, v22, v24
	v_add_f32_e32 v23, 1.0, v23
	v_sub_f32_e32 v22, v37, v22
	v_add_f32_e32 v25, v22, v23
	v_frexp_mant_f32_e32 v26, v24
	s_mov_b32 s0, 0x3f2aaaab
	v_cvt_f64_f32_e32 v[22:23], v24
	v_frexp_exp_i32_f64_e32 v22, v[22:23]
	v_cmp_gt_f32_e64 s[0:1], s0, v26
	s_nop 1
	v_subbrev_co_u32_e64 v30, s[0:1], 0, v22, s[0:1]
	v_sub_u32_e32 v22, 0, v30
	v_ldexp_f32 v23, v24, v22
	v_add_f32_e32 v24, -1.0, v23
	v_add_f32_e32 v26, 1.0, v23
	v_ldexp_f32 v22, v25, v22
	v_add_f32_e32 v25, 1.0, v24
	v_add_f32_e32 v27, -1.0, v26
	v_sub_f32_e32 v25, v23, v25
	v_sub_f32_e32 v23, v23, v27
	v_add_f32_e32 v25, v22, v25
	v_add_f32_e32 v22, v22, v23
	;; [unrolled: 1-line block ×3, first 2 shown]
	v_rcp_f32_e32 v33, v31
	v_sub_f32_e32 v23, v26, v31
	v_add_f32_e32 v32, v22, v23
	v_add_f32_e32 v23, v24, v25
	v_mul_f32_e32 v35, v23, v33
	v_sub_f32_e32 v22, v24, v23
	v_mul_f32_e32 v24, v31, v35
	v_fma_f32 v26, v35, v31, -v24
	v_fmac_f32_e32 v26, v35, v32
	v_add_f32_e32 v34, v25, v22
	v_add_f32_e32 v22, v24, v26
	v_sub_f32_e32 v25, v23, v22
	v_pk_add_f32 v[28:29], v[22:23], v[24:25] neg_lo:[0,1] neg_hi:[0,1]
	v_mov_b32_e32 v27, v22
	v_pk_add_f32 v[22:23], v[28:29], v[26:27] neg_lo:[0,1] neg_hi:[0,1]
	s_mov_b32 s0, 0x3f317218
	v_add_f32_e32 v23, v34, v23
	v_add_f32_e32 v22, v22, v23
	;; [unrolled: 1-line block ×3, first 2 shown]
	v_mul_f32_e32 v34, v33, v23
	v_mul_f32_e32 v24, v31, v34
	v_fma_f32 v26, v34, v31, -v24
	v_fmac_f32_e32 v26, v34, v32
	v_sub_f32_e32 v25, v25, v23
	v_add_f32_e32 v31, v22, v25
	v_add_f32_e32 v22, v24, v26
	v_sub_f32_e32 v25, v23, v22
	v_pk_add_f32 v[28:29], v[22:23], v[24:25] neg_lo:[0,1] neg_hi:[0,1]
	v_mov_b32_e32 v27, v22
	v_pk_add_f32 v[22:23], v[28:29], v[26:27] neg_lo:[0,1] neg_hi:[0,1]
	v_cvt_f32_i32_e32 v24, v30
	v_add_f32_e32 v23, v31, v23
	v_add_f32_e32 v22, v22, v23
	;; [unrolled: 1-line block ×4, first 2 shown]
	v_sub_f32_e32 v23, v25, v35
	v_mul_f32_e32 v22, v33, v22
	v_sub_f32_e32 v23, v34, v23
	v_add_f32_e32 v22, v23, v22
	v_add_f32_e32 v26, v25, v22
	v_mul_f32_e32 v28, v26, v26
	v_mov_b32_e32 v23, 0x3ecc95a3
	v_sub_f32_e32 v25, v26, v25
	v_fmac_f32_e32 v23, 0x3e9b6dac, v28
	v_sub_f32_e32 v22, v22, v25
	v_fmaak_f32 v23, v28, v23, 0x3f2aaada
	v_ldexp_f32 v29, v22, 1
	v_mul_f32_e32 v25, v26, v28
	v_mov_b32_e32 v22, 0x3f317218
	v_pk_mul_f32 v[22:23], v[24:25], v[22:23]
	v_ldexp_f32 v27, v26, 1
	v_fma_f32 v25, v24, s0, -v22
	v_fmamk_f32 v26, v24, 0xb102e308, v25
	v_pk_add_f32 v[24:25], v[22:23], v[26:27]
	v_mov_b32_e32 v28, v22
	v_sub_f32_e32 v27, v25, v27
	v_sub_f32_e32 v27, v23, v27
	v_add_f32_e32 v29, v29, v27
	v_pk_add_f32 v[22:23], v[24:25], v[22:23] neg_lo:[0,1] neg_hi:[0,1]
	v_pk_add_f32 v[30:31], v[24:25], v[28:29]
	v_mov_b32_e32 v27, v24
	v_mov_b32_e32 v23, v31
	v_pk_add_f32 v[32:33], v[26:27], v[22:23] neg_lo:[0,1] neg_hi:[0,1]
	v_pk_add_f32 v[22:23], v[26:27], v[22:23]
	v_mov_b32_e32 v28, v29
	v_pk_add_f32 v[26:27], v[22:23], v[24:25] op_sel:[1,0] op_sel_hi:[0,1] neg_lo:[0,1] neg_hi:[0,1]
	v_pk_add_f32 v[34:35], v[30:31], v[26:27] op_sel_hi:[1,0] neg_lo:[0,1] neg_hi:[0,1]
	v_mov_b32_e32 v30, v31
	v_mov_b32_e32 v31, v23
	v_pk_mov_b32 v[26:27], v[24:25], v[26:27] op_sel:[1,0]
	v_mov_b32_e32 v29, v24
	v_pk_add_f32 v[26:27], v[30:31], v[26:27] neg_lo:[0,1] neg_hi:[0,1]
	v_mov_b32_e32 v34, v32
	v_pk_add_f32 v[24:25], v[28:29], v[26:27] neg_lo:[0,1] neg_hi:[0,1]
	v_mov_b32_e32 v33, v23
	v_pk_add_f32 v[26:27], v[34:35], v[24:25]
	v_cmp_neq_f32_e64 s[0:1], s33, v37
	v_pk_add_f32 v[28:29], v[26:27], v[26:27] op_sel:[0,1] op_sel_hi:[1,0]
	s_nop 0
	v_pk_add_f32 v[22:23], v[22:23], v[28:29] op_sel:[1,0] op_sel_hi:[0,1]
	v_mov_b32_e32 v27, v22
	v_pk_add_f32 v[30:31], v[26:27], v[32:33] neg_lo:[0,1] neg_hi:[0,1]
	v_mov_b32_e32 v25, v28
	v_sub_f32_e32 v23, v26, v30
	v_pk_add_f32 v[24:25], v[24:25], v[30:31] neg_lo:[0,1] neg_hi:[0,1]
	v_sub_f32_e32 v23, v32, v23
	v_add_f32_e32 v23, v24, v23
	v_add_f32_e32 v23, v23, v25
	;; [unrolled: 1-line block ×3, first 2 shown]
	v_cndmask_b32_e64 v22, v36, v22, s[0:1]
	s_mov_b32 s0, 0x33800000
	v_cmp_lt_f32_e64 s[0:1], |v37|, s0
	s_nop 1
	v_cndmask_b32_e64 v22, v22, v37, s[0:1]
	v_add_f32_e32 v21, v21, v22
	v_cvt_f16_f32_e32 v24, v21
.LBB425_69:
	s_or_b64 exec, exec, s[58:59]
	v_and_b32_e32 v23, 0xffff, v24
	v_mov_b32_e32 v21, v24
.LBB425_70:
	s_or_b64 exec, exec, s[62:63]
	v_and_b32_e32 v24, 16, v20
	v_mov_b32_dpp v22, v23 row_bcast:15 row_mask:0xf bank_mask:0xf
	v_cmp_ne_u32_e64 s[0:1], 0, v24
	s_and_saveexec_b64 s[62:63], s[0:1]
	s_cbranch_execz .LBB425_74
; %bb.71:
	v_cvt_f32_f16_e32 v24, v22
	v_cvt_f32_f16_e32 v25, v21
	v_cmp_u_f16_e64 s[0:1], v22, v22
	v_cmp_u_f16_e64 s[58:59], v21, v21
	s_movk_i32 s33, 0x1f8
	v_min_f32_e32 v23, v24, v25
	v_max_f32_e32 v21, v24, v25
	v_cndmask_b32_e64 v23, v23, v24, s[0:1]
	v_cndmask_b32_e64 v21, v21, v24, s[0:1]
	;; [unrolled: 1-line block ×4, first 2 shown]
	v_cmp_neq_f32_e64 s[0:1], v23, v21
	v_cmp_class_f32_e64 s[58:59], v23, s33
	s_or_b64 s[0:1], s[0:1], s[58:59]
	s_and_saveexec_b64 s[58:59], s[0:1]
	s_cbranch_execz .LBB425_73
; %bb.72:
	v_sub_f32_e32 v22, v23, v21
	s_mov_b32 s0, 0x3fb8aa3b
	v_mul_f32_e32 v23, 0x3fb8aa3b, v22
	v_fma_f32 v24, v22, s0, -v23
	v_rndne_f32_e32 v25, v23
	v_fmamk_f32 v24, v22, 0x32a5705f, v24
	v_sub_f32_e32 v23, v23, v25
	v_add_f32_e32 v23, v23, v24
	v_exp_f32_e32 v23, v23
	v_cvt_i32_f32_e32 v24, v25
	s_mov_b32 s0, 0xc2ce8ed0
	v_cmp_ngt_f32_e64 s[0:1], s0, v22
	v_mov_b32_e32 v36, 0x7f800000
	v_ldexp_f32 v23, v23, v24
	v_cndmask_b32_e64 v23, 0, v23, s[0:1]
	s_mov_b32 s0, 0x42b17218
	v_cmp_nlt_f32_e64 s[0:1], s0, v22
	s_mov_b32 s33, 0x7f800000
	s_nop 0
	v_cndmask_b32_e64 v37, v36, v23, s[0:1]
	v_add_f32_e32 v24, 1.0, v37
	v_add_f32_e32 v22, -1.0, v24
	v_sub_f32_e32 v23, v22, v24
	v_add_f32_e32 v23, 1.0, v23
	v_sub_f32_e32 v22, v37, v22
	v_add_f32_e32 v25, v22, v23
	v_frexp_mant_f32_e32 v26, v24
	s_mov_b32 s0, 0x3f2aaaab
	v_cvt_f64_f32_e32 v[22:23], v24
	v_frexp_exp_i32_f64_e32 v22, v[22:23]
	v_cmp_gt_f32_e64 s[0:1], s0, v26
	s_nop 1
	v_subbrev_co_u32_e64 v30, s[0:1], 0, v22, s[0:1]
	v_sub_u32_e32 v22, 0, v30
	v_ldexp_f32 v23, v24, v22
	v_add_f32_e32 v24, -1.0, v23
	v_add_f32_e32 v26, 1.0, v23
	v_ldexp_f32 v22, v25, v22
	v_add_f32_e32 v25, 1.0, v24
	v_add_f32_e32 v27, -1.0, v26
	v_sub_f32_e32 v25, v23, v25
	v_sub_f32_e32 v23, v23, v27
	v_add_f32_e32 v25, v22, v25
	v_add_f32_e32 v22, v22, v23
	;; [unrolled: 1-line block ×3, first 2 shown]
	v_rcp_f32_e32 v33, v31
	v_sub_f32_e32 v23, v26, v31
	v_add_f32_e32 v32, v22, v23
	v_add_f32_e32 v23, v24, v25
	v_mul_f32_e32 v35, v23, v33
	v_sub_f32_e32 v22, v24, v23
	v_mul_f32_e32 v24, v31, v35
	v_fma_f32 v26, v35, v31, -v24
	v_fmac_f32_e32 v26, v35, v32
	v_add_f32_e32 v34, v25, v22
	v_add_f32_e32 v22, v24, v26
	v_sub_f32_e32 v25, v23, v22
	v_pk_add_f32 v[28:29], v[22:23], v[24:25] neg_lo:[0,1] neg_hi:[0,1]
	v_mov_b32_e32 v27, v22
	v_pk_add_f32 v[22:23], v[28:29], v[26:27] neg_lo:[0,1] neg_hi:[0,1]
	s_mov_b32 s0, 0x3f317218
	v_add_f32_e32 v23, v34, v23
	v_add_f32_e32 v22, v22, v23
	;; [unrolled: 1-line block ×3, first 2 shown]
	v_mul_f32_e32 v34, v33, v23
	v_mul_f32_e32 v24, v31, v34
	v_fma_f32 v26, v34, v31, -v24
	v_fmac_f32_e32 v26, v34, v32
	v_sub_f32_e32 v25, v25, v23
	v_add_f32_e32 v31, v22, v25
	v_add_f32_e32 v22, v24, v26
	v_sub_f32_e32 v25, v23, v22
	v_pk_add_f32 v[28:29], v[22:23], v[24:25] neg_lo:[0,1] neg_hi:[0,1]
	v_mov_b32_e32 v27, v22
	v_pk_add_f32 v[22:23], v[28:29], v[26:27] neg_lo:[0,1] neg_hi:[0,1]
	v_cvt_f32_i32_e32 v24, v30
	v_add_f32_e32 v23, v31, v23
	v_add_f32_e32 v22, v22, v23
	;; [unrolled: 1-line block ×4, first 2 shown]
	v_sub_f32_e32 v23, v25, v35
	v_mul_f32_e32 v22, v33, v22
	v_sub_f32_e32 v23, v34, v23
	v_add_f32_e32 v22, v23, v22
	v_add_f32_e32 v26, v25, v22
	v_mul_f32_e32 v28, v26, v26
	v_mov_b32_e32 v23, 0x3ecc95a3
	v_sub_f32_e32 v25, v26, v25
	v_fmac_f32_e32 v23, 0x3e9b6dac, v28
	v_sub_f32_e32 v22, v22, v25
	v_fmaak_f32 v23, v28, v23, 0x3f2aaada
	v_ldexp_f32 v29, v22, 1
	v_mul_f32_e32 v25, v26, v28
	v_mov_b32_e32 v22, 0x3f317218
	v_pk_mul_f32 v[22:23], v[24:25], v[22:23]
	v_ldexp_f32 v27, v26, 1
	v_fma_f32 v25, v24, s0, -v22
	v_fmamk_f32 v26, v24, 0xb102e308, v25
	v_pk_add_f32 v[24:25], v[22:23], v[26:27]
	v_mov_b32_e32 v28, v22
	v_sub_f32_e32 v27, v25, v27
	v_sub_f32_e32 v27, v23, v27
	v_add_f32_e32 v29, v29, v27
	v_pk_add_f32 v[22:23], v[24:25], v[22:23] neg_lo:[0,1] neg_hi:[0,1]
	v_pk_add_f32 v[30:31], v[24:25], v[28:29]
	v_mov_b32_e32 v27, v24
	v_mov_b32_e32 v23, v31
	v_pk_add_f32 v[32:33], v[26:27], v[22:23] neg_lo:[0,1] neg_hi:[0,1]
	v_pk_add_f32 v[22:23], v[26:27], v[22:23]
	v_mov_b32_e32 v28, v29
	v_pk_add_f32 v[26:27], v[22:23], v[24:25] op_sel:[1,0] op_sel_hi:[0,1] neg_lo:[0,1] neg_hi:[0,1]
	v_pk_add_f32 v[34:35], v[30:31], v[26:27] op_sel_hi:[1,0] neg_lo:[0,1] neg_hi:[0,1]
	v_mov_b32_e32 v30, v31
	v_mov_b32_e32 v31, v23
	v_pk_mov_b32 v[26:27], v[24:25], v[26:27] op_sel:[1,0]
	v_mov_b32_e32 v29, v24
	v_pk_add_f32 v[26:27], v[30:31], v[26:27] neg_lo:[0,1] neg_hi:[0,1]
	v_mov_b32_e32 v34, v32
	v_pk_add_f32 v[24:25], v[28:29], v[26:27] neg_lo:[0,1] neg_hi:[0,1]
	v_mov_b32_e32 v33, v23
	v_pk_add_f32 v[26:27], v[34:35], v[24:25]
	v_cmp_neq_f32_e64 s[0:1], s33, v37
	v_pk_add_f32 v[28:29], v[26:27], v[26:27] op_sel:[0,1] op_sel_hi:[1,0]
	s_nop 0
	v_pk_add_f32 v[22:23], v[22:23], v[28:29] op_sel:[1,0] op_sel_hi:[0,1]
	v_mov_b32_e32 v27, v22
	v_pk_add_f32 v[30:31], v[26:27], v[32:33] neg_lo:[0,1] neg_hi:[0,1]
	v_mov_b32_e32 v25, v28
	v_sub_f32_e32 v23, v26, v30
	v_pk_add_f32 v[24:25], v[24:25], v[30:31] neg_lo:[0,1] neg_hi:[0,1]
	v_sub_f32_e32 v23, v32, v23
	v_add_f32_e32 v23, v24, v23
	v_add_f32_e32 v23, v23, v25
	;; [unrolled: 1-line block ×3, first 2 shown]
	v_cndmask_b32_e64 v22, v36, v22, s[0:1]
	s_mov_b32 s0, 0x33800000
	v_cmp_lt_f32_e64 s[0:1], |v37|, s0
	s_nop 1
	v_cndmask_b32_e64 v22, v22, v37, s[0:1]
	v_add_f32_e32 v21, v21, v22
	v_cvt_f16_f32_e32 v22, v21
.LBB425_73:
	s_or_b64 exec, exec, s[58:59]
	v_and_b32_e32 v23, 0xffff, v22
	v_mov_b32_e32 v21, v22
.LBB425_74:
	s_or_b64 exec, exec, s[62:63]
	v_mov_b32_dpp v22, v23 row_bcast:31 row_mask:0xf bank_mask:0xf
	v_cmp_lt_u32_e64 s[0:1], 31, v20
	s_and_saveexec_b64 s[62:63], s[0:1]
	s_cbranch_execz .LBB425_78
; %bb.75:
	v_cvt_f32_f16_e32 v24, v22
	v_cvt_f32_f16_e32 v25, v21
	v_cmp_u_f16_e64 s[0:1], v22, v22
	v_cmp_u_f16_e64 s[58:59], v21, v21
	s_movk_i32 s33, 0x1f8
	v_min_f32_e32 v23, v24, v25
	v_max_f32_e32 v21, v24, v25
	v_cndmask_b32_e64 v23, v23, v24, s[0:1]
	v_cndmask_b32_e64 v21, v21, v24, s[0:1]
	;; [unrolled: 1-line block ×4, first 2 shown]
	v_cmp_neq_f32_e64 s[0:1], v23, v21
	v_cmp_class_f32_e64 s[58:59], v23, s33
	s_or_b64 s[0:1], s[0:1], s[58:59]
	s_and_saveexec_b64 s[58:59], s[0:1]
	s_cbranch_execz .LBB425_77
; %bb.76:
	v_sub_f32_e32 v22, v23, v21
	s_mov_b32 s0, 0x3fb8aa3b
	v_mul_f32_e32 v23, 0x3fb8aa3b, v22
	v_fma_f32 v24, v22, s0, -v23
	v_rndne_f32_e32 v25, v23
	v_fmamk_f32 v24, v22, 0x32a5705f, v24
	v_sub_f32_e32 v23, v23, v25
	v_add_f32_e32 v23, v23, v24
	v_exp_f32_e32 v23, v23
	v_cvt_i32_f32_e32 v24, v25
	s_mov_b32 s0, 0xc2ce8ed0
	v_cmp_ngt_f32_e64 s[0:1], s0, v22
	v_mov_b32_e32 v36, 0x7f800000
	v_ldexp_f32 v23, v23, v24
	v_cndmask_b32_e64 v23, 0, v23, s[0:1]
	s_mov_b32 s0, 0x42b17218
	v_cmp_nlt_f32_e64 s[0:1], s0, v22
	s_mov_b32 s33, 0x7f800000
	s_nop 0
	v_cndmask_b32_e64 v37, v36, v23, s[0:1]
	v_add_f32_e32 v24, 1.0, v37
	v_add_f32_e32 v22, -1.0, v24
	v_sub_f32_e32 v23, v22, v24
	v_add_f32_e32 v23, 1.0, v23
	v_sub_f32_e32 v22, v37, v22
	v_add_f32_e32 v25, v22, v23
	v_frexp_mant_f32_e32 v26, v24
	s_mov_b32 s0, 0x3f2aaaab
	v_cvt_f64_f32_e32 v[22:23], v24
	v_frexp_exp_i32_f64_e32 v22, v[22:23]
	v_cmp_gt_f32_e64 s[0:1], s0, v26
	s_nop 1
	v_subbrev_co_u32_e64 v30, s[0:1], 0, v22, s[0:1]
	v_sub_u32_e32 v22, 0, v30
	v_ldexp_f32 v23, v24, v22
	v_add_f32_e32 v24, -1.0, v23
	v_add_f32_e32 v26, 1.0, v23
	v_ldexp_f32 v22, v25, v22
	v_add_f32_e32 v25, 1.0, v24
	v_add_f32_e32 v27, -1.0, v26
	v_sub_f32_e32 v25, v23, v25
	v_sub_f32_e32 v23, v23, v27
	v_add_f32_e32 v25, v22, v25
	v_add_f32_e32 v22, v22, v23
	;; [unrolled: 1-line block ×3, first 2 shown]
	v_rcp_f32_e32 v33, v31
	v_sub_f32_e32 v23, v26, v31
	v_add_f32_e32 v32, v22, v23
	v_add_f32_e32 v23, v24, v25
	v_mul_f32_e32 v35, v23, v33
	v_sub_f32_e32 v22, v24, v23
	v_mul_f32_e32 v24, v31, v35
	v_fma_f32 v26, v35, v31, -v24
	v_fmac_f32_e32 v26, v35, v32
	v_add_f32_e32 v34, v25, v22
	v_add_f32_e32 v22, v24, v26
	v_sub_f32_e32 v25, v23, v22
	v_pk_add_f32 v[28:29], v[22:23], v[24:25] neg_lo:[0,1] neg_hi:[0,1]
	v_mov_b32_e32 v27, v22
	v_pk_add_f32 v[22:23], v[28:29], v[26:27] neg_lo:[0,1] neg_hi:[0,1]
	s_mov_b32 s0, 0x3f317218
	v_add_f32_e32 v23, v34, v23
	v_add_f32_e32 v22, v22, v23
	;; [unrolled: 1-line block ×3, first 2 shown]
	v_mul_f32_e32 v34, v33, v23
	v_mul_f32_e32 v24, v31, v34
	v_fma_f32 v26, v34, v31, -v24
	v_fmac_f32_e32 v26, v34, v32
	v_sub_f32_e32 v25, v25, v23
	v_add_f32_e32 v31, v22, v25
	v_add_f32_e32 v22, v24, v26
	v_sub_f32_e32 v25, v23, v22
	v_pk_add_f32 v[28:29], v[22:23], v[24:25] neg_lo:[0,1] neg_hi:[0,1]
	v_mov_b32_e32 v27, v22
	v_pk_add_f32 v[22:23], v[28:29], v[26:27] neg_lo:[0,1] neg_hi:[0,1]
	v_cvt_f32_i32_e32 v24, v30
	v_add_f32_e32 v23, v31, v23
	v_add_f32_e32 v22, v22, v23
	;; [unrolled: 1-line block ×4, first 2 shown]
	v_sub_f32_e32 v23, v25, v35
	v_mul_f32_e32 v22, v33, v22
	v_sub_f32_e32 v23, v34, v23
	v_add_f32_e32 v22, v23, v22
	v_add_f32_e32 v26, v25, v22
	v_mul_f32_e32 v28, v26, v26
	v_mov_b32_e32 v23, 0x3ecc95a3
	v_sub_f32_e32 v25, v26, v25
	v_fmac_f32_e32 v23, 0x3e9b6dac, v28
	v_sub_f32_e32 v22, v22, v25
	v_fmaak_f32 v23, v28, v23, 0x3f2aaada
	v_ldexp_f32 v29, v22, 1
	v_mul_f32_e32 v25, v26, v28
	v_mov_b32_e32 v22, 0x3f317218
	v_pk_mul_f32 v[22:23], v[24:25], v[22:23]
	v_ldexp_f32 v27, v26, 1
	v_fma_f32 v25, v24, s0, -v22
	v_fmamk_f32 v26, v24, 0xb102e308, v25
	v_pk_add_f32 v[24:25], v[22:23], v[26:27]
	v_mov_b32_e32 v28, v22
	v_sub_f32_e32 v27, v25, v27
	v_sub_f32_e32 v27, v23, v27
	v_add_f32_e32 v29, v29, v27
	v_pk_add_f32 v[22:23], v[24:25], v[22:23] neg_lo:[0,1] neg_hi:[0,1]
	v_pk_add_f32 v[30:31], v[24:25], v[28:29]
	v_mov_b32_e32 v27, v24
	v_mov_b32_e32 v23, v31
	v_pk_add_f32 v[32:33], v[26:27], v[22:23] neg_lo:[0,1] neg_hi:[0,1]
	v_pk_add_f32 v[22:23], v[26:27], v[22:23]
	v_mov_b32_e32 v28, v29
	v_pk_add_f32 v[26:27], v[22:23], v[24:25] op_sel:[1,0] op_sel_hi:[0,1] neg_lo:[0,1] neg_hi:[0,1]
	v_pk_add_f32 v[34:35], v[30:31], v[26:27] op_sel_hi:[1,0] neg_lo:[0,1] neg_hi:[0,1]
	v_mov_b32_e32 v30, v31
	v_mov_b32_e32 v31, v23
	v_pk_mov_b32 v[26:27], v[24:25], v[26:27] op_sel:[1,0]
	v_mov_b32_e32 v29, v24
	v_pk_add_f32 v[26:27], v[30:31], v[26:27] neg_lo:[0,1] neg_hi:[0,1]
	v_mov_b32_e32 v34, v32
	v_pk_add_f32 v[24:25], v[28:29], v[26:27] neg_lo:[0,1] neg_hi:[0,1]
	v_mov_b32_e32 v33, v23
	v_pk_add_f32 v[26:27], v[34:35], v[24:25]
	v_cmp_neq_f32_e64 s[0:1], s33, v37
	v_pk_add_f32 v[28:29], v[26:27], v[26:27] op_sel:[0,1] op_sel_hi:[1,0]
	s_nop 0
	v_pk_add_f32 v[22:23], v[22:23], v[28:29] op_sel:[1,0] op_sel_hi:[0,1]
	v_mov_b32_e32 v27, v22
	v_pk_add_f32 v[30:31], v[26:27], v[32:33] neg_lo:[0,1] neg_hi:[0,1]
	v_mov_b32_e32 v25, v28
	v_sub_f32_e32 v23, v26, v30
	v_pk_add_f32 v[24:25], v[24:25], v[30:31] neg_lo:[0,1] neg_hi:[0,1]
	v_sub_f32_e32 v23, v32, v23
	v_add_f32_e32 v23, v24, v23
	v_add_f32_e32 v23, v23, v25
	;; [unrolled: 1-line block ×3, first 2 shown]
	v_cndmask_b32_e64 v22, v36, v22, s[0:1]
	s_mov_b32 s0, 0x33800000
	v_cmp_lt_f32_e64 s[0:1], |v37|, s0
	s_nop 1
	v_cndmask_b32_e64 v22, v22, v37, s[0:1]
	v_add_f32_e32 v21, v21, v22
	v_cvt_f16_f32_e32 v22, v21
.LBB425_77:
	s_or_b64 exec, exec, s[58:59]
	v_mov_b32_e32 v21, v22
.LBB425_78:
	s_or_b64 exec, exec, s[62:63]
	v_or_b32_e32 v23, 63, v0
	v_lshrrev_b32_e32 v22, 6, v0
	v_cmp_eq_u32_e64 s[0:1], v0, v23
	s_and_saveexec_b64 s[58:59], s[0:1]
; %bb.79:
	v_lshlrev_b32_e32 v23, 1, v22
	ds_write_b16 v23, v21
; %bb.80:
	s_or_b64 exec, exec, s[58:59]
	v_cmp_gt_u32_e64 s[0:1], 2, v0
	s_waitcnt lgkmcnt(0)
	s_barrier
	s_and_saveexec_b64 s[62:63], s[0:1]
	s_cbranch_execz .LBB425_86
; %bb.81:
	ds_read_u16 v23, v8
	v_and_b32_e32 v25, 1, v20
	v_cmp_eq_u32_e64 s[0:1], 1, v25
	s_waitcnt lgkmcnt(0)
	v_and_b32_e32 v24, 0xffff, v23
	s_nop 1
	v_mov_b32_dpp v24, v24 row_shr:1 row_mask:0xf bank_mask:0xf
	s_and_saveexec_b64 s[64:65], s[0:1]
	s_cbranch_execz .LBB425_85
; %bb.82:
	v_cvt_f32_f16_e32 v26, v24
	v_cvt_f32_f16_e32 v27, v23
	v_cmp_u_f16_e64 s[0:1], v24, v24
	v_cmp_u_f16_e64 s[58:59], v23, v23
	s_movk_i32 s33, 0x1f8
	v_min_f32_e32 v25, v26, v27
	v_max_f32_e32 v23, v26, v27
	v_cndmask_b32_e64 v25, v25, v26, s[0:1]
	v_cndmask_b32_e64 v23, v23, v26, s[0:1]
	;; [unrolled: 1-line block ×4, first 2 shown]
	v_cmp_neq_f32_e64 s[0:1], v25, v23
	v_cmp_class_f32_e64 s[58:59], v25, s33
	s_or_b64 s[0:1], s[0:1], s[58:59]
	s_and_saveexec_b64 s[58:59], s[0:1]
	s_cbranch_execz .LBB425_84
; %bb.83:
	v_sub_f32_e32 v24, v25, v23
	s_mov_b32 s0, 0x3fb8aa3b
	v_mul_f32_e32 v25, 0x3fb8aa3b, v24
	v_fma_f32 v26, v24, s0, -v25
	v_rndne_f32_e32 v27, v25
	v_fmamk_f32 v26, v24, 0x32a5705f, v26
	v_sub_f32_e32 v25, v25, v27
	v_add_f32_e32 v25, v25, v26
	v_exp_f32_e32 v25, v25
	v_cvt_i32_f32_e32 v26, v27
	s_mov_b32 s0, 0xc2ce8ed0
	v_cmp_ngt_f32_e64 s[0:1], s0, v24
	v_mov_b32_e32 v38, 0x7f800000
	v_ldexp_f32 v25, v25, v26
	v_cndmask_b32_e64 v25, 0, v25, s[0:1]
	s_mov_b32 s0, 0x42b17218
	v_cmp_nlt_f32_e64 s[0:1], s0, v24
	s_mov_b32 s33, 0x7f800000
	s_nop 0
	v_cndmask_b32_e64 v39, v38, v25, s[0:1]
	v_add_f32_e32 v26, 1.0, v39
	v_add_f32_e32 v24, -1.0, v26
	v_sub_f32_e32 v25, v24, v26
	v_add_f32_e32 v25, 1.0, v25
	v_sub_f32_e32 v24, v39, v24
	v_add_f32_e32 v27, v24, v25
	v_frexp_mant_f32_e32 v28, v26
	s_mov_b32 s0, 0x3f2aaaab
	v_cvt_f64_f32_e32 v[24:25], v26
	v_frexp_exp_i32_f64_e32 v24, v[24:25]
	v_cmp_gt_f32_e64 s[0:1], s0, v28
	s_nop 1
	v_subbrev_co_u32_e64 v32, s[0:1], 0, v24, s[0:1]
	v_sub_u32_e32 v24, 0, v32
	v_ldexp_f32 v25, v26, v24
	v_add_f32_e32 v26, -1.0, v25
	v_add_f32_e32 v28, 1.0, v25
	v_ldexp_f32 v24, v27, v24
	v_add_f32_e32 v27, 1.0, v26
	v_add_f32_e32 v29, -1.0, v28
	v_sub_f32_e32 v27, v25, v27
	v_sub_f32_e32 v25, v25, v29
	v_add_f32_e32 v27, v24, v27
	v_add_f32_e32 v24, v24, v25
	;; [unrolled: 1-line block ×3, first 2 shown]
	v_rcp_f32_e32 v35, v33
	v_sub_f32_e32 v25, v28, v33
	v_add_f32_e32 v34, v24, v25
	v_add_f32_e32 v25, v26, v27
	v_mul_f32_e32 v37, v25, v35
	v_sub_f32_e32 v24, v26, v25
	v_mul_f32_e32 v26, v33, v37
	v_fma_f32 v28, v37, v33, -v26
	v_fmac_f32_e32 v28, v37, v34
	v_add_f32_e32 v36, v27, v24
	v_add_f32_e32 v24, v26, v28
	v_sub_f32_e32 v27, v25, v24
	v_pk_add_f32 v[30:31], v[24:25], v[26:27] neg_lo:[0,1] neg_hi:[0,1]
	v_mov_b32_e32 v29, v24
	v_pk_add_f32 v[24:25], v[30:31], v[28:29] neg_lo:[0,1] neg_hi:[0,1]
	s_mov_b32 s0, 0x3f317218
	v_add_f32_e32 v25, v36, v25
	v_add_f32_e32 v24, v24, v25
	v_add_f32_e32 v25, v27, v24
	v_mul_f32_e32 v36, v35, v25
	v_mul_f32_e32 v26, v33, v36
	v_fma_f32 v28, v36, v33, -v26
	v_fmac_f32_e32 v28, v36, v34
	v_sub_f32_e32 v27, v27, v25
	v_add_f32_e32 v33, v24, v27
	v_add_f32_e32 v24, v26, v28
	v_sub_f32_e32 v27, v25, v24
	v_pk_add_f32 v[30:31], v[24:25], v[26:27] neg_lo:[0,1] neg_hi:[0,1]
	v_mov_b32_e32 v29, v24
	v_pk_add_f32 v[24:25], v[30:31], v[28:29] neg_lo:[0,1] neg_hi:[0,1]
	v_cvt_f32_i32_e32 v26, v32
	v_add_f32_e32 v25, v33, v25
	v_add_f32_e32 v24, v24, v25
	;; [unrolled: 1-line block ×4, first 2 shown]
	v_sub_f32_e32 v25, v27, v37
	v_mul_f32_e32 v24, v35, v24
	v_sub_f32_e32 v25, v36, v25
	v_add_f32_e32 v24, v25, v24
	v_add_f32_e32 v28, v27, v24
	v_mul_f32_e32 v30, v28, v28
	v_mov_b32_e32 v25, 0x3ecc95a3
	v_sub_f32_e32 v27, v28, v27
	v_fmac_f32_e32 v25, 0x3e9b6dac, v30
	v_sub_f32_e32 v24, v24, v27
	v_fmaak_f32 v25, v30, v25, 0x3f2aaada
	v_ldexp_f32 v31, v24, 1
	v_mul_f32_e32 v27, v28, v30
	v_mov_b32_e32 v24, 0x3f317218
	v_pk_mul_f32 v[24:25], v[26:27], v[24:25]
	v_ldexp_f32 v29, v28, 1
	v_fma_f32 v27, v26, s0, -v24
	v_fmamk_f32 v28, v26, 0xb102e308, v27
	v_pk_add_f32 v[26:27], v[24:25], v[28:29]
	v_mov_b32_e32 v30, v24
	v_sub_f32_e32 v29, v27, v29
	v_sub_f32_e32 v29, v25, v29
	v_add_f32_e32 v31, v31, v29
	v_pk_add_f32 v[24:25], v[26:27], v[24:25] neg_lo:[0,1] neg_hi:[0,1]
	v_pk_add_f32 v[32:33], v[26:27], v[30:31]
	v_mov_b32_e32 v29, v26
	v_mov_b32_e32 v25, v33
	v_pk_add_f32 v[34:35], v[28:29], v[24:25] neg_lo:[0,1] neg_hi:[0,1]
	v_pk_add_f32 v[24:25], v[28:29], v[24:25]
	v_mov_b32_e32 v30, v31
	v_pk_add_f32 v[28:29], v[24:25], v[26:27] op_sel:[1,0] op_sel_hi:[0,1] neg_lo:[0,1] neg_hi:[0,1]
	v_pk_add_f32 v[36:37], v[32:33], v[28:29] op_sel_hi:[1,0] neg_lo:[0,1] neg_hi:[0,1]
	v_mov_b32_e32 v32, v33
	v_mov_b32_e32 v33, v25
	v_pk_mov_b32 v[28:29], v[26:27], v[28:29] op_sel:[1,0]
	v_mov_b32_e32 v31, v26
	v_pk_add_f32 v[28:29], v[32:33], v[28:29] neg_lo:[0,1] neg_hi:[0,1]
	v_mov_b32_e32 v36, v34
	v_pk_add_f32 v[26:27], v[30:31], v[28:29] neg_lo:[0,1] neg_hi:[0,1]
	v_mov_b32_e32 v35, v25
	v_pk_add_f32 v[28:29], v[36:37], v[26:27]
	v_cmp_neq_f32_e64 s[0:1], s33, v39
	v_pk_add_f32 v[30:31], v[28:29], v[28:29] op_sel:[0,1] op_sel_hi:[1,0]
	s_nop 0
	v_pk_add_f32 v[24:25], v[24:25], v[30:31] op_sel:[1,0] op_sel_hi:[0,1]
	v_mov_b32_e32 v29, v24
	v_pk_add_f32 v[32:33], v[28:29], v[34:35] neg_lo:[0,1] neg_hi:[0,1]
	v_mov_b32_e32 v27, v30
	v_sub_f32_e32 v25, v28, v32
	v_pk_add_f32 v[26:27], v[26:27], v[32:33] neg_lo:[0,1] neg_hi:[0,1]
	v_sub_f32_e32 v25, v34, v25
	v_add_f32_e32 v25, v26, v25
	v_add_f32_e32 v25, v25, v27
	;; [unrolled: 1-line block ×3, first 2 shown]
	v_cndmask_b32_e64 v24, v38, v24, s[0:1]
	s_mov_b32 s0, 0x33800000
	v_cmp_lt_f32_e64 s[0:1], |v39|, s0
	s_nop 1
	v_cndmask_b32_e64 v24, v24, v39, s[0:1]
	v_add_f32_e32 v23, v23, v24
	v_cvt_f16_f32_e32 v24, v23
.LBB425_84:
	s_or_b64 exec, exec, s[58:59]
	v_mov_b32_e32 v23, v24
.LBB425_85:
	s_or_b64 exec, exec, s[64:65]
	ds_write_b16 v8, v23
.LBB425_86:
	s_or_b64 exec, exec, s[62:63]
	v_cmp_lt_u32_e64 s[0:1], 63, v0
	s_waitcnt lgkmcnt(0)
	s_barrier
                                        ; implicit-def: $vgpr23
	s_and_saveexec_b64 s[58:59], s[0:1]
	s_cbranch_execz .LBB425_90
; %bb.87:
	v_lshl_add_u32 v22, v22, 1, -2
	ds_read_u16 v23, v22
	v_cvt_f32_f16_e32 v22, v21
	s_movk_i32 s33, 0x1f8
	s_waitcnt lgkmcnt(0)
	v_cvt_f32_f16_e32 v24, v23
	v_cmp_u_f16_e64 s[0:1], v23, v23
	v_min_f32_e32 v25, v24, v22
	v_max_f32_e32 v26, v24, v22
	v_cndmask_b32_e64 v25, v25, v24, s[0:1]
	v_cndmask_b32_e64 v26, v26, v24, s[0:1]
	v_cmp_u_f16_e64 s[0:1], v21, v21
	v_mov_b32_e32 v21, v23
	s_nop 0
	v_cndmask_b32_e64 v24, v25, v22, s[0:1]
	v_cndmask_b32_e64 v22, v26, v22, s[0:1]
	v_cmp_neq_f32_e64 s[0:1], v24, v22
	v_cmp_class_f32_e64 s[62:63], v24, s33
	s_or_b64 s[0:1], s[0:1], s[62:63]
	s_and_saveexec_b64 s[62:63], s[0:1]
	s_cbranch_execz .LBB425_89
; %bb.88:
	v_sub_f32_e32 v21, v24, v22
	s_mov_b32 s0, 0x3fb8aa3b
	v_mul_f32_e32 v24, 0x3fb8aa3b, v21
	v_fma_f32 v25, v21, s0, -v24
	v_rndne_f32_e32 v26, v24
	v_fmamk_f32 v25, v21, 0x32a5705f, v25
	v_sub_f32_e32 v24, v24, v26
	v_add_f32_e32 v24, v24, v25
	v_exp_f32_e32 v24, v24
	v_cvt_i32_f32_e32 v25, v26
	s_mov_b32 s0, 0xc2ce8ed0
	v_cmp_ngt_f32_e64 s[0:1], s0, v21
	v_mov_b32_e32 v38, 0x7f800000
	v_ldexp_f32 v24, v24, v25
	v_cndmask_b32_e64 v24, 0, v24, s[0:1]
	s_mov_b32 s0, 0x42b17218
	v_cmp_nlt_f32_e64 s[0:1], s0, v21
	s_mov_b32 s33, 0x7f800000
	s_nop 0
	v_cndmask_b32_e64 v21, v38, v24, s[0:1]
	v_add_f32_e32 v26, 1.0, v21
	v_add_f32_e32 v24, -1.0, v26
	v_sub_f32_e32 v25, v24, v26
	v_add_f32_e32 v25, 1.0, v25
	v_sub_f32_e32 v24, v21, v24
	v_add_f32_e32 v27, v24, v25
	v_frexp_mant_f32_e32 v28, v26
	s_mov_b32 s0, 0x3f2aaaab
	v_cvt_f64_f32_e32 v[24:25], v26
	v_frexp_exp_i32_f64_e32 v24, v[24:25]
	v_cmp_gt_f32_e64 s[0:1], s0, v28
	s_nop 1
	v_subbrev_co_u32_e64 v32, s[0:1], 0, v24, s[0:1]
	v_sub_u32_e32 v24, 0, v32
	v_ldexp_f32 v25, v26, v24
	v_add_f32_e32 v26, -1.0, v25
	v_add_f32_e32 v28, 1.0, v25
	v_ldexp_f32 v24, v27, v24
	v_add_f32_e32 v27, 1.0, v26
	v_add_f32_e32 v29, -1.0, v28
	v_sub_f32_e32 v27, v25, v27
	v_sub_f32_e32 v25, v25, v29
	v_add_f32_e32 v27, v24, v27
	v_add_f32_e32 v24, v24, v25
	;; [unrolled: 1-line block ×3, first 2 shown]
	v_rcp_f32_e32 v35, v33
	v_sub_f32_e32 v25, v28, v33
	v_add_f32_e32 v34, v24, v25
	v_add_f32_e32 v25, v26, v27
	v_mul_f32_e32 v37, v25, v35
	v_sub_f32_e32 v24, v26, v25
	v_mul_f32_e32 v26, v33, v37
	v_fma_f32 v28, v37, v33, -v26
	v_fmac_f32_e32 v28, v37, v34
	v_add_f32_e32 v36, v27, v24
	v_add_f32_e32 v24, v26, v28
	v_sub_f32_e32 v27, v25, v24
	v_pk_add_f32 v[30:31], v[24:25], v[26:27] neg_lo:[0,1] neg_hi:[0,1]
	v_mov_b32_e32 v29, v24
	v_pk_add_f32 v[24:25], v[30:31], v[28:29] neg_lo:[0,1] neg_hi:[0,1]
	s_mov_b32 s0, 0x3f317218
	v_add_f32_e32 v25, v36, v25
	v_add_f32_e32 v24, v24, v25
	;; [unrolled: 1-line block ×3, first 2 shown]
	v_mul_f32_e32 v36, v35, v25
	v_mul_f32_e32 v26, v33, v36
	v_fma_f32 v28, v36, v33, -v26
	v_fmac_f32_e32 v28, v36, v34
	v_sub_f32_e32 v27, v27, v25
	v_add_f32_e32 v33, v24, v27
	v_add_f32_e32 v24, v26, v28
	v_sub_f32_e32 v27, v25, v24
	v_pk_add_f32 v[30:31], v[24:25], v[26:27] neg_lo:[0,1] neg_hi:[0,1]
	v_mov_b32_e32 v29, v24
	v_pk_add_f32 v[24:25], v[30:31], v[28:29] neg_lo:[0,1] neg_hi:[0,1]
	v_cvt_f32_i32_e32 v26, v32
	v_add_f32_e32 v25, v33, v25
	v_add_f32_e32 v24, v24, v25
	;; [unrolled: 1-line block ×4, first 2 shown]
	v_sub_f32_e32 v25, v27, v37
	v_mul_f32_e32 v24, v35, v24
	v_sub_f32_e32 v25, v36, v25
	v_add_f32_e32 v24, v25, v24
	v_add_f32_e32 v28, v27, v24
	v_mul_f32_e32 v30, v28, v28
	v_mov_b32_e32 v25, 0x3ecc95a3
	v_sub_f32_e32 v27, v28, v27
	v_fmac_f32_e32 v25, 0x3e9b6dac, v30
	v_sub_f32_e32 v24, v24, v27
	v_fmaak_f32 v25, v30, v25, 0x3f2aaada
	v_ldexp_f32 v31, v24, 1
	v_mul_f32_e32 v27, v28, v30
	v_mov_b32_e32 v24, 0x3f317218
	v_pk_mul_f32 v[24:25], v[26:27], v[24:25]
	v_ldexp_f32 v29, v28, 1
	v_fma_f32 v27, v26, s0, -v24
	v_fmamk_f32 v28, v26, 0xb102e308, v27
	v_pk_add_f32 v[26:27], v[24:25], v[28:29]
	v_mov_b32_e32 v30, v24
	v_sub_f32_e32 v29, v27, v29
	v_sub_f32_e32 v29, v25, v29
	v_add_f32_e32 v31, v31, v29
	v_pk_add_f32 v[24:25], v[26:27], v[24:25] neg_lo:[0,1] neg_hi:[0,1]
	v_pk_add_f32 v[32:33], v[26:27], v[30:31]
	v_mov_b32_e32 v29, v26
	v_mov_b32_e32 v25, v33
	v_pk_add_f32 v[34:35], v[28:29], v[24:25] neg_lo:[0,1] neg_hi:[0,1]
	v_pk_add_f32 v[24:25], v[28:29], v[24:25]
	v_mov_b32_e32 v30, v31
	v_pk_add_f32 v[28:29], v[24:25], v[26:27] op_sel:[1,0] op_sel_hi:[0,1] neg_lo:[0,1] neg_hi:[0,1]
	v_pk_add_f32 v[36:37], v[32:33], v[28:29] op_sel_hi:[1,0] neg_lo:[0,1] neg_hi:[0,1]
	v_mov_b32_e32 v32, v33
	v_mov_b32_e32 v33, v25
	v_pk_mov_b32 v[28:29], v[26:27], v[28:29] op_sel:[1,0]
	v_mov_b32_e32 v31, v26
	v_pk_add_f32 v[28:29], v[32:33], v[28:29] neg_lo:[0,1] neg_hi:[0,1]
	v_mov_b32_e32 v36, v34
	v_pk_add_f32 v[26:27], v[30:31], v[28:29] neg_lo:[0,1] neg_hi:[0,1]
	v_mov_b32_e32 v35, v25
	v_pk_add_f32 v[28:29], v[36:37], v[26:27]
	v_cmp_neq_f32_e64 s[0:1], s33, v21
	v_pk_add_f32 v[30:31], v[28:29], v[28:29] op_sel:[0,1] op_sel_hi:[1,0]
	s_nop 0
	v_pk_add_f32 v[24:25], v[24:25], v[30:31] op_sel:[1,0] op_sel_hi:[0,1]
	v_mov_b32_e32 v29, v24
	v_pk_add_f32 v[32:33], v[28:29], v[34:35] neg_lo:[0,1] neg_hi:[0,1]
	v_mov_b32_e32 v27, v30
	v_sub_f32_e32 v25, v28, v32
	v_pk_add_f32 v[26:27], v[26:27], v[32:33] neg_lo:[0,1] neg_hi:[0,1]
	v_sub_f32_e32 v25, v34, v25
	v_add_f32_e32 v25, v26, v25
	v_add_f32_e32 v25, v25, v27
	;; [unrolled: 1-line block ×3, first 2 shown]
	v_cndmask_b32_e64 v24, v38, v24, s[0:1]
	s_mov_b32 s0, 0x33800000
	v_cmp_lt_f32_e64 s[0:1], |v21|, s0
	s_nop 1
	v_cndmask_b32_e64 v21, v24, v21, s[0:1]
	v_add_f32_e32 v21, v22, v21
	v_cvt_f16_f32_e32 v21, v21
.LBB425_89:
	s_or_b64 exec, exec, s[62:63]
.LBB425_90:
	s_or_b64 exec, exec, s[58:59]
	v_add_u32_e32 v22, -1, v20
	v_and_b32_e32 v24, 64, v20
	v_cmp_lt_i32_e64 s[0:1], v22, v24
	v_and_b32_e32 v21, 0xffff, v21
	s_nop 0
	v_cndmask_b32_e64 v22, v22, v20, s[0:1]
	v_lshlrev_b32_e32 v22, 2, v22
	ds_bpermute_b32 v22, v22, v21
	v_cmp_ne_u32_e64 s[0:1], 0, v0
	v_mov_b32_e32 v21, v2
	s_and_saveexec_b64 s[58:59], s[0:1]
	s_cbranch_execz .LBB425_94
; %bb.91:
	v_cmp_eq_u32_e64 s[0:1], 0, v20
	v_max_f32_e32 v18, v1, v1
	s_movk_i32 s33, 0x1f8
	s_waitcnt lgkmcnt(0)
	v_cndmask_b32_e64 v2, v22, v23, s[0:1]
	v_cvt_f32_f16_e32 v20, v2
	v_cmp_u_f16_e64 s[0:1], v2, v2
	v_min_f32_e32 v17, v20, v18
	v_max_f32_e32 v18, v20, v18
	v_cndmask_b32_e64 v17, v17, v20, s[0:1]
	v_cndmask_b32_e64 v18, v18, v20, s[0:1]
	;; [unrolled: 1-line block ×4, first 2 shown]
	v_cmp_neq_f32_e64 s[0:1], v17, v1
	v_cmp_class_f32_e64 s[54:55], v17, s33
	s_or_b64 s[0:1], s[0:1], s[54:55]
	s_and_saveexec_b64 s[54:55], s[0:1]
	s_cbranch_execz .LBB425_93
; %bb.92:
	v_sub_f32_e32 v2, v17, v1
	s_mov_b32 s0, 0x3fb8aa3b
	v_mul_f32_e32 v17, 0x3fb8aa3b, v2
	v_fma_f32 v18, v2, s0, -v17
	v_rndne_f32_e32 v20, v17
	v_fmamk_f32 v18, v2, 0x32a5705f, v18
	v_sub_f32_e32 v17, v17, v20
	v_add_f32_e32 v17, v17, v18
	v_exp_f32_e32 v17, v17
	v_cvt_i32_f32_e32 v18, v20
	s_mov_b32 s0, 0xc2ce8ed0
	v_cmp_ngt_f32_e64 s[0:1], s0, v2
	s_mov_b32 s33, 0x7f800000
	v_ldexp_f32 v17, v17, v18
	v_cndmask_b32_e64 v17, 0, v17, s[0:1]
	s_mov_b32 s0, 0x42b17218
	v_mov_b32_e32 v18, 0x7f800000
	v_cmp_nlt_f32_e64 s[0:1], s0, v2
	s_nop 1
	v_cndmask_b32_e64 v2, v18, v17, s[0:1]
	v_add_f32_e32 v17, 1.0, v2
	v_add_f32_e32 v20, -1.0, v17
	v_sub_f32_e32 v21, v20, v17
	v_add_f32_e32 v21, 1.0, v21
	v_sub_f32_e32 v20, v2, v20
	v_add_f32_e32 v22, v20, v21
	v_frexp_mant_f32_e32 v23, v17
	s_mov_b32 s0, 0x3f2aaaab
	v_cvt_f64_f32_e32 v[20:21], v17
	v_frexp_exp_i32_f64_e32 v20, v[20:21]
	v_cmp_gt_f32_e64 s[0:1], s0, v23
	s_nop 1
	v_subbrev_co_u32_e64 v28, s[0:1], 0, v20, s[0:1]
	v_sub_u32_e32 v20, 0, v28
	v_ldexp_f32 v17, v17, v20
	v_ldexp_f32 v20, v22, v20
	v_add_f32_e32 v22, -1.0, v17
	v_add_f32_e32 v21, 1.0, v22
	v_sub_f32_e32 v21, v17, v21
	v_add_f32_e32 v23, v20, v21
	v_add_f32_e32 v21, 1.0, v17
	v_add_f32_e32 v24, -1.0, v21
	v_sub_f32_e32 v17, v17, v24
	v_add_f32_e32 v17, v20, v17
	v_add_f32_e32 v29, v21, v17
	v_rcp_f32_e32 v30, v29
	v_sub_f32_e32 v20, v21, v29
	v_add_f32_e32 v21, v22, v23
	v_add_f32_e32 v17, v17, v20
	v_mul_f32_e32 v32, v21, v30
	v_sub_f32_e32 v20, v22, v21
	v_mul_f32_e32 v22, v29, v32
	v_fma_f32 v24, v32, v29, -v22
	v_fmac_f32_e32 v24, v32, v17
	v_add_f32_e32 v31, v23, v20
	v_add_f32_e32 v20, v22, v24
	v_sub_f32_e32 v23, v21, v20
	v_pk_add_f32 v[26:27], v[20:21], v[22:23] neg_lo:[0,1] neg_hi:[0,1]
	v_mov_b32_e32 v25, v20
	v_pk_add_f32 v[20:21], v[26:27], v[24:25] neg_lo:[0,1] neg_hi:[0,1]
	s_mov_b32 s0, 0x3f317218
	v_add_f32_e32 v21, v31, v21
	v_add_f32_e32 v20, v20, v21
	v_add_f32_e32 v21, v23, v20
	v_mul_f32_e32 v31, v30, v21
	v_mul_f32_e32 v22, v29, v31
	v_fma_f32 v24, v31, v29, -v22
	v_fmac_f32_e32 v24, v31, v17
	v_sub_f32_e32 v17, v23, v21
	v_add_f32_e32 v17, v20, v17
	v_add_f32_e32 v20, v22, v24
	v_sub_f32_e32 v23, v21, v20
	v_pk_add_f32 v[26:27], v[20:21], v[22:23] neg_lo:[0,1] neg_hi:[0,1]
	v_mov_b32_e32 v25, v20
	v_pk_add_f32 v[20:21], v[26:27], v[24:25] neg_lo:[0,1] neg_hi:[0,1]
	v_cvt_f32_i32_e32 v22, v28
	v_add_f32_e32 v17, v17, v21
	v_add_f32_e32 v17, v20, v17
	;; [unrolled: 1-line block ×4, first 2 shown]
	v_sub_f32_e32 v21, v20, v32
	v_mul_f32_e32 v17, v30, v17
	v_sub_f32_e32 v21, v31, v21
	v_add_f32_e32 v17, v21, v17
	v_add_f32_e32 v23, v20, v17
	v_mul_f32_e32 v24, v23, v23
	v_mov_b32_e32 v21, 0x3ecc95a3
	v_fmac_f32_e32 v21, 0x3e9b6dac, v24
	v_sub_f32_e32 v20, v23, v20
	v_fmaak_f32 v21, v24, v21, 0x3f2aaada
	v_sub_f32_e32 v17, v17, v20
	v_ldexp_f32 v25, v23, 1
	v_mul_f32_e32 v23, v23, v24
	v_mov_b32_e32 v20, 0x3f317218
	v_pk_mul_f32 v[20:21], v[22:23], v[20:21]
	v_ldexp_f32 v17, v17, 1
	v_fma_f32 v23, v22, s0, -v20
	v_fmamk_f32 v24, v22, 0xb102e308, v23
	v_pk_add_f32 v[22:23], v[20:21], v[24:25]
	v_mov_b32_e32 v26, v20
	v_sub_f32_e32 v25, v23, v25
	v_sub_f32_e32 v25, v21, v25
	v_add_f32_e32 v27, v17, v25
	v_pk_add_f32 v[20:21], v[22:23], v[20:21] neg_lo:[0,1] neg_hi:[0,1]
	v_pk_add_f32 v[28:29], v[22:23], v[26:27]
	v_mov_b32_e32 v25, v22
	v_mov_b32_e32 v21, v29
	v_pk_add_f32 v[30:31], v[24:25], v[20:21] neg_lo:[0,1] neg_hi:[0,1]
	v_pk_add_f32 v[20:21], v[24:25], v[20:21]
	v_mov_b32_e32 v26, v27
	v_pk_add_f32 v[24:25], v[20:21], v[22:23] op_sel:[1,0] op_sel_hi:[0,1] neg_lo:[0,1] neg_hi:[0,1]
	v_pk_add_f32 v[32:33], v[28:29], v[24:25] op_sel_hi:[1,0] neg_lo:[0,1] neg_hi:[0,1]
	v_mov_b32_e32 v28, v29
	v_mov_b32_e32 v29, v21
	v_pk_mov_b32 v[24:25], v[22:23], v[24:25] op_sel:[1,0]
	v_mov_b32_e32 v27, v22
	v_pk_add_f32 v[24:25], v[28:29], v[24:25] neg_lo:[0,1] neg_hi:[0,1]
	v_mov_b32_e32 v32, v30
	v_pk_add_f32 v[22:23], v[26:27], v[24:25] neg_lo:[0,1] neg_hi:[0,1]
	v_mov_b32_e32 v31, v21
	v_pk_add_f32 v[24:25], v[32:33], v[22:23]
	v_cmp_neq_f32_e64 s[0:1], s33, v2
	v_pk_add_f32 v[26:27], v[24:25], v[24:25] op_sel:[0,1] op_sel_hi:[1,0]
	s_nop 0
	v_pk_add_f32 v[20:21], v[20:21], v[26:27] op_sel:[1,0] op_sel_hi:[0,1]
	v_mov_b32_e32 v25, v20
	v_pk_add_f32 v[28:29], v[24:25], v[30:31] neg_lo:[0,1] neg_hi:[0,1]
	v_mov_b32_e32 v23, v26
	v_sub_f32_e32 v17, v24, v28
	v_pk_add_f32 v[22:23], v[22:23], v[28:29] neg_lo:[0,1] neg_hi:[0,1]
	v_sub_f32_e32 v17, v30, v17
	v_add_f32_e32 v17, v22, v17
	v_add_f32_e32 v17, v17, v23
	;; [unrolled: 1-line block ×3, first 2 shown]
	v_cndmask_b32_e64 v17, v18, v17, s[0:1]
	s_mov_b32 s0, 0x33800000
	v_cmp_lt_f32_e64 s[0:1], |v2|, s0
	s_nop 1
	v_cndmask_b32_e64 v2, v17, v2, s[0:1]
	v_add_f32_e32 v1, v1, v2
	v_cvt_f16_f32_e32 v2, v1
	v_cvt_f32_f16_e32 v20, v2
.LBB425_93:
	s_or_b64 exec, exec, s[54:55]
	v_max_f32_e32 v1, v9, v9
	v_max_f32_e32 v18, v20, v20
	v_min_f32_e32 v17, v18, v1
	v_max_f32_e32 v18, v18, v1
	v_mov_b32_e32 v21, v2
	v_mov_b32_e32 v1, v20
	;;#ASMSTART
	;;#ASMEND
.LBB425_94:
	s_or_b64 exec, exec, s[58:59]
	v_cmp_u_f16_e64 s[0:1], v21, v21
	s_movk_i32 s33, 0x1f8
	s_nop 0
	v_cndmask_b32_e64 v17, v17, v1, s[0:1]
	v_cndmask_b32_e64 v20, v17, v9, s[26:27]
	v_cndmask_b32_e64 v17, v18, v1, s[0:1]
	v_cndmask_b32_e64 v17, v17, v9, s[26:27]
	v_cmp_neq_f32_e64 s[0:1], v20, v17
	v_cmp_class_f32_e64 s[26:27], v20, s33
	s_or_b64 s[0:1], s[0:1], s[26:27]
	v_mov_b32_e32 v9, v2
	s_and_saveexec_b64 s[26:27], s[0:1]
	s_cbranch_execz .LBB425_96
; %bb.95:
	v_sub_f32_e32 v1, v20, v17
	s_mov_b32 s0, 0x3fb8aa3b
	v_mul_f32_e32 v9, 0x3fb8aa3b, v1
	v_fma_f32 v18, v1, s0, -v9
	v_rndne_f32_e32 v20, v9
	v_fmamk_f32 v18, v1, 0x32a5705f, v18
	v_sub_f32_e32 v9, v9, v20
	v_add_f32_e32 v9, v9, v18
	v_exp_f32_e32 v9, v9
	v_cvt_i32_f32_e32 v18, v20
	s_mov_b32 s0, 0xc2ce8ed0
	v_cmp_ngt_f32_e64 s[0:1], s0, v1
	s_mov_b32 s54, 0x7f800000
	v_ldexp_f32 v9, v9, v18
	v_cndmask_b32_e64 v9, 0, v9, s[0:1]
	s_mov_b32 s0, 0x42b17218
	v_mov_b32_e32 v18, 0x7f800000
	v_cmp_nlt_f32_e64 s[0:1], s0, v1
	s_nop 1
	v_cndmask_b32_e64 v1, v18, v9, s[0:1]
	v_add_f32_e32 v9, 1.0, v1
	v_add_f32_e32 v20, -1.0, v9
	v_sub_f32_e32 v21, v20, v9
	v_add_f32_e32 v21, 1.0, v21
	v_sub_f32_e32 v20, v1, v20
	s_waitcnt lgkmcnt(0)
	v_add_f32_e32 v22, v20, v21
	v_frexp_mant_f32_e32 v23, v9
	s_mov_b32 s0, 0x3f2aaaab
	v_cvt_f64_f32_e32 v[20:21], v9
	v_frexp_exp_i32_f64_e32 v20, v[20:21]
	v_cmp_gt_f32_e64 s[0:1], s0, v23
	s_nop 1
	v_subbrev_co_u32_e64 v28, s[0:1], 0, v20, s[0:1]
	v_sub_u32_e32 v20, 0, v28
	v_ldexp_f32 v9, v9, v20
	v_ldexp_f32 v20, v22, v20
	v_add_f32_e32 v22, -1.0, v9
	v_add_f32_e32 v21, 1.0, v22
	v_sub_f32_e32 v21, v9, v21
	v_add_f32_e32 v23, v20, v21
	v_add_f32_e32 v21, 1.0, v9
	v_add_f32_e32 v24, -1.0, v21
	v_sub_f32_e32 v9, v9, v24
	v_add_f32_e32 v9, v20, v9
	v_add_f32_e32 v29, v21, v9
	v_rcp_f32_e32 v30, v29
	v_sub_f32_e32 v20, v21, v29
	v_add_f32_e32 v21, v22, v23
	v_add_f32_e32 v9, v9, v20
	v_mul_f32_e32 v32, v21, v30
	v_sub_f32_e32 v20, v22, v21
	v_mul_f32_e32 v22, v29, v32
	v_fma_f32 v24, v32, v29, -v22
	v_fmac_f32_e32 v24, v32, v9
	v_add_f32_e32 v31, v23, v20
	v_add_f32_e32 v20, v22, v24
	v_sub_f32_e32 v23, v21, v20
	v_pk_add_f32 v[26:27], v[20:21], v[22:23] neg_lo:[0,1] neg_hi:[0,1]
	v_mov_b32_e32 v25, v20
	v_pk_add_f32 v[20:21], v[26:27], v[24:25] neg_lo:[0,1] neg_hi:[0,1]
	s_mov_b32 s0, 0x3f317218
	v_add_f32_e32 v21, v31, v21
	v_add_f32_e32 v20, v20, v21
	;; [unrolled: 1-line block ×3, first 2 shown]
	v_mul_f32_e32 v31, v30, v21
	v_mul_f32_e32 v22, v29, v31
	v_fma_f32 v24, v31, v29, -v22
	v_fmac_f32_e32 v24, v31, v9
	v_sub_f32_e32 v9, v23, v21
	v_add_f32_e32 v9, v20, v9
	v_add_f32_e32 v20, v22, v24
	v_sub_f32_e32 v23, v21, v20
	v_pk_add_f32 v[26:27], v[20:21], v[22:23] neg_lo:[0,1] neg_hi:[0,1]
	v_mov_b32_e32 v25, v20
	v_pk_add_f32 v[20:21], v[26:27], v[24:25] neg_lo:[0,1] neg_hi:[0,1]
	v_cvt_f32_i32_e32 v22, v28
	v_add_f32_e32 v9, v9, v21
	v_add_f32_e32 v9, v20, v9
	;; [unrolled: 1-line block ×4, first 2 shown]
	v_sub_f32_e32 v21, v20, v32
	v_mul_f32_e32 v9, v30, v9
	v_sub_f32_e32 v21, v31, v21
	v_add_f32_e32 v9, v21, v9
	v_add_f32_e32 v23, v20, v9
	v_mul_f32_e32 v24, v23, v23
	v_mov_b32_e32 v21, 0x3ecc95a3
	v_fmac_f32_e32 v21, 0x3e9b6dac, v24
	v_sub_f32_e32 v20, v23, v20
	v_fmaak_f32 v21, v24, v21, 0x3f2aaada
	v_sub_f32_e32 v9, v9, v20
	v_ldexp_f32 v25, v23, 1
	v_mul_f32_e32 v23, v23, v24
	v_mov_b32_e32 v20, 0x3f317218
	v_pk_mul_f32 v[20:21], v[22:23], v[20:21]
	v_ldexp_f32 v9, v9, 1
	v_fma_f32 v23, v22, s0, -v20
	v_fmamk_f32 v24, v22, 0xb102e308, v23
	v_pk_add_f32 v[22:23], v[20:21], v[24:25]
	v_mov_b32_e32 v26, v20
	v_sub_f32_e32 v25, v23, v25
	v_sub_f32_e32 v25, v21, v25
	v_add_f32_e32 v27, v9, v25
	v_pk_add_f32 v[20:21], v[22:23], v[20:21] neg_lo:[0,1] neg_hi:[0,1]
	v_pk_add_f32 v[28:29], v[22:23], v[26:27]
	v_mov_b32_e32 v25, v22
	v_mov_b32_e32 v21, v29
	v_pk_add_f32 v[30:31], v[24:25], v[20:21] neg_lo:[0,1] neg_hi:[0,1]
	v_pk_add_f32 v[20:21], v[24:25], v[20:21]
	v_mov_b32_e32 v26, v27
	v_pk_add_f32 v[24:25], v[20:21], v[22:23] op_sel:[1,0] op_sel_hi:[0,1] neg_lo:[0,1] neg_hi:[0,1]
	v_pk_add_f32 v[32:33], v[28:29], v[24:25] op_sel_hi:[1,0] neg_lo:[0,1] neg_hi:[0,1]
	v_mov_b32_e32 v28, v29
	v_mov_b32_e32 v29, v21
	v_pk_mov_b32 v[24:25], v[22:23], v[24:25] op_sel:[1,0]
	v_mov_b32_e32 v27, v22
	v_pk_add_f32 v[24:25], v[28:29], v[24:25] neg_lo:[0,1] neg_hi:[0,1]
	v_mov_b32_e32 v32, v30
	v_pk_add_f32 v[22:23], v[26:27], v[24:25] neg_lo:[0,1] neg_hi:[0,1]
	v_mov_b32_e32 v31, v21
	v_pk_add_f32 v[24:25], v[32:33], v[22:23]
	v_cmp_neq_f32_e64 s[0:1], s54, v1
	v_pk_add_f32 v[26:27], v[24:25], v[24:25] op_sel:[0,1] op_sel_hi:[1,0]
	s_nop 0
	v_pk_add_f32 v[20:21], v[20:21], v[26:27] op_sel:[1,0] op_sel_hi:[0,1]
	v_mov_b32_e32 v25, v20
	v_pk_add_f32 v[28:29], v[24:25], v[30:31] neg_lo:[0,1] neg_hi:[0,1]
	v_mov_b32_e32 v23, v26
	v_sub_f32_e32 v9, v24, v28
	v_pk_add_f32 v[22:23], v[22:23], v[28:29] neg_lo:[0,1] neg_hi:[0,1]
	v_sub_f32_e32 v9, v30, v9
	v_add_f32_e32 v9, v22, v9
	v_add_f32_e32 v9, v9, v23
	;; [unrolled: 1-line block ×3, first 2 shown]
	v_cndmask_b32_e64 v9, v18, v9, s[0:1]
	s_mov_b32 s0, 0x33800000
	v_cmp_lt_f32_e64 s[0:1], |v1|, s0
	s_nop 1
	v_cndmask_b32_e64 v1, v9, v1, s[0:1]
	v_add_f32_e32 v1, v17, v1
	v_cvt_f16_f32_e32 v21, v1
	v_cvt_f32_f16_e32 v1, v21
	v_mov_b32_e32 v9, v21
.LBB425_96:
	s_or_b64 exec, exec, s[26:27]
	v_max_f32_e32 v17, v10, v10
	v_max_f32_e32 v20, v1, v1
	v_min_f32_e32 v18, v20, v17
	v_cmp_u_f16_e64 s[0:1], v21, v21
	v_max_f32_e32 v17, v20, v17
	s_nop 0
	v_cndmask_b32_e64 v18, v18, v1, s[0:1]
	v_cndmask_b32_e64 v17, v17, v1, s[0:1]
	;; [unrolled: 1-line block ×4, first 2 shown]
	v_cmp_neq_f32_e64 s[0:1], v18, v17
	v_cmp_class_f32_e64 s[26:27], v18, s33
	s_or_b64 s[0:1], s[0:1], s[26:27]
	v_mov_b32_e32 v10, v9
	s_and_saveexec_b64 s[26:27], s[0:1]
	s_cbranch_execz .LBB425_98
; %bb.97:
	v_sub_f32_e32 v1, v18, v17
	s_mov_b32 s0, 0x3fb8aa3b
	v_mul_f32_e32 v10, 0x3fb8aa3b, v1
	v_fma_f32 v18, v1, s0, -v10
	v_rndne_f32_e32 v20, v10
	v_fmamk_f32 v18, v1, 0x32a5705f, v18
	v_sub_f32_e32 v10, v10, v20
	v_add_f32_e32 v10, v10, v18
	v_exp_f32_e32 v10, v10
	v_cvt_i32_f32_e32 v18, v20
	s_mov_b32 s0, 0xc2ce8ed0
	v_cmp_ngt_f32_e64 s[0:1], s0, v1
	s_mov_b32 s28, 0x7f800000
	v_ldexp_f32 v10, v10, v18
	v_cndmask_b32_e64 v10, 0, v10, s[0:1]
	s_mov_b32 s0, 0x42b17218
	v_mov_b32_e32 v18, 0x7f800000
	v_cmp_nlt_f32_e64 s[0:1], s0, v1
	s_nop 1
	v_cndmask_b32_e64 v1, v18, v10, s[0:1]
	v_add_f32_e32 v10, 1.0, v1
	v_add_f32_e32 v20, -1.0, v10
	v_sub_f32_e32 v21, v20, v10
	v_add_f32_e32 v21, 1.0, v21
	v_sub_f32_e32 v20, v1, v20
	s_waitcnt lgkmcnt(0)
	v_add_f32_e32 v22, v20, v21
	v_frexp_mant_f32_e32 v23, v10
	s_mov_b32 s0, 0x3f2aaaab
	v_cvt_f64_f32_e32 v[20:21], v10
	v_frexp_exp_i32_f64_e32 v20, v[20:21]
	v_cmp_gt_f32_e64 s[0:1], s0, v23
	s_nop 1
	v_subbrev_co_u32_e64 v28, s[0:1], 0, v20, s[0:1]
	v_sub_u32_e32 v20, 0, v28
	v_ldexp_f32 v10, v10, v20
	v_ldexp_f32 v20, v22, v20
	v_add_f32_e32 v22, -1.0, v10
	v_add_f32_e32 v21, 1.0, v22
	v_sub_f32_e32 v21, v10, v21
	v_add_f32_e32 v23, v20, v21
	v_add_f32_e32 v21, 1.0, v10
	v_add_f32_e32 v24, -1.0, v21
	v_sub_f32_e32 v10, v10, v24
	v_add_f32_e32 v10, v20, v10
	v_add_f32_e32 v29, v21, v10
	v_rcp_f32_e32 v30, v29
	v_sub_f32_e32 v20, v21, v29
	v_add_f32_e32 v21, v22, v23
	v_add_f32_e32 v10, v10, v20
	v_mul_f32_e32 v32, v21, v30
	v_sub_f32_e32 v20, v22, v21
	v_mul_f32_e32 v22, v29, v32
	v_fma_f32 v24, v32, v29, -v22
	v_fmac_f32_e32 v24, v32, v10
	v_add_f32_e32 v31, v23, v20
	v_add_f32_e32 v20, v22, v24
	v_sub_f32_e32 v23, v21, v20
	v_pk_add_f32 v[26:27], v[20:21], v[22:23] neg_lo:[0,1] neg_hi:[0,1]
	v_mov_b32_e32 v25, v20
	v_pk_add_f32 v[20:21], v[26:27], v[24:25] neg_lo:[0,1] neg_hi:[0,1]
	s_mov_b32 s0, 0x3f317218
	v_add_f32_e32 v21, v31, v21
	v_add_f32_e32 v20, v20, v21
	;; [unrolled: 1-line block ×3, first 2 shown]
	v_mul_f32_e32 v31, v30, v21
	v_mul_f32_e32 v22, v29, v31
	v_fma_f32 v24, v31, v29, -v22
	v_fmac_f32_e32 v24, v31, v10
	v_sub_f32_e32 v10, v23, v21
	v_add_f32_e32 v10, v20, v10
	v_add_f32_e32 v20, v22, v24
	v_sub_f32_e32 v23, v21, v20
	v_pk_add_f32 v[26:27], v[20:21], v[22:23] neg_lo:[0,1] neg_hi:[0,1]
	v_mov_b32_e32 v25, v20
	v_pk_add_f32 v[20:21], v[26:27], v[24:25] neg_lo:[0,1] neg_hi:[0,1]
	v_cvt_f32_i32_e32 v22, v28
	v_add_f32_e32 v10, v10, v21
	v_add_f32_e32 v10, v20, v10
	v_add_f32_e32 v20, v32, v31
	v_add_f32_e32 v10, v23, v10
	v_sub_f32_e32 v21, v20, v32
	v_mul_f32_e32 v10, v30, v10
	v_sub_f32_e32 v21, v31, v21
	v_add_f32_e32 v10, v21, v10
	v_add_f32_e32 v23, v20, v10
	v_mul_f32_e32 v24, v23, v23
	v_mov_b32_e32 v21, 0x3ecc95a3
	v_fmac_f32_e32 v21, 0x3e9b6dac, v24
	v_sub_f32_e32 v20, v23, v20
	v_fmaak_f32 v21, v24, v21, 0x3f2aaada
	v_sub_f32_e32 v10, v10, v20
	v_ldexp_f32 v25, v23, 1
	v_mul_f32_e32 v23, v23, v24
	v_mov_b32_e32 v20, 0x3f317218
	v_pk_mul_f32 v[20:21], v[22:23], v[20:21]
	v_ldexp_f32 v10, v10, 1
	v_fma_f32 v23, v22, s0, -v20
	v_fmamk_f32 v24, v22, 0xb102e308, v23
	v_pk_add_f32 v[22:23], v[20:21], v[24:25]
	v_mov_b32_e32 v26, v20
	v_sub_f32_e32 v25, v23, v25
	v_sub_f32_e32 v25, v21, v25
	v_add_f32_e32 v27, v10, v25
	v_pk_add_f32 v[20:21], v[22:23], v[20:21] neg_lo:[0,1] neg_hi:[0,1]
	v_pk_add_f32 v[28:29], v[22:23], v[26:27]
	v_mov_b32_e32 v25, v22
	v_mov_b32_e32 v21, v29
	v_pk_add_f32 v[30:31], v[24:25], v[20:21] neg_lo:[0,1] neg_hi:[0,1]
	v_pk_add_f32 v[20:21], v[24:25], v[20:21]
	v_mov_b32_e32 v26, v27
	v_pk_add_f32 v[24:25], v[20:21], v[22:23] op_sel:[1,0] op_sel_hi:[0,1] neg_lo:[0,1] neg_hi:[0,1]
	v_pk_add_f32 v[32:33], v[28:29], v[24:25] op_sel_hi:[1,0] neg_lo:[0,1] neg_hi:[0,1]
	v_mov_b32_e32 v28, v29
	v_mov_b32_e32 v29, v21
	v_pk_mov_b32 v[24:25], v[22:23], v[24:25] op_sel:[1,0]
	v_mov_b32_e32 v27, v22
	v_pk_add_f32 v[24:25], v[28:29], v[24:25] neg_lo:[0,1] neg_hi:[0,1]
	v_mov_b32_e32 v32, v30
	v_pk_add_f32 v[22:23], v[26:27], v[24:25] neg_lo:[0,1] neg_hi:[0,1]
	v_mov_b32_e32 v31, v21
	v_pk_add_f32 v[24:25], v[32:33], v[22:23]
	v_cmp_neq_f32_e64 s[0:1], s28, v1
	v_pk_add_f32 v[26:27], v[24:25], v[24:25] op_sel:[0,1] op_sel_hi:[1,0]
	s_nop 0
	v_pk_add_f32 v[20:21], v[20:21], v[26:27] op_sel:[1,0] op_sel_hi:[0,1]
	v_mov_b32_e32 v25, v20
	v_pk_add_f32 v[28:29], v[24:25], v[30:31] neg_lo:[0,1] neg_hi:[0,1]
	v_mov_b32_e32 v23, v26
	v_sub_f32_e32 v10, v24, v28
	v_pk_add_f32 v[22:23], v[22:23], v[28:29] neg_lo:[0,1] neg_hi:[0,1]
	v_sub_f32_e32 v10, v30, v10
	v_add_f32_e32 v10, v22, v10
	v_add_f32_e32 v10, v10, v23
	;; [unrolled: 1-line block ×3, first 2 shown]
	v_cndmask_b32_e64 v10, v18, v10, s[0:1]
	s_mov_b32 s0, 0x33800000
	v_cmp_lt_f32_e64 s[0:1], |v1|, s0
	s_nop 1
	v_cndmask_b32_e64 v1, v10, v1, s[0:1]
	v_add_f32_e32 v1, v17, v1
	v_cvt_f16_f32_e32 v21, v1
	v_cvt_f32_f16_e32 v1, v21
	v_mov_b32_e32 v10, v21
.LBB425_98:
	s_or_b64 exec, exec, s[26:27]
	v_max_f32_e32 v17, v11, v11
	v_max_f32_e32 v20, v1, v1
	v_min_f32_e32 v18, v20, v17
	v_cmp_u_f16_e64 s[0:1], v21, v21
	v_max_f32_e32 v17, v20, v17
	s_movk_i32 s28, 0x1f8
	v_cndmask_b32_e64 v18, v18, v1, s[0:1]
	v_cndmask_b32_e64 v17, v17, v1, s[0:1]
	;; [unrolled: 1-line block ×4, first 2 shown]
	v_cmp_neq_f32_e64 s[0:1], v18, v17
	v_cmp_class_f32_e64 s[26:27], v18, s28
	s_or_b64 s[0:1], s[0:1], s[26:27]
	v_mov_b32_e32 v11, v10
	s_and_saveexec_b64 s[26:27], s[0:1]
	s_cbranch_execz .LBB425_100
; %bb.99:
	v_sub_f32_e32 v1, v18, v17
	s_mov_b32 s0, 0x3fb8aa3b
	v_mul_f32_e32 v11, 0x3fb8aa3b, v1
	v_fma_f32 v18, v1, s0, -v11
	v_rndne_f32_e32 v20, v11
	v_fmamk_f32 v18, v1, 0x32a5705f, v18
	v_sub_f32_e32 v11, v11, v20
	v_add_f32_e32 v11, v11, v18
	v_exp_f32_e32 v11, v11
	v_cvt_i32_f32_e32 v18, v20
	s_mov_b32 s0, 0xc2ce8ed0
	v_cmp_ngt_f32_e64 s[0:1], s0, v1
	s_mov_b32 s29, 0x7f800000
	v_ldexp_f32 v11, v11, v18
	v_cndmask_b32_e64 v11, 0, v11, s[0:1]
	s_mov_b32 s0, 0x42b17218
	v_mov_b32_e32 v18, 0x7f800000
	v_cmp_nlt_f32_e64 s[0:1], s0, v1
	s_nop 1
	v_cndmask_b32_e64 v1, v18, v11, s[0:1]
	v_add_f32_e32 v11, 1.0, v1
	v_add_f32_e32 v20, -1.0, v11
	v_sub_f32_e32 v21, v20, v11
	v_add_f32_e32 v21, 1.0, v21
	v_sub_f32_e32 v20, v1, v20
	s_waitcnt lgkmcnt(0)
	v_add_f32_e32 v22, v20, v21
	v_frexp_mant_f32_e32 v23, v11
	s_mov_b32 s0, 0x3f2aaaab
	v_cvt_f64_f32_e32 v[20:21], v11
	v_frexp_exp_i32_f64_e32 v20, v[20:21]
	v_cmp_gt_f32_e64 s[0:1], s0, v23
	s_nop 1
	v_subbrev_co_u32_e64 v28, s[0:1], 0, v20, s[0:1]
	v_sub_u32_e32 v20, 0, v28
	v_ldexp_f32 v11, v11, v20
	v_ldexp_f32 v20, v22, v20
	v_add_f32_e32 v22, -1.0, v11
	v_add_f32_e32 v21, 1.0, v22
	v_sub_f32_e32 v21, v11, v21
	v_add_f32_e32 v23, v20, v21
	v_add_f32_e32 v21, 1.0, v11
	v_add_f32_e32 v24, -1.0, v21
	v_sub_f32_e32 v11, v11, v24
	v_add_f32_e32 v11, v20, v11
	v_add_f32_e32 v29, v21, v11
	v_rcp_f32_e32 v30, v29
	v_sub_f32_e32 v20, v21, v29
	v_add_f32_e32 v21, v22, v23
	v_add_f32_e32 v11, v11, v20
	v_mul_f32_e32 v32, v21, v30
	v_sub_f32_e32 v20, v22, v21
	v_mul_f32_e32 v22, v29, v32
	v_fma_f32 v24, v32, v29, -v22
	v_fmac_f32_e32 v24, v32, v11
	v_add_f32_e32 v31, v23, v20
	v_add_f32_e32 v20, v22, v24
	v_sub_f32_e32 v23, v21, v20
	v_pk_add_f32 v[26:27], v[20:21], v[22:23] neg_lo:[0,1] neg_hi:[0,1]
	v_mov_b32_e32 v25, v20
	v_pk_add_f32 v[20:21], v[26:27], v[24:25] neg_lo:[0,1] neg_hi:[0,1]
	s_mov_b32 s0, 0x3f317218
	v_add_f32_e32 v21, v31, v21
	v_add_f32_e32 v20, v20, v21
	;; [unrolled: 1-line block ×3, first 2 shown]
	v_mul_f32_e32 v31, v30, v21
	v_mul_f32_e32 v22, v29, v31
	v_fma_f32 v24, v31, v29, -v22
	v_fmac_f32_e32 v24, v31, v11
	v_sub_f32_e32 v11, v23, v21
	v_add_f32_e32 v11, v20, v11
	v_add_f32_e32 v20, v22, v24
	v_sub_f32_e32 v23, v21, v20
	v_pk_add_f32 v[26:27], v[20:21], v[22:23] neg_lo:[0,1] neg_hi:[0,1]
	v_mov_b32_e32 v25, v20
	v_pk_add_f32 v[20:21], v[26:27], v[24:25] neg_lo:[0,1] neg_hi:[0,1]
	v_cvt_f32_i32_e32 v22, v28
	v_add_f32_e32 v11, v11, v21
	v_add_f32_e32 v11, v20, v11
	;; [unrolled: 1-line block ×4, first 2 shown]
	v_sub_f32_e32 v21, v20, v32
	v_mul_f32_e32 v11, v30, v11
	v_sub_f32_e32 v21, v31, v21
	v_add_f32_e32 v11, v21, v11
	v_add_f32_e32 v23, v20, v11
	v_mul_f32_e32 v24, v23, v23
	v_mov_b32_e32 v21, 0x3ecc95a3
	v_fmac_f32_e32 v21, 0x3e9b6dac, v24
	v_sub_f32_e32 v20, v23, v20
	v_fmaak_f32 v21, v24, v21, 0x3f2aaada
	v_sub_f32_e32 v11, v11, v20
	v_ldexp_f32 v25, v23, 1
	v_mul_f32_e32 v23, v23, v24
	v_mov_b32_e32 v20, 0x3f317218
	v_pk_mul_f32 v[20:21], v[22:23], v[20:21]
	v_ldexp_f32 v11, v11, 1
	v_fma_f32 v23, v22, s0, -v20
	v_fmamk_f32 v24, v22, 0xb102e308, v23
	v_pk_add_f32 v[22:23], v[20:21], v[24:25]
	v_mov_b32_e32 v26, v20
	v_sub_f32_e32 v25, v23, v25
	v_sub_f32_e32 v25, v21, v25
	v_add_f32_e32 v27, v11, v25
	v_pk_add_f32 v[20:21], v[22:23], v[20:21] neg_lo:[0,1] neg_hi:[0,1]
	v_pk_add_f32 v[28:29], v[22:23], v[26:27]
	v_mov_b32_e32 v25, v22
	v_mov_b32_e32 v21, v29
	v_pk_add_f32 v[30:31], v[24:25], v[20:21] neg_lo:[0,1] neg_hi:[0,1]
	v_pk_add_f32 v[20:21], v[24:25], v[20:21]
	v_mov_b32_e32 v26, v27
	v_pk_add_f32 v[24:25], v[20:21], v[22:23] op_sel:[1,0] op_sel_hi:[0,1] neg_lo:[0,1] neg_hi:[0,1]
	v_pk_add_f32 v[32:33], v[28:29], v[24:25] op_sel_hi:[1,0] neg_lo:[0,1] neg_hi:[0,1]
	v_mov_b32_e32 v28, v29
	v_mov_b32_e32 v29, v21
	v_pk_mov_b32 v[24:25], v[22:23], v[24:25] op_sel:[1,0]
	v_mov_b32_e32 v27, v22
	v_pk_add_f32 v[24:25], v[28:29], v[24:25] neg_lo:[0,1] neg_hi:[0,1]
	v_mov_b32_e32 v32, v30
	v_pk_add_f32 v[22:23], v[26:27], v[24:25] neg_lo:[0,1] neg_hi:[0,1]
	v_mov_b32_e32 v31, v21
	v_pk_add_f32 v[24:25], v[32:33], v[22:23]
	v_cmp_neq_f32_e64 s[0:1], s29, v1
	v_pk_add_f32 v[26:27], v[24:25], v[24:25] op_sel:[0,1] op_sel_hi:[1,0]
	s_nop 0
	v_pk_add_f32 v[20:21], v[20:21], v[26:27] op_sel:[1,0] op_sel_hi:[0,1]
	v_mov_b32_e32 v25, v20
	v_pk_add_f32 v[28:29], v[24:25], v[30:31] neg_lo:[0,1] neg_hi:[0,1]
	v_mov_b32_e32 v23, v26
	v_sub_f32_e32 v11, v24, v28
	v_pk_add_f32 v[22:23], v[22:23], v[28:29] neg_lo:[0,1] neg_hi:[0,1]
	v_sub_f32_e32 v11, v30, v11
	v_add_f32_e32 v11, v22, v11
	v_add_f32_e32 v11, v11, v23
	;; [unrolled: 1-line block ×3, first 2 shown]
	v_cndmask_b32_e64 v11, v18, v11, s[0:1]
	s_mov_b32 s0, 0x33800000
	v_cmp_lt_f32_e64 s[0:1], |v1|, s0
	s_nop 1
	v_cndmask_b32_e64 v1, v11, v1, s[0:1]
	v_add_f32_e32 v1, v17, v1
	v_cvt_f16_f32_e32 v21, v1
	v_cvt_f32_f16_e32 v1, v21
	v_mov_b32_e32 v11, v21
.LBB425_100:
	s_or_b64 exec, exec, s[26:27]
	v_max_f32_e32 v17, v3, v3
	v_max_f32_e32 v20, v1, v1
	v_min_f32_e32 v18, v20, v17
	v_cmp_u_f16_e64 s[0:1], v21, v21
	v_max_f32_e32 v17, v20, v17
	s_nop 0
	v_cndmask_b32_e64 v18, v18, v1, s[0:1]
	v_cndmask_b32_e64 v17, v17, v1, s[0:1]
	;; [unrolled: 1-line block ×4, first 2 shown]
	v_cmp_neq_f32_e64 s[0:1], v18, v17
	v_cmp_class_f32_e64 s[26:27], v18, s28
	s_or_b64 s[0:1], s[0:1], s[26:27]
	v_mov_b32_e32 v3, v11
	s_and_saveexec_b64 s[26:27], s[0:1]
	s_cbranch_execz .LBB425_102
; %bb.101:
	v_sub_f32_e32 v1, v18, v17
	s_mov_b32 s0, 0x3fb8aa3b
	v_mul_f32_e32 v3, 0x3fb8aa3b, v1
	v_fma_f32 v18, v1, s0, -v3
	v_rndne_f32_e32 v20, v3
	v_fmamk_f32 v18, v1, 0x32a5705f, v18
	v_sub_f32_e32 v3, v3, v20
	v_add_f32_e32 v3, v3, v18
	v_exp_f32_e32 v3, v3
	v_cvt_i32_f32_e32 v18, v20
	s_mov_b32 s0, 0xc2ce8ed0
	v_cmp_ngt_f32_e64 s[0:1], s0, v1
	s_mov_b32 s28, 0x7f800000
	v_ldexp_f32 v3, v3, v18
	v_cndmask_b32_e64 v3, 0, v3, s[0:1]
	s_mov_b32 s0, 0x42b17218
	v_mov_b32_e32 v18, 0x7f800000
	v_cmp_nlt_f32_e64 s[0:1], s0, v1
	s_nop 1
	v_cndmask_b32_e64 v1, v18, v3, s[0:1]
	v_add_f32_e32 v3, 1.0, v1
	v_add_f32_e32 v20, -1.0, v3
	v_sub_f32_e32 v21, v20, v3
	v_add_f32_e32 v21, 1.0, v21
	v_sub_f32_e32 v20, v1, v20
	s_waitcnt lgkmcnt(0)
	v_add_f32_e32 v22, v20, v21
	v_frexp_mant_f32_e32 v23, v3
	s_mov_b32 s0, 0x3f2aaaab
	v_cvt_f64_f32_e32 v[20:21], v3
	v_frexp_exp_i32_f64_e32 v20, v[20:21]
	v_cmp_gt_f32_e64 s[0:1], s0, v23
	s_nop 1
	v_subbrev_co_u32_e64 v28, s[0:1], 0, v20, s[0:1]
	v_sub_u32_e32 v20, 0, v28
	v_ldexp_f32 v3, v3, v20
	v_ldexp_f32 v20, v22, v20
	v_add_f32_e32 v22, -1.0, v3
	v_add_f32_e32 v21, 1.0, v22
	v_sub_f32_e32 v21, v3, v21
	v_add_f32_e32 v23, v20, v21
	v_add_f32_e32 v21, 1.0, v3
	v_add_f32_e32 v24, -1.0, v21
	v_sub_f32_e32 v3, v3, v24
	v_add_f32_e32 v3, v20, v3
	v_add_f32_e32 v29, v21, v3
	v_rcp_f32_e32 v30, v29
	v_sub_f32_e32 v20, v21, v29
	v_add_f32_e32 v21, v22, v23
	v_add_f32_e32 v3, v3, v20
	v_mul_f32_e32 v32, v21, v30
	v_sub_f32_e32 v20, v22, v21
	v_mul_f32_e32 v22, v29, v32
	v_fma_f32 v24, v32, v29, -v22
	v_fmac_f32_e32 v24, v32, v3
	v_add_f32_e32 v31, v23, v20
	v_add_f32_e32 v20, v22, v24
	v_sub_f32_e32 v23, v21, v20
	v_pk_add_f32 v[26:27], v[20:21], v[22:23] neg_lo:[0,1] neg_hi:[0,1]
	v_mov_b32_e32 v25, v20
	v_pk_add_f32 v[20:21], v[26:27], v[24:25] neg_lo:[0,1] neg_hi:[0,1]
	s_mov_b32 s0, 0x3f317218
	v_add_f32_e32 v21, v31, v21
	v_add_f32_e32 v20, v20, v21
	;; [unrolled: 1-line block ×3, first 2 shown]
	v_mul_f32_e32 v31, v30, v21
	v_mul_f32_e32 v22, v29, v31
	v_fma_f32 v24, v31, v29, -v22
	v_fmac_f32_e32 v24, v31, v3
	v_sub_f32_e32 v3, v23, v21
	v_add_f32_e32 v3, v20, v3
	v_add_f32_e32 v20, v22, v24
	v_sub_f32_e32 v23, v21, v20
	v_pk_add_f32 v[26:27], v[20:21], v[22:23] neg_lo:[0,1] neg_hi:[0,1]
	v_mov_b32_e32 v25, v20
	v_pk_add_f32 v[20:21], v[26:27], v[24:25] neg_lo:[0,1] neg_hi:[0,1]
	v_cvt_f32_i32_e32 v22, v28
	v_add_f32_e32 v3, v3, v21
	v_add_f32_e32 v3, v20, v3
	;; [unrolled: 1-line block ×4, first 2 shown]
	v_sub_f32_e32 v21, v20, v32
	v_mul_f32_e32 v3, v30, v3
	v_sub_f32_e32 v21, v31, v21
	v_add_f32_e32 v3, v21, v3
	v_add_f32_e32 v23, v20, v3
	v_mul_f32_e32 v24, v23, v23
	v_mov_b32_e32 v21, 0x3ecc95a3
	v_fmac_f32_e32 v21, 0x3e9b6dac, v24
	v_sub_f32_e32 v20, v23, v20
	v_fmaak_f32 v21, v24, v21, 0x3f2aaada
	v_sub_f32_e32 v3, v3, v20
	v_ldexp_f32 v25, v23, 1
	v_mul_f32_e32 v23, v23, v24
	v_mov_b32_e32 v20, 0x3f317218
	v_pk_mul_f32 v[20:21], v[22:23], v[20:21]
	v_ldexp_f32 v3, v3, 1
	v_fma_f32 v23, v22, s0, -v20
	v_fmamk_f32 v24, v22, 0xb102e308, v23
	v_pk_add_f32 v[22:23], v[20:21], v[24:25]
	v_mov_b32_e32 v26, v20
	v_sub_f32_e32 v25, v23, v25
	v_sub_f32_e32 v25, v21, v25
	v_add_f32_e32 v27, v3, v25
	v_pk_add_f32 v[20:21], v[22:23], v[20:21] neg_lo:[0,1] neg_hi:[0,1]
	v_pk_add_f32 v[28:29], v[22:23], v[26:27]
	v_mov_b32_e32 v25, v22
	v_mov_b32_e32 v21, v29
	v_pk_add_f32 v[30:31], v[24:25], v[20:21] neg_lo:[0,1] neg_hi:[0,1]
	v_pk_add_f32 v[20:21], v[24:25], v[20:21]
	v_mov_b32_e32 v26, v27
	v_pk_add_f32 v[24:25], v[20:21], v[22:23] op_sel:[1,0] op_sel_hi:[0,1] neg_lo:[0,1] neg_hi:[0,1]
	v_pk_add_f32 v[32:33], v[28:29], v[24:25] op_sel_hi:[1,0] neg_lo:[0,1] neg_hi:[0,1]
	v_mov_b32_e32 v28, v29
	v_mov_b32_e32 v29, v21
	v_pk_mov_b32 v[24:25], v[22:23], v[24:25] op_sel:[1,0]
	v_mov_b32_e32 v27, v22
	v_pk_add_f32 v[24:25], v[28:29], v[24:25] neg_lo:[0,1] neg_hi:[0,1]
	v_mov_b32_e32 v32, v30
	v_pk_add_f32 v[22:23], v[26:27], v[24:25] neg_lo:[0,1] neg_hi:[0,1]
	v_mov_b32_e32 v31, v21
	v_pk_add_f32 v[24:25], v[32:33], v[22:23]
	v_cmp_neq_f32_e64 s[0:1], s28, v1
	v_pk_add_f32 v[26:27], v[24:25], v[24:25] op_sel:[0,1] op_sel_hi:[1,0]
	s_nop 0
	v_pk_add_f32 v[20:21], v[20:21], v[26:27] op_sel:[1,0] op_sel_hi:[0,1]
	v_mov_b32_e32 v25, v20
	v_pk_add_f32 v[28:29], v[24:25], v[30:31] neg_lo:[0,1] neg_hi:[0,1]
	v_mov_b32_e32 v23, v26
	v_sub_f32_e32 v3, v24, v28
	v_pk_add_f32 v[22:23], v[22:23], v[28:29] neg_lo:[0,1] neg_hi:[0,1]
	v_sub_f32_e32 v3, v30, v3
	v_add_f32_e32 v3, v22, v3
	v_add_f32_e32 v3, v3, v23
	;; [unrolled: 1-line block ×3, first 2 shown]
	v_cndmask_b32_e64 v3, v18, v3, s[0:1]
	s_mov_b32 s0, 0x33800000
	v_cmp_lt_f32_e64 s[0:1], |v1|, s0
	s_nop 1
	v_cndmask_b32_e64 v1, v3, v1, s[0:1]
	v_add_f32_e32 v1, v17, v1
	v_cvt_f16_f32_e32 v21, v1
	v_cvt_f32_f16_e32 v1, v21
	v_mov_b32_e32 v3, v21
.LBB425_102:
	s_or_b64 exec, exec, s[26:27]
	v_max_f32_e32 v17, v12, v12
	v_max_f32_e32 v20, v1, v1
	v_min_f32_e32 v18, v20, v17
	v_cmp_u_f16_e64 s[0:1], v21, v21
	v_max_f32_e32 v17, v20, v17
	s_movk_i32 s28, 0x1f8
	v_cndmask_b32_e64 v18, v18, v1, s[0:1]
	v_cndmask_b32_e64 v17, v17, v1, s[0:1]
	;; [unrolled: 1-line block ×4, first 2 shown]
	v_cmp_neq_f32_e64 s[0:1], v18, v17
	v_cmp_class_f32_e64 s[26:27], v18, s28
	s_or_b64 s[0:1], s[0:1], s[26:27]
	v_mov_b32_e32 v12, v3
	s_and_saveexec_b64 s[26:27], s[0:1]
	s_cbranch_execz .LBB425_104
; %bb.103:
	v_sub_f32_e32 v1, v18, v17
	s_mov_b32 s0, 0x3fb8aa3b
	v_mul_f32_e32 v12, 0x3fb8aa3b, v1
	v_fma_f32 v18, v1, s0, -v12
	v_rndne_f32_e32 v20, v12
	v_fmamk_f32 v18, v1, 0x32a5705f, v18
	v_sub_f32_e32 v12, v12, v20
	v_add_f32_e32 v12, v12, v18
	v_exp_f32_e32 v12, v12
	v_cvt_i32_f32_e32 v18, v20
	s_mov_b32 s0, 0xc2ce8ed0
	v_cmp_ngt_f32_e64 s[0:1], s0, v1
	s_mov_b32 s29, 0x7f800000
	v_ldexp_f32 v12, v12, v18
	v_cndmask_b32_e64 v12, 0, v12, s[0:1]
	s_mov_b32 s0, 0x42b17218
	v_mov_b32_e32 v18, 0x7f800000
	v_cmp_nlt_f32_e64 s[0:1], s0, v1
	s_nop 1
	v_cndmask_b32_e64 v1, v18, v12, s[0:1]
	v_add_f32_e32 v12, 1.0, v1
	v_add_f32_e32 v20, -1.0, v12
	v_sub_f32_e32 v21, v20, v12
	v_add_f32_e32 v21, 1.0, v21
	v_sub_f32_e32 v20, v1, v20
	s_waitcnt lgkmcnt(0)
	v_add_f32_e32 v22, v20, v21
	v_frexp_mant_f32_e32 v23, v12
	s_mov_b32 s0, 0x3f2aaaab
	v_cvt_f64_f32_e32 v[20:21], v12
	v_frexp_exp_i32_f64_e32 v20, v[20:21]
	v_cmp_gt_f32_e64 s[0:1], s0, v23
	s_nop 1
	v_subbrev_co_u32_e64 v28, s[0:1], 0, v20, s[0:1]
	v_sub_u32_e32 v20, 0, v28
	v_ldexp_f32 v12, v12, v20
	v_ldexp_f32 v20, v22, v20
	v_add_f32_e32 v22, -1.0, v12
	v_add_f32_e32 v21, 1.0, v22
	v_sub_f32_e32 v21, v12, v21
	v_add_f32_e32 v23, v20, v21
	v_add_f32_e32 v21, 1.0, v12
	v_add_f32_e32 v24, -1.0, v21
	v_sub_f32_e32 v12, v12, v24
	v_add_f32_e32 v12, v20, v12
	v_add_f32_e32 v29, v21, v12
	v_rcp_f32_e32 v30, v29
	v_sub_f32_e32 v20, v21, v29
	v_add_f32_e32 v21, v22, v23
	v_add_f32_e32 v12, v12, v20
	v_mul_f32_e32 v32, v21, v30
	v_sub_f32_e32 v20, v22, v21
	v_mul_f32_e32 v22, v29, v32
	v_fma_f32 v24, v32, v29, -v22
	v_fmac_f32_e32 v24, v32, v12
	v_add_f32_e32 v31, v23, v20
	v_add_f32_e32 v20, v22, v24
	v_sub_f32_e32 v23, v21, v20
	v_pk_add_f32 v[26:27], v[20:21], v[22:23] neg_lo:[0,1] neg_hi:[0,1]
	v_mov_b32_e32 v25, v20
	v_pk_add_f32 v[20:21], v[26:27], v[24:25] neg_lo:[0,1] neg_hi:[0,1]
	s_mov_b32 s0, 0x3f317218
	v_add_f32_e32 v21, v31, v21
	v_add_f32_e32 v20, v20, v21
	;; [unrolled: 1-line block ×3, first 2 shown]
	v_mul_f32_e32 v31, v30, v21
	v_mul_f32_e32 v22, v29, v31
	v_fma_f32 v24, v31, v29, -v22
	v_fmac_f32_e32 v24, v31, v12
	v_sub_f32_e32 v12, v23, v21
	v_add_f32_e32 v12, v20, v12
	v_add_f32_e32 v20, v22, v24
	v_sub_f32_e32 v23, v21, v20
	v_pk_add_f32 v[26:27], v[20:21], v[22:23] neg_lo:[0,1] neg_hi:[0,1]
	v_mov_b32_e32 v25, v20
	v_pk_add_f32 v[20:21], v[26:27], v[24:25] neg_lo:[0,1] neg_hi:[0,1]
	v_cvt_f32_i32_e32 v22, v28
	v_add_f32_e32 v12, v12, v21
	v_add_f32_e32 v12, v20, v12
	;; [unrolled: 1-line block ×4, first 2 shown]
	v_sub_f32_e32 v21, v20, v32
	v_mul_f32_e32 v12, v30, v12
	v_sub_f32_e32 v21, v31, v21
	v_add_f32_e32 v12, v21, v12
	v_add_f32_e32 v23, v20, v12
	v_mul_f32_e32 v24, v23, v23
	v_mov_b32_e32 v21, 0x3ecc95a3
	v_fmac_f32_e32 v21, 0x3e9b6dac, v24
	v_sub_f32_e32 v20, v23, v20
	v_fmaak_f32 v21, v24, v21, 0x3f2aaada
	v_sub_f32_e32 v12, v12, v20
	v_ldexp_f32 v25, v23, 1
	v_mul_f32_e32 v23, v23, v24
	v_mov_b32_e32 v20, 0x3f317218
	v_pk_mul_f32 v[20:21], v[22:23], v[20:21]
	v_ldexp_f32 v12, v12, 1
	v_fma_f32 v23, v22, s0, -v20
	v_fmamk_f32 v24, v22, 0xb102e308, v23
	v_pk_add_f32 v[22:23], v[20:21], v[24:25]
	v_mov_b32_e32 v26, v20
	v_sub_f32_e32 v25, v23, v25
	v_sub_f32_e32 v25, v21, v25
	v_add_f32_e32 v27, v12, v25
	v_pk_add_f32 v[20:21], v[22:23], v[20:21] neg_lo:[0,1] neg_hi:[0,1]
	v_pk_add_f32 v[28:29], v[22:23], v[26:27]
	v_mov_b32_e32 v25, v22
	v_mov_b32_e32 v21, v29
	v_pk_add_f32 v[30:31], v[24:25], v[20:21] neg_lo:[0,1] neg_hi:[0,1]
	v_pk_add_f32 v[20:21], v[24:25], v[20:21]
	v_mov_b32_e32 v26, v27
	v_pk_add_f32 v[24:25], v[20:21], v[22:23] op_sel:[1,0] op_sel_hi:[0,1] neg_lo:[0,1] neg_hi:[0,1]
	v_pk_add_f32 v[32:33], v[28:29], v[24:25] op_sel_hi:[1,0] neg_lo:[0,1] neg_hi:[0,1]
	v_mov_b32_e32 v28, v29
	v_mov_b32_e32 v29, v21
	v_pk_mov_b32 v[24:25], v[22:23], v[24:25] op_sel:[1,0]
	v_mov_b32_e32 v27, v22
	v_pk_add_f32 v[24:25], v[28:29], v[24:25] neg_lo:[0,1] neg_hi:[0,1]
	v_mov_b32_e32 v32, v30
	v_pk_add_f32 v[22:23], v[26:27], v[24:25] neg_lo:[0,1] neg_hi:[0,1]
	v_mov_b32_e32 v31, v21
	v_pk_add_f32 v[24:25], v[32:33], v[22:23]
	v_cmp_neq_f32_e64 s[0:1], s29, v1
	v_pk_add_f32 v[26:27], v[24:25], v[24:25] op_sel:[0,1] op_sel_hi:[1,0]
	s_nop 0
	v_pk_add_f32 v[20:21], v[20:21], v[26:27] op_sel:[1,0] op_sel_hi:[0,1]
	v_mov_b32_e32 v25, v20
	v_pk_add_f32 v[28:29], v[24:25], v[30:31] neg_lo:[0,1] neg_hi:[0,1]
	v_mov_b32_e32 v23, v26
	v_sub_f32_e32 v12, v24, v28
	v_pk_add_f32 v[22:23], v[22:23], v[28:29] neg_lo:[0,1] neg_hi:[0,1]
	v_sub_f32_e32 v12, v30, v12
	v_add_f32_e32 v12, v22, v12
	v_add_f32_e32 v12, v12, v23
	;; [unrolled: 1-line block ×3, first 2 shown]
	v_cndmask_b32_e64 v12, v18, v12, s[0:1]
	s_mov_b32 s0, 0x33800000
	v_cmp_lt_f32_e64 s[0:1], |v1|, s0
	s_nop 1
	v_cndmask_b32_e64 v1, v12, v1, s[0:1]
	v_add_f32_e32 v1, v17, v1
	v_cvt_f16_f32_e32 v21, v1
	v_cvt_f32_f16_e32 v1, v21
	v_mov_b32_e32 v12, v21
.LBB425_104:
	s_or_b64 exec, exec, s[26:27]
	v_max_f32_e32 v17, v6, v6
	v_max_f32_e32 v20, v1, v1
	v_min_f32_e32 v18, v20, v17
	v_cmp_u_f16_e64 s[0:1], v21, v21
	v_max_f32_e32 v17, v20, v17
	s_nop 0
	v_cndmask_b32_e64 v18, v18, v1, s[0:1]
	v_cndmask_b32_e64 v17, v17, v1, s[0:1]
	;; [unrolled: 1-line block ×4, first 2 shown]
	v_cmp_neq_f32_e64 s[0:1], v18, v17
	v_cmp_class_f32_e64 s[26:27], v18, s28
	s_or_b64 s[0:1], s[0:1], s[26:27]
	v_mov_b32_e32 v6, v12
	s_and_saveexec_b64 s[26:27], s[0:1]
	s_cbranch_execz .LBB425_106
; %bb.105:
	v_sub_f32_e32 v1, v18, v17
	s_mov_b32 s0, 0x3fb8aa3b
	v_mul_f32_e32 v6, 0x3fb8aa3b, v1
	v_fma_f32 v18, v1, s0, -v6
	v_rndne_f32_e32 v20, v6
	v_fmamk_f32 v18, v1, 0x32a5705f, v18
	v_sub_f32_e32 v6, v6, v20
	v_add_f32_e32 v6, v6, v18
	v_exp_f32_e32 v6, v6
	v_cvt_i32_f32_e32 v18, v20
	s_mov_b32 s0, 0xc2ce8ed0
	v_cmp_ngt_f32_e64 s[0:1], s0, v1
	s_mov_b32 s28, 0x7f800000
	v_ldexp_f32 v6, v6, v18
	v_cndmask_b32_e64 v6, 0, v6, s[0:1]
	s_mov_b32 s0, 0x42b17218
	v_mov_b32_e32 v18, 0x7f800000
	v_cmp_nlt_f32_e64 s[0:1], s0, v1
	s_nop 1
	v_cndmask_b32_e64 v1, v18, v6, s[0:1]
	v_add_f32_e32 v6, 1.0, v1
	v_add_f32_e32 v20, -1.0, v6
	v_sub_f32_e32 v21, v20, v6
	v_add_f32_e32 v21, 1.0, v21
	v_sub_f32_e32 v20, v1, v20
	s_waitcnt lgkmcnt(0)
	v_add_f32_e32 v22, v20, v21
	v_frexp_mant_f32_e32 v23, v6
	s_mov_b32 s0, 0x3f2aaaab
	v_cvt_f64_f32_e32 v[20:21], v6
	v_frexp_exp_i32_f64_e32 v20, v[20:21]
	v_cmp_gt_f32_e64 s[0:1], s0, v23
	s_nop 1
	v_subbrev_co_u32_e64 v28, s[0:1], 0, v20, s[0:1]
	v_sub_u32_e32 v20, 0, v28
	v_ldexp_f32 v6, v6, v20
	v_ldexp_f32 v20, v22, v20
	v_add_f32_e32 v22, -1.0, v6
	v_add_f32_e32 v21, 1.0, v22
	v_sub_f32_e32 v21, v6, v21
	v_add_f32_e32 v23, v20, v21
	v_add_f32_e32 v21, 1.0, v6
	v_add_f32_e32 v24, -1.0, v21
	v_sub_f32_e32 v6, v6, v24
	v_add_f32_e32 v6, v20, v6
	v_add_f32_e32 v29, v21, v6
	v_rcp_f32_e32 v30, v29
	v_sub_f32_e32 v20, v21, v29
	v_add_f32_e32 v21, v22, v23
	v_add_f32_e32 v6, v6, v20
	v_mul_f32_e32 v32, v21, v30
	v_sub_f32_e32 v20, v22, v21
	v_mul_f32_e32 v22, v29, v32
	v_fma_f32 v24, v32, v29, -v22
	v_fmac_f32_e32 v24, v32, v6
	v_add_f32_e32 v31, v23, v20
	v_add_f32_e32 v20, v22, v24
	v_sub_f32_e32 v23, v21, v20
	v_pk_add_f32 v[26:27], v[20:21], v[22:23] neg_lo:[0,1] neg_hi:[0,1]
	v_mov_b32_e32 v25, v20
	v_pk_add_f32 v[20:21], v[26:27], v[24:25] neg_lo:[0,1] neg_hi:[0,1]
	s_mov_b32 s0, 0x3f317218
	v_add_f32_e32 v21, v31, v21
	v_add_f32_e32 v20, v20, v21
	;; [unrolled: 1-line block ×3, first 2 shown]
	v_mul_f32_e32 v31, v30, v21
	v_mul_f32_e32 v22, v29, v31
	v_fma_f32 v24, v31, v29, -v22
	v_fmac_f32_e32 v24, v31, v6
	v_sub_f32_e32 v6, v23, v21
	v_add_f32_e32 v6, v20, v6
	v_add_f32_e32 v20, v22, v24
	v_sub_f32_e32 v23, v21, v20
	v_pk_add_f32 v[26:27], v[20:21], v[22:23] neg_lo:[0,1] neg_hi:[0,1]
	v_mov_b32_e32 v25, v20
	v_pk_add_f32 v[20:21], v[26:27], v[24:25] neg_lo:[0,1] neg_hi:[0,1]
	v_cvt_f32_i32_e32 v22, v28
	v_add_f32_e32 v6, v6, v21
	v_add_f32_e32 v6, v20, v6
	;; [unrolled: 1-line block ×4, first 2 shown]
	v_sub_f32_e32 v21, v20, v32
	v_mul_f32_e32 v6, v30, v6
	v_sub_f32_e32 v21, v31, v21
	v_add_f32_e32 v6, v21, v6
	v_add_f32_e32 v23, v20, v6
	v_mul_f32_e32 v24, v23, v23
	v_mov_b32_e32 v21, 0x3ecc95a3
	v_fmac_f32_e32 v21, 0x3e9b6dac, v24
	v_sub_f32_e32 v20, v23, v20
	v_fmaak_f32 v21, v24, v21, 0x3f2aaada
	v_sub_f32_e32 v6, v6, v20
	v_ldexp_f32 v25, v23, 1
	v_mul_f32_e32 v23, v23, v24
	v_mov_b32_e32 v20, 0x3f317218
	v_pk_mul_f32 v[20:21], v[22:23], v[20:21]
	v_ldexp_f32 v6, v6, 1
	v_fma_f32 v23, v22, s0, -v20
	v_fmamk_f32 v24, v22, 0xb102e308, v23
	v_pk_add_f32 v[22:23], v[20:21], v[24:25]
	v_mov_b32_e32 v26, v20
	v_sub_f32_e32 v25, v23, v25
	v_sub_f32_e32 v25, v21, v25
	v_add_f32_e32 v27, v6, v25
	v_pk_add_f32 v[20:21], v[22:23], v[20:21] neg_lo:[0,1] neg_hi:[0,1]
	v_pk_add_f32 v[28:29], v[22:23], v[26:27]
	v_mov_b32_e32 v25, v22
	v_mov_b32_e32 v21, v29
	v_pk_add_f32 v[30:31], v[24:25], v[20:21] neg_lo:[0,1] neg_hi:[0,1]
	v_pk_add_f32 v[20:21], v[24:25], v[20:21]
	v_mov_b32_e32 v26, v27
	v_pk_add_f32 v[24:25], v[20:21], v[22:23] op_sel:[1,0] op_sel_hi:[0,1] neg_lo:[0,1] neg_hi:[0,1]
	v_pk_add_f32 v[32:33], v[28:29], v[24:25] op_sel_hi:[1,0] neg_lo:[0,1] neg_hi:[0,1]
	v_mov_b32_e32 v28, v29
	v_mov_b32_e32 v29, v21
	v_pk_mov_b32 v[24:25], v[22:23], v[24:25] op_sel:[1,0]
	v_mov_b32_e32 v27, v22
	v_pk_add_f32 v[24:25], v[28:29], v[24:25] neg_lo:[0,1] neg_hi:[0,1]
	v_mov_b32_e32 v32, v30
	v_pk_add_f32 v[22:23], v[26:27], v[24:25] neg_lo:[0,1] neg_hi:[0,1]
	v_mov_b32_e32 v31, v21
	v_pk_add_f32 v[24:25], v[32:33], v[22:23]
	v_cmp_neq_f32_e64 s[0:1], s28, v1
	v_pk_add_f32 v[26:27], v[24:25], v[24:25] op_sel:[0,1] op_sel_hi:[1,0]
	s_nop 0
	v_pk_add_f32 v[20:21], v[20:21], v[26:27] op_sel:[1,0] op_sel_hi:[0,1]
	v_mov_b32_e32 v25, v20
	v_pk_add_f32 v[28:29], v[24:25], v[30:31] neg_lo:[0,1] neg_hi:[0,1]
	v_mov_b32_e32 v23, v26
	v_sub_f32_e32 v6, v24, v28
	v_pk_add_f32 v[22:23], v[22:23], v[28:29] neg_lo:[0,1] neg_hi:[0,1]
	v_sub_f32_e32 v6, v30, v6
	v_add_f32_e32 v6, v22, v6
	v_add_f32_e32 v6, v6, v23
	;; [unrolled: 1-line block ×3, first 2 shown]
	v_cndmask_b32_e64 v6, v18, v6, s[0:1]
	s_mov_b32 s0, 0x33800000
	v_cmp_lt_f32_e64 s[0:1], |v1|, s0
	s_nop 1
	v_cndmask_b32_e64 v1, v6, v1, s[0:1]
	v_add_f32_e32 v1, v17, v1
	v_cvt_f16_f32_e32 v21, v1
	v_cvt_f32_f16_e32 v1, v21
	v_mov_b32_e32 v6, v21
.LBB425_106:
	s_or_b64 exec, exec, s[26:27]
	v_max_f32_e32 v17, v13, v13
	v_max_f32_e32 v20, v1, v1
	v_min_f32_e32 v18, v20, v17
	v_cmp_u_f16_e64 s[0:1], v21, v21
	v_max_f32_e32 v17, v20, v17
	s_movk_i32 s28, 0x1f8
	v_cndmask_b32_e64 v18, v18, v1, s[0:1]
	v_cndmask_b32_e64 v17, v17, v1, s[0:1]
	;; [unrolled: 1-line block ×4, first 2 shown]
	v_cmp_neq_f32_e64 s[0:1], v18, v17
	v_cmp_class_f32_e64 s[26:27], v18, s28
	s_or_b64 s[0:1], s[0:1], s[26:27]
	v_mov_b32_e32 v13, v6
	s_and_saveexec_b64 s[26:27], s[0:1]
	s_cbranch_execz .LBB425_108
; %bb.107:
	v_sub_f32_e32 v1, v18, v17
	s_mov_b32 s0, 0x3fb8aa3b
	v_mul_f32_e32 v13, 0x3fb8aa3b, v1
	v_fma_f32 v18, v1, s0, -v13
	v_rndne_f32_e32 v20, v13
	v_fmamk_f32 v18, v1, 0x32a5705f, v18
	v_sub_f32_e32 v13, v13, v20
	v_add_f32_e32 v13, v13, v18
	v_exp_f32_e32 v13, v13
	v_cvt_i32_f32_e32 v18, v20
	s_mov_b32 s0, 0xc2ce8ed0
	v_cmp_ngt_f32_e64 s[0:1], s0, v1
	s_mov_b32 s29, 0x7f800000
	v_ldexp_f32 v13, v13, v18
	v_cndmask_b32_e64 v13, 0, v13, s[0:1]
	s_mov_b32 s0, 0x42b17218
	v_mov_b32_e32 v18, 0x7f800000
	v_cmp_nlt_f32_e64 s[0:1], s0, v1
	s_nop 1
	v_cndmask_b32_e64 v1, v18, v13, s[0:1]
	v_add_f32_e32 v13, 1.0, v1
	v_add_f32_e32 v20, -1.0, v13
	v_sub_f32_e32 v21, v20, v13
	v_add_f32_e32 v21, 1.0, v21
	v_sub_f32_e32 v20, v1, v20
	s_waitcnt lgkmcnt(0)
	v_add_f32_e32 v22, v20, v21
	v_frexp_mant_f32_e32 v23, v13
	s_mov_b32 s0, 0x3f2aaaab
	v_cvt_f64_f32_e32 v[20:21], v13
	v_frexp_exp_i32_f64_e32 v20, v[20:21]
	v_cmp_gt_f32_e64 s[0:1], s0, v23
	s_nop 1
	v_subbrev_co_u32_e64 v28, s[0:1], 0, v20, s[0:1]
	v_sub_u32_e32 v20, 0, v28
	v_ldexp_f32 v13, v13, v20
	v_ldexp_f32 v20, v22, v20
	v_add_f32_e32 v22, -1.0, v13
	v_add_f32_e32 v21, 1.0, v22
	v_sub_f32_e32 v21, v13, v21
	v_add_f32_e32 v23, v20, v21
	v_add_f32_e32 v21, 1.0, v13
	v_add_f32_e32 v24, -1.0, v21
	v_sub_f32_e32 v13, v13, v24
	v_add_f32_e32 v13, v20, v13
	v_add_f32_e32 v29, v21, v13
	v_rcp_f32_e32 v30, v29
	v_sub_f32_e32 v20, v21, v29
	v_add_f32_e32 v21, v22, v23
	v_add_f32_e32 v13, v13, v20
	v_mul_f32_e32 v32, v21, v30
	v_sub_f32_e32 v20, v22, v21
	v_mul_f32_e32 v22, v29, v32
	v_fma_f32 v24, v32, v29, -v22
	v_fmac_f32_e32 v24, v32, v13
	v_add_f32_e32 v31, v23, v20
	v_add_f32_e32 v20, v22, v24
	v_sub_f32_e32 v23, v21, v20
	v_pk_add_f32 v[26:27], v[20:21], v[22:23] neg_lo:[0,1] neg_hi:[0,1]
	v_mov_b32_e32 v25, v20
	v_pk_add_f32 v[20:21], v[26:27], v[24:25] neg_lo:[0,1] neg_hi:[0,1]
	s_mov_b32 s0, 0x3f317218
	v_add_f32_e32 v21, v31, v21
	v_add_f32_e32 v20, v20, v21
	;; [unrolled: 1-line block ×3, first 2 shown]
	v_mul_f32_e32 v31, v30, v21
	v_mul_f32_e32 v22, v29, v31
	v_fma_f32 v24, v31, v29, -v22
	v_fmac_f32_e32 v24, v31, v13
	v_sub_f32_e32 v13, v23, v21
	v_add_f32_e32 v13, v20, v13
	v_add_f32_e32 v20, v22, v24
	v_sub_f32_e32 v23, v21, v20
	v_pk_add_f32 v[26:27], v[20:21], v[22:23] neg_lo:[0,1] neg_hi:[0,1]
	v_mov_b32_e32 v25, v20
	v_pk_add_f32 v[20:21], v[26:27], v[24:25] neg_lo:[0,1] neg_hi:[0,1]
	v_cvt_f32_i32_e32 v22, v28
	v_add_f32_e32 v13, v13, v21
	v_add_f32_e32 v13, v20, v13
	v_add_f32_e32 v20, v32, v31
	v_add_f32_e32 v13, v23, v13
	v_sub_f32_e32 v21, v20, v32
	v_mul_f32_e32 v13, v30, v13
	v_sub_f32_e32 v21, v31, v21
	v_add_f32_e32 v13, v21, v13
	v_add_f32_e32 v23, v20, v13
	v_mul_f32_e32 v24, v23, v23
	v_mov_b32_e32 v21, 0x3ecc95a3
	v_fmac_f32_e32 v21, 0x3e9b6dac, v24
	v_sub_f32_e32 v20, v23, v20
	v_fmaak_f32 v21, v24, v21, 0x3f2aaada
	v_sub_f32_e32 v13, v13, v20
	v_ldexp_f32 v25, v23, 1
	v_mul_f32_e32 v23, v23, v24
	v_mov_b32_e32 v20, 0x3f317218
	v_pk_mul_f32 v[20:21], v[22:23], v[20:21]
	v_ldexp_f32 v13, v13, 1
	v_fma_f32 v23, v22, s0, -v20
	v_fmamk_f32 v24, v22, 0xb102e308, v23
	v_pk_add_f32 v[22:23], v[20:21], v[24:25]
	v_mov_b32_e32 v26, v20
	v_sub_f32_e32 v25, v23, v25
	v_sub_f32_e32 v25, v21, v25
	v_add_f32_e32 v27, v13, v25
	v_pk_add_f32 v[20:21], v[22:23], v[20:21] neg_lo:[0,1] neg_hi:[0,1]
	v_pk_add_f32 v[28:29], v[22:23], v[26:27]
	v_mov_b32_e32 v25, v22
	v_mov_b32_e32 v21, v29
	v_pk_add_f32 v[30:31], v[24:25], v[20:21] neg_lo:[0,1] neg_hi:[0,1]
	v_pk_add_f32 v[20:21], v[24:25], v[20:21]
	v_mov_b32_e32 v26, v27
	v_pk_add_f32 v[24:25], v[20:21], v[22:23] op_sel:[1,0] op_sel_hi:[0,1] neg_lo:[0,1] neg_hi:[0,1]
	v_pk_add_f32 v[32:33], v[28:29], v[24:25] op_sel_hi:[1,0] neg_lo:[0,1] neg_hi:[0,1]
	v_mov_b32_e32 v28, v29
	v_mov_b32_e32 v29, v21
	v_pk_mov_b32 v[24:25], v[22:23], v[24:25] op_sel:[1,0]
	v_mov_b32_e32 v27, v22
	v_pk_add_f32 v[24:25], v[28:29], v[24:25] neg_lo:[0,1] neg_hi:[0,1]
	v_mov_b32_e32 v32, v30
	v_pk_add_f32 v[22:23], v[26:27], v[24:25] neg_lo:[0,1] neg_hi:[0,1]
	v_mov_b32_e32 v31, v21
	v_pk_add_f32 v[24:25], v[32:33], v[22:23]
	v_cmp_neq_f32_e64 s[0:1], s29, v1
	v_pk_add_f32 v[26:27], v[24:25], v[24:25] op_sel:[0,1] op_sel_hi:[1,0]
	s_nop 0
	v_pk_add_f32 v[20:21], v[20:21], v[26:27] op_sel:[1,0] op_sel_hi:[0,1]
	v_mov_b32_e32 v25, v20
	v_pk_add_f32 v[28:29], v[24:25], v[30:31] neg_lo:[0,1] neg_hi:[0,1]
	v_mov_b32_e32 v23, v26
	v_sub_f32_e32 v13, v24, v28
	v_pk_add_f32 v[22:23], v[22:23], v[28:29] neg_lo:[0,1] neg_hi:[0,1]
	v_sub_f32_e32 v13, v30, v13
	v_add_f32_e32 v13, v22, v13
	v_add_f32_e32 v13, v13, v23
	;; [unrolled: 1-line block ×3, first 2 shown]
	v_cndmask_b32_e64 v13, v18, v13, s[0:1]
	s_mov_b32 s0, 0x33800000
	v_cmp_lt_f32_e64 s[0:1], |v1|, s0
	s_nop 1
	v_cndmask_b32_e64 v1, v13, v1, s[0:1]
	v_add_f32_e32 v1, v17, v1
	v_cvt_f16_f32_e32 v21, v1
	v_cvt_f32_f16_e32 v1, v21
	v_mov_b32_e32 v13, v21
.LBB425_108:
	s_or_b64 exec, exec, s[26:27]
	v_max_f32_e32 v17, v7, v7
	v_max_f32_e32 v20, v1, v1
	v_min_f32_e32 v18, v20, v17
	v_cmp_u_f16_e64 s[0:1], v21, v21
	v_max_f32_e32 v17, v20, v17
	s_nop 0
	v_cndmask_b32_e64 v18, v18, v1, s[0:1]
	v_cndmask_b32_e64 v17, v17, v1, s[0:1]
	;; [unrolled: 1-line block ×4, first 2 shown]
	v_cmp_neq_f32_e64 s[0:1], v18, v17
	v_cmp_class_f32_e64 s[26:27], v18, s28
	s_or_b64 s[0:1], s[0:1], s[26:27]
	v_mov_b32_e32 v7, v13
	s_and_saveexec_b64 s[26:27], s[0:1]
	s_cbranch_execz .LBB425_110
; %bb.109:
	v_sub_f32_e32 v1, v18, v17
	s_mov_b32 s0, 0x3fb8aa3b
	v_mul_f32_e32 v7, 0x3fb8aa3b, v1
	v_fma_f32 v18, v1, s0, -v7
	v_rndne_f32_e32 v20, v7
	v_fmamk_f32 v18, v1, 0x32a5705f, v18
	v_sub_f32_e32 v7, v7, v20
	v_add_f32_e32 v7, v7, v18
	v_exp_f32_e32 v7, v7
	v_cvt_i32_f32_e32 v18, v20
	s_mov_b32 s0, 0xc2ce8ed0
	v_cmp_ngt_f32_e64 s[0:1], s0, v1
	s_mov_b32 s28, 0x7f800000
	v_ldexp_f32 v7, v7, v18
	v_cndmask_b32_e64 v7, 0, v7, s[0:1]
	s_mov_b32 s0, 0x42b17218
	v_mov_b32_e32 v18, 0x7f800000
	v_cmp_nlt_f32_e64 s[0:1], s0, v1
	s_nop 1
	v_cndmask_b32_e64 v1, v18, v7, s[0:1]
	v_add_f32_e32 v7, 1.0, v1
	v_add_f32_e32 v20, -1.0, v7
	v_sub_f32_e32 v21, v20, v7
	v_add_f32_e32 v21, 1.0, v21
	v_sub_f32_e32 v20, v1, v20
	s_waitcnt lgkmcnt(0)
	v_add_f32_e32 v22, v20, v21
	v_frexp_mant_f32_e32 v23, v7
	s_mov_b32 s0, 0x3f2aaaab
	v_cvt_f64_f32_e32 v[20:21], v7
	v_frexp_exp_i32_f64_e32 v20, v[20:21]
	v_cmp_gt_f32_e64 s[0:1], s0, v23
	s_nop 1
	v_subbrev_co_u32_e64 v28, s[0:1], 0, v20, s[0:1]
	v_sub_u32_e32 v20, 0, v28
	v_ldexp_f32 v7, v7, v20
	v_ldexp_f32 v20, v22, v20
	v_add_f32_e32 v22, -1.0, v7
	v_add_f32_e32 v21, 1.0, v22
	v_sub_f32_e32 v21, v7, v21
	v_add_f32_e32 v23, v20, v21
	v_add_f32_e32 v21, 1.0, v7
	v_add_f32_e32 v24, -1.0, v21
	v_sub_f32_e32 v7, v7, v24
	v_add_f32_e32 v7, v20, v7
	v_add_f32_e32 v29, v21, v7
	v_rcp_f32_e32 v30, v29
	v_sub_f32_e32 v20, v21, v29
	v_add_f32_e32 v21, v22, v23
	v_add_f32_e32 v7, v7, v20
	v_mul_f32_e32 v32, v21, v30
	v_sub_f32_e32 v20, v22, v21
	v_mul_f32_e32 v22, v29, v32
	v_fma_f32 v24, v32, v29, -v22
	v_fmac_f32_e32 v24, v32, v7
	v_add_f32_e32 v31, v23, v20
	v_add_f32_e32 v20, v22, v24
	v_sub_f32_e32 v23, v21, v20
	v_pk_add_f32 v[26:27], v[20:21], v[22:23] neg_lo:[0,1] neg_hi:[0,1]
	v_mov_b32_e32 v25, v20
	v_pk_add_f32 v[20:21], v[26:27], v[24:25] neg_lo:[0,1] neg_hi:[0,1]
	s_mov_b32 s0, 0x3f317218
	v_add_f32_e32 v21, v31, v21
	v_add_f32_e32 v20, v20, v21
	;; [unrolled: 1-line block ×3, first 2 shown]
	v_mul_f32_e32 v31, v30, v21
	v_mul_f32_e32 v22, v29, v31
	v_fma_f32 v24, v31, v29, -v22
	v_fmac_f32_e32 v24, v31, v7
	v_sub_f32_e32 v7, v23, v21
	v_add_f32_e32 v7, v20, v7
	v_add_f32_e32 v20, v22, v24
	v_sub_f32_e32 v23, v21, v20
	v_pk_add_f32 v[26:27], v[20:21], v[22:23] neg_lo:[0,1] neg_hi:[0,1]
	v_mov_b32_e32 v25, v20
	v_pk_add_f32 v[20:21], v[26:27], v[24:25] neg_lo:[0,1] neg_hi:[0,1]
	v_cvt_f32_i32_e32 v22, v28
	v_add_f32_e32 v7, v7, v21
	v_add_f32_e32 v7, v20, v7
	;; [unrolled: 1-line block ×4, first 2 shown]
	v_sub_f32_e32 v21, v20, v32
	v_mul_f32_e32 v7, v30, v7
	v_sub_f32_e32 v21, v31, v21
	v_add_f32_e32 v7, v21, v7
	v_add_f32_e32 v23, v20, v7
	v_mul_f32_e32 v24, v23, v23
	v_mov_b32_e32 v21, 0x3ecc95a3
	v_fmac_f32_e32 v21, 0x3e9b6dac, v24
	v_sub_f32_e32 v20, v23, v20
	v_fmaak_f32 v21, v24, v21, 0x3f2aaada
	v_sub_f32_e32 v7, v7, v20
	v_ldexp_f32 v25, v23, 1
	v_mul_f32_e32 v23, v23, v24
	v_mov_b32_e32 v20, 0x3f317218
	v_pk_mul_f32 v[20:21], v[22:23], v[20:21]
	v_ldexp_f32 v7, v7, 1
	v_fma_f32 v23, v22, s0, -v20
	v_fmamk_f32 v24, v22, 0xb102e308, v23
	v_pk_add_f32 v[22:23], v[20:21], v[24:25]
	v_mov_b32_e32 v26, v20
	v_sub_f32_e32 v25, v23, v25
	v_sub_f32_e32 v25, v21, v25
	v_add_f32_e32 v27, v7, v25
	v_pk_add_f32 v[20:21], v[22:23], v[20:21] neg_lo:[0,1] neg_hi:[0,1]
	v_pk_add_f32 v[28:29], v[22:23], v[26:27]
	v_mov_b32_e32 v25, v22
	v_mov_b32_e32 v21, v29
	v_pk_add_f32 v[30:31], v[24:25], v[20:21] neg_lo:[0,1] neg_hi:[0,1]
	v_pk_add_f32 v[20:21], v[24:25], v[20:21]
	v_mov_b32_e32 v26, v27
	v_pk_add_f32 v[24:25], v[20:21], v[22:23] op_sel:[1,0] op_sel_hi:[0,1] neg_lo:[0,1] neg_hi:[0,1]
	v_pk_add_f32 v[32:33], v[28:29], v[24:25] op_sel_hi:[1,0] neg_lo:[0,1] neg_hi:[0,1]
	v_mov_b32_e32 v28, v29
	v_mov_b32_e32 v29, v21
	v_pk_mov_b32 v[24:25], v[22:23], v[24:25] op_sel:[1,0]
	v_mov_b32_e32 v27, v22
	v_pk_add_f32 v[24:25], v[28:29], v[24:25] neg_lo:[0,1] neg_hi:[0,1]
	v_mov_b32_e32 v32, v30
	v_pk_add_f32 v[22:23], v[26:27], v[24:25] neg_lo:[0,1] neg_hi:[0,1]
	v_mov_b32_e32 v31, v21
	v_pk_add_f32 v[24:25], v[32:33], v[22:23]
	v_cmp_neq_f32_e64 s[0:1], s28, v1
	v_pk_add_f32 v[26:27], v[24:25], v[24:25] op_sel:[0,1] op_sel_hi:[1,0]
	s_nop 0
	v_pk_add_f32 v[20:21], v[20:21], v[26:27] op_sel:[1,0] op_sel_hi:[0,1]
	v_mov_b32_e32 v25, v20
	v_pk_add_f32 v[28:29], v[24:25], v[30:31] neg_lo:[0,1] neg_hi:[0,1]
	v_mov_b32_e32 v23, v26
	v_sub_f32_e32 v7, v24, v28
	v_pk_add_f32 v[22:23], v[22:23], v[28:29] neg_lo:[0,1] neg_hi:[0,1]
	v_sub_f32_e32 v7, v30, v7
	v_add_f32_e32 v7, v22, v7
	v_add_f32_e32 v7, v7, v23
	;; [unrolled: 1-line block ×3, first 2 shown]
	v_cndmask_b32_e64 v7, v18, v7, s[0:1]
	s_mov_b32 s0, 0x33800000
	v_cmp_lt_f32_e64 s[0:1], |v1|, s0
	s_nop 1
	v_cndmask_b32_e64 v1, v7, v1, s[0:1]
	v_add_f32_e32 v1, v17, v1
	v_cvt_f16_f32_e32 v21, v1
	v_cvt_f32_f16_e32 v1, v21
	v_mov_b32_e32 v7, v21
.LBB425_110:
	s_or_b64 exec, exec, s[26:27]
	v_max_f32_e32 v17, v14, v14
	v_max_f32_e32 v20, v1, v1
	v_min_f32_e32 v18, v20, v17
	v_cmp_u_f16_e64 s[0:1], v21, v21
	v_max_f32_e32 v17, v20, v17
	s_movk_i32 s28, 0x1f8
	v_cndmask_b32_e64 v18, v18, v1, s[0:1]
	v_cndmask_b32_e64 v17, v17, v1, s[0:1]
	v_cndmask_b32_e64 v18, v18, v14, s[44:45]
	v_cndmask_b32_e64 v17, v17, v14, s[44:45]
	v_cmp_neq_f32_e64 s[0:1], v18, v17
	v_cmp_class_f32_e64 s[26:27], v18, s28
	s_or_b64 s[0:1], s[0:1], s[26:27]
	v_mov_b32_e32 v14, v7
	s_and_saveexec_b64 s[26:27], s[0:1]
	s_cbranch_execz .LBB425_112
; %bb.111:
	v_sub_f32_e32 v1, v18, v17
	s_mov_b32 s0, 0x3fb8aa3b
	v_mul_f32_e32 v14, 0x3fb8aa3b, v1
	v_fma_f32 v18, v1, s0, -v14
	v_rndne_f32_e32 v20, v14
	v_fmamk_f32 v18, v1, 0x32a5705f, v18
	v_sub_f32_e32 v14, v14, v20
	v_add_f32_e32 v14, v14, v18
	v_exp_f32_e32 v14, v14
	v_cvt_i32_f32_e32 v18, v20
	s_mov_b32 s0, 0xc2ce8ed0
	v_cmp_ngt_f32_e64 s[0:1], s0, v1
	s_mov_b32 s29, 0x7f800000
	v_ldexp_f32 v14, v14, v18
	v_cndmask_b32_e64 v14, 0, v14, s[0:1]
	s_mov_b32 s0, 0x42b17218
	v_mov_b32_e32 v18, 0x7f800000
	v_cmp_nlt_f32_e64 s[0:1], s0, v1
	s_nop 1
	v_cndmask_b32_e64 v1, v18, v14, s[0:1]
	v_add_f32_e32 v14, 1.0, v1
	v_add_f32_e32 v20, -1.0, v14
	v_sub_f32_e32 v21, v20, v14
	v_add_f32_e32 v21, 1.0, v21
	v_sub_f32_e32 v20, v1, v20
	s_waitcnt lgkmcnt(0)
	v_add_f32_e32 v22, v20, v21
	v_frexp_mant_f32_e32 v23, v14
	s_mov_b32 s0, 0x3f2aaaab
	v_cvt_f64_f32_e32 v[20:21], v14
	v_frexp_exp_i32_f64_e32 v20, v[20:21]
	v_cmp_gt_f32_e64 s[0:1], s0, v23
	s_nop 1
	v_subbrev_co_u32_e64 v28, s[0:1], 0, v20, s[0:1]
	v_sub_u32_e32 v20, 0, v28
	v_ldexp_f32 v14, v14, v20
	v_ldexp_f32 v20, v22, v20
	v_add_f32_e32 v22, -1.0, v14
	v_add_f32_e32 v21, 1.0, v22
	v_sub_f32_e32 v21, v14, v21
	v_add_f32_e32 v23, v20, v21
	v_add_f32_e32 v21, 1.0, v14
	v_add_f32_e32 v24, -1.0, v21
	v_sub_f32_e32 v14, v14, v24
	v_add_f32_e32 v14, v20, v14
	v_add_f32_e32 v29, v21, v14
	v_rcp_f32_e32 v30, v29
	v_sub_f32_e32 v20, v21, v29
	v_add_f32_e32 v21, v22, v23
	v_add_f32_e32 v14, v14, v20
	v_mul_f32_e32 v32, v21, v30
	v_sub_f32_e32 v20, v22, v21
	v_mul_f32_e32 v22, v29, v32
	v_fma_f32 v24, v32, v29, -v22
	v_fmac_f32_e32 v24, v32, v14
	v_add_f32_e32 v31, v23, v20
	v_add_f32_e32 v20, v22, v24
	v_sub_f32_e32 v23, v21, v20
	v_pk_add_f32 v[26:27], v[20:21], v[22:23] neg_lo:[0,1] neg_hi:[0,1]
	v_mov_b32_e32 v25, v20
	v_pk_add_f32 v[20:21], v[26:27], v[24:25] neg_lo:[0,1] neg_hi:[0,1]
	s_mov_b32 s0, 0x3f317218
	v_add_f32_e32 v21, v31, v21
	v_add_f32_e32 v20, v20, v21
	;; [unrolled: 1-line block ×3, first 2 shown]
	v_mul_f32_e32 v31, v30, v21
	v_mul_f32_e32 v22, v29, v31
	v_fma_f32 v24, v31, v29, -v22
	v_fmac_f32_e32 v24, v31, v14
	v_sub_f32_e32 v14, v23, v21
	v_add_f32_e32 v14, v20, v14
	v_add_f32_e32 v20, v22, v24
	v_sub_f32_e32 v23, v21, v20
	v_pk_add_f32 v[26:27], v[20:21], v[22:23] neg_lo:[0,1] neg_hi:[0,1]
	v_mov_b32_e32 v25, v20
	v_pk_add_f32 v[20:21], v[26:27], v[24:25] neg_lo:[0,1] neg_hi:[0,1]
	v_cvt_f32_i32_e32 v22, v28
	v_add_f32_e32 v14, v14, v21
	v_add_f32_e32 v14, v20, v14
	;; [unrolled: 1-line block ×4, first 2 shown]
	v_sub_f32_e32 v21, v20, v32
	v_mul_f32_e32 v14, v30, v14
	v_sub_f32_e32 v21, v31, v21
	v_add_f32_e32 v14, v21, v14
	v_add_f32_e32 v23, v20, v14
	v_mul_f32_e32 v24, v23, v23
	v_mov_b32_e32 v21, 0x3ecc95a3
	v_fmac_f32_e32 v21, 0x3e9b6dac, v24
	v_sub_f32_e32 v20, v23, v20
	v_fmaak_f32 v21, v24, v21, 0x3f2aaada
	v_sub_f32_e32 v14, v14, v20
	v_ldexp_f32 v25, v23, 1
	v_mul_f32_e32 v23, v23, v24
	v_mov_b32_e32 v20, 0x3f317218
	v_pk_mul_f32 v[20:21], v[22:23], v[20:21]
	v_ldexp_f32 v14, v14, 1
	v_fma_f32 v23, v22, s0, -v20
	v_fmamk_f32 v24, v22, 0xb102e308, v23
	v_pk_add_f32 v[22:23], v[20:21], v[24:25]
	v_mov_b32_e32 v26, v20
	v_sub_f32_e32 v25, v23, v25
	v_sub_f32_e32 v25, v21, v25
	v_add_f32_e32 v27, v14, v25
	v_pk_add_f32 v[20:21], v[22:23], v[20:21] neg_lo:[0,1] neg_hi:[0,1]
	v_pk_add_f32 v[28:29], v[22:23], v[26:27]
	v_mov_b32_e32 v25, v22
	v_mov_b32_e32 v21, v29
	v_pk_add_f32 v[30:31], v[24:25], v[20:21] neg_lo:[0,1] neg_hi:[0,1]
	v_pk_add_f32 v[20:21], v[24:25], v[20:21]
	v_mov_b32_e32 v26, v27
	v_pk_add_f32 v[24:25], v[20:21], v[22:23] op_sel:[1,0] op_sel_hi:[0,1] neg_lo:[0,1] neg_hi:[0,1]
	v_pk_add_f32 v[32:33], v[28:29], v[24:25] op_sel_hi:[1,0] neg_lo:[0,1] neg_hi:[0,1]
	v_mov_b32_e32 v28, v29
	v_mov_b32_e32 v29, v21
	v_pk_mov_b32 v[24:25], v[22:23], v[24:25] op_sel:[1,0]
	v_mov_b32_e32 v27, v22
	v_pk_add_f32 v[24:25], v[28:29], v[24:25] neg_lo:[0,1] neg_hi:[0,1]
	v_mov_b32_e32 v32, v30
	v_pk_add_f32 v[22:23], v[26:27], v[24:25] neg_lo:[0,1] neg_hi:[0,1]
	v_mov_b32_e32 v31, v21
	v_pk_add_f32 v[24:25], v[32:33], v[22:23]
	v_cmp_neq_f32_e64 s[0:1], s29, v1
	v_pk_add_f32 v[26:27], v[24:25], v[24:25] op_sel:[0,1] op_sel_hi:[1,0]
	s_nop 0
	v_pk_add_f32 v[20:21], v[20:21], v[26:27] op_sel:[1,0] op_sel_hi:[0,1]
	v_mov_b32_e32 v25, v20
	v_pk_add_f32 v[28:29], v[24:25], v[30:31] neg_lo:[0,1] neg_hi:[0,1]
	v_mov_b32_e32 v23, v26
	v_sub_f32_e32 v14, v24, v28
	v_pk_add_f32 v[22:23], v[22:23], v[28:29] neg_lo:[0,1] neg_hi:[0,1]
	v_sub_f32_e32 v14, v30, v14
	v_add_f32_e32 v14, v22, v14
	v_add_f32_e32 v14, v14, v23
	;; [unrolled: 1-line block ×3, first 2 shown]
	v_cndmask_b32_e64 v14, v18, v14, s[0:1]
	s_mov_b32 s0, 0x33800000
	v_cmp_lt_f32_e64 s[0:1], |v1|, s0
	s_nop 1
	v_cndmask_b32_e64 v1, v14, v1, s[0:1]
	v_add_f32_e32 v1, v17, v1
	v_cvt_f16_f32_e32 v21, v1
	v_cvt_f32_f16_e32 v1, v21
	v_mov_b32_e32 v14, v21
.LBB425_112:
	s_or_b64 exec, exec, s[26:27]
	v_max_f32_e32 v17, v4, v4
	v_max_f32_e32 v20, v1, v1
	v_min_f32_e32 v18, v20, v17
	v_cmp_u_f16_e64 s[0:1], v21, v21
	v_max_f32_e32 v17, v20, v17
	s_nop 0
	v_cndmask_b32_e64 v18, v18, v1, s[0:1]
	v_cndmask_b32_e64 v17, v17, v1, s[0:1]
	;; [unrolled: 1-line block ×4, first 2 shown]
	v_cmp_neq_f32_e64 s[0:1], v18, v17
	v_cmp_class_f32_e64 s[26:27], v18, s28
	s_or_b64 s[0:1], s[0:1], s[26:27]
	v_mov_b32_e32 v4, v14
	s_and_saveexec_b64 s[26:27], s[0:1]
	s_cbranch_execz .LBB425_114
; %bb.113:
	v_sub_f32_e32 v1, v18, v17
	s_mov_b32 s0, 0x3fb8aa3b
	v_mul_f32_e32 v4, 0x3fb8aa3b, v1
	v_fma_f32 v18, v1, s0, -v4
	v_rndne_f32_e32 v20, v4
	v_fmamk_f32 v18, v1, 0x32a5705f, v18
	v_sub_f32_e32 v4, v4, v20
	v_add_f32_e32 v4, v4, v18
	v_exp_f32_e32 v4, v4
	v_cvt_i32_f32_e32 v18, v20
	s_mov_b32 s0, 0xc2ce8ed0
	v_cmp_ngt_f32_e64 s[0:1], s0, v1
	s_mov_b32 s28, 0x7f800000
	v_ldexp_f32 v4, v4, v18
	v_cndmask_b32_e64 v4, 0, v4, s[0:1]
	s_mov_b32 s0, 0x42b17218
	v_mov_b32_e32 v18, 0x7f800000
	v_cmp_nlt_f32_e64 s[0:1], s0, v1
	s_nop 1
	v_cndmask_b32_e64 v1, v18, v4, s[0:1]
	v_add_f32_e32 v4, 1.0, v1
	v_add_f32_e32 v20, -1.0, v4
	v_sub_f32_e32 v21, v20, v4
	v_add_f32_e32 v21, 1.0, v21
	v_sub_f32_e32 v20, v1, v20
	s_waitcnt lgkmcnt(0)
	v_add_f32_e32 v22, v20, v21
	v_frexp_mant_f32_e32 v23, v4
	s_mov_b32 s0, 0x3f2aaaab
	v_cvt_f64_f32_e32 v[20:21], v4
	v_frexp_exp_i32_f64_e32 v20, v[20:21]
	v_cmp_gt_f32_e64 s[0:1], s0, v23
	s_nop 1
	v_subbrev_co_u32_e64 v28, s[0:1], 0, v20, s[0:1]
	v_sub_u32_e32 v20, 0, v28
	v_ldexp_f32 v4, v4, v20
	v_ldexp_f32 v20, v22, v20
	v_add_f32_e32 v22, -1.0, v4
	v_add_f32_e32 v21, 1.0, v22
	v_sub_f32_e32 v21, v4, v21
	v_add_f32_e32 v23, v20, v21
	v_add_f32_e32 v21, 1.0, v4
	v_add_f32_e32 v24, -1.0, v21
	v_sub_f32_e32 v4, v4, v24
	v_add_f32_e32 v4, v20, v4
	v_add_f32_e32 v29, v21, v4
	v_rcp_f32_e32 v30, v29
	v_sub_f32_e32 v20, v21, v29
	v_add_f32_e32 v21, v22, v23
	v_add_f32_e32 v4, v4, v20
	v_mul_f32_e32 v32, v21, v30
	v_sub_f32_e32 v20, v22, v21
	v_mul_f32_e32 v22, v29, v32
	v_fma_f32 v24, v32, v29, -v22
	v_fmac_f32_e32 v24, v32, v4
	v_add_f32_e32 v31, v23, v20
	v_add_f32_e32 v20, v22, v24
	v_sub_f32_e32 v23, v21, v20
	v_pk_add_f32 v[26:27], v[20:21], v[22:23] neg_lo:[0,1] neg_hi:[0,1]
	v_mov_b32_e32 v25, v20
	v_pk_add_f32 v[20:21], v[26:27], v[24:25] neg_lo:[0,1] neg_hi:[0,1]
	s_mov_b32 s0, 0x3f317218
	v_add_f32_e32 v21, v31, v21
	v_add_f32_e32 v20, v20, v21
	;; [unrolled: 1-line block ×3, first 2 shown]
	v_mul_f32_e32 v31, v30, v21
	v_mul_f32_e32 v22, v29, v31
	v_fma_f32 v24, v31, v29, -v22
	v_fmac_f32_e32 v24, v31, v4
	v_sub_f32_e32 v4, v23, v21
	v_add_f32_e32 v4, v20, v4
	v_add_f32_e32 v20, v22, v24
	v_sub_f32_e32 v23, v21, v20
	v_pk_add_f32 v[26:27], v[20:21], v[22:23] neg_lo:[0,1] neg_hi:[0,1]
	v_mov_b32_e32 v25, v20
	v_pk_add_f32 v[20:21], v[26:27], v[24:25] neg_lo:[0,1] neg_hi:[0,1]
	v_cvt_f32_i32_e32 v22, v28
	v_add_f32_e32 v4, v4, v21
	v_add_f32_e32 v4, v20, v4
	;; [unrolled: 1-line block ×4, first 2 shown]
	v_sub_f32_e32 v21, v20, v32
	v_mul_f32_e32 v4, v30, v4
	v_sub_f32_e32 v21, v31, v21
	v_add_f32_e32 v4, v21, v4
	v_add_f32_e32 v23, v20, v4
	v_mul_f32_e32 v24, v23, v23
	v_mov_b32_e32 v21, 0x3ecc95a3
	v_fmac_f32_e32 v21, 0x3e9b6dac, v24
	v_sub_f32_e32 v20, v23, v20
	v_fmaak_f32 v21, v24, v21, 0x3f2aaada
	v_sub_f32_e32 v4, v4, v20
	v_ldexp_f32 v25, v23, 1
	v_mul_f32_e32 v23, v23, v24
	v_mov_b32_e32 v20, 0x3f317218
	v_pk_mul_f32 v[20:21], v[22:23], v[20:21]
	v_ldexp_f32 v4, v4, 1
	v_fma_f32 v23, v22, s0, -v20
	v_fmamk_f32 v24, v22, 0xb102e308, v23
	v_pk_add_f32 v[22:23], v[20:21], v[24:25]
	v_mov_b32_e32 v26, v20
	v_sub_f32_e32 v25, v23, v25
	v_sub_f32_e32 v25, v21, v25
	v_add_f32_e32 v27, v4, v25
	v_pk_add_f32 v[20:21], v[22:23], v[20:21] neg_lo:[0,1] neg_hi:[0,1]
	v_pk_add_f32 v[28:29], v[22:23], v[26:27]
	v_mov_b32_e32 v25, v22
	v_mov_b32_e32 v21, v29
	v_pk_add_f32 v[30:31], v[24:25], v[20:21] neg_lo:[0,1] neg_hi:[0,1]
	v_pk_add_f32 v[20:21], v[24:25], v[20:21]
	v_mov_b32_e32 v26, v27
	v_pk_add_f32 v[24:25], v[20:21], v[22:23] op_sel:[1,0] op_sel_hi:[0,1] neg_lo:[0,1] neg_hi:[0,1]
	v_pk_add_f32 v[32:33], v[28:29], v[24:25] op_sel_hi:[1,0] neg_lo:[0,1] neg_hi:[0,1]
	v_mov_b32_e32 v28, v29
	v_mov_b32_e32 v29, v21
	v_pk_mov_b32 v[24:25], v[22:23], v[24:25] op_sel:[1,0]
	v_mov_b32_e32 v27, v22
	v_pk_add_f32 v[24:25], v[28:29], v[24:25] neg_lo:[0,1] neg_hi:[0,1]
	v_mov_b32_e32 v32, v30
	v_pk_add_f32 v[22:23], v[26:27], v[24:25] neg_lo:[0,1] neg_hi:[0,1]
	v_mov_b32_e32 v31, v21
	v_pk_add_f32 v[24:25], v[32:33], v[22:23]
	v_cmp_neq_f32_e64 s[0:1], s28, v1
	v_pk_add_f32 v[26:27], v[24:25], v[24:25] op_sel:[0,1] op_sel_hi:[1,0]
	s_nop 0
	v_pk_add_f32 v[20:21], v[20:21], v[26:27] op_sel:[1,0] op_sel_hi:[0,1]
	v_mov_b32_e32 v25, v20
	v_pk_add_f32 v[28:29], v[24:25], v[30:31] neg_lo:[0,1] neg_hi:[0,1]
	v_mov_b32_e32 v23, v26
	v_sub_f32_e32 v4, v24, v28
	v_pk_add_f32 v[22:23], v[22:23], v[28:29] neg_lo:[0,1] neg_hi:[0,1]
	v_sub_f32_e32 v4, v30, v4
	v_add_f32_e32 v4, v22, v4
	v_add_f32_e32 v4, v4, v23
	;; [unrolled: 1-line block ×3, first 2 shown]
	v_cndmask_b32_e64 v4, v18, v4, s[0:1]
	s_mov_b32 s0, 0x33800000
	v_cmp_lt_f32_e64 s[0:1], |v1|, s0
	s_nop 1
	v_cndmask_b32_e64 v1, v4, v1, s[0:1]
	v_add_f32_e32 v1, v17, v1
	v_cvt_f16_f32_e32 v21, v1
	v_cvt_f32_f16_e32 v1, v21
	v_mov_b32_e32 v4, v21
.LBB425_114:
	s_or_b64 exec, exec, s[26:27]
	v_max_f32_e32 v17, v15, v15
	v_max_f32_e32 v20, v1, v1
	v_min_f32_e32 v18, v20, v17
	v_cmp_u_f16_e64 s[0:1], v21, v21
	v_max_f32_e32 v17, v20, v17
	s_movk_i32 s28, 0x1f8
	v_cndmask_b32_e64 v18, v18, v1, s[0:1]
	v_cndmask_b32_e64 v17, v17, v1, s[0:1]
	;; [unrolled: 1-line block ×4, first 2 shown]
	v_cmp_neq_f32_e64 s[0:1], v18, v17
	v_cmp_class_f32_e64 s[26:27], v18, s28
	s_or_b64 s[0:1], s[0:1], s[26:27]
	v_mov_b32_e32 v15, v4
	s_and_saveexec_b64 s[26:27], s[0:1]
	s_cbranch_execz .LBB425_116
; %bb.115:
	v_sub_f32_e32 v1, v18, v17
	s_mov_b32 s0, 0x3fb8aa3b
	v_mul_f32_e32 v15, 0x3fb8aa3b, v1
	v_fma_f32 v18, v1, s0, -v15
	v_rndne_f32_e32 v20, v15
	v_fmamk_f32 v18, v1, 0x32a5705f, v18
	v_sub_f32_e32 v15, v15, v20
	v_add_f32_e32 v15, v15, v18
	v_exp_f32_e32 v15, v15
	v_cvt_i32_f32_e32 v18, v20
	s_mov_b32 s0, 0xc2ce8ed0
	v_cmp_ngt_f32_e64 s[0:1], s0, v1
	s_mov_b32 s29, 0x7f800000
	v_ldexp_f32 v15, v15, v18
	v_cndmask_b32_e64 v15, 0, v15, s[0:1]
	s_mov_b32 s0, 0x42b17218
	v_mov_b32_e32 v18, 0x7f800000
	v_cmp_nlt_f32_e64 s[0:1], s0, v1
	s_nop 1
	v_cndmask_b32_e64 v1, v18, v15, s[0:1]
	v_add_f32_e32 v15, 1.0, v1
	v_add_f32_e32 v20, -1.0, v15
	v_sub_f32_e32 v21, v20, v15
	v_add_f32_e32 v21, 1.0, v21
	v_sub_f32_e32 v20, v1, v20
	s_waitcnt lgkmcnt(0)
	v_add_f32_e32 v22, v20, v21
	v_frexp_mant_f32_e32 v23, v15
	s_mov_b32 s0, 0x3f2aaaab
	v_cvt_f64_f32_e32 v[20:21], v15
	v_frexp_exp_i32_f64_e32 v20, v[20:21]
	v_cmp_gt_f32_e64 s[0:1], s0, v23
	s_nop 1
	v_subbrev_co_u32_e64 v28, s[0:1], 0, v20, s[0:1]
	v_sub_u32_e32 v20, 0, v28
	v_ldexp_f32 v15, v15, v20
	v_ldexp_f32 v20, v22, v20
	v_add_f32_e32 v22, -1.0, v15
	v_add_f32_e32 v21, 1.0, v22
	v_sub_f32_e32 v21, v15, v21
	v_add_f32_e32 v23, v20, v21
	v_add_f32_e32 v21, 1.0, v15
	v_add_f32_e32 v24, -1.0, v21
	v_sub_f32_e32 v15, v15, v24
	v_add_f32_e32 v15, v20, v15
	v_add_f32_e32 v29, v21, v15
	v_rcp_f32_e32 v30, v29
	v_sub_f32_e32 v20, v21, v29
	v_add_f32_e32 v21, v22, v23
	v_add_f32_e32 v15, v15, v20
	v_mul_f32_e32 v32, v21, v30
	v_sub_f32_e32 v20, v22, v21
	v_mul_f32_e32 v22, v29, v32
	v_fma_f32 v24, v32, v29, -v22
	v_fmac_f32_e32 v24, v32, v15
	v_add_f32_e32 v31, v23, v20
	v_add_f32_e32 v20, v22, v24
	v_sub_f32_e32 v23, v21, v20
	v_pk_add_f32 v[26:27], v[20:21], v[22:23] neg_lo:[0,1] neg_hi:[0,1]
	v_mov_b32_e32 v25, v20
	v_pk_add_f32 v[20:21], v[26:27], v[24:25] neg_lo:[0,1] neg_hi:[0,1]
	s_mov_b32 s0, 0x3f317218
	v_add_f32_e32 v21, v31, v21
	v_add_f32_e32 v20, v20, v21
	;; [unrolled: 1-line block ×3, first 2 shown]
	v_mul_f32_e32 v31, v30, v21
	v_mul_f32_e32 v22, v29, v31
	v_fma_f32 v24, v31, v29, -v22
	v_fmac_f32_e32 v24, v31, v15
	v_sub_f32_e32 v15, v23, v21
	v_add_f32_e32 v15, v20, v15
	v_add_f32_e32 v20, v22, v24
	v_sub_f32_e32 v23, v21, v20
	v_pk_add_f32 v[26:27], v[20:21], v[22:23] neg_lo:[0,1] neg_hi:[0,1]
	v_mov_b32_e32 v25, v20
	v_pk_add_f32 v[20:21], v[26:27], v[24:25] neg_lo:[0,1] neg_hi:[0,1]
	v_cvt_f32_i32_e32 v22, v28
	v_add_f32_e32 v15, v15, v21
	v_add_f32_e32 v15, v20, v15
	;; [unrolled: 1-line block ×4, first 2 shown]
	v_sub_f32_e32 v21, v20, v32
	v_mul_f32_e32 v15, v30, v15
	v_sub_f32_e32 v21, v31, v21
	v_add_f32_e32 v15, v21, v15
	v_add_f32_e32 v23, v20, v15
	v_mul_f32_e32 v24, v23, v23
	v_mov_b32_e32 v21, 0x3ecc95a3
	v_fmac_f32_e32 v21, 0x3e9b6dac, v24
	v_sub_f32_e32 v20, v23, v20
	v_fmaak_f32 v21, v24, v21, 0x3f2aaada
	v_sub_f32_e32 v15, v15, v20
	v_ldexp_f32 v25, v23, 1
	v_mul_f32_e32 v23, v23, v24
	v_mov_b32_e32 v20, 0x3f317218
	v_pk_mul_f32 v[20:21], v[22:23], v[20:21]
	v_ldexp_f32 v15, v15, 1
	v_fma_f32 v23, v22, s0, -v20
	v_fmamk_f32 v24, v22, 0xb102e308, v23
	v_pk_add_f32 v[22:23], v[20:21], v[24:25]
	v_mov_b32_e32 v26, v20
	v_sub_f32_e32 v25, v23, v25
	v_sub_f32_e32 v25, v21, v25
	v_add_f32_e32 v27, v15, v25
	v_pk_add_f32 v[20:21], v[22:23], v[20:21] neg_lo:[0,1] neg_hi:[0,1]
	v_pk_add_f32 v[28:29], v[22:23], v[26:27]
	v_mov_b32_e32 v25, v22
	v_mov_b32_e32 v21, v29
	v_pk_add_f32 v[30:31], v[24:25], v[20:21] neg_lo:[0,1] neg_hi:[0,1]
	v_pk_add_f32 v[20:21], v[24:25], v[20:21]
	v_mov_b32_e32 v26, v27
	v_pk_add_f32 v[24:25], v[20:21], v[22:23] op_sel:[1,0] op_sel_hi:[0,1] neg_lo:[0,1] neg_hi:[0,1]
	v_pk_add_f32 v[32:33], v[28:29], v[24:25] op_sel_hi:[1,0] neg_lo:[0,1] neg_hi:[0,1]
	v_mov_b32_e32 v28, v29
	v_mov_b32_e32 v29, v21
	v_pk_mov_b32 v[24:25], v[22:23], v[24:25] op_sel:[1,0]
	v_mov_b32_e32 v27, v22
	v_pk_add_f32 v[24:25], v[28:29], v[24:25] neg_lo:[0,1] neg_hi:[0,1]
	v_mov_b32_e32 v32, v30
	v_pk_add_f32 v[22:23], v[26:27], v[24:25] neg_lo:[0,1] neg_hi:[0,1]
	v_mov_b32_e32 v31, v21
	v_pk_add_f32 v[24:25], v[32:33], v[22:23]
	v_cmp_neq_f32_e64 s[0:1], s29, v1
	v_pk_add_f32 v[26:27], v[24:25], v[24:25] op_sel:[0,1] op_sel_hi:[1,0]
	s_nop 0
	v_pk_add_f32 v[20:21], v[20:21], v[26:27] op_sel:[1,0] op_sel_hi:[0,1]
	v_mov_b32_e32 v25, v20
	v_pk_add_f32 v[28:29], v[24:25], v[30:31] neg_lo:[0,1] neg_hi:[0,1]
	v_mov_b32_e32 v23, v26
	v_sub_f32_e32 v15, v24, v28
	v_pk_add_f32 v[22:23], v[22:23], v[28:29] neg_lo:[0,1] neg_hi:[0,1]
	v_sub_f32_e32 v15, v30, v15
	v_add_f32_e32 v15, v22, v15
	v_add_f32_e32 v15, v15, v23
	;; [unrolled: 1-line block ×3, first 2 shown]
	v_cndmask_b32_e64 v15, v18, v15, s[0:1]
	s_mov_b32 s0, 0x33800000
	v_cmp_lt_f32_e64 s[0:1], |v1|, s0
	s_nop 1
	v_cndmask_b32_e64 v1, v15, v1, s[0:1]
	v_add_f32_e32 v1, v17, v1
	v_cvt_f16_f32_e32 v21, v1
	v_cvt_f32_f16_e32 v1, v21
	v_mov_b32_e32 v15, v21
.LBB425_116:
	s_or_b64 exec, exec, s[26:27]
	v_max_f32_e32 v17, v5, v5
	v_max_f32_e32 v20, v1, v1
	v_min_f32_e32 v18, v20, v17
	v_cmp_u_f16_e64 s[0:1], v21, v21
	v_max_f32_e32 v17, v20, v17
	s_nop 0
	v_cndmask_b32_e64 v18, v18, v1, s[0:1]
	v_cndmask_b32_e64 v17, v17, v1, s[0:1]
	v_cndmask_b32_e64 v18, v18, v5, s[50:51]
	v_cndmask_b32_e64 v17, v17, v5, s[50:51]
	v_cmp_neq_f32_e64 s[0:1], v18, v17
	v_cmp_class_f32_e64 s[26:27], v18, s28
	s_or_b64 s[0:1], s[0:1], s[26:27]
	v_mov_b32_e32 v5, v15
	s_and_saveexec_b64 s[26:27], s[0:1]
	s_cbranch_execz .LBB425_118
; %bb.117:
	v_sub_f32_e32 v1, v18, v17
	s_mov_b32 s0, 0x3fb8aa3b
	v_mul_f32_e32 v5, 0x3fb8aa3b, v1
	v_fma_f32 v18, v1, s0, -v5
	v_rndne_f32_e32 v20, v5
	v_fmamk_f32 v18, v1, 0x32a5705f, v18
	v_sub_f32_e32 v5, v5, v20
	v_add_f32_e32 v5, v5, v18
	v_exp_f32_e32 v5, v5
	v_cvt_i32_f32_e32 v18, v20
	s_mov_b32 s0, 0xc2ce8ed0
	v_cmp_ngt_f32_e64 s[0:1], s0, v1
	s_mov_b32 s28, 0x7f800000
	v_ldexp_f32 v5, v5, v18
	v_cndmask_b32_e64 v5, 0, v5, s[0:1]
	s_mov_b32 s0, 0x42b17218
	v_mov_b32_e32 v18, 0x7f800000
	v_cmp_nlt_f32_e64 s[0:1], s0, v1
	s_nop 1
	v_cndmask_b32_e64 v1, v18, v5, s[0:1]
	v_add_f32_e32 v5, 1.0, v1
	v_add_f32_e32 v20, -1.0, v5
	v_sub_f32_e32 v21, v20, v5
	v_add_f32_e32 v21, 1.0, v21
	v_sub_f32_e32 v20, v1, v20
	s_waitcnt lgkmcnt(0)
	v_add_f32_e32 v22, v20, v21
	v_frexp_mant_f32_e32 v23, v5
	s_mov_b32 s0, 0x3f2aaaab
	v_cvt_f64_f32_e32 v[20:21], v5
	v_frexp_exp_i32_f64_e32 v20, v[20:21]
	v_cmp_gt_f32_e64 s[0:1], s0, v23
	s_nop 1
	v_subbrev_co_u32_e64 v28, s[0:1], 0, v20, s[0:1]
	v_sub_u32_e32 v20, 0, v28
	v_ldexp_f32 v5, v5, v20
	v_ldexp_f32 v20, v22, v20
	v_add_f32_e32 v22, -1.0, v5
	v_add_f32_e32 v21, 1.0, v22
	v_sub_f32_e32 v21, v5, v21
	v_add_f32_e32 v23, v20, v21
	v_add_f32_e32 v21, 1.0, v5
	v_add_f32_e32 v24, -1.0, v21
	v_sub_f32_e32 v5, v5, v24
	v_add_f32_e32 v5, v20, v5
	v_add_f32_e32 v29, v21, v5
	v_rcp_f32_e32 v30, v29
	v_sub_f32_e32 v20, v21, v29
	v_add_f32_e32 v21, v22, v23
	v_add_f32_e32 v5, v5, v20
	v_mul_f32_e32 v32, v21, v30
	v_sub_f32_e32 v20, v22, v21
	v_mul_f32_e32 v22, v29, v32
	v_fma_f32 v24, v32, v29, -v22
	v_fmac_f32_e32 v24, v32, v5
	v_add_f32_e32 v31, v23, v20
	v_add_f32_e32 v20, v22, v24
	v_sub_f32_e32 v23, v21, v20
	v_pk_add_f32 v[26:27], v[20:21], v[22:23] neg_lo:[0,1] neg_hi:[0,1]
	v_mov_b32_e32 v25, v20
	v_pk_add_f32 v[20:21], v[26:27], v[24:25] neg_lo:[0,1] neg_hi:[0,1]
	s_mov_b32 s0, 0x3f317218
	v_add_f32_e32 v21, v31, v21
	v_add_f32_e32 v20, v20, v21
	;; [unrolled: 1-line block ×3, first 2 shown]
	v_mul_f32_e32 v31, v30, v21
	v_mul_f32_e32 v22, v29, v31
	v_fma_f32 v24, v31, v29, -v22
	v_fmac_f32_e32 v24, v31, v5
	v_sub_f32_e32 v5, v23, v21
	v_add_f32_e32 v5, v20, v5
	v_add_f32_e32 v20, v22, v24
	v_sub_f32_e32 v23, v21, v20
	v_pk_add_f32 v[26:27], v[20:21], v[22:23] neg_lo:[0,1] neg_hi:[0,1]
	v_mov_b32_e32 v25, v20
	v_pk_add_f32 v[20:21], v[26:27], v[24:25] neg_lo:[0,1] neg_hi:[0,1]
	v_cvt_f32_i32_e32 v22, v28
	v_add_f32_e32 v5, v5, v21
	v_add_f32_e32 v5, v20, v5
	;; [unrolled: 1-line block ×4, first 2 shown]
	v_sub_f32_e32 v21, v20, v32
	v_mul_f32_e32 v5, v30, v5
	v_sub_f32_e32 v21, v31, v21
	v_add_f32_e32 v5, v21, v5
	v_add_f32_e32 v23, v20, v5
	v_mul_f32_e32 v24, v23, v23
	v_mov_b32_e32 v21, 0x3ecc95a3
	v_fmac_f32_e32 v21, 0x3e9b6dac, v24
	v_sub_f32_e32 v20, v23, v20
	v_fmaak_f32 v21, v24, v21, 0x3f2aaada
	v_sub_f32_e32 v5, v5, v20
	v_ldexp_f32 v25, v23, 1
	v_mul_f32_e32 v23, v23, v24
	v_mov_b32_e32 v20, 0x3f317218
	v_pk_mul_f32 v[20:21], v[22:23], v[20:21]
	v_ldexp_f32 v5, v5, 1
	v_fma_f32 v23, v22, s0, -v20
	v_fmamk_f32 v24, v22, 0xb102e308, v23
	v_pk_add_f32 v[22:23], v[20:21], v[24:25]
	v_mov_b32_e32 v26, v20
	v_sub_f32_e32 v25, v23, v25
	v_sub_f32_e32 v25, v21, v25
	v_add_f32_e32 v27, v5, v25
	v_pk_add_f32 v[20:21], v[22:23], v[20:21] neg_lo:[0,1] neg_hi:[0,1]
	v_pk_add_f32 v[28:29], v[22:23], v[26:27]
	v_mov_b32_e32 v25, v22
	v_mov_b32_e32 v21, v29
	v_pk_add_f32 v[30:31], v[24:25], v[20:21] neg_lo:[0,1] neg_hi:[0,1]
	v_pk_add_f32 v[20:21], v[24:25], v[20:21]
	v_mov_b32_e32 v26, v27
	v_pk_add_f32 v[24:25], v[20:21], v[22:23] op_sel:[1,0] op_sel_hi:[0,1] neg_lo:[0,1] neg_hi:[0,1]
	v_pk_add_f32 v[32:33], v[28:29], v[24:25] op_sel_hi:[1,0] neg_lo:[0,1] neg_hi:[0,1]
	v_mov_b32_e32 v28, v29
	v_mov_b32_e32 v29, v21
	v_pk_mov_b32 v[24:25], v[22:23], v[24:25] op_sel:[1,0]
	v_mov_b32_e32 v27, v22
	v_pk_add_f32 v[24:25], v[28:29], v[24:25] neg_lo:[0,1] neg_hi:[0,1]
	v_mov_b32_e32 v32, v30
	v_pk_add_f32 v[22:23], v[26:27], v[24:25] neg_lo:[0,1] neg_hi:[0,1]
	v_mov_b32_e32 v31, v21
	v_pk_add_f32 v[24:25], v[32:33], v[22:23]
	v_cmp_neq_f32_e64 s[0:1], s28, v1
	v_pk_add_f32 v[26:27], v[24:25], v[24:25] op_sel:[0,1] op_sel_hi:[1,0]
	s_nop 0
	v_pk_add_f32 v[20:21], v[20:21], v[26:27] op_sel:[1,0] op_sel_hi:[0,1]
	v_mov_b32_e32 v25, v20
	v_pk_add_f32 v[28:29], v[24:25], v[30:31] neg_lo:[0,1] neg_hi:[0,1]
	v_mov_b32_e32 v23, v26
	v_sub_f32_e32 v5, v24, v28
	v_pk_add_f32 v[22:23], v[22:23], v[28:29] neg_lo:[0,1] neg_hi:[0,1]
	v_sub_f32_e32 v5, v30, v5
	v_add_f32_e32 v5, v22, v5
	v_add_f32_e32 v5, v5, v23
	;; [unrolled: 1-line block ×3, first 2 shown]
	v_cndmask_b32_e64 v5, v18, v5, s[0:1]
	s_mov_b32 s0, 0x33800000
	v_cmp_lt_f32_e64 s[0:1], |v1|, s0
	s_nop 1
	v_cndmask_b32_e64 v1, v5, v1, s[0:1]
	v_add_f32_e32 v1, v17, v1
	v_cvt_f16_f32_e32 v21, v1
	v_cvt_f32_f16_e32 v1, v21
	v_mov_b32_e32 v5, v21
.LBB425_118:
	s_or_b64 exec, exec, s[26:27]
	v_max_f32_e32 v18, v16, v16
	v_max_f32_e32 v20, v1, v1
	v_min_f32_e32 v17, v20, v18
	v_cmp_u_f16_e64 s[0:1], v21, v21
	v_max_f32_e32 v18, v20, v18
	s_movk_i32 s26, 0x1f8
	v_cndmask_b32_e64 v17, v17, v1, s[0:1]
	v_cndmask_b32_e64 v1, v18, v1, s[0:1]
	;; [unrolled: 1-line block ×4, first 2 shown]
	v_cmp_neq_f32_e64 s[0:1], v17, v1
	v_cmp_class_f32_e64 s[26:27], v17, s26
	s_or_b64 s[0:1], s[0:1], s[26:27]
	v_mov_b32_e32 v16, v5
	s_and_saveexec_b64 s[26:27], s[0:1]
	s_cbranch_execz .LBB425_120
; %bb.119:
	v_sub_f32_e32 v16, v17, v1
	s_mov_b32 s0, 0x3fb8aa3b
	v_mul_f32_e32 v17, 0x3fb8aa3b, v16
	v_fma_f32 v18, v16, s0, -v17
	v_rndne_f32_e32 v20, v17
	v_fmamk_f32 v18, v16, 0x32a5705f, v18
	v_sub_f32_e32 v17, v17, v20
	v_add_f32_e32 v17, v17, v18
	v_exp_f32_e32 v17, v17
	v_cvt_i32_f32_e32 v18, v20
	s_mov_b32 s0, 0xc2ce8ed0
	v_cmp_ngt_f32_e64 s[0:1], s0, v16
	s_mov_b32 s28, 0x7f800000
	v_ldexp_f32 v17, v17, v18
	v_cndmask_b32_e64 v17, 0, v17, s[0:1]
	s_mov_b32 s0, 0x42b17218
	v_mov_b32_e32 v18, 0x7f800000
	v_cmp_nlt_f32_e64 s[0:1], s0, v16
	s_nop 1
	v_cndmask_b32_e64 v32, v18, v17, s[0:1]
	v_add_f32_e32 v20, 1.0, v32
	v_add_f32_e32 v16, -1.0, v20
	v_sub_f32_e32 v17, v16, v20
	v_add_f32_e32 v17, 1.0, v17
	v_sub_f32_e32 v16, v32, v16
	v_add_f32_e32 v21, v16, v17
	s_waitcnt lgkmcnt(0)
	v_frexp_mant_f32_e32 v22, v20
	s_mov_b32 s0, 0x3f2aaaab
	v_cvt_f64_f32_e32 v[16:17], v20
	v_frexp_exp_i32_f64_e32 v16, v[16:17]
	v_cmp_gt_f32_e64 s[0:1], s0, v22
	s_nop 1
	v_subbrev_co_u32_e64 v26, s[0:1], 0, v16, s[0:1]
	v_sub_u32_e32 v16, 0, v26
	v_ldexp_f32 v17, v20, v16
	v_add_f32_e32 v20, -1.0, v17
	v_add_f32_e32 v22, 1.0, v17
	v_ldexp_f32 v16, v21, v16
	v_add_f32_e32 v21, 1.0, v20
	v_add_f32_e32 v23, -1.0, v22
	v_sub_f32_e32 v21, v17, v21
	v_sub_f32_e32 v17, v17, v23
	v_add_f32_e32 v21, v16, v21
	v_add_f32_e32 v16, v16, v17
	;; [unrolled: 1-line block ×3, first 2 shown]
	v_rcp_f32_e32 v29, v27
	v_sub_f32_e32 v17, v22, v27
	v_add_f32_e32 v28, v16, v17
	v_add_f32_e32 v17, v20, v21
	v_mul_f32_e32 v31, v17, v29
	v_sub_f32_e32 v16, v20, v17
	v_mul_f32_e32 v20, v27, v31
	v_fma_f32 v22, v31, v27, -v20
	v_fmac_f32_e32 v22, v31, v28
	v_add_f32_e32 v30, v21, v16
	v_add_f32_e32 v16, v20, v22
	v_sub_f32_e32 v21, v17, v16
	v_pk_add_f32 v[24:25], v[16:17], v[20:21] neg_lo:[0,1] neg_hi:[0,1]
	v_mov_b32_e32 v23, v16
	v_pk_add_f32 v[16:17], v[24:25], v[22:23] neg_lo:[0,1] neg_hi:[0,1]
	s_mov_b32 s0, 0x3f317218
	v_add_f32_e32 v17, v30, v17
	v_add_f32_e32 v16, v16, v17
	;; [unrolled: 1-line block ×3, first 2 shown]
	v_mul_f32_e32 v30, v29, v17
	v_mul_f32_e32 v20, v27, v30
	v_fma_f32 v22, v30, v27, -v20
	v_fmac_f32_e32 v22, v30, v28
	v_sub_f32_e32 v21, v21, v17
	v_add_f32_e32 v27, v16, v21
	v_add_f32_e32 v16, v20, v22
	v_sub_f32_e32 v21, v17, v16
	v_pk_add_f32 v[24:25], v[16:17], v[20:21] neg_lo:[0,1] neg_hi:[0,1]
	v_mov_b32_e32 v23, v16
	v_pk_add_f32 v[16:17], v[24:25], v[22:23] neg_lo:[0,1] neg_hi:[0,1]
	v_cvt_f32_i32_e32 v20, v26
	v_add_f32_e32 v17, v27, v17
	v_add_f32_e32 v16, v16, v17
	;; [unrolled: 1-line block ×4, first 2 shown]
	v_sub_f32_e32 v17, v21, v31
	v_mul_f32_e32 v16, v29, v16
	v_sub_f32_e32 v17, v30, v17
	v_add_f32_e32 v16, v17, v16
	v_add_f32_e32 v22, v21, v16
	v_mul_f32_e32 v24, v22, v22
	v_mov_b32_e32 v17, 0x3ecc95a3
	v_sub_f32_e32 v21, v22, v21
	v_fmac_f32_e32 v17, 0x3e9b6dac, v24
	v_sub_f32_e32 v16, v16, v21
	v_fmaak_f32 v17, v24, v17, 0x3f2aaada
	v_ldexp_f32 v25, v16, 1
	v_mul_f32_e32 v21, v22, v24
	v_mov_b32_e32 v16, 0x3f317218
	v_pk_mul_f32 v[16:17], v[20:21], v[16:17]
	v_ldexp_f32 v23, v22, 1
	v_fma_f32 v21, v20, s0, -v16
	v_fmamk_f32 v22, v20, 0xb102e308, v21
	v_pk_add_f32 v[20:21], v[16:17], v[22:23]
	v_mov_b32_e32 v24, v16
	v_sub_f32_e32 v23, v21, v23
	v_sub_f32_e32 v23, v17, v23
	v_add_f32_e32 v25, v25, v23
	v_pk_add_f32 v[16:17], v[20:21], v[16:17] neg_lo:[0,1] neg_hi:[0,1]
	v_pk_add_f32 v[26:27], v[20:21], v[24:25]
	v_mov_b32_e32 v23, v20
	v_mov_b32_e32 v17, v27
	v_pk_add_f32 v[28:29], v[22:23], v[16:17] neg_lo:[0,1] neg_hi:[0,1]
	v_pk_add_f32 v[16:17], v[22:23], v[16:17]
	v_mov_b32_e32 v24, v25
	v_pk_add_f32 v[22:23], v[16:17], v[20:21] op_sel:[1,0] op_sel_hi:[0,1] neg_lo:[0,1] neg_hi:[0,1]
	v_pk_add_f32 v[30:31], v[26:27], v[22:23] op_sel_hi:[1,0] neg_lo:[0,1] neg_hi:[0,1]
	v_mov_b32_e32 v26, v27
	v_mov_b32_e32 v27, v17
	v_pk_mov_b32 v[22:23], v[20:21], v[22:23] op_sel:[1,0]
	v_mov_b32_e32 v25, v20
	v_pk_add_f32 v[22:23], v[26:27], v[22:23] neg_lo:[0,1] neg_hi:[0,1]
	v_mov_b32_e32 v30, v28
	v_pk_add_f32 v[20:21], v[24:25], v[22:23] neg_lo:[0,1] neg_hi:[0,1]
	v_mov_b32_e32 v29, v17
	v_pk_add_f32 v[22:23], v[30:31], v[20:21]
	v_cmp_neq_f32_e64 s[0:1], s28, v32
	v_pk_add_f32 v[24:25], v[22:23], v[22:23] op_sel:[0,1] op_sel_hi:[1,0]
	s_nop 0
	v_pk_add_f32 v[16:17], v[16:17], v[24:25] op_sel:[1,0] op_sel_hi:[0,1]
	v_mov_b32_e32 v23, v16
	v_pk_add_f32 v[26:27], v[22:23], v[28:29] neg_lo:[0,1] neg_hi:[0,1]
	v_mov_b32_e32 v21, v24
	v_sub_f32_e32 v17, v22, v26
	v_pk_add_f32 v[20:21], v[20:21], v[26:27] neg_lo:[0,1] neg_hi:[0,1]
	v_sub_f32_e32 v17, v28, v17
	v_add_f32_e32 v17, v20, v17
	v_add_f32_e32 v17, v17, v21
	;; [unrolled: 1-line block ×3, first 2 shown]
	v_cndmask_b32_e64 v16, v18, v16, s[0:1]
	s_mov_b32 s0, 0x33800000
	v_cmp_lt_f32_e64 s[0:1], |v32|, s0
	s_nop 1
	v_cndmask_b32_e64 v16, v16, v32, s[0:1]
	v_add_f32_e32 v1, v1, v16
	v_cvt_f16_f32_e32 v16, v1
.LBB425_120:
	s_or_b64 exec, exec, s[26:27]
	s_mov_b32 s0, 0x5040100
	v_add_u32_e32 v1, v8, v19
	v_perm_b32 v10, v11, v10, s0
	v_perm_b32 v2, v9, v2, s0
	s_waitcnt lgkmcnt(0)
	s_barrier
	ds_write2_b32 v1, v2, v10 offset1:1
	v_perm_b32 v2, v13, v6, s0
	v_perm_b32 v3, v12, v3, s0
	ds_write2_b32 v1, v3, v2 offset0:2 offset1:3
	v_perm_b32 v2, v15, v4, s0
	v_perm_b32 v3, v14, v7, s0
	ds_write2_b32 v1, v3, v2 offset0:4 offset1:5
	v_perm_b32 v2, v16, v5, s0
	ds_write_b32 v1, v2 offset:24
	s_waitcnt lgkmcnt(0)
	s_barrier
	ds_read_u16 v15, v8 offset:256
	ds_read_u16 v14, v8 offset:512
	;; [unrolled: 1-line block ×13, first 2 shown]
	v_lshlrev_b32_e32 v0, 1, v0
	v_mov_b32_e32 v1, 0
	v_lshl_add_u64 v[0:1], s[60:61], 0, v[0:1]
	s_and_saveexec_b64 s[0:1], vcc
	s_cbranch_execnz .LBB425_135
; %bb.121:
	s_or_b64 exec, exec, s[0:1]
	s_and_saveexec_b64 s[0:1], s[56:57]
	s_cbranch_execnz .LBB425_136
.LBB425_122:
	s_or_b64 exec, exec, s[0:1]
	s_and_saveexec_b64 s[0:1], s[2:3]
	s_cbranch_execnz .LBB425_137
.LBB425_123:
	s_or_b64 exec, exec, s[0:1]
	s_and_saveexec_b64 s[0:1], s[4:5]
	s_cbranch_execnz .LBB425_138
.LBB425_124:
	s_or_b64 exec, exec, s[0:1]
	s_and_saveexec_b64 s[0:1], s[6:7]
	s_cbranch_execnz .LBB425_139
.LBB425_125:
	s_or_b64 exec, exec, s[0:1]
	s_and_saveexec_b64 s[0:1], s[8:9]
	s_cbranch_execnz .LBB425_140
.LBB425_126:
	s_or_b64 exec, exec, s[0:1]
	s_and_saveexec_b64 s[0:1], s[10:11]
	s_cbranch_execnz .LBB425_141
.LBB425_127:
	s_or_b64 exec, exec, s[0:1]
	s_and_saveexec_b64 s[0:1], s[12:13]
	s_cbranch_execnz .LBB425_142
.LBB425_128:
	s_or_b64 exec, exec, s[0:1]
	s_and_saveexec_b64 s[0:1], s[14:15]
	s_cbranch_execnz .LBB425_143
.LBB425_129:
	s_or_b64 exec, exec, s[0:1]
	s_and_saveexec_b64 s[0:1], s[16:17]
	s_cbranch_execnz .LBB425_144
.LBB425_130:
	s_or_b64 exec, exec, s[0:1]
	s_and_saveexec_b64 s[0:1], s[18:19]
	s_cbranch_execnz .LBB425_145
.LBB425_131:
	s_or_b64 exec, exec, s[0:1]
	s_and_saveexec_b64 s[0:1], s[20:21]
	s_cbranch_execnz .LBB425_146
.LBB425_132:
	s_or_b64 exec, exec, s[0:1]
	s_and_saveexec_b64 s[0:1], s[22:23]
	s_cbranch_execnz .LBB425_147
.LBB425_133:
	s_or_b64 exec, exec, s[0:1]
	s_and_saveexec_b64 s[0:1], s[24:25]
	s_cbranch_execnz .LBB425_148
.LBB425_134:
	s_endpgm
.LBB425_135:
	ds_read_u16 v8, v8
	s_waitcnt lgkmcnt(0)
	global_store_short v[0:1], v8, off
	s_or_b64 exec, exec, s[0:1]
	s_and_saveexec_b64 s[0:1], s[56:57]
	s_cbranch_execz .LBB425_122
.LBB425_136:
	s_waitcnt lgkmcnt(12)
	global_store_short v[0:1], v15, off offset:256
	s_or_b64 exec, exec, s[0:1]
	s_and_saveexec_b64 s[0:1], s[2:3]
	s_cbranch_execz .LBB425_123
.LBB425_137:
	s_waitcnt lgkmcnt(11)
	global_store_short v[0:1], v14, off offset:512
	s_or_b64 exec, exec, s[0:1]
	s_and_saveexec_b64 s[0:1], s[4:5]
	s_cbranch_execz .LBB425_124
.LBB425_138:
	s_waitcnt lgkmcnt(10)
	global_store_short v[0:1], v13, off offset:768
	s_or_b64 exec, exec, s[0:1]
	s_and_saveexec_b64 s[0:1], s[6:7]
	s_cbranch_execz .LBB425_125
.LBB425_139:
	s_waitcnt lgkmcnt(9)
	global_store_short v[0:1], v12, off offset:1024
	s_or_b64 exec, exec, s[0:1]
	s_and_saveexec_b64 s[0:1], s[8:9]
	s_cbranch_execz .LBB425_126
.LBB425_140:
	s_waitcnt lgkmcnt(8)
	global_store_short v[0:1], v11, off offset:1280
	s_or_b64 exec, exec, s[0:1]
	s_and_saveexec_b64 s[0:1], s[10:11]
	s_cbranch_execz .LBB425_127
.LBB425_141:
	s_waitcnt lgkmcnt(7)
	global_store_short v[0:1], v10, off offset:1536
	s_or_b64 exec, exec, s[0:1]
	s_and_saveexec_b64 s[0:1], s[12:13]
	s_cbranch_execz .LBB425_128
.LBB425_142:
	s_waitcnt lgkmcnt(6)
	global_store_short v[0:1], v9, off offset:1792
	s_or_b64 exec, exec, s[0:1]
	s_and_saveexec_b64 s[0:1], s[14:15]
	s_cbranch_execz .LBB425_129
.LBB425_143:
	s_waitcnt lgkmcnt(5)
	global_store_short v[0:1], v7, off offset:2048
	s_or_b64 exec, exec, s[0:1]
	s_and_saveexec_b64 s[0:1], s[16:17]
	s_cbranch_execz .LBB425_130
.LBB425_144:
	s_waitcnt lgkmcnt(4)
	global_store_short v[0:1], v6, off offset:2304
	s_or_b64 exec, exec, s[0:1]
	s_and_saveexec_b64 s[0:1], s[18:19]
	s_cbranch_execz .LBB425_131
.LBB425_145:
	s_waitcnt lgkmcnt(3)
	global_store_short v[0:1], v5, off offset:2560
	s_or_b64 exec, exec, s[0:1]
	s_and_saveexec_b64 s[0:1], s[20:21]
	s_cbranch_execz .LBB425_132
.LBB425_146:
	s_waitcnt lgkmcnt(2)
	global_store_short v[0:1], v4, off offset:2816
	s_or_b64 exec, exec, s[0:1]
	s_and_saveexec_b64 s[0:1], s[22:23]
	s_cbranch_execz .LBB425_133
.LBB425_147:
	s_waitcnt lgkmcnt(1)
	global_store_short v[0:1], v3, off offset:3072
	s_or_b64 exec, exec, s[0:1]
	s_and_saveexec_b64 s[0:1], s[24:25]
	s_cbranch_execz .LBB425_134
.LBB425_148:
	s_waitcnt lgkmcnt(0)
	global_store_short v[0:1], v2, off offset:3328
	s_endpgm
	.section	.rodata,"a",@progbits
	.p2align	6, 0x0
	.amdhsa_kernel _ZN7rocprim17ROCPRIM_400000_NS6detail17trampoline_kernelINS0_14default_configENS1_20scan_config_selectorIN3c104HalfEEEZZNS1_9scan_implILNS1_25lookback_scan_determinismE0ELb0ELb0ES3_PKS6_PS6_S6_ZZZN2at6native31launch_logcumsumexp_cuda_kernelERKNSD_10TensorBaseESH_lENKUlvE_clEvENKUlvE3_clEvEUlS6_S6_E_S6_EEDaPvRmT3_T4_T5_mT6_P12ihipStream_tbENKUlT_T0_E_clISt17integral_constantIbLb0EESX_IbLb1EEEEDaST_SU_EUlST_E0_NS1_11comp_targetILNS1_3genE0ELNS1_11target_archE4294967295ELNS1_3gpuE0ELNS1_3repE0EEENS1_30default_config_static_selectorELNS0_4arch9wavefront6targetE1EEEvT1_
		.amdhsa_group_segment_fixed_size 3584
		.amdhsa_private_segment_fixed_size 0
		.amdhsa_kernarg_size 32
		.amdhsa_user_sgpr_count 2
		.amdhsa_user_sgpr_dispatch_ptr 0
		.amdhsa_user_sgpr_queue_ptr 0
		.amdhsa_user_sgpr_kernarg_segment_ptr 1
		.amdhsa_user_sgpr_dispatch_id 0
		.amdhsa_user_sgpr_kernarg_preload_length 0
		.amdhsa_user_sgpr_kernarg_preload_offset 0
		.amdhsa_user_sgpr_private_segment_size 0
		.amdhsa_uses_dynamic_stack 0
		.amdhsa_enable_private_segment 0
		.amdhsa_system_sgpr_workgroup_id_x 1
		.amdhsa_system_sgpr_workgroup_id_y 0
		.amdhsa_system_sgpr_workgroup_id_z 0
		.amdhsa_system_sgpr_workgroup_info 0
		.amdhsa_system_vgpr_workitem_id 0
		.amdhsa_next_free_vgpr 40
		.amdhsa_next_free_sgpr 66
		.amdhsa_accum_offset 40
		.amdhsa_reserve_vcc 1
		.amdhsa_float_round_mode_32 0
		.amdhsa_float_round_mode_16_64 0
		.amdhsa_float_denorm_mode_32 3
		.amdhsa_float_denorm_mode_16_64 3
		.amdhsa_dx10_clamp 1
		.amdhsa_ieee_mode 1
		.amdhsa_fp16_overflow 0
		.amdhsa_tg_split 0
		.amdhsa_exception_fp_ieee_invalid_op 0
		.amdhsa_exception_fp_denorm_src 0
		.amdhsa_exception_fp_ieee_div_zero 0
		.amdhsa_exception_fp_ieee_overflow 0
		.amdhsa_exception_fp_ieee_underflow 0
		.amdhsa_exception_fp_ieee_inexact 0
		.amdhsa_exception_int_div_zero 0
	.end_amdhsa_kernel
	.section	.text._ZN7rocprim17ROCPRIM_400000_NS6detail17trampoline_kernelINS0_14default_configENS1_20scan_config_selectorIN3c104HalfEEEZZNS1_9scan_implILNS1_25lookback_scan_determinismE0ELb0ELb0ES3_PKS6_PS6_S6_ZZZN2at6native31launch_logcumsumexp_cuda_kernelERKNSD_10TensorBaseESH_lENKUlvE_clEvENKUlvE3_clEvEUlS6_S6_E_S6_EEDaPvRmT3_T4_T5_mT6_P12ihipStream_tbENKUlT_T0_E_clISt17integral_constantIbLb0EESX_IbLb1EEEEDaST_SU_EUlST_E0_NS1_11comp_targetILNS1_3genE0ELNS1_11target_archE4294967295ELNS1_3gpuE0ELNS1_3repE0EEENS1_30default_config_static_selectorELNS0_4arch9wavefront6targetE1EEEvT1_,"axG",@progbits,_ZN7rocprim17ROCPRIM_400000_NS6detail17trampoline_kernelINS0_14default_configENS1_20scan_config_selectorIN3c104HalfEEEZZNS1_9scan_implILNS1_25lookback_scan_determinismE0ELb0ELb0ES3_PKS6_PS6_S6_ZZZN2at6native31launch_logcumsumexp_cuda_kernelERKNSD_10TensorBaseESH_lENKUlvE_clEvENKUlvE3_clEvEUlS6_S6_E_S6_EEDaPvRmT3_T4_T5_mT6_P12ihipStream_tbENKUlT_T0_E_clISt17integral_constantIbLb0EESX_IbLb1EEEEDaST_SU_EUlST_E0_NS1_11comp_targetILNS1_3genE0ELNS1_11target_archE4294967295ELNS1_3gpuE0ELNS1_3repE0EEENS1_30default_config_static_selectorELNS0_4arch9wavefront6targetE1EEEvT1_,comdat
.Lfunc_end425:
	.size	_ZN7rocprim17ROCPRIM_400000_NS6detail17trampoline_kernelINS0_14default_configENS1_20scan_config_selectorIN3c104HalfEEEZZNS1_9scan_implILNS1_25lookback_scan_determinismE0ELb0ELb0ES3_PKS6_PS6_S6_ZZZN2at6native31launch_logcumsumexp_cuda_kernelERKNSD_10TensorBaseESH_lENKUlvE_clEvENKUlvE3_clEvEUlS6_S6_E_S6_EEDaPvRmT3_T4_T5_mT6_P12ihipStream_tbENKUlT_T0_E_clISt17integral_constantIbLb0EESX_IbLb1EEEEDaST_SU_EUlST_E0_NS1_11comp_targetILNS1_3genE0ELNS1_11target_archE4294967295ELNS1_3gpuE0ELNS1_3repE0EEENS1_30default_config_static_selectorELNS0_4arch9wavefront6targetE1EEEvT1_, .Lfunc_end425-_ZN7rocprim17ROCPRIM_400000_NS6detail17trampoline_kernelINS0_14default_configENS1_20scan_config_selectorIN3c104HalfEEEZZNS1_9scan_implILNS1_25lookback_scan_determinismE0ELb0ELb0ES3_PKS6_PS6_S6_ZZZN2at6native31launch_logcumsumexp_cuda_kernelERKNSD_10TensorBaseESH_lENKUlvE_clEvENKUlvE3_clEvEUlS6_S6_E_S6_EEDaPvRmT3_T4_T5_mT6_P12ihipStream_tbENKUlT_T0_E_clISt17integral_constantIbLb0EESX_IbLb1EEEEDaST_SU_EUlST_E0_NS1_11comp_targetILNS1_3genE0ELNS1_11target_archE4294967295ELNS1_3gpuE0ELNS1_3repE0EEENS1_30default_config_static_selectorELNS0_4arch9wavefront6targetE1EEEvT1_
                                        ; -- End function
	.set _ZN7rocprim17ROCPRIM_400000_NS6detail17trampoline_kernelINS0_14default_configENS1_20scan_config_selectorIN3c104HalfEEEZZNS1_9scan_implILNS1_25lookback_scan_determinismE0ELb0ELb0ES3_PKS6_PS6_S6_ZZZN2at6native31launch_logcumsumexp_cuda_kernelERKNSD_10TensorBaseESH_lENKUlvE_clEvENKUlvE3_clEvEUlS6_S6_E_S6_EEDaPvRmT3_T4_T5_mT6_P12ihipStream_tbENKUlT_T0_E_clISt17integral_constantIbLb0EESX_IbLb1EEEEDaST_SU_EUlST_E0_NS1_11comp_targetILNS1_3genE0ELNS1_11target_archE4294967295ELNS1_3gpuE0ELNS1_3repE0EEENS1_30default_config_static_selectorELNS0_4arch9wavefront6targetE1EEEvT1_.num_vgpr, 40
	.set _ZN7rocprim17ROCPRIM_400000_NS6detail17trampoline_kernelINS0_14default_configENS1_20scan_config_selectorIN3c104HalfEEEZZNS1_9scan_implILNS1_25lookback_scan_determinismE0ELb0ELb0ES3_PKS6_PS6_S6_ZZZN2at6native31launch_logcumsumexp_cuda_kernelERKNSD_10TensorBaseESH_lENKUlvE_clEvENKUlvE3_clEvEUlS6_S6_E_S6_EEDaPvRmT3_T4_T5_mT6_P12ihipStream_tbENKUlT_T0_E_clISt17integral_constantIbLb0EESX_IbLb1EEEEDaST_SU_EUlST_E0_NS1_11comp_targetILNS1_3genE0ELNS1_11target_archE4294967295ELNS1_3gpuE0ELNS1_3repE0EEENS1_30default_config_static_selectorELNS0_4arch9wavefront6targetE1EEEvT1_.num_agpr, 0
	.set _ZN7rocprim17ROCPRIM_400000_NS6detail17trampoline_kernelINS0_14default_configENS1_20scan_config_selectorIN3c104HalfEEEZZNS1_9scan_implILNS1_25lookback_scan_determinismE0ELb0ELb0ES3_PKS6_PS6_S6_ZZZN2at6native31launch_logcumsumexp_cuda_kernelERKNSD_10TensorBaseESH_lENKUlvE_clEvENKUlvE3_clEvEUlS6_S6_E_S6_EEDaPvRmT3_T4_T5_mT6_P12ihipStream_tbENKUlT_T0_E_clISt17integral_constantIbLb0EESX_IbLb1EEEEDaST_SU_EUlST_E0_NS1_11comp_targetILNS1_3genE0ELNS1_11target_archE4294967295ELNS1_3gpuE0ELNS1_3repE0EEENS1_30default_config_static_selectorELNS0_4arch9wavefront6targetE1EEEvT1_.numbered_sgpr, 66
	.set _ZN7rocprim17ROCPRIM_400000_NS6detail17trampoline_kernelINS0_14default_configENS1_20scan_config_selectorIN3c104HalfEEEZZNS1_9scan_implILNS1_25lookback_scan_determinismE0ELb0ELb0ES3_PKS6_PS6_S6_ZZZN2at6native31launch_logcumsumexp_cuda_kernelERKNSD_10TensorBaseESH_lENKUlvE_clEvENKUlvE3_clEvEUlS6_S6_E_S6_EEDaPvRmT3_T4_T5_mT6_P12ihipStream_tbENKUlT_T0_E_clISt17integral_constantIbLb0EESX_IbLb1EEEEDaST_SU_EUlST_E0_NS1_11comp_targetILNS1_3genE0ELNS1_11target_archE4294967295ELNS1_3gpuE0ELNS1_3repE0EEENS1_30default_config_static_selectorELNS0_4arch9wavefront6targetE1EEEvT1_.num_named_barrier, 0
	.set _ZN7rocprim17ROCPRIM_400000_NS6detail17trampoline_kernelINS0_14default_configENS1_20scan_config_selectorIN3c104HalfEEEZZNS1_9scan_implILNS1_25lookback_scan_determinismE0ELb0ELb0ES3_PKS6_PS6_S6_ZZZN2at6native31launch_logcumsumexp_cuda_kernelERKNSD_10TensorBaseESH_lENKUlvE_clEvENKUlvE3_clEvEUlS6_S6_E_S6_EEDaPvRmT3_T4_T5_mT6_P12ihipStream_tbENKUlT_T0_E_clISt17integral_constantIbLb0EESX_IbLb1EEEEDaST_SU_EUlST_E0_NS1_11comp_targetILNS1_3genE0ELNS1_11target_archE4294967295ELNS1_3gpuE0ELNS1_3repE0EEENS1_30default_config_static_selectorELNS0_4arch9wavefront6targetE1EEEvT1_.private_seg_size, 0
	.set _ZN7rocprim17ROCPRIM_400000_NS6detail17trampoline_kernelINS0_14default_configENS1_20scan_config_selectorIN3c104HalfEEEZZNS1_9scan_implILNS1_25lookback_scan_determinismE0ELb0ELb0ES3_PKS6_PS6_S6_ZZZN2at6native31launch_logcumsumexp_cuda_kernelERKNSD_10TensorBaseESH_lENKUlvE_clEvENKUlvE3_clEvEUlS6_S6_E_S6_EEDaPvRmT3_T4_T5_mT6_P12ihipStream_tbENKUlT_T0_E_clISt17integral_constantIbLb0EESX_IbLb1EEEEDaST_SU_EUlST_E0_NS1_11comp_targetILNS1_3genE0ELNS1_11target_archE4294967295ELNS1_3gpuE0ELNS1_3repE0EEENS1_30default_config_static_selectorELNS0_4arch9wavefront6targetE1EEEvT1_.uses_vcc, 1
	.set _ZN7rocprim17ROCPRIM_400000_NS6detail17trampoline_kernelINS0_14default_configENS1_20scan_config_selectorIN3c104HalfEEEZZNS1_9scan_implILNS1_25lookback_scan_determinismE0ELb0ELb0ES3_PKS6_PS6_S6_ZZZN2at6native31launch_logcumsumexp_cuda_kernelERKNSD_10TensorBaseESH_lENKUlvE_clEvENKUlvE3_clEvEUlS6_S6_E_S6_EEDaPvRmT3_T4_T5_mT6_P12ihipStream_tbENKUlT_T0_E_clISt17integral_constantIbLb0EESX_IbLb1EEEEDaST_SU_EUlST_E0_NS1_11comp_targetILNS1_3genE0ELNS1_11target_archE4294967295ELNS1_3gpuE0ELNS1_3repE0EEENS1_30default_config_static_selectorELNS0_4arch9wavefront6targetE1EEEvT1_.uses_flat_scratch, 0
	.set _ZN7rocprim17ROCPRIM_400000_NS6detail17trampoline_kernelINS0_14default_configENS1_20scan_config_selectorIN3c104HalfEEEZZNS1_9scan_implILNS1_25lookback_scan_determinismE0ELb0ELb0ES3_PKS6_PS6_S6_ZZZN2at6native31launch_logcumsumexp_cuda_kernelERKNSD_10TensorBaseESH_lENKUlvE_clEvENKUlvE3_clEvEUlS6_S6_E_S6_EEDaPvRmT3_T4_T5_mT6_P12ihipStream_tbENKUlT_T0_E_clISt17integral_constantIbLb0EESX_IbLb1EEEEDaST_SU_EUlST_E0_NS1_11comp_targetILNS1_3genE0ELNS1_11target_archE4294967295ELNS1_3gpuE0ELNS1_3repE0EEENS1_30default_config_static_selectorELNS0_4arch9wavefront6targetE1EEEvT1_.has_dyn_sized_stack, 0
	.set _ZN7rocprim17ROCPRIM_400000_NS6detail17trampoline_kernelINS0_14default_configENS1_20scan_config_selectorIN3c104HalfEEEZZNS1_9scan_implILNS1_25lookback_scan_determinismE0ELb0ELb0ES3_PKS6_PS6_S6_ZZZN2at6native31launch_logcumsumexp_cuda_kernelERKNSD_10TensorBaseESH_lENKUlvE_clEvENKUlvE3_clEvEUlS6_S6_E_S6_EEDaPvRmT3_T4_T5_mT6_P12ihipStream_tbENKUlT_T0_E_clISt17integral_constantIbLb0EESX_IbLb1EEEEDaST_SU_EUlST_E0_NS1_11comp_targetILNS1_3genE0ELNS1_11target_archE4294967295ELNS1_3gpuE0ELNS1_3repE0EEENS1_30default_config_static_selectorELNS0_4arch9wavefront6targetE1EEEvT1_.has_recursion, 0
	.set _ZN7rocprim17ROCPRIM_400000_NS6detail17trampoline_kernelINS0_14default_configENS1_20scan_config_selectorIN3c104HalfEEEZZNS1_9scan_implILNS1_25lookback_scan_determinismE0ELb0ELb0ES3_PKS6_PS6_S6_ZZZN2at6native31launch_logcumsumexp_cuda_kernelERKNSD_10TensorBaseESH_lENKUlvE_clEvENKUlvE3_clEvEUlS6_S6_E_S6_EEDaPvRmT3_T4_T5_mT6_P12ihipStream_tbENKUlT_T0_E_clISt17integral_constantIbLb0EESX_IbLb1EEEEDaST_SU_EUlST_E0_NS1_11comp_targetILNS1_3genE0ELNS1_11target_archE4294967295ELNS1_3gpuE0ELNS1_3repE0EEENS1_30default_config_static_selectorELNS0_4arch9wavefront6targetE1EEEvT1_.has_indirect_call, 0
	.section	.AMDGPU.csdata,"",@progbits
; Kernel info:
; codeLenInByte = 33060
; TotalNumSgprs: 72
; NumVgprs: 40
; NumAgprs: 0
; TotalNumVgprs: 40
; ScratchSize: 0
; MemoryBound: 0
; FloatMode: 240
; IeeeMode: 1
; LDSByteSize: 3584 bytes/workgroup (compile time only)
; SGPRBlocks: 8
; VGPRBlocks: 4
; NumSGPRsForWavesPerEU: 72
; NumVGPRsForWavesPerEU: 40
; AccumOffset: 40
; Occupancy: 8
; WaveLimiterHint : 0
; COMPUTE_PGM_RSRC2:SCRATCH_EN: 0
; COMPUTE_PGM_RSRC2:USER_SGPR: 2
; COMPUTE_PGM_RSRC2:TRAP_HANDLER: 0
; COMPUTE_PGM_RSRC2:TGID_X_EN: 1
; COMPUTE_PGM_RSRC2:TGID_Y_EN: 0
; COMPUTE_PGM_RSRC2:TGID_Z_EN: 0
; COMPUTE_PGM_RSRC2:TIDIG_COMP_CNT: 0
; COMPUTE_PGM_RSRC3_GFX90A:ACCUM_OFFSET: 9
; COMPUTE_PGM_RSRC3_GFX90A:TG_SPLIT: 0
	.section	.text._ZN7rocprim17ROCPRIM_400000_NS6detail17trampoline_kernelINS0_14default_configENS1_20scan_config_selectorIN3c104HalfEEEZZNS1_9scan_implILNS1_25lookback_scan_determinismE0ELb0ELb0ES3_PKS6_PS6_S6_ZZZN2at6native31launch_logcumsumexp_cuda_kernelERKNSD_10TensorBaseESH_lENKUlvE_clEvENKUlvE3_clEvEUlS6_S6_E_S6_EEDaPvRmT3_T4_T5_mT6_P12ihipStream_tbENKUlT_T0_E_clISt17integral_constantIbLb0EESX_IbLb1EEEEDaST_SU_EUlST_E0_NS1_11comp_targetILNS1_3genE5ELNS1_11target_archE942ELNS1_3gpuE9ELNS1_3repE0EEENS1_30default_config_static_selectorELNS0_4arch9wavefront6targetE1EEEvT1_,"axG",@progbits,_ZN7rocprim17ROCPRIM_400000_NS6detail17trampoline_kernelINS0_14default_configENS1_20scan_config_selectorIN3c104HalfEEEZZNS1_9scan_implILNS1_25lookback_scan_determinismE0ELb0ELb0ES3_PKS6_PS6_S6_ZZZN2at6native31launch_logcumsumexp_cuda_kernelERKNSD_10TensorBaseESH_lENKUlvE_clEvENKUlvE3_clEvEUlS6_S6_E_S6_EEDaPvRmT3_T4_T5_mT6_P12ihipStream_tbENKUlT_T0_E_clISt17integral_constantIbLb0EESX_IbLb1EEEEDaST_SU_EUlST_E0_NS1_11comp_targetILNS1_3genE5ELNS1_11target_archE942ELNS1_3gpuE9ELNS1_3repE0EEENS1_30default_config_static_selectorELNS0_4arch9wavefront6targetE1EEEvT1_,comdat
	.globl	_ZN7rocprim17ROCPRIM_400000_NS6detail17trampoline_kernelINS0_14default_configENS1_20scan_config_selectorIN3c104HalfEEEZZNS1_9scan_implILNS1_25lookback_scan_determinismE0ELb0ELb0ES3_PKS6_PS6_S6_ZZZN2at6native31launch_logcumsumexp_cuda_kernelERKNSD_10TensorBaseESH_lENKUlvE_clEvENKUlvE3_clEvEUlS6_S6_E_S6_EEDaPvRmT3_T4_T5_mT6_P12ihipStream_tbENKUlT_T0_E_clISt17integral_constantIbLb0EESX_IbLb1EEEEDaST_SU_EUlST_E0_NS1_11comp_targetILNS1_3genE5ELNS1_11target_archE942ELNS1_3gpuE9ELNS1_3repE0EEENS1_30default_config_static_selectorELNS0_4arch9wavefront6targetE1EEEvT1_ ; -- Begin function _ZN7rocprim17ROCPRIM_400000_NS6detail17trampoline_kernelINS0_14default_configENS1_20scan_config_selectorIN3c104HalfEEEZZNS1_9scan_implILNS1_25lookback_scan_determinismE0ELb0ELb0ES3_PKS6_PS6_S6_ZZZN2at6native31launch_logcumsumexp_cuda_kernelERKNSD_10TensorBaseESH_lENKUlvE_clEvENKUlvE3_clEvEUlS6_S6_E_S6_EEDaPvRmT3_T4_T5_mT6_P12ihipStream_tbENKUlT_T0_E_clISt17integral_constantIbLb0EESX_IbLb1EEEEDaST_SU_EUlST_E0_NS1_11comp_targetILNS1_3genE5ELNS1_11target_archE942ELNS1_3gpuE9ELNS1_3repE0EEENS1_30default_config_static_selectorELNS0_4arch9wavefront6targetE1EEEvT1_
	.p2align	8
	.type	_ZN7rocprim17ROCPRIM_400000_NS6detail17trampoline_kernelINS0_14default_configENS1_20scan_config_selectorIN3c104HalfEEEZZNS1_9scan_implILNS1_25lookback_scan_determinismE0ELb0ELb0ES3_PKS6_PS6_S6_ZZZN2at6native31launch_logcumsumexp_cuda_kernelERKNSD_10TensorBaseESH_lENKUlvE_clEvENKUlvE3_clEvEUlS6_S6_E_S6_EEDaPvRmT3_T4_T5_mT6_P12ihipStream_tbENKUlT_T0_E_clISt17integral_constantIbLb0EESX_IbLb1EEEEDaST_SU_EUlST_E0_NS1_11comp_targetILNS1_3genE5ELNS1_11target_archE942ELNS1_3gpuE9ELNS1_3repE0EEENS1_30default_config_static_selectorELNS0_4arch9wavefront6targetE1EEEvT1_,@function
_ZN7rocprim17ROCPRIM_400000_NS6detail17trampoline_kernelINS0_14default_configENS1_20scan_config_selectorIN3c104HalfEEEZZNS1_9scan_implILNS1_25lookback_scan_determinismE0ELb0ELb0ES3_PKS6_PS6_S6_ZZZN2at6native31launch_logcumsumexp_cuda_kernelERKNSD_10TensorBaseESH_lENKUlvE_clEvENKUlvE3_clEvEUlS6_S6_E_S6_EEDaPvRmT3_T4_T5_mT6_P12ihipStream_tbENKUlT_T0_E_clISt17integral_constantIbLb0EESX_IbLb1EEEEDaST_SU_EUlST_E0_NS1_11comp_targetILNS1_3genE5ELNS1_11target_archE942ELNS1_3gpuE9ELNS1_3repE0EEENS1_30default_config_static_selectorELNS0_4arch9wavefront6targetE1EEEvT1_: ; @_ZN7rocprim17ROCPRIM_400000_NS6detail17trampoline_kernelINS0_14default_configENS1_20scan_config_selectorIN3c104HalfEEEZZNS1_9scan_implILNS1_25lookback_scan_determinismE0ELb0ELb0ES3_PKS6_PS6_S6_ZZZN2at6native31launch_logcumsumexp_cuda_kernelERKNSD_10TensorBaseESH_lENKUlvE_clEvENKUlvE3_clEvEUlS6_S6_E_S6_EEDaPvRmT3_T4_T5_mT6_P12ihipStream_tbENKUlT_T0_E_clISt17integral_constantIbLb0EESX_IbLb1EEEEDaST_SU_EUlST_E0_NS1_11comp_targetILNS1_3genE5ELNS1_11target_archE942ELNS1_3gpuE9ELNS1_3repE0EEENS1_30default_config_static_selectorELNS0_4arch9wavefront6targetE1EEEvT1_
; %bb.0:
	.section	.rodata,"a",@progbits
	.p2align	6, 0x0
	.amdhsa_kernel _ZN7rocprim17ROCPRIM_400000_NS6detail17trampoline_kernelINS0_14default_configENS1_20scan_config_selectorIN3c104HalfEEEZZNS1_9scan_implILNS1_25lookback_scan_determinismE0ELb0ELb0ES3_PKS6_PS6_S6_ZZZN2at6native31launch_logcumsumexp_cuda_kernelERKNSD_10TensorBaseESH_lENKUlvE_clEvENKUlvE3_clEvEUlS6_S6_E_S6_EEDaPvRmT3_T4_T5_mT6_P12ihipStream_tbENKUlT_T0_E_clISt17integral_constantIbLb0EESX_IbLb1EEEEDaST_SU_EUlST_E0_NS1_11comp_targetILNS1_3genE5ELNS1_11target_archE942ELNS1_3gpuE9ELNS1_3repE0EEENS1_30default_config_static_selectorELNS0_4arch9wavefront6targetE1EEEvT1_
		.amdhsa_group_segment_fixed_size 0
		.amdhsa_private_segment_fixed_size 0
		.amdhsa_kernarg_size 32
		.amdhsa_user_sgpr_count 2
		.amdhsa_user_sgpr_dispatch_ptr 0
		.amdhsa_user_sgpr_queue_ptr 0
		.amdhsa_user_sgpr_kernarg_segment_ptr 1
		.amdhsa_user_sgpr_dispatch_id 0
		.amdhsa_user_sgpr_kernarg_preload_length 0
		.amdhsa_user_sgpr_kernarg_preload_offset 0
		.amdhsa_user_sgpr_private_segment_size 0
		.amdhsa_uses_dynamic_stack 0
		.amdhsa_enable_private_segment 0
		.amdhsa_system_sgpr_workgroup_id_x 1
		.amdhsa_system_sgpr_workgroup_id_y 0
		.amdhsa_system_sgpr_workgroup_id_z 0
		.amdhsa_system_sgpr_workgroup_info 0
		.amdhsa_system_vgpr_workitem_id 0
		.amdhsa_next_free_vgpr 1
		.amdhsa_next_free_sgpr 0
		.amdhsa_accum_offset 4
		.amdhsa_reserve_vcc 0
		.amdhsa_float_round_mode_32 0
		.amdhsa_float_round_mode_16_64 0
		.amdhsa_float_denorm_mode_32 3
		.amdhsa_float_denorm_mode_16_64 3
		.amdhsa_dx10_clamp 1
		.amdhsa_ieee_mode 1
		.amdhsa_fp16_overflow 0
		.amdhsa_tg_split 0
		.amdhsa_exception_fp_ieee_invalid_op 0
		.amdhsa_exception_fp_denorm_src 0
		.amdhsa_exception_fp_ieee_div_zero 0
		.amdhsa_exception_fp_ieee_overflow 0
		.amdhsa_exception_fp_ieee_underflow 0
		.amdhsa_exception_fp_ieee_inexact 0
		.amdhsa_exception_int_div_zero 0
	.end_amdhsa_kernel
	.section	.text._ZN7rocprim17ROCPRIM_400000_NS6detail17trampoline_kernelINS0_14default_configENS1_20scan_config_selectorIN3c104HalfEEEZZNS1_9scan_implILNS1_25lookback_scan_determinismE0ELb0ELb0ES3_PKS6_PS6_S6_ZZZN2at6native31launch_logcumsumexp_cuda_kernelERKNSD_10TensorBaseESH_lENKUlvE_clEvENKUlvE3_clEvEUlS6_S6_E_S6_EEDaPvRmT3_T4_T5_mT6_P12ihipStream_tbENKUlT_T0_E_clISt17integral_constantIbLb0EESX_IbLb1EEEEDaST_SU_EUlST_E0_NS1_11comp_targetILNS1_3genE5ELNS1_11target_archE942ELNS1_3gpuE9ELNS1_3repE0EEENS1_30default_config_static_selectorELNS0_4arch9wavefront6targetE1EEEvT1_,"axG",@progbits,_ZN7rocprim17ROCPRIM_400000_NS6detail17trampoline_kernelINS0_14default_configENS1_20scan_config_selectorIN3c104HalfEEEZZNS1_9scan_implILNS1_25lookback_scan_determinismE0ELb0ELb0ES3_PKS6_PS6_S6_ZZZN2at6native31launch_logcumsumexp_cuda_kernelERKNSD_10TensorBaseESH_lENKUlvE_clEvENKUlvE3_clEvEUlS6_S6_E_S6_EEDaPvRmT3_T4_T5_mT6_P12ihipStream_tbENKUlT_T0_E_clISt17integral_constantIbLb0EESX_IbLb1EEEEDaST_SU_EUlST_E0_NS1_11comp_targetILNS1_3genE5ELNS1_11target_archE942ELNS1_3gpuE9ELNS1_3repE0EEENS1_30default_config_static_selectorELNS0_4arch9wavefront6targetE1EEEvT1_,comdat
.Lfunc_end426:
	.size	_ZN7rocprim17ROCPRIM_400000_NS6detail17trampoline_kernelINS0_14default_configENS1_20scan_config_selectorIN3c104HalfEEEZZNS1_9scan_implILNS1_25lookback_scan_determinismE0ELb0ELb0ES3_PKS6_PS6_S6_ZZZN2at6native31launch_logcumsumexp_cuda_kernelERKNSD_10TensorBaseESH_lENKUlvE_clEvENKUlvE3_clEvEUlS6_S6_E_S6_EEDaPvRmT3_T4_T5_mT6_P12ihipStream_tbENKUlT_T0_E_clISt17integral_constantIbLb0EESX_IbLb1EEEEDaST_SU_EUlST_E0_NS1_11comp_targetILNS1_3genE5ELNS1_11target_archE942ELNS1_3gpuE9ELNS1_3repE0EEENS1_30default_config_static_selectorELNS0_4arch9wavefront6targetE1EEEvT1_, .Lfunc_end426-_ZN7rocprim17ROCPRIM_400000_NS6detail17trampoline_kernelINS0_14default_configENS1_20scan_config_selectorIN3c104HalfEEEZZNS1_9scan_implILNS1_25lookback_scan_determinismE0ELb0ELb0ES3_PKS6_PS6_S6_ZZZN2at6native31launch_logcumsumexp_cuda_kernelERKNSD_10TensorBaseESH_lENKUlvE_clEvENKUlvE3_clEvEUlS6_S6_E_S6_EEDaPvRmT3_T4_T5_mT6_P12ihipStream_tbENKUlT_T0_E_clISt17integral_constantIbLb0EESX_IbLb1EEEEDaST_SU_EUlST_E0_NS1_11comp_targetILNS1_3genE5ELNS1_11target_archE942ELNS1_3gpuE9ELNS1_3repE0EEENS1_30default_config_static_selectorELNS0_4arch9wavefront6targetE1EEEvT1_
                                        ; -- End function
	.set _ZN7rocprim17ROCPRIM_400000_NS6detail17trampoline_kernelINS0_14default_configENS1_20scan_config_selectorIN3c104HalfEEEZZNS1_9scan_implILNS1_25lookback_scan_determinismE0ELb0ELb0ES3_PKS6_PS6_S6_ZZZN2at6native31launch_logcumsumexp_cuda_kernelERKNSD_10TensorBaseESH_lENKUlvE_clEvENKUlvE3_clEvEUlS6_S6_E_S6_EEDaPvRmT3_T4_T5_mT6_P12ihipStream_tbENKUlT_T0_E_clISt17integral_constantIbLb0EESX_IbLb1EEEEDaST_SU_EUlST_E0_NS1_11comp_targetILNS1_3genE5ELNS1_11target_archE942ELNS1_3gpuE9ELNS1_3repE0EEENS1_30default_config_static_selectorELNS0_4arch9wavefront6targetE1EEEvT1_.num_vgpr, 0
	.set _ZN7rocprim17ROCPRIM_400000_NS6detail17trampoline_kernelINS0_14default_configENS1_20scan_config_selectorIN3c104HalfEEEZZNS1_9scan_implILNS1_25lookback_scan_determinismE0ELb0ELb0ES3_PKS6_PS6_S6_ZZZN2at6native31launch_logcumsumexp_cuda_kernelERKNSD_10TensorBaseESH_lENKUlvE_clEvENKUlvE3_clEvEUlS6_S6_E_S6_EEDaPvRmT3_T4_T5_mT6_P12ihipStream_tbENKUlT_T0_E_clISt17integral_constantIbLb0EESX_IbLb1EEEEDaST_SU_EUlST_E0_NS1_11comp_targetILNS1_3genE5ELNS1_11target_archE942ELNS1_3gpuE9ELNS1_3repE0EEENS1_30default_config_static_selectorELNS0_4arch9wavefront6targetE1EEEvT1_.num_agpr, 0
	.set _ZN7rocprim17ROCPRIM_400000_NS6detail17trampoline_kernelINS0_14default_configENS1_20scan_config_selectorIN3c104HalfEEEZZNS1_9scan_implILNS1_25lookback_scan_determinismE0ELb0ELb0ES3_PKS6_PS6_S6_ZZZN2at6native31launch_logcumsumexp_cuda_kernelERKNSD_10TensorBaseESH_lENKUlvE_clEvENKUlvE3_clEvEUlS6_S6_E_S6_EEDaPvRmT3_T4_T5_mT6_P12ihipStream_tbENKUlT_T0_E_clISt17integral_constantIbLb0EESX_IbLb1EEEEDaST_SU_EUlST_E0_NS1_11comp_targetILNS1_3genE5ELNS1_11target_archE942ELNS1_3gpuE9ELNS1_3repE0EEENS1_30default_config_static_selectorELNS0_4arch9wavefront6targetE1EEEvT1_.numbered_sgpr, 0
	.set _ZN7rocprim17ROCPRIM_400000_NS6detail17trampoline_kernelINS0_14default_configENS1_20scan_config_selectorIN3c104HalfEEEZZNS1_9scan_implILNS1_25lookback_scan_determinismE0ELb0ELb0ES3_PKS6_PS6_S6_ZZZN2at6native31launch_logcumsumexp_cuda_kernelERKNSD_10TensorBaseESH_lENKUlvE_clEvENKUlvE3_clEvEUlS6_S6_E_S6_EEDaPvRmT3_T4_T5_mT6_P12ihipStream_tbENKUlT_T0_E_clISt17integral_constantIbLb0EESX_IbLb1EEEEDaST_SU_EUlST_E0_NS1_11comp_targetILNS1_3genE5ELNS1_11target_archE942ELNS1_3gpuE9ELNS1_3repE0EEENS1_30default_config_static_selectorELNS0_4arch9wavefront6targetE1EEEvT1_.num_named_barrier, 0
	.set _ZN7rocprim17ROCPRIM_400000_NS6detail17trampoline_kernelINS0_14default_configENS1_20scan_config_selectorIN3c104HalfEEEZZNS1_9scan_implILNS1_25lookback_scan_determinismE0ELb0ELb0ES3_PKS6_PS6_S6_ZZZN2at6native31launch_logcumsumexp_cuda_kernelERKNSD_10TensorBaseESH_lENKUlvE_clEvENKUlvE3_clEvEUlS6_S6_E_S6_EEDaPvRmT3_T4_T5_mT6_P12ihipStream_tbENKUlT_T0_E_clISt17integral_constantIbLb0EESX_IbLb1EEEEDaST_SU_EUlST_E0_NS1_11comp_targetILNS1_3genE5ELNS1_11target_archE942ELNS1_3gpuE9ELNS1_3repE0EEENS1_30default_config_static_selectorELNS0_4arch9wavefront6targetE1EEEvT1_.private_seg_size, 0
	.set _ZN7rocprim17ROCPRIM_400000_NS6detail17trampoline_kernelINS0_14default_configENS1_20scan_config_selectorIN3c104HalfEEEZZNS1_9scan_implILNS1_25lookback_scan_determinismE0ELb0ELb0ES3_PKS6_PS6_S6_ZZZN2at6native31launch_logcumsumexp_cuda_kernelERKNSD_10TensorBaseESH_lENKUlvE_clEvENKUlvE3_clEvEUlS6_S6_E_S6_EEDaPvRmT3_T4_T5_mT6_P12ihipStream_tbENKUlT_T0_E_clISt17integral_constantIbLb0EESX_IbLb1EEEEDaST_SU_EUlST_E0_NS1_11comp_targetILNS1_3genE5ELNS1_11target_archE942ELNS1_3gpuE9ELNS1_3repE0EEENS1_30default_config_static_selectorELNS0_4arch9wavefront6targetE1EEEvT1_.uses_vcc, 0
	.set _ZN7rocprim17ROCPRIM_400000_NS6detail17trampoline_kernelINS0_14default_configENS1_20scan_config_selectorIN3c104HalfEEEZZNS1_9scan_implILNS1_25lookback_scan_determinismE0ELb0ELb0ES3_PKS6_PS6_S6_ZZZN2at6native31launch_logcumsumexp_cuda_kernelERKNSD_10TensorBaseESH_lENKUlvE_clEvENKUlvE3_clEvEUlS6_S6_E_S6_EEDaPvRmT3_T4_T5_mT6_P12ihipStream_tbENKUlT_T0_E_clISt17integral_constantIbLb0EESX_IbLb1EEEEDaST_SU_EUlST_E0_NS1_11comp_targetILNS1_3genE5ELNS1_11target_archE942ELNS1_3gpuE9ELNS1_3repE0EEENS1_30default_config_static_selectorELNS0_4arch9wavefront6targetE1EEEvT1_.uses_flat_scratch, 0
	.set _ZN7rocprim17ROCPRIM_400000_NS6detail17trampoline_kernelINS0_14default_configENS1_20scan_config_selectorIN3c104HalfEEEZZNS1_9scan_implILNS1_25lookback_scan_determinismE0ELb0ELb0ES3_PKS6_PS6_S6_ZZZN2at6native31launch_logcumsumexp_cuda_kernelERKNSD_10TensorBaseESH_lENKUlvE_clEvENKUlvE3_clEvEUlS6_S6_E_S6_EEDaPvRmT3_T4_T5_mT6_P12ihipStream_tbENKUlT_T0_E_clISt17integral_constantIbLb0EESX_IbLb1EEEEDaST_SU_EUlST_E0_NS1_11comp_targetILNS1_3genE5ELNS1_11target_archE942ELNS1_3gpuE9ELNS1_3repE0EEENS1_30default_config_static_selectorELNS0_4arch9wavefront6targetE1EEEvT1_.has_dyn_sized_stack, 0
	.set _ZN7rocprim17ROCPRIM_400000_NS6detail17trampoline_kernelINS0_14default_configENS1_20scan_config_selectorIN3c104HalfEEEZZNS1_9scan_implILNS1_25lookback_scan_determinismE0ELb0ELb0ES3_PKS6_PS6_S6_ZZZN2at6native31launch_logcumsumexp_cuda_kernelERKNSD_10TensorBaseESH_lENKUlvE_clEvENKUlvE3_clEvEUlS6_S6_E_S6_EEDaPvRmT3_T4_T5_mT6_P12ihipStream_tbENKUlT_T0_E_clISt17integral_constantIbLb0EESX_IbLb1EEEEDaST_SU_EUlST_E0_NS1_11comp_targetILNS1_3genE5ELNS1_11target_archE942ELNS1_3gpuE9ELNS1_3repE0EEENS1_30default_config_static_selectorELNS0_4arch9wavefront6targetE1EEEvT1_.has_recursion, 0
	.set _ZN7rocprim17ROCPRIM_400000_NS6detail17trampoline_kernelINS0_14default_configENS1_20scan_config_selectorIN3c104HalfEEEZZNS1_9scan_implILNS1_25lookback_scan_determinismE0ELb0ELb0ES3_PKS6_PS6_S6_ZZZN2at6native31launch_logcumsumexp_cuda_kernelERKNSD_10TensorBaseESH_lENKUlvE_clEvENKUlvE3_clEvEUlS6_S6_E_S6_EEDaPvRmT3_T4_T5_mT6_P12ihipStream_tbENKUlT_T0_E_clISt17integral_constantIbLb0EESX_IbLb1EEEEDaST_SU_EUlST_E0_NS1_11comp_targetILNS1_3genE5ELNS1_11target_archE942ELNS1_3gpuE9ELNS1_3repE0EEENS1_30default_config_static_selectorELNS0_4arch9wavefront6targetE1EEEvT1_.has_indirect_call, 0
	.section	.AMDGPU.csdata,"",@progbits
; Kernel info:
; codeLenInByte = 0
; TotalNumSgprs: 6
; NumVgprs: 0
; NumAgprs: 0
; TotalNumVgprs: 0
; ScratchSize: 0
; MemoryBound: 0
; FloatMode: 240
; IeeeMode: 1
; LDSByteSize: 0 bytes/workgroup (compile time only)
; SGPRBlocks: 0
; VGPRBlocks: 0
; NumSGPRsForWavesPerEU: 6
; NumVGPRsForWavesPerEU: 1
; AccumOffset: 4
; Occupancy: 8
; WaveLimiterHint : 0
; COMPUTE_PGM_RSRC2:SCRATCH_EN: 0
; COMPUTE_PGM_RSRC2:USER_SGPR: 2
; COMPUTE_PGM_RSRC2:TRAP_HANDLER: 0
; COMPUTE_PGM_RSRC2:TGID_X_EN: 1
; COMPUTE_PGM_RSRC2:TGID_Y_EN: 0
; COMPUTE_PGM_RSRC2:TGID_Z_EN: 0
; COMPUTE_PGM_RSRC2:TIDIG_COMP_CNT: 0
; COMPUTE_PGM_RSRC3_GFX90A:ACCUM_OFFSET: 0
; COMPUTE_PGM_RSRC3_GFX90A:TG_SPLIT: 0
	.section	.text._ZN7rocprim17ROCPRIM_400000_NS6detail17trampoline_kernelINS0_14default_configENS1_20scan_config_selectorIN3c104HalfEEEZZNS1_9scan_implILNS1_25lookback_scan_determinismE0ELb0ELb0ES3_PKS6_PS6_S6_ZZZN2at6native31launch_logcumsumexp_cuda_kernelERKNSD_10TensorBaseESH_lENKUlvE_clEvENKUlvE3_clEvEUlS6_S6_E_S6_EEDaPvRmT3_T4_T5_mT6_P12ihipStream_tbENKUlT_T0_E_clISt17integral_constantIbLb0EESX_IbLb1EEEEDaST_SU_EUlST_E0_NS1_11comp_targetILNS1_3genE4ELNS1_11target_archE910ELNS1_3gpuE8ELNS1_3repE0EEENS1_30default_config_static_selectorELNS0_4arch9wavefront6targetE1EEEvT1_,"axG",@progbits,_ZN7rocprim17ROCPRIM_400000_NS6detail17trampoline_kernelINS0_14default_configENS1_20scan_config_selectorIN3c104HalfEEEZZNS1_9scan_implILNS1_25lookback_scan_determinismE0ELb0ELb0ES3_PKS6_PS6_S6_ZZZN2at6native31launch_logcumsumexp_cuda_kernelERKNSD_10TensorBaseESH_lENKUlvE_clEvENKUlvE3_clEvEUlS6_S6_E_S6_EEDaPvRmT3_T4_T5_mT6_P12ihipStream_tbENKUlT_T0_E_clISt17integral_constantIbLb0EESX_IbLb1EEEEDaST_SU_EUlST_E0_NS1_11comp_targetILNS1_3genE4ELNS1_11target_archE910ELNS1_3gpuE8ELNS1_3repE0EEENS1_30default_config_static_selectorELNS0_4arch9wavefront6targetE1EEEvT1_,comdat
	.globl	_ZN7rocprim17ROCPRIM_400000_NS6detail17trampoline_kernelINS0_14default_configENS1_20scan_config_selectorIN3c104HalfEEEZZNS1_9scan_implILNS1_25lookback_scan_determinismE0ELb0ELb0ES3_PKS6_PS6_S6_ZZZN2at6native31launch_logcumsumexp_cuda_kernelERKNSD_10TensorBaseESH_lENKUlvE_clEvENKUlvE3_clEvEUlS6_S6_E_S6_EEDaPvRmT3_T4_T5_mT6_P12ihipStream_tbENKUlT_T0_E_clISt17integral_constantIbLb0EESX_IbLb1EEEEDaST_SU_EUlST_E0_NS1_11comp_targetILNS1_3genE4ELNS1_11target_archE910ELNS1_3gpuE8ELNS1_3repE0EEENS1_30default_config_static_selectorELNS0_4arch9wavefront6targetE1EEEvT1_ ; -- Begin function _ZN7rocprim17ROCPRIM_400000_NS6detail17trampoline_kernelINS0_14default_configENS1_20scan_config_selectorIN3c104HalfEEEZZNS1_9scan_implILNS1_25lookback_scan_determinismE0ELb0ELb0ES3_PKS6_PS6_S6_ZZZN2at6native31launch_logcumsumexp_cuda_kernelERKNSD_10TensorBaseESH_lENKUlvE_clEvENKUlvE3_clEvEUlS6_S6_E_S6_EEDaPvRmT3_T4_T5_mT6_P12ihipStream_tbENKUlT_T0_E_clISt17integral_constantIbLb0EESX_IbLb1EEEEDaST_SU_EUlST_E0_NS1_11comp_targetILNS1_3genE4ELNS1_11target_archE910ELNS1_3gpuE8ELNS1_3repE0EEENS1_30default_config_static_selectorELNS0_4arch9wavefront6targetE1EEEvT1_
	.p2align	8
	.type	_ZN7rocprim17ROCPRIM_400000_NS6detail17trampoline_kernelINS0_14default_configENS1_20scan_config_selectorIN3c104HalfEEEZZNS1_9scan_implILNS1_25lookback_scan_determinismE0ELb0ELb0ES3_PKS6_PS6_S6_ZZZN2at6native31launch_logcumsumexp_cuda_kernelERKNSD_10TensorBaseESH_lENKUlvE_clEvENKUlvE3_clEvEUlS6_S6_E_S6_EEDaPvRmT3_T4_T5_mT6_P12ihipStream_tbENKUlT_T0_E_clISt17integral_constantIbLb0EESX_IbLb1EEEEDaST_SU_EUlST_E0_NS1_11comp_targetILNS1_3genE4ELNS1_11target_archE910ELNS1_3gpuE8ELNS1_3repE0EEENS1_30default_config_static_selectorELNS0_4arch9wavefront6targetE1EEEvT1_,@function
_ZN7rocprim17ROCPRIM_400000_NS6detail17trampoline_kernelINS0_14default_configENS1_20scan_config_selectorIN3c104HalfEEEZZNS1_9scan_implILNS1_25lookback_scan_determinismE0ELb0ELb0ES3_PKS6_PS6_S6_ZZZN2at6native31launch_logcumsumexp_cuda_kernelERKNSD_10TensorBaseESH_lENKUlvE_clEvENKUlvE3_clEvEUlS6_S6_E_S6_EEDaPvRmT3_T4_T5_mT6_P12ihipStream_tbENKUlT_T0_E_clISt17integral_constantIbLb0EESX_IbLb1EEEEDaST_SU_EUlST_E0_NS1_11comp_targetILNS1_3genE4ELNS1_11target_archE910ELNS1_3gpuE8ELNS1_3repE0EEENS1_30default_config_static_selectorELNS0_4arch9wavefront6targetE1EEEvT1_: ; @_ZN7rocprim17ROCPRIM_400000_NS6detail17trampoline_kernelINS0_14default_configENS1_20scan_config_selectorIN3c104HalfEEEZZNS1_9scan_implILNS1_25lookback_scan_determinismE0ELb0ELb0ES3_PKS6_PS6_S6_ZZZN2at6native31launch_logcumsumexp_cuda_kernelERKNSD_10TensorBaseESH_lENKUlvE_clEvENKUlvE3_clEvEUlS6_S6_E_S6_EEDaPvRmT3_T4_T5_mT6_P12ihipStream_tbENKUlT_T0_E_clISt17integral_constantIbLb0EESX_IbLb1EEEEDaST_SU_EUlST_E0_NS1_11comp_targetILNS1_3genE4ELNS1_11target_archE910ELNS1_3gpuE8ELNS1_3repE0EEENS1_30default_config_static_selectorELNS0_4arch9wavefront6targetE1EEEvT1_
; %bb.0:
	.section	.rodata,"a",@progbits
	.p2align	6, 0x0
	.amdhsa_kernel _ZN7rocprim17ROCPRIM_400000_NS6detail17trampoline_kernelINS0_14default_configENS1_20scan_config_selectorIN3c104HalfEEEZZNS1_9scan_implILNS1_25lookback_scan_determinismE0ELb0ELb0ES3_PKS6_PS6_S6_ZZZN2at6native31launch_logcumsumexp_cuda_kernelERKNSD_10TensorBaseESH_lENKUlvE_clEvENKUlvE3_clEvEUlS6_S6_E_S6_EEDaPvRmT3_T4_T5_mT6_P12ihipStream_tbENKUlT_T0_E_clISt17integral_constantIbLb0EESX_IbLb1EEEEDaST_SU_EUlST_E0_NS1_11comp_targetILNS1_3genE4ELNS1_11target_archE910ELNS1_3gpuE8ELNS1_3repE0EEENS1_30default_config_static_selectorELNS0_4arch9wavefront6targetE1EEEvT1_
		.amdhsa_group_segment_fixed_size 0
		.amdhsa_private_segment_fixed_size 0
		.amdhsa_kernarg_size 32
		.amdhsa_user_sgpr_count 2
		.amdhsa_user_sgpr_dispatch_ptr 0
		.amdhsa_user_sgpr_queue_ptr 0
		.amdhsa_user_sgpr_kernarg_segment_ptr 1
		.amdhsa_user_sgpr_dispatch_id 0
		.amdhsa_user_sgpr_kernarg_preload_length 0
		.amdhsa_user_sgpr_kernarg_preload_offset 0
		.amdhsa_user_sgpr_private_segment_size 0
		.amdhsa_uses_dynamic_stack 0
		.amdhsa_enable_private_segment 0
		.amdhsa_system_sgpr_workgroup_id_x 1
		.amdhsa_system_sgpr_workgroup_id_y 0
		.amdhsa_system_sgpr_workgroup_id_z 0
		.amdhsa_system_sgpr_workgroup_info 0
		.amdhsa_system_vgpr_workitem_id 0
		.amdhsa_next_free_vgpr 1
		.amdhsa_next_free_sgpr 0
		.amdhsa_accum_offset 4
		.amdhsa_reserve_vcc 0
		.amdhsa_float_round_mode_32 0
		.amdhsa_float_round_mode_16_64 0
		.amdhsa_float_denorm_mode_32 3
		.amdhsa_float_denorm_mode_16_64 3
		.amdhsa_dx10_clamp 1
		.amdhsa_ieee_mode 1
		.amdhsa_fp16_overflow 0
		.amdhsa_tg_split 0
		.amdhsa_exception_fp_ieee_invalid_op 0
		.amdhsa_exception_fp_denorm_src 0
		.amdhsa_exception_fp_ieee_div_zero 0
		.amdhsa_exception_fp_ieee_overflow 0
		.amdhsa_exception_fp_ieee_underflow 0
		.amdhsa_exception_fp_ieee_inexact 0
		.amdhsa_exception_int_div_zero 0
	.end_amdhsa_kernel
	.section	.text._ZN7rocprim17ROCPRIM_400000_NS6detail17trampoline_kernelINS0_14default_configENS1_20scan_config_selectorIN3c104HalfEEEZZNS1_9scan_implILNS1_25lookback_scan_determinismE0ELb0ELb0ES3_PKS6_PS6_S6_ZZZN2at6native31launch_logcumsumexp_cuda_kernelERKNSD_10TensorBaseESH_lENKUlvE_clEvENKUlvE3_clEvEUlS6_S6_E_S6_EEDaPvRmT3_T4_T5_mT6_P12ihipStream_tbENKUlT_T0_E_clISt17integral_constantIbLb0EESX_IbLb1EEEEDaST_SU_EUlST_E0_NS1_11comp_targetILNS1_3genE4ELNS1_11target_archE910ELNS1_3gpuE8ELNS1_3repE0EEENS1_30default_config_static_selectorELNS0_4arch9wavefront6targetE1EEEvT1_,"axG",@progbits,_ZN7rocprim17ROCPRIM_400000_NS6detail17trampoline_kernelINS0_14default_configENS1_20scan_config_selectorIN3c104HalfEEEZZNS1_9scan_implILNS1_25lookback_scan_determinismE0ELb0ELb0ES3_PKS6_PS6_S6_ZZZN2at6native31launch_logcumsumexp_cuda_kernelERKNSD_10TensorBaseESH_lENKUlvE_clEvENKUlvE3_clEvEUlS6_S6_E_S6_EEDaPvRmT3_T4_T5_mT6_P12ihipStream_tbENKUlT_T0_E_clISt17integral_constantIbLb0EESX_IbLb1EEEEDaST_SU_EUlST_E0_NS1_11comp_targetILNS1_3genE4ELNS1_11target_archE910ELNS1_3gpuE8ELNS1_3repE0EEENS1_30default_config_static_selectorELNS0_4arch9wavefront6targetE1EEEvT1_,comdat
.Lfunc_end427:
	.size	_ZN7rocprim17ROCPRIM_400000_NS6detail17trampoline_kernelINS0_14default_configENS1_20scan_config_selectorIN3c104HalfEEEZZNS1_9scan_implILNS1_25lookback_scan_determinismE0ELb0ELb0ES3_PKS6_PS6_S6_ZZZN2at6native31launch_logcumsumexp_cuda_kernelERKNSD_10TensorBaseESH_lENKUlvE_clEvENKUlvE3_clEvEUlS6_S6_E_S6_EEDaPvRmT3_T4_T5_mT6_P12ihipStream_tbENKUlT_T0_E_clISt17integral_constantIbLb0EESX_IbLb1EEEEDaST_SU_EUlST_E0_NS1_11comp_targetILNS1_3genE4ELNS1_11target_archE910ELNS1_3gpuE8ELNS1_3repE0EEENS1_30default_config_static_selectorELNS0_4arch9wavefront6targetE1EEEvT1_, .Lfunc_end427-_ZN7rocprim17ROCPRIM_400000_NS6detail17trampoline_kernelINS0_14default_configENS1_20scan_config_selectorIN3c104HalfEEEZZNS1_9scan_implILNS1_25lookback_scan_determinismE0ELb0ELb0ES3_PKS6_PS6_S6_ZZZN2at6native31launch_logcumsumexp_cuda_kernelERKNSD_10TensorBaseESH_lENKUlvE_clEvENKUlvE3_clEvEUlS6_S6_E_S6_EEDaPvRmT3_T4_T5_mT6_P12ihipStream_tbENKUlT_T0_E_clISt17integral_constantIbLb0EESX_IbLb1EEEEDaST_SU_EUlST_E0_NS1_11comp_targetILNS1_3genE4ELNS1_11target_archE910ELNS1_3gpuE8ELNS1_3repE0EEENS1_30default_config_static_selectorELNS0_4arch9wavefront6targetE1EEEvT1_
                                        ; -- End function
	.set _ZN7rocprim17ROCPRIM_400000_NS6detail17trampoline_kernelINS0_14default_configENS1_20scan_config_selectorIN3c104HalfEEEZZNS1_9scan_implILNS1_25lookback_scan_determinismE0ELb0ELb0ES3_PKS6_PS6_S6_ZZZN2at6native31launch_logcumsumexp_cuda_kernelERKNSD_10TensorBaseESH_lENKUlvE_clEvENKUlvE3_clEvEUlS6_S6_E_S6_EEDaPvRmT3_T4_T5_mT6_P12ihipStream_tbENKUlT_T0_E_clISt17integral_constantIbLb0EESX_IbLb1EEEEDaST_SU_EUlST_E0_NS1_11comp_targetILNS1_3genE4ELNS1_11target_archE910ELNS1_3gpuE8ELNS1_3repE0EEENS1_30default_config_static_selectorELNS0_4arch9wavefront6targetE1EEEvT1_.num_vgpr, 0
	.set _ZN7rocprim17ROCPRIM_400000_NS6detail17trampoline_kernelINS0_14default_configENS1_20scan_config_selectorIN3c104HalfEEEZZNS1_9scan_implILNS1_25lookback_scan_determinismE0ELb0ELb0ES3_PKS6_PS6_S6_ZZZN2at6native31launch_logcumsumexp_cuda_kernelERKNSD_10TensorBaseESH_lENKUlvE_clEvENKUlvE3_clEvEUlS6_S6_E_S6_EEDaPvRmT3_T4_T5_mT6_P12ihipStream_tbENKUlT_T0_E_clISt17integral_constantIbLb0EESX_IbLb1EEEEDaST_SU_EUlST_E0_NS1_11comp_targetILNS1_3genE4ELNS1_11target_archE910ELNS1_3gpuE8ELNS1_3repE0EEENS1_30default_config_static_selectorELNS0_4arch9wavefront6targetE1EEEvT1_.num_agpr, 0
	.set _ZN7rocprim17ROCPRIM_400000_NS6detail17trampoline_kernelINS0_14default_configENS1_20scan_config_selectorIN3c104HalfEEEZZNS1_9scan_implILNS1_25lookback_scan_determinismE0ELb0ELb0ES3_PKS6_PS6_S6_ZZZN2at6native31launch_logcumsumexp_cuda_kernelERKNSD_10TensorBaseESH_lENKUlvE_clEvENKUlvE3_clEvEUlS6_S6_E_S6_EEDaPvRmT3_T4_T5_mT6_P12ihipStream_tbENKUlT_T0_E_clISt17integral_constantIbLb0EESX_IbLb1EEEEDaST_SU_EUlST_E0_NS1_11comp_targetILNS1_3genE4ELNS1_11target_archE910ELNS1_3gpuE8ELNS1_3repE0EEENS1_30default_config_static_selectorELNS0_4arch9wavefront6targetE1EEEvT1_.numbered_sgpr, 0
	.set _ZN7rocprim17ROCPRIM_400000_NS6detail17trampoline_kernelINS0_14default_configENS1_20scan_config_selectorIN3c104HalfEEEZZNS1_9scan_implILNS1_25lookback_scan_determinismE0ELb0ELb0ES3_PKS6_PS6_S6_ZZZN2at6native31launch_logcumsumexp_cuda_kernelERKNSD_10TensorBaseESH_lENKUlvE_clEvENKUlvE3_clEvEUlS6_S6_E_S6_EEDaPvRmT3_T4_T5_mT6_P12ihipStream_tbENKUlT_T0_E_clISt17integral_constantIbLb0EESX_IbLb1EEEEDaST_SU_EUlST_E0_NS1_11comp_targetILNS1_3genE4ELNS1_11target_archE910ELNS1_3gpuE8ELNS1_3repE0EEENS1_30default_config_static_selectorELNS0_4arch9wavefront6targetE1EEEvT1_.num_named_barrier, 0
	.set _ZN7rocprim17ROCPRIM_400000_NS6detail17trampoline_kernelINS0_14default_configENS1_20scan_config_selectorIN3c104HalfEEEZZNS1_9scan_implILNS1_25lookback_scan_determinismE0ELb0ELb0ES3_PKS6_PS6_S6_ZZZN2at6native31launch_logcumsumexp_cuda_kernelERKNSD_10TensorBaseESH_lENKUlvE_clEvENKUlvE3_clEvEUlS6_S6_E_S6_EEDaPvRmT3_T4_T5_mT6_P12ihipStream_tbENKUlT_T0_E_clISt17integral_constantIbLb0EESX_IbLb1EEEEDaST_SU_EUlST_E0_NS1_11comp_targetILNS1_3genE4ELNS1_11target_archE910ELNS1_3gpuE8ELNS1_3repE0EEENS1_30default_config_static_selectorELNS0_4arch9wavefront6targetE1EEEvT1_.private_seg_size, 0
	.set _ZN7rocprim17ROCPRIM_400000_NS6detail17trampoline_kernelINS0_14default_configENS1_20scan_config_selectorIN3c104HalfEEEZZNS1_9scan_implILNS1_25lookback_scan_determinismE0ELb0ELb0ES3_PKS6_PS6_S6_ZZZN2at6native31launch_logcumsumexp_cuda_kernelERKNSD_10TensorBaseESH_lENKUlvE_clEvENKUlvE3_clEvEUlS6_S6_E_S6_EEDaPvRmT3_T4_T5_mT6_P12ihipStream_tbENKUlT_T0_E_clISt17integral_constantIbLb0EESX_IbLb1EEEEDaST_SU_EUlST_E0_NS1_11comp_targetILNS1_3genE4ELNS1_11target_archE910ELNS1_3gpuE8ELNS1_3repE0EEENS1_30default_config_static_selectorELNS0_4arch9wavefront6targetE1EEEvT1_.uses_vcc, 0
	.set _ZN7rocprim17ROCPRIM_400000_NS6detail17trampoline_kernelINS0_14default_configENS1_20scan_config_selectorIN3c104HalfEEEZZNS1_9scan_implILNS1_25lookback_scan_determinismE0ELb0ELb0ES3_PKS6_PS6_S6_ZZZN2at6native31launch_logcumsumexp_cuda_kernelERKNSD_10TensorBaseESH_lENKUlvE_clEvENKUlvE3_clEvEUlS6_S6_E_S6_EEDaPvRmT3_T4_T5_mT6_P12ihipStream_tbENKUlT_T0_E_clISt17integral_constantIbLb0EESX_IbLb1EEEEDaST_SU_EUlST_E0_NS1_11comp_targetILNS1_3genE4ELNS1_11target_archE910ELNS1_3gpuE8ELNS1_3repE0EEENS1_30default_config_static_selectorELNS0_4arch9wavefront6targetE1EEEvT1_.uses_flat_scratch, 0
	.set _ZN7rocprim17ROCPRIM_400000_NS6detail17trampoline_kernelINS0_14default_configENS1_20scan_config_selectorIN3c104HalfEEEZZNS1_9scan_implILNS1_25lookback_scan_determinismE0ELb0ELb0ES3_PKS6_PS6_S6_ZZZN2at6native31launch_logcumsumexp_cuda_kernelERKNSD_10TensorBaseESH_lENKUlvE_clEvENKUlvE3_clEvEUlS6_S6_E_S6_EEDaPvRmT3_T4_T5_mT6_P12ihipStream_tbENKUlT_T0_E_clISt17integral_constantIbLb0EESX_IbLb1EEEEDaST_SU_EUlST_E0_NS1_11comp_targetILNS1_3genE4ELNS1_11target_archE910ELNS1_3gpuE8ELNS1_3repE0EEENS1_30default_config_static_selectorELNS0_4arch9wavefront6targetE1EEEvT1_.has_dyn_sized_stack, 0
	.set _ZN7rocprim17ROCPRIM_400000_NS6detail17trampoline_kernelINS0_14default_configENS1_20scan_config_selectorIN3c104HalfEEEZZNS1_9scan_implILNS1_25lookback_scan_determinismE0ELb0ELb0ES3_PKS6_PS6_S6_ZZZN2at6native31launch_logcumsumexp_cuda_kernelERKNSD_10TensorBaseESH_lENKUlvE_clEvENKUlvE3_clEvEUlS6_S6_E_S6_EEDaPvRmT3_T4_T5_mT6_P12ihipStream_tbENKUlT_T0_E_clISt17integral_constantIbLb0EESX_IbLb1EEEEDaST_SU_EUlST_E0_NS1_11comp_targetILNS1_3genE4ELNS1_11target_archE910ELNS1_3gpuE8ELNS1_3repE0EEENS1_30default_config_static_selectorELNS0_4arch9wavefront6targetE1EEEvT1_.has_recursion, 0
	.set _ZN7rocprim17ROCPRIM_400000_NS6detail17trampoline_kernelINS0_14default_configENS1_20scan_config_selectorIN3c104HalfEEEZZNS1_9scan_implILNS1_25lookback_scan_determinismE0ELb0ELb0ES3_PKS6_PS6_S6_ZZZN2at6native31launch_logcumsumexp_cuda_kernelERKNSD_10TensorBaseESH_lENKUlvE_clEvENKUlvE3_clEvEUlS6_S6_E_S6_EEDaPvRmT3_T4_T5_mT6_P12ihipStream_tbENKUlT_T0_E_clISt17integral_constantIbLb0EESX_IbLb1EEEEDaST_SU_EUlST_E0_NS1_11comp_targetILNS1_3genE4ELNS1_11target_archE910ELNS1_3gpuE8ELNS1_3repE0EEENS1_30default_config_static_selectorELNS0_4arch9wavefront6targetE1EEEvT1_.has_indirect_call, 0
	.section	.AMDGPU.csdata,"",@progbits
; Kernel info:
; codeLenInByte = 0
; TotalNumSgprs: 6
; NumVgprs: 0
; NumAgprs: 0
; TotalNumVgprs: 0
; ScratchSize: 0
; MemoryBound: 0
; FloatMode: 240
; IeeeMode: 1
; LDSByteSize: 0 bytes/workgroup (compile time only)
; SGPRBlocks: 0
; VGPRBlocks: 0
; NumSGPRsForWavesPerEU: 6
; NumVGPRsForWavesPerEU: 1
; AccumOffset: 4
; Occupancy: 8
; WaveLimiterHint : 0
; COMPUTE_PGM_RSRC2:SCRATCH_EN: 0
; COMPUTE_PGM_RSRC2:USER_SGPR: 2
; COMPUTE_PGM_RSRC2:TRAP_HANDLER: 0
; COMPUTE_PGM_RSRC2:TGID_X_EN: 1
; COMPUTE_PGM_RSRC2:TGID_Y_EN: 0
; COMPUTE_PGM_RSRC2:TGID_Z_EN: 0
; COMPUTE_PGM_RSRC2:TIDIG_COMP_CNT: 0
; COMPUTE_PGM_RSRC3_GFX90A:ACCUM_OFFSET: 0
; COMPUTE_PGM_RSRC3_GFX90A:TG_SPLIT: 0
	.section	.text._ZN7rocprim17ROCPRIM_400000_NS6detail17trampoline_kernelINS0_14default_configENS1_20scan_config_selectorIN3c104HalfEEEZZNS1_9scan_implILNS1_25lookback_scan_determinismE0ELb0ELb0ES3_PKS6_PS6_S6_ZZZN2at6native31launch_logcumsumexp_cuda_kernelERKNSD_10TensorBaseESH_lENKUlvE_clEvENKUlvE3_clEvEUlS6_S6_E_S6_EEDaPvRmT3_T4_T5_mT6_P12ihipStream_tbENKUlT_T0_E_clISt17integral_constantIbLb0EESX_IbLb1EEEEDaST_SU_EUlST_E0_NS1_11comp_targetILNS1_3genE3ELNS1_11target_archE908ELNS1_3gpuE7ELNS1_3repE0EEENS1_30default_config_static_selectorELNS0_4arch9wavefront6targetE1EEEvT1_,"axG",@progbits,_ZN7rocprim17ROCPRIM_400000_NS6detail17trampoline_kernelINS0_14default_configENS1_20scan_config_selectorIN3c104HalfEEEZZNS1_9scan_implILNS1_25lookback_scan_determinismE0ELb0ELb0ES3_PKS6_PS6_S6_ZZZN2at6native31launch_logcumsumexp_cuda_kernelERKNSD_10TensorBaseESH_lENKUlvE_clEvENKUlvE3_clEvEUlS6_S6_E_S6_EEDaPvRmT3_T4_T5_mT6_P12ihipStream_tbENKUlT_T0_E_clISt17integral_constantIbLb0EESX_IbLb1EEEEDaST_SU_EUlST_E0_NS1_11comp_targetILNS1_3genE3ELNS1_11target_archE908ELNS1_3gpuE7ELNS1_3repE0EEENS1_30default_config_static_selectorELNS0_4arch9wavefront6targetE1EEEvT1_,comdat
	.globl	_ZN7rocprim17ROCPRIM_400000_NS6detail17trampoline_kernelINS0_14default_configENS1_20scan_config_selectorIN3c104HalfEEEZZNS1_9scan_implILNS1_25lookback_scan_determinismE0ELb0ELb0ES3_PKS6_PS6_S6_ZZZN2at6native31launch_logcumsumexp_cuda_kernelERKNSD_10TensorBaseESH_lENKUlvE_clEvENKUlvE3_clEvEUlS6_S6_E_S6_EEDaPvRmT3_T4_T5_mT6_P12ihipStream_tbENKUlT_T0_E_clISt17integral_constantIbLb0EESX_IbLb1EEEEDaST_SU_EUlST_E0_NS1_11comp_targetILNS1_3genE3ELNS1_11target_archE908ELNS1_3gpuE7ELNS1_3repE0EEENS1_30default_config_static_selectorELNS0_4arch9wavefront6targetE1EEEvT1_ ; -- Begin function _ZN7rocprim17ROCPRIM_400000_NS6detail17trampoline_kernelINS0_14default_configENS1_20scan_config_selectorIN3c104HalfEEEZZNS1_9scan_implILNS1_25lookback_scan_determinismE0ELb0ELb0ES3_PKS6_PS6_S6_ZZZN2at6native31launch_logcumsumexp_cuda_kernelERKNSD_10TensorBaseESH_lENKUlvE_clEvENKUlvE3_clEvEUlS6_S6_E_S6_EEDaPvRmT3_T4_T5_mT6_P12ihipStream_tbENKUlT_T0_E_clISt17integral_constantIbLb0EESX_IbLb1EEEEDaST_SU_EUlST_E0_NS1_11comp_targetILNS1_3genE3ELNS1_11target_archE908ELNS1_3gpuE7ELNS1_3repE0EEENS1_30default_config_static_selectorELNS0_4arch9wavefront6targetE1EEEvT1_
	.p2align	8
	.type	_ZN7rocprim17ROCPRIM_400000_NS6detail17trampoline_kernelINS0_14default_configENS1_20scan_config_selectorIN3c104HalfEEEZZNS1_9scan_implILNS1_25lookback_scan_determinismE0ELb0ELb0ES3_PKS6_PS6_S6_ZZZN2at6native31launch_logcumsumexp_cuda_kernelERKNSD_10TensorBaseESH_lENKUlvE_clEvENKUlvE3_clEvEUlS6_S6_E_S6_EEDaPvRmT3_T4_T5_mT6_P12ihipStream_tbENKUlT_T0_E_clISt17integral_constantIbLb0EESX_IbLb1EEEEDaST_SU_EUlST_E0_NS1_11comp_targetILNS1_3genE3ELNS1_11target_archE908ELNS1_3gpuE7ELNS1_3repE0EEENS1_30default_config_static_selectorELNS0_4arch9wavefront6targetE1EEEvT1_,@function
_ZN7rocprim17ROCPRIM_400000_NS6detail17trampoline_kernelINS0_14default_configENS1_20scan_config_selectorIN3c104HalfEEEZZNS1_9scan_implILNS1_25lookback_scan_determinismE0ELb0ELb0ES3_PKS6_PS6_S6_ZZZN2at6native31launch_logcumsumexp_cuda_kernelERKNSD_10TensorBaseESH_lENKUlvE_clEvENKUlvE3_clEvEUlS6_S6_E_S6_EEDaPvRmT3_T4_T5_mT6_P12ihipStream_tbENKUlT_T0_E_clISt17integral_constantIbLb0EESX_IbLb1EEEEDaST_SU_EUlST_E0_NS1_11comp_targetILNS1_3genE3ELNS1_11target_archE908ELNS1_3gpuE7ELNS1_3repE0EEENS1_30default_config_static_selectorELNS0_4arch9wavefront6targetE1EEEvT1_: ; @_ZN7rocprim17ROCPRIM_400000_NS6detail17trampoline_kernelINS0_14default_configENS1_20scan_config_selectorIN3c104HalfEEEZZNS1_9scan_implILNS1_25lookback_scan_determinismE0ELb0ELb0ES3_PKS6_PS6_S6_ZZZN2at6native31launch_logcumsumexp_cuda_kernelERKNSD_10TensorBaseESH_lENKUlvE_clEvENKUlvE3_clEvEUlS6_S6_E_S6_EEDaPvRmT3_T4_T5_mT6_P12ihipStream_tbENKUlT_T0_E_clISt17integral_constantIbLb0EESX_IbLb1EEEEDaST_SU_EUlST_E0_NS1_11comp_targetILNS1_3genE3ELNS1_11target_archE908ELNS1_3gpuE7ELNS1_3repE0EEENS1_30default_config_static_selectorELNS0_4arch9wavefront6targetE1EEEvT1_
; %bb.0:
	.section	.rodata,"a",@progbits
	.p2align	6, 0x0
	.amdhsa_kernel _ZN7rocprim17ROCPRIM_400000_NS6detail17trampoline_kernelINS0_14default_configENS1_20scan_config_selectorIN3c104HalfEEEZZNS1_9scan_implILNS1_25lookback_scan_determinismE0ELb0ELb0ES3_PKS6_PS6_S6_ZZZN2at6native31launch_logcumsumexp_cuda_kernelERKNSD_10TensorBaseESH_lENKUlvE_clEvENKUlvE3_clEvEUlS6_S6_E_S6_EEDaPvRmT3_T4_T5_mT6_P12ihipStream_tbENKUlT_T0_E_clISt17integral_constantIbLb0EESX_IbLb1EEEEDaST_SU_EUlST_E0_NS1_11comp_targetILNS1_3genE3ELNS1_11target_archE908ELNS1_3gpuE7ELNS1_3repE0EEENS1_30default_config_static_selectorELNS0_4arch9wavefront6targetE1EEEvT1_
		.amdhsa_group_segment_fixed_size 0
		.amdhsa_private_segment_fixed_size 0
		.amdhsa_kernarg_size 32
		.amdhsa_user_sgpr_count 2
		.amdhsa_user_sgpr_dispatch_ptr 0
		.amdhsa_user_sgpr_queue_ptr 0
		.amdhsa_user_sgpr_kernarg_segment_ptr 1
		.amdhsa_user_sgpr_dispatch_id 0
		.amdhsa_user_sgpr_kernarg_preload_length 0
		.amdhsa_user_sgpr_kernarg_preload_offset 0
		.amdhsa_user_sgpr_private_segment_size 0
		.amdhsa_uses_dynamic_stack 0
		.amdhsa_enable_private_segment 0
		.amdhsa_system_sgpr_workgroup_id_x 1
		.amdhsa_system_sgpr_workgroup_id_y 0
		.amdhsa_system_sgpr_workgroup_id_z 0
		.amdhsa_system_sgpr_workgroup_info 0
		.amdhsa_system_vgpr_workitem_id 0
		.amdhsa_next_free_vgpr 1
		.amdhsa_next_free_sgpr 0
		.amdhsa_accum_offset 4
		.amdhsa_reserve_vcc 0
		.amdhsa_float_round_mode_32 0
		.amdhsa_float_round_mode_16_64 0
		.amdhsa_float_denorm_mode_32 3
		.amdhsa_float_denorm_mode_16_64 3
		.amdhsa_dx10_clamp 1
		.amdhsa_ieee_mode 1
		.amdhsa_fp16_overflow 0
		.amdhsa_tg_split 0
		.amdhsa_exception_fp_ieee_invalid_op 0
		.amdhsa_exception_fp_denorm_src 0
		.amdhsa_exception_fp_ieee_div_zero 0
		.amdhsa_exception_fp_ieee_overflow 0
		.amdhsa_exception_fp_ieee_underflow 0
		.amdhsa_exception_fp_ieee_inexact 0
		.amdhsa_exception_int_div_zero 0
	.end_amdhsa_kernel
	.section	.text._ZN7rocprim17ROCPRIM_400000_NS6detail17trampoline_kernelINS0_14default_configENS1_20scan_config_selectorIN3c104HalfEEEZZNS1_9scan_implILNS1_25lookback_scan_determinismE0ELb0ELb0ES3_PKS6_PS6_S6_ZZZN2at6native31launch_logcumsumexp_cuda_kernelERKNSD_10TensorBaseESH_lENKUlvE_clEvENKUlvE3_clEvEUlS6_S6_E_S6_EEDaPvRmT3_T4_T5_mT6_P12ihipStream_tbENKUlT_T0_E_clISt17integral_constantIbLb0EESX_IbLb1EEEEDaST_SU_EUlST_E0_NS1_11comp_targetILNS1_3genE3ELNS1_11target_archE908ELNS1_3gpuE7ELNS1_3repE0EEENS1_30default_config_static_selectorELNS0_4arch9wavefront6targetE1EEEvT1_,"axG",@progbits,_ZN7rocprim17ROCPRIM_400000_NS6detail17trampoline_kernelINS0_14default_configENS1_20scan_config_selectorIN3c104HalfEEEZZNS1_9scan_implILNS1_25lookback_scan_determinismE0ELb0ELb0ES3_PKS6_PS6_S6_ZZZN2at6native31launch_logcumsumexp_cuda_kernelERKNSD_10TensorBaseESH_lENKUlvE_clEvENKUlvE3_clEvEUlS6_S6_E_S6_EEDaPvRmT3_T4_T5_mT6_P12ihipStream_tbENKUlT_T0_E_clISt17integral_constantIbLb0EESX_IbLb1EEEEDaST_SU_EUlST_E0_NS1_11comp_targetILNS1_3genE3ELNS1_11target_archE908ELNS1_3gpuE7ELNS1_3repE0EEENS1_30default_config_static_selectorELNS0_4arch9wavefront6targetE1EEEvT1_,comdat
.Lfunc_end428:
	.size	_ZN7rocprim17ROCPRIM_400000_NS6detail17trampoline_kernelINS0_14default_configENS1_20scan_config_selectorIN3c104HalfEEEZZNS1_9scan_implILNS1_25lookback_scan_determinismE0ELb0ELb0ES3_PKS6_PS6_S6_ZZZN2at6native31launch_logcumsumexp_cuda_kernelERKNSD_10TensorBaseESH_lENKUlvE_clEvENKUlvE3_clEvEUlS6_S6_E_S6_EEDaPvRmT3_T4_T5_mT6_P12ihipStream_tbENKUlT_T0_E_clISt17integral_constantIbLb0EESX_IbLb1EEEEDaST_SU_EUlST_E0_NS1_11comp_targetILNS1_3genE3ELNS1_11target_archE908ELNS1_3gpuE7ELNS1_3repE0EEENS1_30default_config_static_selectorELNS0_4arch9wavefront6targetE1EEEvT1_, .Lfunc_end428-_ZN7rocprim17ROCPRIM_400000_NS6detail17trampoline_kernelINS0_14default_configENS1_20scan_config_selectorIN3c104HalfEEEZZNS1_9scan_implILNS1_25lookback_scan_determinismE0ELb0ELb0ES3_PKS6_PS6_S6_ZZZN2at6native31launch_logcumsumexp_cuda_kernelERKNSD_10TensorBaseESH_lENKUlvE_clEvENKUlvE3_clEvEUlS6_S6_E_S6_EEDaPvRmT3_T4_T5_mT6_P12ihipStream_tbENKUlT_T0_E_clISt17integral_constantIbLb0EESX_IbLb1EEEEDaST_SU_EUlST_E0_NS1_11comp_targetILNS1_3genE3ELNS1_11target_archE908ELNS1_3gpuE7ELNS1_3repE0EEENS1_30default_config_static_selectorELNS0_4arch9wavefront6targetE1EEEvT1_
                                        ; -- End function
	.set _ZN7rocprim17ROCPRIM_400000_NS6detail17trampoline_kernelINS0_14default_configENS1_20scan_config_selectorIN3c104HalfEEEZZNS1_9scan_implILNS1_25lookback_scan_determinismE0ELb0ELb0ES3_PKS6_PS6_S6_ZZZN2at6native31launch_logcumsumexp_cuda_kernelERKNSD_10TensorBaseESH_lENKUlvE_clEvENKUlvE3_clEvEUlS6_S6_E_S6_EEDaPvRmT3_T4_T5_mT6_P12ihipStream_tbENKUlT_T0_E_clISt17integral_constantIbLb0EESX_IbLb1EEEEDaST_SU_EUlST_E0_NS1_11comp_targetILNS1_3genE3ELNS1_11target_archE908ELNS1_3gpuE7ELNS1_3repE0EEENS1_30default_config_static_selectorELNS0_4arch9wavefront6targetE1EEEvT1_.num_vgpr, 0
	.set _ZN7rocprim17ROCPRIM_400000_NS6detail17trampoline_kernelINS0_14default_configENS1_20scan_config_selectorIN3c104HalfEEEZZNS1_9scan_implILNS1_25lookback_scan_determinismE0ELb0ELb0ES3_PKS6_PS6_S6_ZZZN2at6native31launch_logcumsumexp_cuda_kernelERKNSD_10TensorBaseESH_lENKUlvE_clEvENKUlvE3_clEvEUlS6_S6_E_S6_EEDaPvRmT3_T4_T5_mT6_P12ihipStream_tbENKUlT_T0_E_clISt17integral_constantIbLb0EESX_IbLb1EEEEDaST_SU_EUlST_E0_NS1_11comp_targetILNS1_3genE3ELNS1_11target_archE908ELNS1_3gpuE7ELNS1_3repE0EEENS1_30default_config_static_selectorELNS0_4arch9wavefront6targetE1EEEvT1_.num_agpr, 0
	.set _ZN7rocprim17ROCPRIM_400000_NS6detail17trampoline_kernelINS0_14default_configENS1_20scan_config_selectorIN3c104HalfEEEZZNS1_9scan_implILNS1_25lookback_scan_determinismE0ELb0ELb0ES3_PKS6_PS6_S6_ZZZN2at6native31launch_logcumsumexp_cuda_kernelERKNSD_10TensorBaseESH_lENKUlvE_clEvENKUlvE3_clEvEUlS6_S6_E_S6_EEDaPvRmT3_T4_T5_mT6_P12ihipStream_tbENKUlT_T0_E_clISt17integral_constantIbLb0EESX_IbLb1EEEEDaST_SU_EUlST_E0_NS1_11comp_targetILNS1_3genE3ELNS1_11target_archE908ELNS1_3gpuE7ELNS1_3repE0EEENS1_30default_config_static_selectorELNS0_4arch9wavefront6targetE1EEEvT1_.numbered_sgpr, 0
	.set _ZN7rocprim17ROCPRIM_400000_NS6detail17trampoline_kernelINS0_14default_configENS1_20scan_config_selectorIN3c104HalfEEEZZNS1_9scan_implILNS1_25lookback_scan_determinismE0ELb0ELb0ES3_PKS6_PS6_S6_ZZZN2at6native31launch_logcumsumexp_cuda_kernelERKNSD_10TensorBaseESH_lENKUlvE_clEvENKUlvE3_clEvEUlS6_S6_E_S6_EEDaPvRmT3_T4_T5_mT6_P12ihipStream_tbENKUlT_T0_E_clISt17integral_constantIbLb0EESX_IbLb1EEEEDaST_SU_EUlST_E0_NS1_11comp_targetILNS1_3genE3ELNS1_11target_archE908ELNS1_3gpuE7ELNS1_3repE0EEENS1_30default_config_static_selectorELNS0_4arch9wavefront6targetE1EEEvT1_.num_named_barrier, 0
	.set _ZN7rocprim17ROCPRIM_400000_NS6detail17trampoline_kernelINS0_14default_configENS1_20scan_config_selectorIN3c104HalfEEEZZNS1_9scan_implILNS1_25lookback_scan_determinismE0ELb0ELb0ES3_PKS6_PS6_S6_ZZZN2at6native31launch_logcumsumexp_cuda_kernelERKNSD_10TensorBaseESH_lENKUlvE_clEvENKUlvE3_clEvEUlS6_S6_E_S6_EEDaPvRmT3_T4_T5_mT6_P12ihipStream_tbENKUlT_T0_E_clISt17integral_constantIbLb0EESX_IbLb1EEEEDaST_SU_EUlST_E0_NS1_11comp_targetILNS1_3genE3ELNS1_11target_archE908ELNS1_3gpuE7ELNS1_3repE0EEENS1_30default_config_static_selectorELNS0_4arch9wavefront6targetE1EEEvT1_.private_seg_size, 0
	.set _ZN7rocprim17ROCPRIM_400000_NS6detail17trampoline_kernelINS0_14default_configENS1_20scan_config_selectorIN3c104HalfEEEZZNS1_9scan_implILNS1_25lookback_scan_determinismE0ELb0ELb0ES3_PKS6_PS6_S6_ZZZN2at6native31launch_logcumsumexp_cuda_kernelERKNSD_10TensorBaseESH_lENKUlvE_clEvENKUlvE3_clEvEUlS6_S6_E_S6_EEDaPvRmT3_T4_T5_mT6_P12ihipStream_tbENKUlT_T0_E_clISt17integral_constantIbLb0EESX_IbLb1EEEEDaST_SU_EUlST_E0_NS1_11comp_targetILNS1_3genE3ELNS1_11target_archE908ELNS1_3gpuE7ELNS1_3repE0EEENS1_30default_config_static_selectorELNS0_4arch9wavefront6targetE1EEEvT1_.uses_vcc, 0
	.set _ZN7rocprim17ROCPRIM_400000_NS6detail17trampoline_kernelINS0_14default_configENS1_20scan_config_selectorIN3c104HalfEEEZZNS1_9scan_implILNS1_25lookback_scan_determinismE0ELb0ELb0ES3_PKS6_PS6_S6_ZZZN2at6native31launch_logcumsumexp_cuda_kernelERKNSD_10TensorBaseESH_lENKUlvE_clEvENKUlvE3_clEvEUlS6_S6_E_S6_EEDaPvRmT3_T4_T5_mT6_P12ihipStream_tbENKUlT_T0_E_clISt17integral_constantIbLb0EESX_IbLb1EEEEDaST_SU_EUlST_E0_NS1_11comp_targetILNS1_3genE3ELNS1_11target_archE908ELNS1_3gpuE7ELNS1_3repE0EEENS1_30default_config_static_selectorELNS0_4arch9wavefront6targetE1EEEvT1_.uses_flat_scratch, 0
	.set _ZN7rocprim17ROCPRIM_400000_NS6detail17trampoline_kernelINS0_14default_configENS1_20scan_config_selectorIN3c104HalfEEEZZNS1_9scan_implILNS1_25lookback_scan_determinismE0ELb0ELb0ES3_PKS6_PS6_S6_ZZZN2at6native31launch_logcumsumexp_cuda_kernelERKNSD_10TensorBaseESH_lENKUlvE_clEvENKUlvE3_clEvEUlS6_S6_E_S6_EEDaPvRmT3_T4_T5_mT6_P12ihipStream_tbENKUlT_T0_E_clISt17integral_constantIbLb0EESX_IbLb1EEEEDaST_SU_EUlST_E0_NS1_11comp_targetILNS1_3genE3ELNS1_11target_archE908ELNS1_3gpuE7ELNS1_3repE0EEENS1_30default_config_static_selectorELNS0_4arch9wavefront6targetE1EEEvT1_.has_dyn_sized_stack, 0
	.set _ZN7rocprim17ROCPRIM_400000_NS6detail17trampoline_kernelINS0_14default_configENS1_20scan_config_selectorIN3c104HalfEEEZZNS1_9scan_implILNS1_25lookback_scan_determinismE0ELb0ELb0ES3_PKS6_PS6_S6_ZZZN2at6native31launch_logcumsumexp_cuda_kernelERKNSD_10TensorBaseESH_lENKUlvE_clEvENKUlvE3_clEvEUlS6_S6_E_S6_EEDaPvRmT3_T4_T5_mT6_P12ihipStream_tbENKUlT_T0_E_clISt17integral_constantIbLb0EESX_IbLb1EEEEDaST_SU_EUlST_E0_NS1_11comp_targetILNS1_3genE3ELNS1_11target_archE908ELNS1_3gpuE7ELNS1_3repE0EEENS1_30default_config_static_selectorELNS0_4arch9wavefront6targetE1EEEvT1_.has_recursion, 0
	.set _ZN7rocprim17ROCPRIM_400000_NS6detail17trampoline_kernelINS0_14default_configENS1_20scan_config_selectorIN3c104HalfEEEZZNS1_9scan_implILNS1_25lookback_scan_determinismE0ELb0ELb0ES3_PKS6_PS6_S6_ZZZN2at6native31launch_logcumsumexp_cuda_kernelERKNSD_10TensorBaseESH_lENKUlvE_clEvENKUlvE3_clEvEUlS6_S6_E_S6_EEDaPvRmT3_T4_T5_mT6_P12ihipStream_tbENKUlT_T0_E_clISt17integral_constantIbLb0EESX_IbLb1EEEEDaST_SU_EUlST_E0_NS1_11comp_targetILNS1_3genE3ELNS1_11target_archE908ELNS1_3gpuE7ELNS1_3repE0EEENS1_30default_config_static_selectorELNS0_4arch9wavefront6targetE1EEEvT1_.has_indirect_call, 0
	.section	.AMDGPU.csdata,"",@progbits
; Kernel info:
; codeLenInByte = 0
; TotalNumSgprs: 6
; NumVgprs: 0
; NumAgprs: 0
; TotalNumVgprs: 0
; ScratchSize: 0
; MemoryBound: 0
; FloatMode: 240
; IeeeMode: 1
; LDSByteSize: 0 bytes/workgroup (compile time only)
; SGPRBlocks: 0
; VGPRBlocks: 0
; NumSGPRsForWavesPerEU: 6
; NumVGPRsForWavesPerEU: 1
; AccumOffset: 4
; Occupancy: 8
; WaveLimiterHint : 0
; COMPUTE_PGM_RSRC2:SCRATCH_EN: 0
; COMPUTE_PGM_RSRC2:USER_SGPR: 2
; COMPUTE_PGM_RSRC2:TRAP_HANDLER: 0
; COMPUTE_PGM_RSRC2:TGID_X_EN: 1
; COMPUTE_PGM_RSRC2:TGID_Y_EN: 0
; COMPUTE_PGM_RSRC2:TGID_Z_EN: 0
; COMPUTE_PGM_RSRC2:TIDIG_COMP_CNT: 0
; COMPUTE_PGM_RSRC3_GFX90A:ACCUM_OFFSET: 0
; COMPUTE_PGM_RSRC3_GFX90A:TG_SPLIT: 0
	.section	.text._ZN7rocprim17ROCPRIM_400000_NS6detail17trampoline_kernelINS0_14default_configENS1_20scan_config_selectorIN3c104HalfEEEZZNS1_9scan_implILNS1_25lookback_scan_determinismE0ELb0ELb0ES3_PKS6_PS6_S6_ZZZN2at6native31launch_logcumsumexp_cuda_kernelERKNSD_10TensorBaseESH_lENKUlvE_clEvENKUlvE3_clEvEUlS6_S6_E_S6_EEDaPvRmT3_T4_T5_mT6_P12ihipStream_tbENKUlT_T0_E_clISt17integral_constantIbLb0EESX_IbLb1EEEEDaST_SU_EUlST_E0_NS1_11comp_targetILNS1_3genE2ELNS1_11target_archE906ELNS1_3gpuE6ELNS1_3repE0EEENS1_30default_config_static_selectorELNS0_4arch9wavefront6targetE1EEEvT1_,"axG",@progbits,_ZN7rocprim17ROCPRIM_400000_NS6detail17trampoline_kernelINS0_14default_configENS1_20scan_config_selectorIN3c104HalfEEEZZNS1_9scan_implILNS1_25lookback_scan_determinismE0ELb0ELb0ES3_PKS6_PS6_S6_ZZZN2at6native31launch_logcumsumexp_cuda_kernelERKNSD_10TensorBaseESH_lENKUlvE_clEvENKUlvE3_clEvEUlS6_S6_E_S6_EEDaPvRmT3_T4_T5_mT6_P12ihipStream_tbENKUlT_T0_E_clISt17integral_constantIbLb0EESX_IbLb1EEEEDaST_SU_EUlST_E0_NS1_11comp_targetILNS1_3genE2ELNS1_11target_archE906ELNS1_3gpuE6ELNS1_3repE0EEENS1_30default_config_static_selectorELNS0_4arch9wavefront6targetE1EEEvT1_,comdat
	.globl	_ZN7rocprim17ROCPRIM_400000_NS6detail17trampoline_kernelINS0_14default_configENS1_20scan_config_selectorIN3c104HalfEEEZZNS1_9scan_implILNS1_25lookback_scan_determinismE0ELb0ELb0ES3_PKS6_PS6_S6_ZZZN2at6native31launch_logcumsumexp_cuda_kernelERKNSD_10TensorBaseESH_lENKUlvE_clEvENKUlvE3_clEvEUlS6_S6_E_S6_EEDaPvRmT3_T4_T5_mT6_P12ihipStream_tbENKUlT_T0_E_clISt17integral_constantIbLb0EESX_IbLb1EEEEDaST_SU_EUlST_E0_NS1_11comp_targetILNS1_3genE2ELNS1_11target_archE906ELNS1_3gpuE6ELNS1_3repE0EEENS1_30default_config_static_selectorELNS0_4arch9wavefront6targetE1EEEvT1_ ; -- Begin function _ZN7rocprim17ROCPRIM_400000_NS6detail17trampoline_kernelINS0_14default_configENS1_20scan_config_selectorIN3c104HalfEEEZZNS1_9scan_implILNS1_25lookback_scan_determinismE0ELb0ELb0ES3_PKS6_PS6_S6_ZZZN2at6native31launch_logcumsumexp_cuda_kernelERKNSD_10TensorBaseESH_lENKUlvE_clEvENKUlvE3_clEvEUlS6_S6_E_S6_EEDaPvRmT3_T4_T5_mT6_P12ihipStream_tbENKUlT_T0_E_clISt17integral_constantIbLb0EESX_IbLb1EEEEDaST_SU_EUlST_E0_NS1_11comp_targetILNS1_3genE2ELNS1_11target_archE906ELNS1_3gpuE6ELNS1_3repE0EEENS1_30default_config_static_selectorELNS0_4arch9wavefront6targetE1EEEvT1_
	.p2align	8
	.type	_ZN7rocprim17ROCPRIM_400000_NS6detail17trampoline_kernelINS0_14default_configENS1_20scan_config_selectorIN3c104HalfEEEZZNS1_9scan_implILNS1_25lookback_scan_determinismE0ELb0ELb0ES3_PKS6_PS6_S6_ZZZN2at6native31launch_logcumsumexp_cuda_kernelERKNSD_10TensorBaseESH_lENKUlvE_clEvENKUlvE3_clEvEUlS6_S6_E_S6_EEDaPvRmT3_T4_T5_mT6_P12ihipStream_tbENKUlT_T0_E_clISt17integral_constantIbLb0EESX_IbLb1EEEEDaST_SU_EUlST_E0_NS1_11comp_targetILNS1_3genE2ELNS1_11target_archE906ELNS1_3gpuE6ELNS1_3repE0EEENS1_30default_config_static_selectorELNS0_4arch9wavefront6targetE1EEEvT1_,@function
_ZN7rocprim17ROCPRIM_400000_NS6detail17trampoline_kernelINS0_14default_configENS1_20scan_config_selectorIN3c104HalfEEEZZNS1_9scan_implILNS1_25lookback_scan_determinismE0ELb0ELb0ES3_PKS6_PS6_S6_ZZZN2at6native31launch_logcumsumexp_cuda_kernelERKNSD_10TensorBaseESH_lENKUlvE_clEvENKUlvE3_clEvEUlS6_S6_E_S6_EEDaPvRmT3_T4_T5_mT6_P12ihipStream_tbENKUlT_T0_E_clISt17integral_constantIbLb0EESX_IbLb1EEEEDaST_SU_EUlST_E0_NS1_11comp_targetILNS1_3genE2ELNS1_11target_archE906ELNS1_3gpuE6ELNS1_3repE0EEENS1_30default_config_static_selectorELNS0_4arch9wavefront6targetE1EEEvT1_: ; @_ZN7rocprim17ROCPRIM_400000_NS6detail17trampoline_kernelINS0_14default_configENS1_20scan_config_selectorIN3c104HalfEEEZZNS1_9scan_implILNS1_25lookback_scan_determinismE0ELb0ELb0ES3_PKS6_PS6_S6_ZZZN2at6native31launch_logcumsumexp_cuda_kernelERKNSD_10TensorBaseESH_lENKUlvE_clEvENKUlvE3_clEvEUlS6_S6_E_S6_EEDaPvRmT3_T4_T5_mT6_P12ihipStream_tbENKUlT_T0_E_clISt17integral_constantIbLb0EESX_IbLb1EEEEDaST_SU_EUlST_E0_NS1_11comp_targetILNS1_3genE2ELNS1_11target_archE906ELNS1_3gpuE6ELNS1_3repE0EEENS1_30default_config_static_selectorELNS0_4arch9wavefront6targetE1EEEvT1_
; %bb.0:
	.section	.rodata,"a",@progbits
	.p2align	6, 0x0
	.amdhsa_kernel _ZN7rocprim17ROCPRIM_400000_NS6detail17trampoline_kernelINS0_14default_configENS1_20scan_config_selectorIN3c104HalfEEEZZNS1_9scan_implILNS1_25lookback_scan_determinismE0ELb0ELb0ES3_PKS6_PS6_S6_ZZZN2at6native31launch_logcumsumexp_cuda_kernelERKNSD_10TensorBaseESH_lENKUlvE_clEvENKUlvE3_clEvEUlS6_S6_E_S6_EEDaPvRmT3_T4_T5_mT6_P12ihipStream_tbENKUlT_T0_E_clISt17integral_constantIbLb0EESX_IbLb1EEEEDaST_SU_EUlST_E0_NS1_11comp_targetILNS1_3genE2ELNS1_11target_archE906ELNS1_3gpuE6ELNS1_3repE0EEENS1_30default_config_static_selectorELNS0_4arch9wavefront6targetE1EEEvT1_
		.amdhsa_group_segment_fixed_size 0
		.amdhsa_private_segment_fixed_size 0
		.amdhsa_kernarg_size 32
		.amdhsa_user_sgpr_count 2
		.amdhsa_user_sgpr_dispatch_ptr 0
		.amdhsa_user_sgpr_queue_ptr 0
		.amdhsa_user_sgpr_kernarg_segment_ptr 1
		.amdhsa_user_sgpr_dispatch_id 0
		.amdhsa_user_sgpr_kernarg_preload_length 0
		.amdhsa_user_sgpr_kernarg_preload_offset 0
		.amdhsa_user_sgpr_private_segment_size 0
		.amdhsa_uses_dynamic_stack 0
		.amdhsa_enable_private_segment 0
		.amdhsa_system_sgpr_workgroup_id_x 1
		.amdhsa_system_sgpr_workgroup_id_y 0
		.amdhsa_system_sgpr_workgroup_id_z 0
		.amdhsa_system_sgpr_workgroup_info 0
		.amdhsa_system_vgpr_workitem_id 0
		.amdhsa_next_free_vgpr 1
		.amdhsa_next_free_sgpr 0
		.amdhsa_accum_offset 4
		.amdhsa_reserve_vcc 0
		.amdhsa_float_round_mode_32 0
		.amdhsa_float_round_mode_16_64 0
		.amdhsa_float_denorm_mode_32 3
		.amdhsa_float_denorm_mode_16_64 3
		.amdhsa_dx10_clamp 1
		.amdhsa_ieee_mode 1
		.amdhsa_fp16_overflow 0
		.amdhsa_tg_split 0
		.amdhsa_exception_fp_ieee_invalid_op 0
		.amdhsa_exception_fp_denorm_src 0
		.amdhsa_exception_fp_ieee_div_zero 0
		.amdhsa_exception_fp_ieee_overflow 0
		.amdhsa_exception_fp_ieee_underflow 0
		.amdhsa_exception_fp_ieee_inexact 0
		.amdhsa_exception_int_div_zero 0
	.end_amdhsa_kernel
	.section	.text._ZN7rocprim17ROCPRIM_400000_NS6detail17trampoline_kernelINS0_14default_configENS1_20scan_config_selectorIN3c104HalfEEEZZNS1_9scan_implILNS1_25lookback_scan_determinismE0ELb0ELb0ES3_PKS6_PS6_S6_ZZZN2at6native31launch_logcumsumexp_cuda_kernelERKNSD_10TensorBaseESH_lENKUlvE_clEvENKUlvE3_clEvEUlS6_S6_E_S6_EEDaPvRmT3_T4_T5_mT6_P12ihipStream_tbENKUlT_T0_E_clISt17integral_constantIbLb0EESX_IbLb1EEEEDaST_SU_EUlST_E0_NS1_11comp_targetILNS1_3genE2ELNS1_11target_archE906ELNS1_3gpuE6ELNS1_3repE0EEENS1_30default_config_static_selectorELNS0_4arch9wavefront6targetE1EEEvT1_,"axG",@progbits,_ZN7rocprim17ROCPRIM_400000_NS6detail17trampoline_kernelINS0_14default_configENS1_20scan_config_selectorIN3c104HalfEEEZZNS1_9scan_implILNS1_25lookback_scan_determinismE0ELb0ELb0ES3_PKS6_PS6_S6_ZZZN2at6native31launch_logcumsumexp_cuda_kernelERKNSD_10TensorBaseESH_lENKUlvE_clEvENKUlvE3_clEvEUlS6_S6_E_S6_EEDaPvRmT3_T4_T5_mT6_P12ihipStream_tbENKUlT_T0_E_clISt17integral_constantIbLb0EESX_IbLb1EEEEDaST_SU_EUlST_E0_NS1_11comp_targetILNS1_3genE2ELNS1_11target_archE906ELNS1_3gpuE6ELNS1_3repE0EEENS1_30default_config_static_selectorELNS0_4arch9wavefront6targetE1EEEvT1_,comdat
.Lfunc_end429:
	.size	_ZN7rocprim17ROCPRIM_400000_NS6detail17trampoline_kernelINS0_14default_configENS1_20scan_config_selectorIN3c104HalfEEEZZNS1_9scan_implILNS1_25lookback_scan_determinismE0ELb0ELb0ES3_PKS6_PS6_S6_ZZZN2at6native31launch_logcumsumexp_cuda_kernelERKNSD_10TensorBaseESH_lENKUlvE_clEvENKUlvE3_clEvEUlS6_S6_E_S6_EEDaPvRmT3_T4_T5_mT6_P12ihipStream_tbENKUlT_T0_E_clISt17integral_constantIbLb0EESX_IbLb1EEEEDaST_SU_EUlST_E0_NS1_11comp_targetILNS1_3genE2ELNS1_11target_archE906ELNS1_3gpuE6ELNS1_3repE0EEENS1_30default_config_static_selectorELNS0_4arch9wavefront6targetE1EEEvT1_, .Lfunc_end429-_ZN7rocprim17ROCPRIM_400000_NS6detail17trampoline_kernelINS0_14default_configENS1_20scan_config_selectorIN3c104HalfEEEZZNS1_9scan_implILNS1_25lookback_scan_determinismE0ELb0ELb0ES3_PKS6_PS6_S6_ZZZN2at6native31launch_logcumsumexp_cuda_kernelERKNSD_10TensorBaseESH_lENKUlvE_clEvENKUlvE3_clEvEUlS6_S6_E_S6_EEDaPvRmT3_T4_T5_mT6_P12ihipStream_tbENKUlT_T0_E_clISt17integral_constantIbLb0EESX_IbLb1EEEEDaST_SU_EUlST_E0_NS1_11comp_targetILNS1_3genE2ELNS1_11target_archE906ELNS1_3gpuE6ELNS1_3repE0EEENS1_30default_config_static_selectorELNS0_4arch9wavefront6targetE1EEEvT1_
                                        ; -- End function
	.set _ZN7rocprim17ROCPRIM_400000_NS6detail17trampoline_kernelINS0_14default_configENS1_20scan_config_selectorIN3c104HalfEEEZZNS1_9scan_implILNS1_25lookback_scan_determinismE0ELb0ELb0ES3_PKS6_PS6_S6_ZZZN2at6native31launch_logcumsumexp_cuda_kernelERKNSD_10TensorBaseESH_lENKUlvE_clEvENKUlvE3_clEvEUlS6_S6_E_S6_EEDaPvRmT3_T4_T5_mT6_P12ihipStream_tbENKUlT_T0_E_clISt17integral_constantIbLb0EESX_IbLb1EEEEDaST_SU_EUlST_E0_NS1_11comp_targetILNS1_3genE2ELNS1_11target_archE906ELNS1_3gpuE6ELNS1_3repE0EEENS1_30default_config_static_selectorELNS0_4arch9wavefront6targetE1EEEvT1_.num_vgpr, 0
	.set _ZN7rocprim17ROCPRIM_400000_NS6detail17trampoline_kernelINS0_14default_configENS1_20scan_config_selectorIN3c104HalfEEEZZNS1_9scan_implILNS1_25lookback_scan_determinismE0ELb0ELb0ES3_PKS6_PS6_S6_ZZZN2at6native31launch_logcumsumexp_cuda_kernelERKNSD_10TensorBaseESH_lENKUlvE_clEvENKUlvE3_clEvEUlS6_S6_E_S6_EEDaPvRmT3_T4_T5_mT6_P12ihipStream_tbENKUlT_T0_E_clISt17integral_constantIbLb0EESX_IbLb1EEEEDaST_SU_EUlST_E0_NS1_11comp_targetILNS1_3genE2ELNS1_11target_archE906ELNS1_3gpuE6ELNS1_3repE0EEENS1_30default_config_static_selectorELNS0_4arch9wavefront6targetE1EEEvT1_.num_agpr, 0
	.set _ZN7rocprim17ROCPRIM_400000_NS6detail17trampoline_kernelINS0_14default_configENS1_20scan_config_selectorIN3c104HalfEEEZZNS1_9scan_implILNS1_25lookback_scan_determinismE0ELb0ELb0ES3_PKS6_PS6_S6_ZZZN2at6native31launch_logcumsumexp_cuda_kernelERKNSD_10TensorBaseESH_lENKUlvE_clEvENKUlvE3_clEvEUlS6_S6_E_S6_EEDaPvRmT3_T4_T5_mT6_P12ihipStream_tbENKUlT_T0_E_clISt17integral_constantIbLb0EESX_IbLb1EEEEDaST_SU_EUlST_E0_NS1_11comp_targetILNS1_3genE2ELNS1_11target_archE906ELNS1_3gpuE6ELNS1_3repE0EEENS1_30default_config_static_selectorELNS0_4arch9wavefront6targetE1EEEvT1_.numbered_sgpr, 0
	.set _ZN7rocprim17ROCPRIM_400000_NS6detail17trampoline_kernelINS0_14default_configENS1_20scan_config_selectorIN3c104HalfEEEZZNS1_9scan_implILNS1_25lookback_scan_determinismE0ELb0ELb0ES3_PKS6_PS6_S6_ZZZN2at6native31launch_logcumsumexp_cuda_kernelERKNSD_10TensorBaseESH_lENKUlvE_clEvENKUlvE3_clEvEUlS6_S6_E_S6_EEDaPvRmT3_T4_T5_mT6_P12ihipStream_tbENKUlT_T0_E_clISt17integral_constantIbLb0EESX_IbLb1EEEEDaST_SU_EUlST_E0_NS1_11comp_targetILNS1_3genE2ELNS1_11target_archE906ELNS1_3gpuE6ELNS1_3repE0EEENS1_30default_config_static_selectorELNS0_4arch9wavefront6targetE1EEEvT1_.num_named_barrier, 0
	.set _ZN7rocprim17ROCPRIM_400000_NS6detail17trampoline_kernelINS0_14default_configENS1_20scan_config_selectorIN3c104HalfEEEZZNS1_9scan_implILNS1_25lookback_scan_determinismE0ELb0ELb0ES3_PKS6_PS6_S6_ZZZN2at6native31launch_logcumsumexp_cuda_kernelERKNSD_10TensorBaseESH_lENKUlvE_clEvENKUlvE3_clEvEUlS6_S6_E_S6_EEDaPvRmT3_T4_T5_mT6_P12ihipStream_tbENKUlT_T0_E_clISt17integral_constantIbLb0EESX_IbLb1EEEEDaST_SU_EUlST_E0_NS1_11comp_targetILNS1_3genE2ELNS1_11target_archE906ELNS1_3gpuE6ELNS1_3repE0EEENS1_30default_config_static_selectorELNS0_4arch9wavefront6targetE1EEEvT1_.private_seg_size, 0
	.set _ZN7rocprim17ROCPRIM_400000_NS6detail17trampoline_kernelINS0_14default_configENS1_20scan_config_selectorIN3c104HalfEEEZZNS1_9scan_implILNS1_25lookback_scan_determinismE0ELb0ELb0ES3_PKS6_PS6_S6_ZZZN2at6native31launch_logcumsumexp_cuda_kernelERKNSD_10TensorBaseESH_lENKUlvE_clEvENKUlvE3_clEvEUlS6_S6_E_S6_EEDaPvRmT3_T4_T5_mT6_P12ihipStream_tbENKUlT_T0_E_clISt17integral_constantIbLb0EESX_IbLb1EEEEDaST_SU_EUlST_E0_NS1_11comp_targetILNS1_3genE2ELNS1_11target_archE906ELNS1_3gpuE6ELNS1_3repE0EEENS1_30default_config_static_selectorELNS0_4arch9wavefront6targetE1EEEvT1_.uses_vcc, 0
	.set _ZN7rocprim17ROCPRIM_400000_NS6detail17trampoline_kernelINS0_14default_configENS1_20scan_config_selectorIN3c104HalfEEEZZNS1_9scan_implILNS1_25lookback_scan_determinismE0ELb0ELb0ES3_PKS6_PS6_S6_ZZZN2at6native31launch_logcumsumexp_cuda_kernelERKNSD_10TensorBaseESH_lENKUlvE_clEvENKUlvE3_clEvEUlS6_S6_E_S6_EEDaPvRmT3_T4_T5_mT6_P12ihipStream_tbENKUlT_T0_E_clISt17integral_constantIbLb0EESX_IbLb1EEEEDaST_SU_EUlST_E0_NS1_11comp_targetILNS1_3genE2ELNS1_11target_archE906ELNS1_3gpuE6ELNS1_3repE0EEENS1_30default_config_static_selectorELNS0_4arch9wavefront6targetE1EEEvT1_.uses_flat_scratch, 0
	.set _ZN7rocprim17ROCPRIM_400000_NS6detail17trampoline_kernelINS0_14default_configENS1_20scan_config_selectorIN3c104HalfEEEZZNS1_9scan_implILNS1_25lookback_scan_determinismE0ELb0ELb0ES3_PKS6_PS6_S6_ZZZN2at6native31launch_logcumsumexp_cuda_kernelERKNSD_10TensorBaseESH_lENKUlvE_clEvENKUlvE3_clEvEUlS6_S6_E_S6_EEDaPvRmT3_T4_T5_mT6_P12ihipStream_tbENKUlT_T0_E_clISt17integral_constantIbLb0EESX_IbLb1EEEEDaST_SU_EUlST_E0_NS1_11comp_targetILNS1_3genE2ELNS1_11target_archE906ELNS1_3gpuE6ELNS1_3repE0EEENS1_30default_config_static_selectorELNS0_4arch9wavefront6targetE1EEEvT1_.has_dyn_sized_stack, 0
	.set _ZN7rocprim17ROCPRIM_400000_NS6detail17trampoline_kernelINS0_14default_configENS1_20scan_config_selectorIN3c104HalfEEEZZNS1_9scan_implILNS1_25lookback_scan_determinismE0ELb0ELb0ES3_PKS6_PS6_S6_ZZZN2at6native31launch_logcumsumexp_cuda_kernelERKNSD_10TensorBaseESH_lENKUlvE_clEvENKUlvE3_clEvEUlS6_S6_E_S6_EEDaPvRmT3_T4_T5_mT6_P12ihipStream_tbENKUlT_T0_E_clISt17integral_constantIbLb0EESX_IbLb1EEEEDaST_SU_EUlST_E0_NS1_11comp_targetILNS1_3genE2ELNS1_11target_archE906ELNS1_3gpuE6ELNS1_3repE0EEENS1_30default_config_static_selectorELNS0_4arch9wavefront6targetE1EEEvT1_.has_recursion, 0
	.set _ZN7rocprim17ROCPRIM_400000_NS6detail17trampoline_kernelINS0_14default_configENS1_20scan_config_selectorIN3c104HalfEEEZZNS1_9scan_implILNS1_25lookback_scan_determinismE0ELb0ELb0ES3_PKS6_PS6_S6_ZZZN2at6native31launch_logcumsumexp_cuda_kernelERKNSD_10TensorBaseESH_lENKUlvE_clEvENKUlvE3_clEvEUlS6_S6_E_S6_EEDaPvRmT3_T4_T5_mT6_P12ihipStream_tbENKUlT_T0_E_clISt17integral_constantIbLb0EESX_IbLb1EEEEDaST_SU_EUlST_E0_NS1_11comp_targetILNS1_3genE2ELNS1_11target_archE906ELNS1_3gpuE6ELNS1_3repE0EEENS1_30default_config_static_selectorELNS0_4arch9wavefront6targetE1EEEvT1_.has_indirect_call, 0
	.section	.AMDGPU.csdata,"",@progbits
; Kernel info:
; codeLenInByte = 0
; TotalNumSgprs: 6
; NumVgprs: 0
; NumAgprs: 0
; TotalNumVgprs: 0
; ScratchSize: 0
; MemoryBound: 0
; FloatMode: 240
; IeeeMode: 1
; LDSByteSize: 0 bytes/workgroup (compile time only)
; SGPRBlocks: 0
; VGPRBlocks: 0
; NumSGPRsForWavesPerEU: 6
; NumVGPRsForWavesPerEU: 1
; AccumOffset: 4
; Occupancy: 8
; WaveLimiterHint : 0
; COMPUTE_PGM_RSRC2:SCRATCH_EN: 0
; COMPUTE_PGM_RSRC2:USER_SGPR: 2
; COMPUTE_PGM_RSRC2:TRAP_HANDLER: 0
; COMPUTE_PGM_RSRC2:TGID_X_EN: 1
; COMPUTE_PGM_RSRC2:TGID_Y_EN: 0
; COMPUTE_PGM_RSRC2:TGID_Z_EN: 0
; COMPUTE_PGM_RSRC2:TIDIG_COMP_CNT: 0
; COMPUTE_PGM_RSRC3_GFX90A:ACCUM_OFFSET: 0
; COMPUTE_PGM_RSRC3_GFX90A:TG_SPLIT: 0
	.section	.text._ZN7rocprim17ROCPRIM_400000_NS6detail17trampoline_kernelINS0_14default_configENS1_20scan_config_selectorIN3c104HalfEEEZZNS1_9scan_implILNS1_25lookback_scan_determinismE0ELb0ELb0ES3_PKS6_PS6_S6_ZZZN2at6native31launch_logcumsumexp_cuda_kernelERKNSD_10TensorBaseESH_lENKUlvE_clEvENKUlvE3_clEvEUlS6_S6_E_S6_EEDaPvRmT3_T4_T5_mT6_P12ihipStream_tbENKUlT_T0_E_clISt17integral_constantIbLb0EESX_IbLb1EEEEDaST_SU_EUlST_E0_NS1_11comp_targetILNS1_3genE10ELNS1_11target_archE1201ELNS1_3gpuE5ELNS1_3repE0EEENS1_30default_config_static_selectorELNS0_4arch9wavefront6targetE1EEEvT1_,"axG",@progbits,_ZN7rocprim17ROCPRIM_400000_NS6detail17trampoline_kernelINS0_14default_configENS1_20scan_config_selectorIN3c104HalfEEEZZNS1_9scan_implILNS1_25lookback_scan_determinismE0ELb0ELb0ES3_PKS6_PS6_S6_ZZZN2at6native31launch_logcumsumexp_cuda_kernelERKNSD_10TensorBaseESH_lENKUlvE_clEvENKUlvE3_clEvEUlS6_S6_E_S6_EEDaPvRmT3_T4_T5_mT6_P12ihipStream_tbENKUlT_T0_E_clISt17integral_constantIbLb0EESX_IbLb1EEEEDaST_SU_EUlST_E0_NS1_11comp_targetILNS1_3genE10ELNS1_11target_archE1201ELNS1_3gpuE5ELNS1_3repE0EEENS1_30default_config_static_selectorELNS0_4arch9wavefront6targetE1EEEvT1_,comdat
	.globl	_ZN7rocprim17ROCPRIM_400000_NS6detail17trampoline_kernelINS0_14default_configENS1_20scan_config_selectorIN3c104HalfEEEZZNS1_9scan_implILNS1_25lookback_scan_determinismE0ELb0ELb0ES3_PKS6_PS6_S6_ZZZN2at6native31launch_logcumsumexp_cuda_kernelERKNSD_10TensorBaseESH_lENKUlvE_clEvENKUlvE3_clEvEUlS6_S6_E_S6_EEDaPvRmT3_T4_T5_mT6_P12ihipStream_tbENKUlT_T0_E_clISt17integral_constantIbLb0EESX_IbLb1EEEEDaST_SU_EUlST_E0_NS1_11comp_targetILNS1_3genE10ELNS1_11target_archE1201ELNS1_3gpuE5ELNS1_3repE0EEENS1_30default_config_static_selectorELNS0_4arch9wavefront6targetE1EEEvT1_ ; -- Begin function _ZN7rocprim17ROCPRIM_400000_NS6detail17trampoline_kernelINS0_14default_configENS1_20scan_config_selectorIN3c104HalfEEEZZNS1_9scan_implILNS1_25lookback_scan_determinismE0ELb0ELb0ES3_PKS6_PS6_S6_ZZZN2at6native31launch_logcumsumexp_cuda_kernelERKNSD_10TensorBaseESH_lENKUlvE_clEvENKUlvE3_clEvEUlS6_S6_E_S6_EEDaPvRmT3_T4_T5_mT6_P12ihipStream_tbENKUlT_T0_E_clISt17integral_constantIbLb0EESX_IbLb1EEEEDaST_SU_EUlST_E0_NS1_11comp_targetILNS1_3genE10ELNS1_11target_archE1201ELNS1_3gpuE5ELNS1_3repE0EEENS1_30default_config_static_selectorELNS0_4arch9wavefront6targetE1EEEvT1_
	.p2align	8
	.type	_ZN7rocprim17ROCPRIM_400000_NS6detail17trampoline_kernelINS0_14default_configENS1_20scan_config_selectorIN3c104HalfEEEZZNS1_9scan_implILNS1_25lookback_scan_determinismE0ELb0ELb0ES3_PKS6_PS6_S6_ZZZN2at6native31launch_logcumsumexp_cuda_kernelERKNSD_10TensorBaseESH_lENKUlvE_clEvENKUlvE3_clEvEUlS6_S6_E_S6_EEDaPvRmT3_T4_T5_mT6_P12ihipStream_tbENKUlT_T0_E_clISt17integral_constantIbLb0EESX_IbLb1EEEEDaST_SU_EUlST_E0_NS1_11comp_targetILNS1_3genE10ELNS1_11target_archE1201ELNS1_3gpuE5ELNS1_3repE0EEENS1_30default_config_static_selectorELNS0_4arch9wavefront6targetE1EEEvT1_,@function
_ZN7rocprim17ROCPRIM_400000_NS6detail17trampoline_kernelINS0_14default_configENS1_20scan_config_selectorIN3c104HalfEEEZZNS1_9scan_implILNS1_25lookback_scan_determinismE0ELb0ELb0ES3_PKS6_PS6_S6_ZZZN2at6native31launch_logcumsumexp_cuda_kernelERKNSD_10TensorBaseESH_lENKUlvE_clEvENKUlvE3_clEvEUlS6_S6_E_S6_EEDaPvRmT3_T4_T5_mT6_P12ihipStream_tbENKUlT_T0_E_clISt17integral_constantIbLb0EESX_IbLb1EEEEDaST_SU_EUlST_E0_NS1_11comp_targetILNS1_3genE10ELNS1_11target_archE1201ELNS1_3gpuE5ELNS1_3repE0EEENS1_30default_config_static_selectorELNS0_4arch9wavefront6targetE1EEEvT1_: ; @_ZN7rocprim17ROCPRIM_400000_NS6detail17trampoline_kernelINS0_14default_configENS1_20scan_config_selectorIN3c104HalfEEEZZNS1_9scan_implILNS1_25lookback_scan_determinismE0ELb0ELb0ES3_PKS6_PS6_S6_ZZZN2at6native31launch_logcumsumexp_cuda_kernelERKNSD_10TensorBaseESH_lENKUlvE_clEvENKUlvE3_clEvEUlS6_S6_E_S6_EEDaPvRmT3_T4_T5_mT6_P12ihipStream_tbENKUlT_T0_E_clISt17integral_constantIbLb0EESX_IbLb1EEEEDaST_SU_EUlST_E0_NS1_11comp_targetILNS1_3genE10ELNS1_11target_archE1201ELNS1_3gpuE5ELNS1_3repE0EEENS1_30default_config_static_selectorELNS0_4arch9wavefront6targetE1EEEvT1_
; %bb.0:
	.section	.rodata,"a",@progbits
	.p2align	6, 0x0
	.amdhsa_kernel _ZN7rocprim17ROCPRIM_400000_NS6detail17trampoline_kernelINS0_14default_configENS1_20scan_config_selectorIN3c104HalfEEEZZNS1_9scan_implILNS1_25lookback_scan_determinismE0ELb0ELb0ES3_PKS6_PS6_S6_ZZZN2at6native31launch_logcumsumexp_cuda_kernelERKNSD_10TensorBaseESH_lENKUlvE_clEvENKUlvE3_clEvEUlS6_S6_E_S6_EEDaPvRmT3_T4_T5_mT6_P12ihipStream_tbENKUlT_T0_E_clISt17integral_constantIbLb0EESX_IbLb1EEEEDaST_SU_EUlST_E0_NS1_11comp_targetILNS1_3genE10ELNS1_11target_archE1201ELNS1_3gpuE5ELNS1_3repE0EEENS1_30default_config_static_selectorELNS0_4arch9wavefront6targetE1EEEvT1_
		.amdhsa_group_segment_fixed_size 0
		.amdhsa_private_segment_fixed_size 0
		.amdhsa_kernarg_size 32
		.amdhsa_user_sgpr_count 2
		.amdhsa_user_sgpr_dispatch_ptr 0
		.amdhsa_user_sgpr_queue_ptr 0
		.amdhsa_user_sgpr_kernarg_segment_ptr 1
		.amdhsa_user_sgpr_dispatch_id 0
		.amdhsa_user_sgpr_kernarg_preload_length 0
		.amdhsa_user_sgpr_kernarg_preload_offset 0
		.amdhsa_user_sgpr_private_segment_size 0
		.amdhsa_uses_dynamic_stack 0
		.amdhsa_enable_private_segment 0
		.amdhsa_system_sgpr_workgroup_id_x 1
		.amdhsa_system_sgpr_workgroup_id_y 0
		.amdhsa_system_sgpr_workgroup_id_z 0
		.amdhsa_system_sgpr_workgroup_info 0
		.amdhsa_system_vgpr_workitem_id 0
		.amdhsa_next_free_vgpr 1
		.amdhsa_next_free_sgpr 0
		.amdhsa_accum_offset 4
		.amdhsa_reserve_vcc 0
		.amdhsa_float_round_mode_32 0
		.amdhsa_float_round_mode_16_64 0
		.amdhsa_float_denorm_mode_32 3
		.amdhsa_float_denorm_mode_16_64 3
		.amdhsa_dx10_clamp 1
		.amdhsa_ieee_mode 1
		.amdhsa_fp16_overflow 0
		.amdhsa_tg_split 0
		.amdhsa_exception_fp_ieee_invalid_op 0
		.amdhsa_exception_fp_denorm_src 0
		.amdhsa_exception_fp_ieee_div_zero 0
		.amdhsa_exception_fp_ieee_overflow 0
		.amdhsa_exception_fp_ieee_underflow 0
		.amdhsa_exception_fp_ieee_inexact 0
		.amdhsa_exception_int_div_zero 0
	.end_amdhsa_kernel
	.section	.text._ZN7rocprim17ROCPRIM_400000_NS6detail17trampoline_kernelINS0_14default_configENS1_20scan_config_selectorIN3c104HalfEEEZZNS1_9scan_implILNS1_25lookback_scan_determinismE0ELb0ELb0ES3_PKS6_PS6_S6_ZZZN2at6native31launch_logcumsumexp_cuda_kernelERKNSD_10TensorBaseESH_lENKUlvE_clEvENKUlvE3_clEvEUlS6_S6_E_S6_EEDaPvRmT3_T4_T5_mT6_P12ihipStream_tbENKUlT_T0_E_clISt17integral_constantIbLb0EESX_IbLb1EEEEDaST_SU_EUlST_E0_NS1_11comp_targetILNS1_3genE10ELNS1_11target_archE1201ELNS1_3gpuE5ELNS1_3repE0EEENS1_30default_config_static_selectorELNS0_4arch9wavefront6targetE1EEEvT1_,"axG",@progbits,_ZN7rocprim17ROCPRIM_400000_NS6detail17trampoline_kernelINS0_14default_configENS1_20scan_config_selectorIN3c104HalfEEEZZNS1_9scan_implILNS1_25lookback_scan_determinismE0ELb0ELb0ES3_PKS6_PS6_S6_ZZZN2at6native31launch_logcumsumexp_cuda_kernelERKNSD_10TensorBaseESH_lENKUlvE_clEvENKUlvE3_clEvEUlS6_S6_E_S6_EEDaPvRmT3_T4_T5_mT6_P12ihipStream_tbENKUlT_T0_E_clISt17integral_constantIbLb0EESX_IbLb1EEEEDaST_SU_EUlST_E0_NS1_11comp_targetILNS1_3genE10ELNS1_11target_archE1201ELNS1_3gpuE5ELNS1_3repE0EEENS1_30default_config_static_selectorELNS0_4arch9wavefront6targetE1EEEvT1_,comdat
.Lfunc_end430:
	.size	_ZN7rocprim17ROCPRIM_400000_NS6detail17trampoline_kernelINS0_14default_configENS1_20scan_config_selectorIN3c104HalfEEEZZNS1_9scan_implILNS1_25lookback_scan_determinismE0ELb0ELb0ES3_PKS6_PS6_S6_ZZZN2at6native31launch_logcumsumexp_cuda_kernelERKNSD_10TensorBaseESH_lENKUlvE_clEvENKUlvE3_clEvEUlS6_S6_E_S6_EEDaPvRmT3_T4_T5_mT6_P12ihipStream_tbENKUlT_T0_E_clISt17integral_constantIbLb0EESX_IbLb1EEEEDaST_SU_EUlST_E0_NS1_11comp_targetILNS1_3genE10ELNS1_11target_archE1201ELNS1_3gpuE5ELNS1_3repE0EEENS1_30default_config_static_selectorELNS0_4arch9wavefront6targetE1EEEvT1_, .Lfunc_end430-_ZN7rocprim17ROCPRIM_400000_NS6detail17trampoline_kernelINS0_14default_configENS1_20scan_config_selectorIN3c104HalfEEEZZNS1_9scan_implILNS1_25lookback_scan_determinismE0ELb0ELb0ES3_PKS6_PS6_S6_ZZZN2at6native31launch_logcumsumexp_cuda_kernelERKNSD_10TensorBaseESH_lENKUlvE_clEvENKUlvE3_clEvEUlS6_S6_E_S6_EEDaPvRmT3_T4_T5_mT6_P12ihipStream_tbENKUlT_T0_E_clISt17integral_constantIbLb0EESX_IbLb1EEEEDaST_SU_EUlST_E0_NS1_11comp_targetILNS1_3genE10ELNS1_11target_archE1201ELNS1_3gpuE5ELNS1_3repE0EEENS1_30default_config_static_selectorELNS0_4arch9wavefront6targetE1EEEvT1_
                                        ; -- End function
	.set _ZN7rocprim17ROCPRIM_400000_NS6detail17trampoline_kernelINS0_14default_configENS1_20scan_config_selectorIN3c104HalfEEEZZNS1_9scan_implILNS1_25lookback_scan_determinismE0ELb0ELb0ES3_PKS6_PS6_S6_ZZZN2at6native31launch_logcumsumexp_cuda_kernelERKNSD_10TensorBaseESH_lENKUlvE_clEvENKUlvE3_clEvEUlS6_S6_E_S6_EEDaPvRmT3_T4_T5_mT6_P12ihipStream_tbENKUlT_T0_E_clISt17integral_constantIbLb0EESX_IbLb1EEEEDaST_SU_EUlST_E0_NS1_11comp_targetILNS1_3genE10ELNS1_11target_archE1201ELNS1_3gpuE5ELNS1_3repE0EEENS1_30default_config_static_selectorELNS0_4arch9wavefront6targetE1EEEvT1_.num_vgpr, 0
	.set _ZN7rocprim17ROCPRIM_400000_NS6detail17trampoline_kernelINS0_14default_configENS1_20scan_config_selectorIN3c104HalfEEEZZNS1_9scan_implILNS1_25lookback_scan_determinismE0ELb0ELb0ES3_PKS6_PS6_S6_ZZZN2at6native31launch_logcumsumexp_cuda_kernelERKNSD_10TensorBaseESH_lENKUlvE_clEvENKUlvE3_clEvEUlS6_S6_E_S6_EEDaPvRmT3_T4_T5_mT6_P12ihipStream_tbENKUlT_T0_E_clISt17integral_constantIbLb0EESX_IbLb1EEEEDaST_SU_EUlST_E0_NS1_11comp_targetILNS1_3genE10ELNS1_11target_archE1201ELNS1_3gpuE5ELNS1_3repE0EEENS1_30default_config_static_selectorELNS0_4arch9wavefront6targetE1EEEvT1_.num_agpr, 0
	.set _ZN7rocprim17ROCPRIM_400000_NS6detail17trampoline_kernelINS0_14default_configENS1_20scan_config_selectorIN3c104HalfEEEZZNS1_9scan_implILNS1_25lookback_scan_determinismE0ELb0ELb0ES3_PKS6_PS6_S6_ZZZN2at6native31launch_logcumsumexp_cuda_kernelERKNSD_10TensorBaseESH_lENKUlvE_clEvENKUlvE3_clEvEUlS6_S6_E_S6_EEDaPvRmT3_T4_T5_mT6_P12ihipStream_tbENKUlT_T0_E_clISt17integral_constantIbLb0EESX_IbLb1EEEEDaST_SU_EUlST_E0_NS1_11comp_targetILNS1_3genE10ELNS1_11target_archE1201ELNS1_3gpuE5ELNS1_3repE0EEENS1_30default_config_static_selectorELNS0_4arch9wavefront6targetE1EEEvT1_.numbered_sgpr, 0
	.set _ZN7rocprim17ROCPRIM_400000_NS6detail17trampoline_kernelINS0_14default_configENS1_20scan_config_selectorIN3c104HalfEEEZZNS1_9scan_implILNS1_25lookback_scan_determinismE0ELb0ELb0ES3_PKS6_PS6_S6_ZZZN2at6native31launch_logcumsumexp_cuda_kernelERKNSD_10TensorBaseESH_lENKUlvE_clEvENKUlvE3_clEvEUlS6_S6_E_S6_EEDaPvRmT3_T4_T5_mT6_P12ihipStream_tbENKUlT_T0_E_clISt17integral_constantIbLb0EESX_IbLb1EEEEDaST_SU_EUlST_E0_NS1_11comp_targetILNS1_3genE10ELNS1_11target_archE1201ELNS1_3gpuE5ELNS1_3repE0EEENS1_30default_config_static_selectorELNS0_4arch9wavefront6targetE1EEEvT1_.num_named_barrier, 0
	.set _ZN7rocprim17ROCPRIM_400000_NS6detail17trampoline_kernelINS0_14default_configENS1_20scan_config_selectorIN3c104HalfEEEZZNS1_9scan_implILNS1_25lookback_scan_determinismE0ELb0ELb0ES3_PKS6_PS6_S6_ZZZN2at6native31launch_logcumsumexp_cuda_kernelERKNSD_10TensorBaseESH_lENKUlvE_clEvENKUlvE3_clEvEUlS6_S6_E_S6_EEDaPvRmT3_T4_T5_mT6_P12ihipStream_tbENKUlT_T0_E_clISt17integral_constantIbLb0EESX_IbLb1EEEEDaST_SU_EUlST_E0_NS1_11comp_targetILNS1_3genE10ELNS1_11target_archE1201ELNS1_3gpuE5ELNS1_3repE0EEENS1_30default_config_static_selectorELNS0_4arch9wavefront6targetE1EEEvT1_.private_seg_size, 0
	.set _ZN7rocprim17ROCPRIM_400000_NS6detail17trampoline_kernelINS0_14default_configENS1_20scan_config_selectorIN3c104HalfEEEZZNS1_9scan_implILNS1_25lookback_scan_determinismE0ELb0ELb0ES3_PKS6_PS6_S6_ZZZN2at6native31launch_logcumsumexp_cuda_kernelERKNSD_10TensorBaseESH_lENKUlvE_clEvENKUlvE3_clEvEUlS6_S6_E_S6_EEDaPvRmT3_T4_T5_mT6_P12ihipStream_tbENKUlT_T0_E_clISt17integral_constantIbLb0EESX_IbLb1EEEEDaST_SU_EUlST_E0_NS1_11comp_targetILNS1_3genE10ELNS1_11target_archE1201ELNS1_3gpuE5ELNS1_3repE0EEENS1_30default_config_static_selectorELNS0_4arch9wavefront6targetE1EEEvT1_.uses_vcc, 0
	.set _ZN7rocprim17ROCPRIM_400000_NS6detail17trampoline_kernelINS0_14default_configENS1_20scan_config_selectorIN3c104HalfEEEZZNS1_9scan_implILNS1_25lookback_scan_determinismE0ELb0ELb0ES3_PKS6_PS6_S6_ZZZN2at6native31launch_logcumsumexp_cuda_kernelERKNSD_10TensorBaseESH_lENKUlvE_clEvENKUlvE3_clEvEUlS6_S6_E_S6_EEDaPvRmT3_T4_T5_mT6_P12ihipStream_tbENKUlT_T0_E_clISt17integral_constantIbLb0EESX_IbLb1EEEEDaST_SU_EUlST_E0_NS1_11comp_targetILNS1_3genE10ELNS1_11target_archE1201ELNS1_3gpuE5ELNS1_3repE0EEENS1_30default_config_static_selectorELNS0_4arch9wavefront6targetE1EEEvT1_.uses_flat_scratch, 0
	.set _ZN7rocprim17ROCPRIM_400000_NS6detail17trampoline_kernelINS0_14default_configENS1_20scan_config_selectorIN3c104HalfEEEZZNS1_9scan_implILNS1_25lookback_scan_determinismE0ELb0ELb0ES3_PKS6_PS6_S6_ZZZN2at6native31launch_logcumsumexp_cuda_kernelERKNSD_10TensorBaseESH_lENKUlvE_clEvENKUlvE3_clEvEUlS6_S6_E_S6_EEDaPvRmT3_T4_T5_mT6_P12ihipStream_tbENKUlT_T0_E_clISt17integral_constantIbLb0EESX_IbLb1EEEEDaST_SU_EUlST_E0_NS1_11comp_targetILNS1_3genE10ELNS1_11target_archE1201ELNS1_3gpuE5ELNS1_3repE0EEENS1_30default_config_static_selectorELNS0_4arch9wavefront6targetE1EEEvT1_.has_dyn_sized_stack, 0
	.set _ZN7rocprim17ROCPRIM_400000_NS6detail17trampoline_kernelINS0_14default_configENS1_20scan_config_selectorIN3c104HalfEEEZZNS1_9scan_implILNS1_25lookback_scan_determinismE0ELb0ELb0ES3_PKS6_PS6_S6_ZZZN2at6native31launch_logcumsumexp_cuda_kernelERKNSD_10TensorBaseESH_lENKUlvE_clEvENKUlvE3_clEvEUlS6_S6_E_S6_EEDaPvRmT3_T4_T5_mT6_P12ihipStream_tbENKUlT_T0_E_clISt17integral_constantIbLb0EESX_IbLb1EEEEDaST_SU_EUlST_E0_NS1_11comp_targetILNS1_3genE10ELNS1_11target_archE1201ELNS1_3gpuE5ELNS1_3repE0EEENS1_30default_config_static_selectorELNS0_4arch9wavefront6targetE1EEEvT1_.has_recursion, 0
	.set _ZN7rocprim17ROCPRIM_400000_NS6detail17trampoline_kernelINS0_14default_configENS1_20scan_config_selectorIN3c104HalfEEEZZNS1_9scan_implILNS1_25lookback_scan_determinismE0ELb0ELb0ES3_PKS6_PS6_S6_ZZZN2at6native31launch_logcumsumexp_cuda_kernelERKNSD_10TensorBaseESH_lENKUlvE_clEvENKUlvE3_clEvEUlS6_S6_E_S6_EEDaPvRmT3_T4_T5_mT6_P12ihipStream_tbENKUlT_T0_E_clISt17integral_constantIbLb0EESX_IbLb1EEEEDaST_SU_EUlST_E0_NS1_11comp_targetILNS1_3genE10ELNS1_11target_archE1201ELNS1_3gpuE5ELNS1_3repE0EEENS1_30default_config_static_selectorELNS0_4arch9wavefront6targetE1EEEvT1_.has_indirect_call, 0
	.section	.AMDGPU.csdata,"",@progbits
; Kernel info:
; codeLenInByte = 0
; TotalNumSgprs: 6
; NumVgprs: 0
; NumAgprs: 0
; TotalNumVgprs: 0
; ScratchSize: 0
; MemoryBound: 0
; FloatMode: 240
; IeeeMode: 1
; LDSByteSize: 0 bytes/workgroup (compile time only)
; SGPRBlocks: 0
; VGPRBlocks: 0
; NumSGPRsForWavesPerEU: 6
; NumVGPRsForWavesPerEU: 1
; AccumOffset: 4
; Occupancy: 8
; WaveLimiterHint : 0
; COMPUTE_PGM_RSRC2:SCRATCH_EN: 0
; COMPUTE_PGM_RSRC2:USER_SGPR: 2
; COMPUTE_PGM_RSRC2:TRAP_HANDLER: 0
; COMPUTE_PGM_RSRC2:TGID_X_EN: 1
; COMPUTE_PGM_RSRC2:TGID_Y_EN: 0
; COMPUTE_PGM_RSRC2:TGID_Z_EN: 0
; COMPUTE_PGM_RSRC2:TIDIG_COMP_CNT: 0
; COMPUTE_PGM_RSRC3_GFX90A:ACCUM_OFFSET: 0
; COMPUTE_PGM_RSRC3_GFX90A:TG_SPLIT: 0
	.section	.text._ZN7rocprim17ROCPRIM_400000_NS6detail17trampoline_kernelINS0_14default_configENS1_20scan_config_selectorIN3c104HalfEEEZZNS1_9scan_implILNS1_25lookback_scan_determinismE0ELb0ELb0ES3_PKS6_PS6_S6_ZZZN2at6native31launch_logcumsumexp_cuda_kernelERKNSD_10TensorBaseESH_lENKUlvE_clEvENKUlvE3_clEvEUlS6_S6_E_S6_EEDaPvRmT3_T4_T5_mT6_P12ihipStream_tbENKUlT_T0_E_clISt17integral_constantIbLb0EESX_IbLb1EEEEDaST_SU_EUlST_E0_NS1_11comp_targetILNS1_3genE10ELNS1_11target_archE1200ELNS1_3gpuE4ELNS1_3repE0EEENS1_30default_config_static_selectorELNS0_4arch9wavefront6targetE1EEEvT1_,"axG",@progbits,_ZN7rocprim17ROCPRIM_400000_NS6detail17trampoline_kernelINS0_14default_configENS1_20scan_config_selectorIN3c104HalfEEEZZNS1_9scan_implILNS1_25lookback_scan_determinismE0ELb0ELb0ES3_PKS6_PS6_S6_ZZZN2at6native31launch_logcumsumexp_cuda_kernelERKNSD_10TensorBaseESH_lENKUlvE_clEvENKUlvE3_clEvEUlS6_S6_E_S6_EEDaPvRmT3_T4_T5_mT6_P12ihipStream_tbENKUlT_T0_E_clISt17integral_constantIbLb0EESX_IbLb1EEEEDaST_SU_EUlST_E0_NS1_11comp_targetILNS1_3genE10ELNS1_11target_archE1200ELNS1_3gpuE4ELNS1_3repE0EEENS1_30default_config_static_selectorELNS0_4arch9wavefront6targetE1EEEvT1_,comdat
	.globl	_ZN7rocprim17ROCPRIM_400000_NS6detail17trampoline_kernelINS0_14default_configENS1_20scan_config_selectorIN3c104HalfEEEZZNS1_9scan_implILNS1_25lookback_scan_determinismE0ELb0ELb0ES3_PKS6_PS6_S6_ZZZN2at6native31launch_logcumsumexp_cuda_kernelERKNSD_10TensorBaseESH_lENKUlvE_clEvENKUlvE3_clEvEUlS6_S6_E_S6_EEDaPvRmT3_T4_T5_mT6_P12ihipStream_tbENKUlT_T0_E_clISt17integral_constantIbLb0EESX_IbLb1EEEEDaST_SU_EUlST_E0_NS1_11comp_targetILNS1_3genE10ELNS1_11target_archE1200ELNS1_3gpuE4ELNS1_3repE0EEENS1_30default_config_static_selectorELNS0_4arch9wavefront6targetE1EEEvT1_ ; -- Begin function _ZN7rocprim17ROCPRIM_400000_NS6detail17trampoline_kernelINS0_14default_configENS1_20scan_config_selectorIN3c104HalfEEEZZNS1_9scan_implILNS1_25lookback_scan_determinismE0ELb0ELb0ES3_PKS6_PS6_S6_ZZZN2at6native31launch_logcumsumexp_cuda_kernelERKNSD_10TensorBaseESH_lENKUlvE_clEvENKUlvE3_clEvEUlS6_S6_E_S6_EEDaPvRmT3_T4_T5_mT6_P12ihipStream_tbENKUlT_T0_E_clISt17integral_constantIbLb0EESX_IbLb1EEEEDaST_SU_EUlST_E0_NS1_11comp_targetILNS1_3genE10ELNS1_11target_archE1200ELNS1_3gpuE4ELNS1_3repE0EEENS1_30default_config_static_selectorELNS0_4arch9wavefront6targetE1EEEvT1_
	.p2align	8
	.type	_ZN7rocprim17ROCPRIM_400000_NS6detail17trampoline_kernelINS0_14default_configENS1_20scan_config_selectorIN3c104HalfEEEZZNS1_9scan_implILNS1_25lookback_scan_determinismE0ELb0ELb0ES3_PKS6_PS6_S6_ZZZN2at6native31launch_logcumsumexp_cuda_kernelERKNSD_10TensorBaseESH_lENKUlvE_clEvENKUlvE3_clEvEUlS6_S6_E_S6_EEDaPvRmT3_T4_T5_mT6_P12ihipStream_tbENKUlT_T0_E_clISt17integral_constantIbLb0EESX_IbLb1EEEEDaST_SU_EUlST_E0_NS1_11comp_targetILNS1_3genE10ELNS1_11target_archE1200ELNS1_3gpuE4ELNS1_3repE0EEENS1_30default_config_static_selectorELNS0_4arch9wavefront6targetE1EEEvT1_,@function
_ZN7rocprim17ROCPRIM_400000_NS6detail17trampoline_kernelINS0_14default_configENS1_20scan_config_selectorIN3c104HalfEEEZZNS1_9scan_implILNS1_25lookback_scan_determinismE0ELb0ELb0ES3_PKS6_PS6_S6_ZZZN2at6native31launch_logcumsumexp_cuda_kernelERKNSD_10TensorBaseESH_lENKUlvE_clEvENKUlvE3_clEvEUlS6_S6_E_S6_EEDaPvRmT3_T4_T5_mT6_P12ihipStream_tbENKUlT_T0_E_clISt17integral_constantIbLb0EESX_IbLb1EEEEDaST_SU_EUlST_E0_NS1_11comp_targetILNS1_3genE10ELNS1_11target_archE1200ELNS1_3gpuE4ELNS1_3repE0EEENS1_30default_config_static_selectorELNS0_4arch9wavefront6targetE1EEEvT1_: ; @_ZN7rocprim17ROCPRIM_400000_NS6detail17trampoline_kernelINS0_14default_configENS1_20scan_config_selectorIN3c104HalfEEEZZNS1_9scan_implILNS1_25lookback_scan_determinismE0ELb0ELb0ES3_PKS6_PS6_S6_ZZZN2at6native31launch_logcumsumexp_cuda_kernelERKNSD_10TensorBaseESH_lENKUlvE_clEvENKUlvE3_clEvEUlS6_S6_E_S6_EEDaPvRmT3_T4_T5_mT6_P12ihipStream_tbENKUlT_T0_E_clISt17integral_constantIbLb0EESX_IbLb1EEEEDaST_SU_EUlST_E0_NS1_11comp_targetILNS1_3genE10ELNS1_11target_archE1200ELNS1_3gpuE4ELNS1_3repE0EEENS1_30default_config_static_selectorELNS0_4arch9wavefront6targetE1EEEvT1_
; %bb.0:
	.section	.rodata,"a",@progbits
	.p2align	6, 0x0
	.amdhsa_kernel _ZN7rocprim17ROCPRIM_400000_NS6detail17trampoline_kernelINS0_14default_configENS1_20scan_config_selectorIN3c104HalfEEEZZNS1_9scan_implILNS1_25lookback_scan_determinismE0ELb0ELb0ES3_PKS6_PS6_S6_ZZZN2at6native31launch_logcumsumexp_cuda_kernelERKNSD_10TensorBaseESH_lENKUlvE_clEvENKUlvE3_clEvEUlS6_S6_E_S6_EEDaPvRmT3_T4_T5_mT6_P12ihipStream_tbENKUlT_T0_E_clISt17integral_constantIbLb0EESX_IbLb1EEEEDaST_SU_EUlST_E0_NS1_11comp_targetILNS1_3genE10ELNS1_11target_archE1200ELNS1_3gpuE4ELNS1_3repE0EEENS1_30default_config_static_selectorELNS0_4arch9wavefront6targetE1EEEvT1_
		.amdhsa_group_segment_fixed_size 0
		.amdhsa_private_segment_fixed_size 0
		.amdhsa_kernarg_size 32
		.amdhsa_user_sgpr_count 2
		.amdhsa_user_sgpr_dispatch_ptr 0
		.amdhsa_user_sgpr_queue_ptr 0
		.amdhsa_user_sgpr_kernarg_segment_ptr 1
		.amdhsa_user_sgpr_dispatch_id 0
		.amdhsa_user_sgpr_kernarg_preload_length 0
		.amdhsa_user_sgpr_kernarg_preload_offset 0
		.amdhsa_user_sgpr_private_segment_size 0
		.amdhsa_uses_dynamic_stack 0
		.amdhsa_enable_private_segment 0
		.amdhsa_system_sgpr_workgroup_id_x 1
		.amdhsa_system_sgpr_workgroup_id_y 0
		.amdhsa_system_sgpr_workgroup_id_z 0
		.amdhsa_system_sgpr_workgroup_info 0
		.amdhsa_system_vgpr_workitem_id 0
		.amdhsa_next_free_vgpr 1
		.amdhsa_next_free_sgpr 0
		.amdhsa_accum_offset 4
		.amdhsa_reserve_vcc 0
		.amdhsa_float_round_mode_32 0
		.amdhsa_float_round_mode_16_64 0
		.amdhsa_float_denorm_mode_32 3
		.amdhsa_float_denorm_mode_16_64 3
		.amdhsa_dx10_clamp 1
		.amdhsa_ieee_mode 1
		.amdhsa_fp16_overflow 0
		.amdhsa_tg_split 0
		.amdhsa_exception_fp_ieee_invalid_op 0
		.amdhsa_exception_fp_denorm_src 0
		.amdhsa_exception_fp_ieee_div_zero 0
		.amdhsa_exception_fp_ieee_overflow 0
		.amdhsa_exception_fp_ieee_underflow 0
		.amdhsa_exception_fp_ieee_inexact 0
		.amdhsa_exception_int_div_zero 0
	.end_amdhsa_kernel
	.section	.text._ZN7rocprim17ROCPRIM_400000_NS6detail17trampoline_kernelINS0_14default_configENS1_20scan_config_selectorIN3c104HalfEEEZZNS1_9scan_implILNS1_25lookback_scan_determinismE0ELb0ELb0ES3_PKS6_PS6_S6_ZZZN2at6native31launch_logcumsumexp_cuda_kernelERKNSD_10TensorBaseESH_lENKUlvE_clEvENKUlvE3_clEvEUlS6_S6_E_S6_EEDaPvRmT3_T4_T5_mT6_P12ihipStream_tbENKUlT_T0_E_clISt17integral_constantIbLb0EESX_IbLb1EEEEDaST_SU_EUlST_E0_NS1_11comp_targetILNS1_3genE10ELNS1_11target_archE1200ELNS1_3gpuE4ELNS1_3repE0EEENS1_30default_config_static_selectorELNS0_4arch9wavefront6targetE1EEEvT1_,"axG",@progbits,_ZN7rocprim17ROCPRIM_400000_NS6detail17trampoline_kernelINS0_14default_configENS1_20scan_config_selectorIN3c104HalfEEEZZNS1_9scan_implILNS1_25lookback_scan_determinismE0ELb0ELb0ES3_PKS6_PS6_S6_ZZZN2at6native31launch_logcumsumexp_cuda_kernelERKNSD_10TensorBaseESH_lENKUlvE_clEvENKUlvE3_clEvEUlS6_S6_E_S6_EEDaPvRmT3_T4_T5_mT6_P12ihipStream_tbENKUlT_T0_E_clISt17integral_constantIbLb0EESX_IbLb1EEEEDaST_SU_EUlST_E0_NS1_11comp_targetILNS1_3genE10ELNS1_11target_archE1200ELNS1_3gpuE4ELNS1_3repE0EEENS1_30default_config_static_selectorELNS0_4arch9wavefront6targetE1EEEvT1_,comdat
.Lfunc_end431:
	.size	_ZN7rocprim17ROCPRIM_400000_NS6detail17trampoline_kernelINS0_14default_configENS1_20scan_config_selectorIN3c104HalfEEEZZNS1_9scan_implILNS1_25lookback_scan_determinismE0ELb0ELb0ES3_PKS6_PS6_S6_ZZZN2at6native31launch_logcumsumexp_cuda_kernelERKNSD_10TensorBaseESH_lENKUlvE_clEvENKUlvE3_clEvEUlS6_S6_E_S6_EEDaPvRmT3_T4_T5_mT6_P12ihipStream_tbENKUlT_T0_E_clISt17integral_constantIbLb0EESX_IbLb1EEEEDaST_SU_EUlST_E0_NS1_11comp_targetILNS1_3genE10ELNS1_11target_archE1200ELNS1_3gpuE4ELNS1_3repE0EEENS1_30default_config_static_selectorELNS0_4arch9wavefront6targetE1EEEvT1_, .Lfunc_end431-_ZN7rocprim17ROCPRIM_400000_NS6detail17trampoline_kernelINS0_14default_configENS1_20scan_config_selectorIN3c104HalfEEEZZNS1_9scan_implILNS1_25lookback_scan_determinismE0ELb0ELb0ES3_PKS6_PS6_S6_ZZZN2at6native31launch_logcumsumexp_cuda_kernelERKNSD_10TensorBaseESH_lENKUlvE_clEvENKUlvE3_clEvEUlS6_S6_E_S6_EEDaPvRmT3_T4_T5_mT6_P12ihipStream_tbENKUlT_T0_E_clISt17integral_constantIbLb0EESX_IbLb1EEEEDaST_SU_EUlST_E0_NS1_11comp_targetILNS1_3genE10ELNS1_11target_archE1200ELNS1_3gpuE4ELNS1_3repE0EEENS1_30default_config_static_selectorELNS0_4arch9wavefront6targetE1EEEvT1_
                                        ; -- End function
	.set _ZN7rocprim17ROCPRIM_400000_NS6detail17trampoline_kernelINS0_14default_configENS1_20scan_config_selectorIN3c104HalfEEEZZNS1_9scan_implILNS1_25lookback_scan_determinismE0ELb0ELb0ES3_PKS6_PS6_S6_ZZZN2at6native31launch_logcumsumexp_cuda_kernelERKNSD_10TensorBaseESH_lENKUlvE_clEvENKUlvE3_clEvEUlS6_S6_E_S6_EEDaPvRmT3_T4_T5_mT6_P12ihipStream_tbENKUlT_T0_E_clISt17integral_constantIbLb0EESX_IbLb1EEEEDaST_SU_EUlST_E0_NS1_11comp_targetILNS1_3genE10ELNS1_11target_archE1200ELNS1_3gpuE4ELNS1_3repE0EEENS1_30default_config_static_selectorELNS0_4arch9wavefront6targetE1EEEvT1_.num_vgpr, 0
	.set _ZN7rocprim17ROCPRIM_400000_NS6detail17trampoline_kernelINS0_14default_configENS1_20scan_config_selectorIN3c104HalfEEEZZNS1_9scan_implILNS1_25lookback_scan_determinismE0ELb0ELb0ES3_PKS6_PS6_S6_ZZZN2at6native31launch_logcumsumexp_cuda_kernelERKNSD_10TensorBaseESH_lENKUlvE_clEvENKUlvE3_clEvEUlS6_S6_E_S6_EEDaPvRmT3_T4_T5_mT6_P12ihipStream_tbENKUlT_T0_E_clISt17integral_constantIbLb0EESX_IbLb1EEEEDaST_SU_EUlST_E0_NS1_11comp_targetILNS1_3genE10ELNS1_11target_archE1200ELNS1_3gpuE4ELNS1_3repE0EEENS1_30default_config_static_selectorELNS0_4arch9wavefront6targetE1EEEvT1_.num_agpr, 0
	.set _ZN7rocprim17ROCPRIM_400000_NS6detail17trampoline_kernelINS0_14default_configENS1_20scan_config_selectorIN3c104HalfEEEZZNS1_9scan_implILNS1_25lookback_scan_determinismE0ELb0ELb0ES3_PKS6_PS6_S6_ZZZN2at6native31launch_logcumsumexp_cuda_kernelERKNSD_10TensorBaseESH_lENKUlvE_clEvENKUlvE3_clEvEUlS6_S6_E_S6_EEDaPvRmT3_T4_T5_mT6_P12ihipStream_tbENKUlT_T0_E_clISt17integral_constantIbLb0EESX_IbLb1EEEEDaST_SU_EUlST_E0_NS1_11comp_targetILNS1_3genE10ELNS1_11target_archE1200ELNS1_3gpuE4ELNS1_3repE0EEENS1_30default_config_static_selectorELNS0_4arch9wavefront6targetE1EEEvT1_.numbered_sgpr, 0
	.set _ZN7rocprim17ROCPRIM_400000_NS6detail17trampoline_kernelINS0_14default_configENS1_20scan_config_selectorIN3c104HalfEEEZZNS1_9scan_implILNS1_25lookback_scan_determinismE0ELb0ELb0ES3_PKS6_PS6_S6_ZZZN2at6native31launch_logcumsumexp_cuda_kernelERKNSD_10TensorBaseESH_lENKUlvE_clEvENKUlvE3_clEvEUlS6_S6_E_S6_EEDaPvRmT3_T4_T5_mT6_P12ihipStream_tbENKUlT_T0_E_clISt17integral_constantIbLb0EESX_IbLb1EEEEDaST_SU_EUlST_E0_NS1_11comp_targetILNS1_3genE10ELNS1_11target_archE1200ELNS1_3gpuE4ELNS1_3repE0EEENS1_30default_config_static_selectorELNS0_4arch9wavefront6targetE1EEEvT1_.num_named_barrier, 0
	.set _ZN7rocprim17ROCPRIM_400000_NS6detail17trampoline_kernelINS0_14default_configENS1_20scan_config_selectorIN3c104HalfEEEZZNS1_9scan_implILNS1_25lookback_scan_determinismE0ELb0ELb0ES3_PKS6_PS6_S6_ZZZN2at6native31launch_logcumsumexp_cuda_kernelERKNSD_10TensorBaseESH_lENKUlvE_clEvENKUlvE3_clEvEUlS6_S6_E_S6_EEDaPvRmT3_T4_T5_mT6_P12ihipStream_tbENKUlT_T0_E_clISt17integral_constantIbLb0EESX_IbLb1EEEEDaST_SU_EUlST_E0_NS1_11comp_targetILNS1_3genE10ELNS1_11target_archE1200ELNS1_3gpuE4ELNS1_3repE0EEENS1_30default_config_static_selectorELNS0_4arch9wavefront6targetE1EEEvT1_.private_seg_size, 0
	.set _ZN7rocprim17ROCPRIM_400000_NS6detail17trampoline_kernelINS0_14default_configENS1_20scan_config_selectorIN3c104HalfEEEZZNS1_9scan_implILNS1_25lookback_scan_determinismE0ELb0ELb0ES3_PKS6_PS6_S6_ZZZN2at6native31launch_logcumsumexp_cuda_kernelERKNSD_10TensorBaseESH_lENKUlvE_clEvENKUlvE3_clEvEUlS6_S6_E_S6_EEDaPvRmT3_T4_T5_mT6_P12ihipStream_tbENKUlT_T0_E_clISt17integral_constantIbLb0EESX_IbLb1EEEEDaST_SU_EUlST_E0_NS1_11comp_targetILNS1_3genE10ELNS1_11target_archE1200ELNS1_3gpuE4ELNS1_3repE0EEENS1_30default_config_static_selectorELNS0_4arch9wavefront6targetE1EEEvT1_.uses_vcc, 0
	.set _ZN7rocprim17ROCPRIM_400000_NS6detail17trampoline_kernelINS0_14default_configENS1_20scan_config_selectorIN3c104HalfEEEZZNS1_9scan_implILNS1_25lookback_scan_determinismE0ELb0ELb0ES3_PKS6_PS6_S6_ZZZN2at6native31launch_logcumsumexp_cuda_kernelERKNSD_10TensorBaseESH_lENKUlvE_clEvENKUlvE3_clEvEUlS6_S6_E_S6_EEDaPvRmT3_T4_T5_mT6_P12ihipStream_tbENKUlT_T0_E_clISt17integral_constantIbLb0EESX_IbLb1EEEEDaST_SU_EUlST_E0_NS1_11comp_targetILNS1_3genE10ELNS1_11target_archE1200ELNS1_3gpuE4ELNS1_3repE0EEENS1_30default_config_static_selectorELNS0_4arch9wavefront6targetE1EEEvT1_.uses_flat_scratch, 0
	.set _ZN7rocprim17ROCPRIM_400000_NS6detail17trampoline_kernelINS0_14default_configENS1_20scan_config_selectorIN3c104HalfEEEZZNS1_9scan_implILNS1_25lookback_scan_determinismE0ELb0ELb0ES3_PKS6_PS6_S6_ZZZN2at6native31launch_logcumsumexp_cuda_kernelERKNSD_10TensorBaseESH_lENKUlvE_clEvENKUlvE3_clEvEUlS6_S6_E_S6_EEDaPvRmT3_T4_T5_mT6_P12ihipStream_tbENKUlT_T0_E_clISt17integral_constantIbLb0EESX_IbLb1EEEEDaST_SU_EUlST_E0_NS1_11comp_targetILNS1_3genE10ELNS1_11target_archE1200ELNS1_3gpuE4ELNS1_3repE0EEENS1_30default_config_static_selectorELNS0_4arch9wavefront6targetE1EEEvT1_.has_dyn_sized_stack, 0
	.set _ZN7rocprim17ROCPRIM_400000_NS6detail17trampoline_kernelINS0_14default_configENS1_20scan_config_selectorIN3c104HalfEEEZZNS1_9scan_implILNS1_25lookback_scan_determinismE0ELb0ELb0ES3_PKS6_PS6_S6_ZZZN2at6native31launch_logcumsumexp_cuda_kernelERKNSD_10TensorBaseESH_lENKUlvE_clEvENKUlvE3_clEvEUlS6_S6_E_S6_EEDaPvRmT3_T4_T5_mT6_P12ihipStream_tbENKUlT_T0_E_clISt17integral_constantIbLb0EESX_IbLb1EEEEDaST_SU_EUlST_E0_NS1_11comp_targetILNS1_3genE10ELNS1_11target_archE1200ELNS1_3gpuE4ELNS1_3repE0EEENS1_30default_config_static_selectorELNS0_4arch9wavefront6targetE1EEEvT1_.has_recursion, 0
	.set _ZN7rocprim17ROCPRIM_400000_NS6detail17trampoline_kernelINS0_14default_configENS1_20scan_config_selectorIN3c104HalfEEEZZNS1_9scan_implILNS1_25lookback_scan_determinismE0ELb0ELb0ES3_PKS6_PS6_S6_ZZZN2at6native31launch_logcumsumexp_cuda_kernelERKNSD_10TensorBaseESH_lENKUlvE_clEvENKUlvE3_clEvEUlS6_S6_E_S6_EEDaPvRmT3_T4_T5_mT6_P12ihipStream_tbENKUlT_T0_E_clISt17integral_constantIbLb0EESX_IbLb1EEEEDaST_SU_EUlST_E0_NS1_11comp_targetILNS1_3genE10ELNS1_11target_archE1200ELNS1_3gpuE4ELNS1_3repE0EEENS1_30default_config_static_selectorELNS0_4arch9wavefront6targetE1EEEvT1_.has_indirect_call, 0
	.section	.AMDGPU.csdata,"",@progbits
; Kernel info:
; codeLenInByte = 0
; TotalNumSgprs: 6
; NumVgprs: 0
; NumAgprs: 0
; TotalNumVgprs: 0
; ScratchSize: 0
; MemoryBound: 0
; FloatMode: 240
; IeeeMode: 1
; LDSByteSize: 0 bytes/workgroup (compile time only)
; SGPRBlocks: 0
; VGPRBlocks: 0
; NumSGPRsForWavesPerEU: 6
; NumVGPRsForWavesPerEU: 1
; AccumOffset: 4
; Occupancy: 8
; WaveLimiterHint : 0
; COMPUTE_PGM_RSRC2:SCRATCH_EN: 0
; COMPUTE_PGM_RSRC2:USER_SGPR: 2
; COMPUTE_PGM_RSRC2:TRAP_HANDLER: 0
; COMPUTE_PGM_RSRC2:TGID_X_EN: 1
; COMPUTE_PGM_RSRC2:TGID_Y_EN: 0
; COMPUTE_PGM_RSRC2:TGID_Z_EN: 0
; COMPUTE_PGM_RSRC2:TIDIG_COMP_CNT: 0
; COMPUTE_PGM_RSRC3_GFX90A:ACCUM_OFFSET: 0
; COMPUTE_PGM_RSRC3_GFX90A:TG_SPLIT: 0
	.section	.text._ZN7rocprim17ROCPRIM_400000_NS6detail17trampoline_kernelINS0_14default_configENS1_20scan_config_selectorIN3c104HalfEEEZZNS1_9scan_implILNS1_25lookback_scan_determinismE0ELb0ELb0ES3_PKS6_PS6_S6_ZZZN2at6native31launch_logcumsumexp_cuda_kernelERKNSD_10TensorBaseESH_lENKUlvE_clEvENKUlvE3_clEvEUlS6_S6_E_S6_EEDaPvRmT3_T4_T5_mT6_P12ihipStream_tbENKUlT_T0_E_clISt17integral_constantIbLb0EESX_IbLb1EEEEDaST_SU_EUlST_E0_NS1_11comp_targetILNS1_3genE9ELNS1_11target_archE1100ELNS1_3gpuE3ELNS1_3repE0EEENS1_30default_config_static_selectorELNS0_4arch9wavefront6targetE1EEEvT1_,"axG",@progbits,_ZN7rocprim17ROCPRIM_400000_NS6detail17trampoline_kernelINS0_14default_configENS1_20scan_config_selectorIN3c104HalfEEEZZNS1_9scan_implILNS1_25lookback_scan_determinismE0ELb0ELb0ES3_PKS6_PS6_S6_ZZZN2at6native31launch_logcumsumexp_cuda_kernelERKNSD_10TensorBaseESH_lENKUlvE_clEvENKUlvE3_clEvEUlS6_S6_E_S6_EEDaPvRmT3_T4_T5_mT6_P12ihipStream_tbENKUlT_T0_E_clISt17integral_constantIbLb0EESX_IbLb1EEEEDaST_SU_EUlST_E0_NS1_11comp_targetILNS1_3genE9ELNS1_11target_archE1100ELNS1_3gpuE3ELNS1_3repE0EEENS1_30default_config_static_selectorELNS0_4arch9wavefront6targetE1EEEvT1_,comdat
	.globl	_ZN7rocprim17ROCPRIM_400000_NS6detail17trampoline_kernelINS0_14default_configENS1_20scan_config_selectorIN3c104HalfEEEZZNS1_9scan_implILNS1_25lookback_scan_determinismE0ELb0ELb0ES3_PKS6_PS6_S6_ZZZN2at6native31launch_logcumsumexp_cuda_kernelERKNSD_10TensorBaseESH_lENKUlvE_clEvENKUlvE3_clEvEUlS6_S6_E_S6_EEDaPvRmT3_T4_T5_mT6_P12ihipStream_tbENKUlT_T0_E_clISt17integral_constantIbLb0EESX_IbLb1EEEEDaST_SU_EUlST_E0_NS1_11comp_targetILNS1_3genE9ELNS1_11target_archE1100ELNS1_3gpuE3ELNS1_3repE0EEENS1_30default_config_static_selectorELNS0_4arch9wavefront6targetE1EEEvT1_ ; -- Begin function _ZN7rocprim17ROCPRIM_400000_NS6detail17trampoline_kernelINS0_14default_configENS1_20scan_config_selectorIN3c104HalfEEEZZNS1_9scan_implILNS1_25lookback_scan_determinismE0ELb0ELb0ES3_PKS6_PS6_S6_ZZZN2at6native31launch_logcumsumexp_cuda_kernelERKNSD_10TensorBaseESH_lENKUlvE_clEvENKUlvE3_clEvEUlS6_S6_E_S6_EEDaPvRmT3_T4_T5_mT6_P12ihipStream_tbENKUlT_T0_E_clISt17integral_constantIbLb0EESX_IbLb1EEEEDaST_SU_EUlST_E0_NS1_11comp_targetILNS1_3genE9ELNS1_11target_archE1100ELNS1_3gpuE3ELNS1_3repE0EEENS1_30default_config_static_selectorELNS0_4arch9wavefront6targetE1EEEvT1_
	.p2align	8
	.type	_ZN7rocprim17ROCPRIM_400000_NS6detail17trampoline_kernelINS0_14default_configENS1_20scan_config_selectorIN3c104HalfEEEZZNS1_9scan_implILNS1_25lookback_scan_determinismE0ELb0ELb0ES3_PKS6_PS6_S6_ZZZN2at6native31launch_logcumsumexp_cuda_kernelERKNSD_10TensorBaseESH_lENKUlvE_clEvENKUlvE3_clEvEUlS6_S6_E_S6_EEDaPvRmT3_T4_T5_mT6_P12ihipStream_tbENKUlT_T0_E_clISt17integral_constantIbLb0EESX_IbLb1EEEEDaST_SU_EUlST_E0_NS1_11comp_targetILNS1_3genE9ELNS1_11target_archE1100ELNS1_3gpuE3ELNS1_3repE0EEENS1_30default_config_static_selectorELNS0_4arch9wavefront6targetE1EEEvT1_,@function
_ZN7rocprim17ROCPRIM_400000_NS6detail17trampoline_kernelINS0_14default_configENS1_20scan_config_selectorIN3c104HalfEEEZZNS1_9scan_implILNS1_25lookback_scan_determinismE0ELb0ELb0ES3_PKS6_PS6_S6_ZZZN2at6native31launch_logcumsumexp_cuda_kernelERKNSD_10TensorBaseESH_lENKUlvE_clEvENKUlvE3_clEvEUlS6_S6_E_S6_EEDaPvRmT3_T4_T5_mT6_P12ihipStream_tbENKUlT_T0_E_clISt17integral_constantIbLb0EESX_IbLb1EEEEDaST_SU_EUlST_E0_NS1_11comp_targetILNS1_3genE9ELNS1_11target_archE1100ELNS1_3gpuE3ELNS1_3repE0EEENS1_30default_config_static_selectorELNS0_4arch9wavefront6targetE1EEEvT1_: ; @_ZN7rocprim17ROCPRIM_400000_NS6detail17trampoline_kernelINS0_14default_configENS1_20scan_config_selectorIN3c104HalfEEEZZNS1_9scan_implILNS1_25lookback_scan_determinismE0ELb0ELb0ES3_PKS6_PS6_S6_ZZZN2at6native31launch_logcumsumexp_cuda_kernelERKNSD_10TensorBaseESH_lENKUlvE_clEvENKUlvE3_clEvEUlS6_S6_E_S6_EEDaPvRmT3_T4_T5_mT6_P12ihipStream_tbENKUlT_T0_E_clISt17integral_constantIbLb0EESX_IbLb1EEEEDaST_SU_EUlST_E0_NS1_11comp_targetILNS1_3genE9ELNS1_11target_archE1100ELNS1_3gpuE3ELNS1_3repE0EEENS1_30default_config_static_selectorELNS0_4arch9wavefront6targetE1EEEvT1_
; %bb.0:
	.section	.rodata,"a",@progbits
	.p2align	6, 0x0
	.amdhsa_kernel _ZN7rocprim17ROCPRIM_400000_NS6detail17trampoline_kernelINS0_14default_configENS1_20scan_config_selectorIN3c104HalfEEEZZNS1_9scan_implILNS1_25lookback_scan_determinismE0ELb0ELb0ES3_PKS6_PS6_S6_ZZZN2at6native31launch_logcumsumexp_cuda_kernelERKNSD_10TensorBaseESH_lENKUlvE_clEvENKUlvE3_clEvEUlS6_S6_E_S6_EEDaPvRmT3_T4_T5_mT6_P12ihipStream_tbENKUlT_T0_E_clISt17integral_constantIbLb0EESX_IbLb1EEEEDaST_SU_EUlST_E0_NS1_11comp_targetILNS1_3genE9ELNS1_11target_archE1100ELNS1_3gpuE3ELNS1_3repE0EEENS1_30default_config_static_selectorELNS0_4arch9wavefront6targetE1EEEvT1_
		.amdhsa_group_segment_fixed_size 0
		.amdhsa_private_segment_fixed_size 0
		.amdhsa_kernarg_size 32
		.amdhsa_user_sgpr_count 2
		.amdhsa_user_sgpr_dispatch_ptr 0
		.amdhsa_user_sgpr_queue_ptr 0
		.amdhsa_user_sgpr_kernarg_segment_ptr 1
		.amdhsa_user_sgpr_dispatch_id 0
		.amdhsa_user_sgpr_kernarg_preload_length 0
		.amdhsa_user_sgpr_kernarg_preload_offset 0
		.amdhsa_user_sgpr_private_segment_size 0
		.amdhsa_uses_dynamic_stack 0
		.amdhsa_enable_private_segment 0
		.amdhsa_system_sgpr_workgroup_id_x 1
		.amdhsa_system_sgpr_workgroup_id_y 0
		.amdhsa_system_sgpr_workgroup_id_z 0
		.amdhsa_system_sgpr_workgroup_info 0
		.amdhsa_system_vgpr_workitem_id 0
		.amdhsa_next_free_vgpr 1
		.amdhsa_next_free_sgpr 0
		.amdhsa_accum_offset 4
		.amdhsa_reserve_vcc 0
		.amdhsa_float_round_mode_32 0
		.amdhsa_float_round_mode_16_64 0
		.amdhsa_float_denorm_mode_32 3
		.amdhsa_float_denorm_mode_16_64 3
		.amdhsa_dx10_clamp 1
		.amdhsa_ieee_mode 1
		.amdhsa_fp16_overflow 0
		.amdhsa_tg_split 0
		.amdhsa_exception_fp_ieee_invalid_op 0
		.amdhsa_exception_fp_denorm_src 0
		.amdhsa_exception_fp_ieee_div_zero 0
		.amdhsa_exception_fp_ieee_overflow 0
		.amdhsa_exception_fp_ieee_underflow 0
		.amdhsa_exception_fp_ieee_inexact 0
		.amdhsa_exception_int_div_zero 0
	.end_amdhsa_kernel
	.section	.text._ZN7rocprim17ROCPRIM_400000_NS6detail17trampoline_kernelINS0_14default_configENS1_20scan_config_selectorIN3c104HalfEEEZZNS1_9scan_implILNS1_25lookback_scan_determinismE0ELb0ELb0ES3_PKS6_PS6_S6_ZZZN2at6native31launch_logcumsumexp_cuda_kernelERKNSD_10TensorBaseESH_lENKUlvE_clEvENKUlvE3_clEvEUlS6_S6_E_S6_EEDaPvRmT3_T4_T5_mT6_P12ihipStream_tbENKUlT_T0_E_clISt17integral_constantIbLb0EESX_IbLb1EEEEDaST_SU_EUlST_E0_NS1_11comp_targetILNS1_3genE9ELNS1_11target_archE1100ELNS1_3gpuE3ELNS1_3repE0EEENS1_30default_config_static_selectorELNS0_4arch9wavefront6targetE1EEEvT1_,"axG",@progbits,_ZN7rocprim17ROCPRIM_400000_NS6detail17trampoline_kernelINS0_14default_configENS1_20scan_config_selectorIN3c104HalfEEEZZNS1_9scan_implILNS1_25lookback_scan_determinismE0ELb0ELb0ES3_PKS6_PS6_S6_ZZZN2at6native31launch_logcumsumexp_cuda_kernelERKNSD_10TensorBaseESH_lENKUlvE_clEvENKUlvE3_clEvEUlS6_S6_E_S6_EEDaPvRmT3_T4_T5_mT6_P12ihipStream_tbENKUlT_T0_E_clISt17integral_constantIbLb0EESX_IbLb1EEEEDaST_SU_EUlST_E0_NS1_11comp_targetILNS1_3genE9ELNS1_11target_archE1100ELNS1_3gpuE3ELNS1_3repE0EEENS1_30default_config_static_selectorELNS0_4arch9wavefront6targetE1EEEvT1_,comdat
.Lfunc_end432:
	.size	_ZN7rocprim17ROCPRIM_400000_NS6detail17trampoline_kernelINS0_14default_configENS1_20scan_config_selectorIN3c104HalfEEEZZNS1_9scan_implILNS1_25lookback_scan_determinismE0ELb0ELb0ES3_PKS6_PS6_S6_ZZZN2at6native31launch_logcumsumexp_cuda_kernelERKNSD_10TensorBaseESH_lENKUlvE_clEvENKUlvE3_clEvEUlS6_S6_E_S6_EEDaPvRmT3_T4_T5_mT6_P12ihipStream_tbENKUlT_T0_E_clISt17integral_constantIbLb0EESX_IbLb1EEEEDaST_SU_EUlST_E0_NS1_11comp_targetILNS1_3genE9ELNS1_11target_archE1100ELNS1_3gpuE3ELNS1_3repE0EEENS1_30default_config_static_selectorELNS0_4arch9wavefront6targetE1EEEvT1_, .Lfunc_end432-_ZN7rocprim17ROCPRIM_400000_NS6detail17trampoline_kernelINS0_14default_configENS1_20scan_config_selectorIN3c104HalfEEEZZNS1_9scan_implILNS1_25lookback_scan_determinismE0ELb0ELb0ES3_PKS6_PS6_S6_ZZZN2at6native31launch_logcumsumexp_cuda_kernelERKNSD_10TensorBaseESH_lENKUlvE_clEvENKUlvE3_clEvEUlS6_S6_E_S6_EEDaPvRmT3_T4_T5_mT6_P12ihipStream_tbENKUlT_T0_E_clISt17integral_constantIbLb0EESX_IbLb1EEEEDaST_SU_EUlST_E0_NS1_11comp_targetILNS1_3genE9ELNS1_11target_archE1100ELNS1_3gpuE3ELNS1_3repE0EEENS1_30default_config_static_selectorELNS0_4arch9wavefront6targetE1EEEvT1_
                                        ; -- End function
	.set _ZN7rocprim17ROCPRIM_400000_NS6detail17trampoline_kernelINS0_14default_configENS1_20scan_config_selectorIN3c104HalfEEEZZNS1_9scan_implILNS1_25lookback_scan_determinismE0ELb0ELb0ES3_PKS6_PS6_S6_ZZZN2at6native31launch_logcumsumexp_cuda_kernelERKNSD_10TensorBaseESH_lENKUlvE_clEvENKUlvE3_clEvEUlS6_S6_E_S6_EEDaPvRmT3_T4_T5_mT6_P12ihipStream_tbENKUlT_T0_E_clISt17integral_constantIbLb0EESX_IbLb1EEEEDaST_SU_EUlST_E0_NS1_11comp_targetILNS1_3genE9ELNS1_11target_archE1100ELNS1_3gpuE3ELNS1_3repE0EEENS1_30default_config_static_selectorELNS0_4arch9wavefront6targetE1EEEvT1_.num_vgpr, 0
	.set _ZN7rocprim17ROCPRIM_400000_NS6detail17trampoline_kernelINS0_14default_configENS1_20scan_config_selectorIN3c104HalfEEEZZNS1_9scan_implILNS1_25lookback_scan_determinismE0ELb0ELb0ES3_PKS6_PS6_S6_ZZZN2at6native31launch_logcumsumexp_cuda_kernelERKNSD_10TensorBaseESH_lENKUlvE_clEvENKUlvE3_clEvEUlS6_S6_E_S6_EEDaPvRmT3_T4_T5_mT6_P12ihipStream_tbENKUlT_T0_E_clISt17integral_constantIbLb0EESX_IbLb1EEEEDaST_SU_EUlST_E0_NS1_11comp_targetILNS1_3genE9ELNS1_11target_archE1100ELNS1_3gpuE3ELNS1_3repE0EEENS1_30default_config_static_selectorELNS0_4arch9wavefront6targetE1EEEvT1_.num_agpr, 0
	.set _ZN7rocprim17ROCPRIM_400000_NS6detail17trampoline_kernelINS0_14default_configENS1_20scan_config_selectorIN3c104HalfEEEZZNS1_9scan_implILNS1_25lookback_scan_determinismE0ELb0ELb0ES3_PKS6_PS6_S6_ZZZN2at6native31launch_logcumsumexp_cuda_kernelERKNSD_10TensorBaseESH_lENKUlvE_clEvENKUlvE3_clEvEUlS6_S6_E_S6_EEDaPvRmT3_T4_T5_mT6_P12ihipStream_tbENKUlT_T0_E_clISt17integral_constantIbLb0EESX_IbLb1EEEEDaST_SU_EUlST_E0_NS1_11comp_targetILNS1_3genE9ELNS1_11target_archE1100ELNS1_3gpuE3ELNS1_3repE0EEENS1_30default_config_static_selectorELNS0_4arch9wavefront6targetE1EEEvT1_.numbered_sgpr, 0
	.set _ZN7rocprim17ROCPRIM_400000_NS6detail17trampoline_kernelINS0_14default_configENS1_20scan_config_selectorIN3c104HalfEEEZZNS1_9scan_implILNS1_25lookback_scan_determinismE0ELb0ELb0ES3_PKS6_PS6_S6_ZZZN2at6native31launch_logcumsumexp_cuda_kernelERKNSD_10TensorBaseESH_lENKUlvE_clEvENKUlvE3_clEvEUlS6_S6_E_S6_EEDaPvRmT3_T4_T5_mT6_P12ihipStream_tbENKUlT_T0_E_clISt17integral_constantIbLb0EESX_IbLb1EEEEDaST_SU_EUlST_E0_NS1_11comp_targetILNS1_3genE9ELNS1_11target_archE1100ELNS1_3gpuE3ELNS1_3repE0EEENS1_30default_config_static_selectorELNS0_4arch9wavefront6targetE1EEEvT1_.num_named_barrier, 0
	.set _ZN7rocprim17ROCPRIM_400000_NS6detail17trampoline_kernelINS0_14default_configENS1_20scan_config_selectorIN3c104HalfEEEZZNS1_9scan_implILNS1_25lookback_scan_determinismE0ELb0ELb0ES3_PKS6_PS6_S6_ZZZN2at6native31launch_logcumsumexp_cuda_kernelERKNSD_10TensorBaseESH_lENKUlvE_clEvENKUlvE3_clEvEUlS6_S6_E_S6_EEDaPvRmT3_T4_T5_mT6_P12ihipStream_tbENKUlT_T0_E_clISt17integral_constantIbLb0EESX_IbLb1EEEEDaST_SU_EUlST_E0_NS1_11comp_targetILNS1_3genE9ELNS1_11target_archE1100ELNS1_3gpuE3ELNS1_3repE0EEENS1_30default_config_static_selectorELNS0_4arch9wavefront6targetE1EEEvT1_.private_seg_size, 0
	.set _ZN7rocprim17ROCPRIM_400000_NS6detail17trampoline_kernelINS0_14default_configENS1_20scan_config_selectorIN3c104HalfEEEZZNS1_9scan_implILNS1_25lookback_scan_determinismE0ELb0ELb0ES3_PKS6_PS6_S6_ZZZN2at6native31launch_logcumsumexp_cuda_kernelERKNSD_10TensorBaseESH_lENKUlvE_clEvENKUlvE3_clEvEUlS6_S6_E_S6_EEDaPvRmT3_T4_T5_mT6_P12ihipStream_tbENKUlT_T0_E_clISt17integral_constantIbLb0EESX_IbLb1EEEEDaST_SU_EUlST_E0_NS1_11comp_targetILNS1_3genE9ELNS1_11target_archE1100ELNS1_3gpuE3ELNS1_3repE0EEENS1_30default_config_static_selectorELNS0_4arch9wavefront6targetE1EEEvT1_.uses_vcc, 0
	.set _ZN7rocprim17ROCPRIM_400000_NS6detail17trampoline_kernelINS0_14default_configENS1_20scan_config_selectorIN3c104HalfEEEZZNS1_9scan_implILNS1_25lookback_scan_determinismE0ELb0ELb0ES3_PKS6_PS6_S6_ZZZN2at6native31launch_logcumsumexp_cuda_kernelERKNSD_10TensorBaseESH_lENKUlvE_clEvENKUlvE3_clEvEUlS6_S6_E_S6_EEDaPvRmT3_T4_T5_mT6_P12ihipStream_tbENKUlT_T0_E_clISt17integral_constantIbLb0EESX_IbLb1EEEEDaST_SU_EUlST_E0_NS1_11comp_targetILNS1_3genE9ELNS1_11target_archE1100ELNS1_3gpuE3ELNS1_3repE0EEENS1_30default_config_static_selectorELNS0_4arch9wavefront6targetE1EEEvT1_.uses_flat_scratch, 0
	.set _ZN7rocprim17ROCPRIM_400000_NS6detail17trampoline_kernelINS0_14default_configENS1_20scan_config_selectorIN3c104HalfEEEZZNS1_9scan_implILNS1_25lookback_scan_determinismE0ELb0ELb0ES3_PKS6_PS6_S6_ZZZN2at6native31launch_logcumsumexp_cuda_kernelERKNSD_10TensorBaseESH_lENKUlvE_clEvENKUlvE3_clEvEUlS6_S6_E_S6_EEDaPvRmT3_T4_T5_mT6_P12ihipStream_tbENKUlT_T0_E_clISt17integral_constantIbLb0EESX_IbLb1EEEEDaST_SU_EUlST_E0_NS1_11comp_targetILNS1_3genE9ELNS1_11target_archE1100ELNS1_3gpuE3ELNS1_3repE0EEENS1_30default_config_static_selectorELNS0_4arch9wavefront6targetE1EEEvT1_.has_dyn_sized_stack, 0
	.set _ZN7rocprim17ROCPRIM_400000_NS6detail17trampoline_kernelINS0_14default_configENS1_20scan_config_selectorIN3c104HalfEEEZZNS1_9scan_implILNS1_25lookback_scan_determinismE0ELb0ELb0ES3_PKS6_PS6_S6_ZZZN2at6native31launch_logcumsumexp_cuda_kernelERKNSD_10TensorBaseESH_lENKUlvE_clEvENKUlvE3_clEvEUlS6_S6_E_S6_EEDaPvRmT3_T4_T5_mT6_P12ihipStream_tbENKUlT_T0_E_clISt17integral_constantIbLb0EESX_IbLb1EEEEDaST_SU_EUlST_E0_NS1_11comp_targetILNS1_3genE9ELNS1_11target_archE1100ELNS1_3gpuE3ELNS1_3repE0EEENS1_30default_config_static_selectorELNS0_4arch9wavefront6targetE1EEEvT1_.has_recursion, 0
	.set _ZN7rocprim17ROCPRIM_400000_NS6detail17trampoline_kernelINS0_14default_configENS1_20scan_config_selectorIN3c104HalfEEEZZNS1_9scan_implILNS1_25lookback_scan_determinismE0ELb0ELb0ES3_PKS6_PS6_S6_ZZZN2at6native31launch_logcumsumexp_cuda_kernelERKNSD_10TensorBaseESH_lENKUlvE_clEvENKUlvE3_clEvEUlS6_S6_E_S6_EEDaPvRmT3_T4_T5_mT6_P12ihipStream_tbENKUlT_T0_E_clISt17integral_constantIbLb0EESX_IbLb1EEEEDaST_SU_EUlST_E0_NS1_11comp_targetILNS1_3genE9ELNS1_11target_archE1100ELNS1_3gpuE3ELNS1_3repE0EEENS1_30default_config_static_selectorELNS0_4arch9wavefront6targetE1EEEvT1_.has_indirect_call, 0
	.section	.AMDGPU.csdata,"",@progbits
; Kernel info:
; codeLenInByte = 0
; TotalNumSgprs: 6
; NumVgprs: 0
; NumAgprs: 0
; TotalNumVgprs: 0
; ScratchSize: 0
; MemoryBound: 0
; FloatMode: 240
; IeeeMode: 1
; LDSByteSize: 0 bytes/workgroup (compile time only)
; SGPRBlocks: 0
; VGPRBlocks: 0
; NumSGPRsForWavesPerEU: 6
; NumVGPRsForWavesPerEU: 1
; AccumOffset: 4
; Occupancy: 8
; WaveLimiterHint : 0
; COMPUTE_PGM_RSRC2:SCRATCH_EN: 0
; COMPUTE_PGM_RSRC2:USER_SGPR: 2
; COMPUTE_PGM_RSRC2:TRAP_HANDLER: 0
; COMPUTE_PGM_RSRC2:TGID_X_EN: 1
; COMPUTE_PGM_RSRC2:TGID_Y_EN: 0
; COMPUTE_PGM_RSRC2:TGID_Z_EN: 0
; COMPUTE_PGM_RSRC2:TIDIG_COMP_CNT: 0
; COMPUTE_PGM_RSRC3_GFX90A:ACCUM_OFFSET: 0
; COMPUTE_PGM_RSRC3_GFX90A:TG_SPLIT: 0
	.section	.text._ZN7rocprim17ROCPRIM_400000_NS6detail17trampoline_kernelINS0_14default_configENS1_20scan_config_selectorIN3c104HalfEEEZZNS1_9scan_implILNS1_25lookback_scan_determinismE0ELb0ELb0ES3_PKS6_PS6_S6_ZZZN2at6native31launch_logcumsumexp_cuda_kernelERKNSD_10TensorBaseESH_lENKUlvE_clEvENKUlvE3_clEvEUlS6_S6_E_S6_EEDaPvRmT3_T4_T5_mT6_P12ihipStream_tbENKUlT_T0_E_clISt17integral_constantIbLb0EESX_IbLb1EEEEDaST_SU_EUlST_E0_NS1_11comp_targetILNS1_3genE8ELNS1_11target_archE1030ELNS1_3gpuE2ELNS1_3repE0EEENS1_30default_config_static_selectorELNS0_4arch9wavefront6targetE1EEEvT1_,"axG",@progbits,_ZN7rocprim17ROCPRIM_400000_NS6detail17trampoline_kernelINS0_14default_configENS1_20scan_config_selectorIN3c104HalfEEEZZNS1_9scan_implILNS1_25lookback_scan_determinismE0ELb0ELb0ES3_PKS6_PS6_S6_ZZZN2at6native31launch_logcumsumexp_cuda_kernelERKNSD_10TensorBaseESH_lENKUlvE_clEvENKUlvE3_clEvEUlS6_S6_E_S6_EEDaPvRmT3_T4_T5_mT6_P12ihipStream_tbENKUlT_T0_E_clISt17integral_constantIbLb0EESX_IbLb1EEEEDaST_SU_EUlST_E0_NS1_11comp_targetILNS1_3genE8ELNS1_11target_archE1030ELNS1_3gpuE2ELNS1_3repE0EEENS1_30default_config_static_selectorELNS0_4arch9wavefront6targetE1EEEvT1_,comdat
	.globl	_ZN7rocprim17ROCPRIM_400000_NS6detail17trampoline_kernelINS0_14default_configENS1_20scan_config_selectorIN3c104HalfEEEZZNS1_9scan_implILNS1_25lookback_scan_determinismE0ELb0ELb0ES3_PKS6_PS6_S6_ZZZN2at6native31launch_logcumsumexp_cuda_kernelERKNSD_10TensorBaseESH_lENKUlvE_clEvENKUlvE3_clEvEUlS6_S6_E_S6_EEDaPvRmT3_T4_T5_mT6_P12ihipStream_tbENKUlT_T0_E_clISt17integral_constantIbLb0EESX_IbLb1EEEEDaST_SU_EUlST_E0_NS1_11comp_targetILNS1_3genE8ELNS1_11target_archE1030ELNS1_3gpuE2ELNS1_3repE0EEENS1_30default_config_static_selectorELNS0_4arch9wavefront6targetE1EEEvT1_ ; -- Begin function _ZN7rocprim17ROCPRIM_400000_NS6detail17trampoline_kernelINS0_14default_configENS1_20scan_config_selectorIN3c104HalfEEEZZNS1_9scan_implILNS1_25lookback_scan_determinismE0ELb0ELb0ES3_PKS6_PS6_S6_ZZZN2at6native31launch_logcumsumexp_cuda_kernelERKNSD_10TensorBaseESH_lENKUlvE_clEvENKUlvE3_clEvEUlS6_S6_E_S6_EEDaPvRmT3_T4_T5_mT6_P12ihipStream_tbENKUlT_T0_E_clISt17integral_constantIbLb0EESX_IbLb1EEEEDaST_SU_EUlST_E0_NS1_11comp_targetILNS1_3genE8ELNS1_11target_archE1030ELNS1_3gpuE2ELNS1_3repE0EEENS1_30default_config_static_selectorELNS0_4arch9wavefront6targetE1EEEvT1_
	.p2align	8
	.type	_ZN7rocprim17ROCPRIM_400000_NS6detail17trampoline_kernelINS0_14default_configENS1_20scan_config_selectorIN3c104HalfEEEZZNS1_9scan_implILNS1_25lookback_scan_determinismE0ELb0ELb0ES3_PKS6_PS6_S6_ZZZN2at6native31launch_logcumsumexp_cuda_kernelERKNSD_10TensorBaseESH_lENKUlvE_clEvENKUlvE3_clEvEUlS6_S6_E_S6_EEDaPvRmT3_T4_T5_mT6_P12ihipStream_tbENKUlT_T0_E_clISt17integral_constantIbLb0EESX_IbLb1EEEEDaST_SU_EUlST_E0_NS1_11comp_targetILNS1_3genE8ELNS1_11target_archE1030ELNS1_3gpuE2ELNS1_3repE0EEENS1_30default_config_static_selectorELNS0_4arch9wavefront6targetE1EEEvT1_,@function
_ZN7rocprim17ROCPRIM_400000_NS6detail17trampoline_kernelINS0_14default_configENS1_20scan_config_selectorIN3c104HalfEEEZZNS1_9scan_implILNS1_25lookback_scan_determinismE0ELb0ELb0ES3_PKS6_PS6_S6_ZZZN2at6native31launch_logcumsumexp_cuda_kernelERKNSD_10TensorBaseESH_lENKUlvE_clEvENKUlvE3_clEvEUlS6_S6_E_S6_EEDaPvRmT3_T4_T5_mT6_P12ihipStream_tbENKUlT_T0_E_clISt17integral_constantIbLb0EESX_IbLb1EEEEDaST_SU_EUlST_E0_NS1_11comp_targetILNS1_3genE8ELNS1_11target_archE1030ELNS1_3gpuE2ELNS1_3repE0EEENS1_30default_config_static_selectorELNS0_4arch9wavefront6targetE1EEEvT1_: ; @_ZN7rocprim17ROCPRIM_400000_NS6detail17trampoline_kernelINS0_14default_configENS1_20scan_config_selectorIN3c104HalfEEEZZNS1_9scan_implILNS1_25lookback_scan_determinismE0ELb0ELb0ES3_PKS6_PS6_S6_ZZZN2at6native31launch_logcumsumexp_cuda_kernelERKNSD_10TensorBaseESH_lENKUlvE_clEvENKUlvE3_clEvEUlS6_S6_E_S6_EEDaPvRmT3_T4_T5_mT6_P12ihipStream_tbENKUlT_T0_E_clISt17integral_constantIbLb0EESX_IbLb1EEEEDaST_SU_EUlST_E0_NS1_11comp_targetILNS1_3genE8ELNS1_11target_archE1030ELNS1_3gpuE2ELNS1_3repE0EEENS1_30default_config_static_selectorELNS0_4arch9wavefront6targetE1EEEvT1_
; %bb.0:
	.section	.rodata,"a",@progbits
	.p2align	6, 0x0
	.amdhsa_kernel _ZN7rocprim17ROCPRIM_400000_NS6detail17trampoline_kernelINS0_14default_configENS1_20scan_config_selectorIN3c104HalfEEEZZNS1_9scan_implILNS1_25lookback_scan_determinismE0ELb0ELb0ES3_PKS6_PS6_S6_ZZZN2at6native31launch_logcumsumexp_cuda_kernelERKNSD_10TensorBaseESH_lENKUlvE_clEvENKUlvE3_clEvEUlS6_S6_E_S6_EEDaPvRmT3_T4_T5_mT6_P12ihipStream_tbENKUlT_T0_E_clISt17integral_constantIbLb0EESX_IbLb1EEEEDaST_SU_EUlST_E0_NS1_11comp_targetILNS1_3genE8ELNS1_11target_archE1030ELNS1_3gpuE2ELNS1_3repE0EEENS1_30default_config_static_selectorELNS0_4arch9wavefront6targetE1EEEvT1_
		.amdhsa_group_segment_fixed_size 0
		.amdhsa_private_segment_fixed_size 0
		.amdhsa_kernarg_size 32
		.amdhsa_user_sgpr_count 2
		.amdhsa_user_sgpr_dispatch_ptr 0
		.amdhsa_user_sgpr_queue_ptr 0
		.amdhsa_user_sgpr_kernarg_segment_ptr 1
		.amdhsa_user_sgpr_dispatch_id 0
		.amdhsa_user_sgpr_kernarg_preload_length 0
		.amdhsa_user_sgpr_kernarg_preload_offset 0
		.amdhsa_user_sgpr_private_segment_size 0
		.amdhsa_uses_dynamic_stack 0
		.amdhsa_enable_private_segment 0
		.amdhsa_system_sgpr_workgroup_id_x 1
		.amdhsa_system_sgpr_workgroup_id_y 0
		.amdhsa_system_sgpr_workgroup_id_z 0
		.amdhsa_system_sgpr_workgroup_info 0
		.amdhsa_system_vgpr_workitem_id 0
		.amdhsa_next_free_vgpr 1
		.amdhsa_next_free_sgpr 0
		.amdhsa_accum_offset 4
		.amdhsa_reserve_vcc 0
		.amdhsa_float_round_mode_32 0
		.amdhsa_float_round_mode_16_64 0
		.amdhsa_float_denorm_mode_32 3
		.amdhsa_float_denorm_mode_16_64 3
		.amdhsa_dx10_clamp 1
		.amdhsa_ieee_mode 1
		.amdhsa_fp16_overflow 0
		.amdhsa_tg_split 0
		.amdhsa_exception_fp_ieee_invalid_op 0
		.amdhsa_exception_fp_denorm_src 0
		.amdhsa_exception_fp_ieee_div_zero 0
		.amdhsa_exception_fp_ieee_overflow 0
		.amdhsa_exception_fp_ieee_underflow 0
		.amdhsa_exception_fp_ieee_inexact 0
		.amdhsa_exception_int_div_zero 0
	.end_amdhsa_kernel
	.section	.text._ZN7rocprim17ROCPRIM_400000_NS6detail17trampoline_kernelINS0_14default_configENS1_20scan_config_selectorIN3c104HalfEEEZZNS1_9scan_implILNS1_25lookback_scan_determinismE0ELb0ELb0ES3_PKS6_PS6_S6_ZZZN2at6native31launch_logcumsumexp_cuda_kernelERKNSD_10TensorBaseESH_lENKUlvE_clEvENKUlvE3_clEvEUlS6_S6_E_S6_EEDaPvRmT3_T4_T5_mT6_P12ihipStream_tbENKUlT_T0_E_clISt17integral_constantIbLb0EESX_IbLb1EEEEDaST_SU_EUlST_E0_NS1_11comp_targetILNS1_3genE8ELNS1_11target_archE1030ELNS1_3gpuE2ELNS1_3repE0EEENS1_30default_config_static_selectorELNS0_4arch9wavefront6targetE1EEEvT1_,"axG",@progbits,_ZN7rocprim17ROCPRIM_400000_NS6detail17trampoline_kernelINS0_14default_configENS1_20scan_config_selectorIN3c104HalfEEEZZNS1_9scan_implILNS1_25lookback_scan_determinismE0ELb0ELb0ES3_PKS6_PS6_S6_ZZZN2at6native31launch_logcumsumexp_cuda_kernelERKNSD_10TensorBaseESH_lENKUlvE_clEvENKUlvE3_clEvEUlS6_S6_E_S6_EEDaPvRmT3_T4_T5_mT6_P12ihipStream_tbENKUlT_T0_E_clISt17integral_constantIbLb0EESX_IbLb1EEEEDaST_SU_EUlST_E0_NS1_11comp_targetILNS1_3genE8ELNS1_11target_archE1030ELNS1_3gpuE2ELNS1_3repE0EEENS1_30default_config_static_selectorELNS0_4arch9wavefront6targetE1EEEvT1_,comdat
.Lfunc_end433:
	.size	_ZN7rocprim17ROCPRIM_400000_NS6detail17trampoline_kernelINS0_14default_configENS1_20scan_config_selectorIN3c104HalfEEEZZNS1_9scan_implILNS1_25lookback_scan_determinismE0ELb0ELb0ES3_PKS6_PS6_S6_ZZZN2at6native31launch_logcumsumexp_cuda_kernelERKNSD_10TensorBaseESH_lENKUlvE_clEvENKUlvE3_clEvEUlS6_S6_E_S6_EEDaPvRmT3_T4_T5_mT6_P12ihipStream_tbENKUlT_T0_E_clISt17integral_constantIbLb0EESX_IbLb1EEEEDaST_SU_EUlST_E0_NS1_11comp_targetILNS1_3genE8ELNS1_11target_archE1030ELNS1_3gpuE2ELNS1_3repE0EEENS1_30default_config_static_selectorELNS0_4arch9wavefront6targetE1EEEvT1_, .Lfunc_end433-_ZN7rocprim17ROCPRIM_400000_NS6detail17trampoline_kernelINS0_14default_configENS1_20scan_config_selectorIN3c104HalfEEEZZNS1_9scan_implILNS1_25lookback_scan_determinismE0ELb0ELb0ES3_PKS6_PS6_S6_ZZZN2at6native31launch_logcumsumexp_cuda_kernelERKNSD_10TensorBaseESH_lENKUlvE_clEvENKUlvE3_clEvEUlS6_S6_E_S6_EEDaPvRmT3_T4_T5_mT6_P12ihipStream_tbENKUlT_T0_E_clISt17integral_constantIbLb0EESX_IbLb1EEEEDaST_SU_EUlST_E0_NS1_11comp_targetILNS1_3genE8ELNS1_11target_archE1030ELNS1_3gpuE2ELNS1_3repE0EEENS1_30default_config_static_selectorELNS0_4arch9wavefront6targetE1EEEvT1_
                                        ; -- End function
	.set _ZN7rocprim17ROCPRIM_400000_NS6detail17trampoline_kernelINS0_14default_configENS1_20scan_config_selectorIN3c104HalfEEEZZNS1_9scan_implILNS1_25lookback_scan_determinismE0ELb0ELb0ES3_PKS6_PS6_S6_ZZZN2at6native31launch_logcumsumexp_cuda_kernelERKNSD_10TensorBaseESH_lENKUlvE_clEvENKUlvE3_clEvEUlS6_S6_E_S6_EEDaPvRmT3_T4_T5_mT6_P12ihipStream_tbENKUlT_T0_E_clISt17integral_constantIbLb0EESX_IbLb1EEEEDaST_SU_EUlST_E0_NS1_11comp_targetILNS1_3genE8ELNS1_11target_archE1030ELNS1_3gpuE2ELNS1_3repE0EEENS1_30default_config_static_selectorELNS0_4arch9wavefront6targetE1EEEvT1_.num_vgpr, 0
	.set _ZN7rocprim17ROCPRIM_400000_NS6detail17trampoline_kernelINS0_14default_configENS1_20scan_config_selectorIN3c104HalfEEEZZNS1_9scan_implILNS1_25lookback_scan_determinismE0ELb0ELb0ES3_PKS6_PS6_S6_ZZZN2at6native31launch_logcumsumexp_cuda_kernelERKNSD_10TensorBaseESH_lENKUlvE_clEvENKUlvE3_clEvEUlS6_S6_E_S6_EEDaPvRmT3_T4_T5_mT6_P12ihipStream_tbENKUlT_T0_E_clISt17integral_constantIbLb0EESX_IbLb1EEEEDaST_SU_EUlST_E0_NS1_11comp_targetILNS1_3genE8ELNS1_11target_archE1030ELNS1_3gpuE2ELNS1_3repE0EEENS1_30default_config_static_selectorELNS0_4arch9wavefront6targetE1EEEvT1_.num_agpr, 0
	.set _ZN7rocprim17ROCPRIM_400000_NS6detail17trampoline_kernelINS0_14default_configENS1_20scan_config_selectorIN3c104HalfEEEZZNS1_9scan_implILNS1_25lookback_scan_determinismE0ELb0ELb0ES3_PKS6_PS6_S6_ZZZN2at6native31launch_logcumsumexp_cuda_kernelERKNSD_10TensorBaseESH_lENKUlvE_clEvENKUlvE3_clEvEUlS6_S6_E_S6_EEDaPvRmT3_T4_T5_mT6_P12ihipStream_tbENKUlT_T0_E_clISt17integral_constantIbLb0EESX_IbLb1EEEEDaST_SU_EUlST_E0_NS1_11comp_targetILNS1_3genE8ELNS1_11target_archE1030ELNS1_3gpuE2ELNS1_3repE0EEENS1_30default_config_static_selectorELNS0_4arch9wavefront6targetE1EEEvT1_.numbered_sgpr, 0
	.set _ZN7rocprim17ROCPRIM_400000_NS6detail17trampoline_kernelINS0_14default_configENS1_20scan_config_selectorIN3c104HalfEEEZZNS1_9scan_implILNS1_25lookback_scan_determinismE0ELb0ELb0ES3_PKS6_PS6_S6_ZZZN2at6native31launch_logcumsumexp_cuda_kernelERKNSD_10TensorBaseESH_lENKUlvE_clEvENKUlvE3_clEvEUlS6_S6_E_S6_EEDaPvRmT3_T4_T5_mT6_P12ihipStream_tbENKUlT_T0_E_clISt17integral_constantIbLb0EESX_IbLb1EEEEDaST_SU_EUlST_E0_NS1_11comp_targetILNS1_3genE8ELNS1_11target_archE1030ELNS1_3gpuE2ELNS1_3repE0EEENS1_30default_config_static_selectorELNS0_4arch9wavefront6targetE1EEEvT1_.num_named_barrier, 0
	.set _ZN7rocprim17ROCPRIM_400000_NS6detail17trampoline_kernelINS0_14default_configENS1_20scan_config_selectorIN3c104HalfEEEZZNS1_9scan_implILNS1_25lookback_scan_determinismE0ELb0ELb0ES3_PKS6_PS6_S6_ZZZN2at6native31launch_logcumsumexp_cuda_kernelERKNSD_10TensorBaseESH_lENKUlvE_clEvENKUlvE3_clEvEUlS6_S6_E_S6_EEDaPvRmT3_T4_T5_mT6_P12ihipStream_tbENKUlT_T0_E_clISt17integral_constantIbLb0EESX_IbLb1EEEEDaST_SU_EUlST_E0_NS1_11comp_targetILNS1_3genE8ELNS1_11target_archE1030ELNS1_3gpuE2ELNS1_3repE0EEENS1_30default_config_static_selectorELNS0_4arch9wavefront6targetE1EEEvT1_.private_seg_size, 0
	.set _ZN7rocprim17ROCPRIM_400000_NS6detail17trampoline_kernelINS0_14default_configENS1_20scan_config_selectorIN3c104HalfEEEZZNS1_9scan_implILNS1_25lookback_scan_determinismE0ELb0ELb0ES3_PKS6_PS6_S6_ZZZN2at6native31launch_logcumsumexp_cuda_kernelERKNSD_10TensorBaseESH_lENKUlvE_clEvENKUlvE3_clEvEUlS6_S6_E_S6_EEDaPvRmT3_T4_T5_mT6_P12ihipStream_tbENKUlT_T0_E_clISt17integral_constantIbLb0EESX_IbLb1EEEEDaST_SU_EUlST_E0_NS1_11comp_targetILNS1_3genE8ELNS1_11target_archE1030ELNS1_3gpuE2ELNS1_3repE0EEENS1_30default_config_static_selectorELNS0_4arch9wavefront6targetE1EEEvT1_.uses_vcc, 0
	.set _ZN7rocprim17ROCPRIM_400000_NS6detail17trampoline_kernelINS0_14default_configENS1_20scan_config_selectorIN3c104HalfEEEZZNS1_9scan_implILNS1_25lookback_scan_determinismE0ELb0ELb0ES3_PKS6_PS6_S6_ZZZN2at6native31launch_logcumsumexp_cuda_kernelERKNSD_10TensorBaseESH_lENKUlvE_clEvENKUlvE3_clEvEUlS6_S6_E_S6_EEDaPvRmT3_T4_T5_mT6_P12ihipStream_tbENKUlT_T0_E_clISt17integral_constantIbLb0EESX_IbLb1EEEEDaST_SU_EUlST_E0_NS1_11comp_targetILNS1_3genE8ELNS1_11target_archE1030ELNS1_3gpuE2ELNS1_3repE0EEENS1_30default_config_static_selectorELNS0_4arch9wavefront6targetE1EEEvT1_.uses_flat_scratch, 0
	.set _ZN7rocprim17ROCPRIM_400000_NS6detail17trampoline_kernelINS0_14default_configENS1_20scan_config_selectorIN3c104HalfEEEZZNS1_9scan_implILNS1_25lookback_scan_determinismE0ELb0ELb0ES3_PKS6_PS6_S6_ZZZN2at6native31launch_logcumsumexp_cuda_kernelERKNSD_10TensorBaseESH_lENKUlvE_clEvENKUlvE3_clEvEUlS6_S6_E_S6_EEDaPvRmT3_T4_T5_mT6_P12ihipStream_tbENKUlT_T0_E_clISt17integral_constantIbLb0EESX_IbLb1EEEEDaST_SU_EUlST_E0_NS1_11comp_targetILNS1_3genE8ELNS1_11target_archE1030ELNS1_3gpuE2ELNS1_3repE0EEENS1_30default_config_static_selectorELNS0_4arch9wavefront6targetE1EEEvT1_.has_dyn_sized_stack, 0
	.set _ZN7rocprim17ROCPRIM_400000_NS6detail17trampoline_kernelINS0_14default_configENS1_20scan_config_selectorIN3c104HalfEEEZZNS1_9scan_implILNS1_25lookback_scan_determinismE0ELb0ELb0ES3_PKS6_PS6_S6_ZZZN2at6native31launch_logcumsumexp_cuda_kernelERKNSD_10TensorBaseESH_lENKUlvE_clEvENKUlvE3_clEvEUlS6_S6_E_S6_EEDaPvRmT3_T4_T5_mT6_P12ihipStream_tbENKUlT_T0_E_clISt17integral_constantIbLb0EESX_IbLb1EEEEDaST_SU_EUlST_E0_NS1_11comp_targetILNS1_3genE8ELNS1_11target_archE1030ELNS1_3gpuE2ELNS1_3repE0EEENS1_30default_config_static_selectorELNS0_4arch9wavefront6targetE1EEEvT1_.has_recursion, 0
	.set _ZN7rocprim17ROCPRIM_400000_NS6detail17trampoline_kernelINS0_14default_configENS1_20scan_config_selectorIN3c104HalfEEEZZNS1_9scan_implILNS1_25lookback_scan_determinismE0ELb0ELb0ES3_PKS6_PS6_S6_ZZZN2at6native31launch_logcumsumexp_cuda_kernelERKNSD_10TensorBaseESH_lENKUlvE_clEvENKUlvE3_clEvEUlS6_S6_E_S6_EEDaPvRmT3_T4_T5_mT6_P12ihipStream_tbENKUlT_T0_E_clISt17integral_constantIbLb0EESX_IbLb1EEEEDaST_SU_EUlST_E0_NS1_11comp_targetILNS1_3genE8ELNS1_11target_archE1030ELNS1_3gpuE2ELNS1_3repE0EEENS1_30default_config_static_selectorELNS0_4arch9wavefront6targetE1EEEvT1_.has_indirect_call, 0
	.section	.AMDGPU.csdata,"",@progbits
; Kernel info:
; codeLenInByte = 0
; TotalNumSgprs: 6
; NumVgprs: 0
; NumAgprs: 0
; TotalNumVgprs: 0
; ScratchSize: 0
; MemoryBound: 0
; FloatMode: 240
; IeeeMode: 1
; LDSByteSize: 0 bytes/workgroup (compile time only)
; SGPRBlocks: 0
; VGPRBlocks: 0
; NumSGPRsForWavesPerEU: 6
; NumVGPRsForWavesPerEU: 1
; AccumOffset: 4
; Occupancy: 8
; WaveLimiterHint : 0
; COMPUTE_PGM_RSRC2:SCRATCH_EN: 0
; COMPUTE_PGM_RSRC2:USER_SGPR: 2
; COMPUTE_PGM_RSRC2:TRAP_HANDLER: 0
; COMPUTE_PGM_RSRC2:TGID_X_EN: 1
; COMPUTE_PGM_RSRC2:TGID_Y_EN: 0
; COMPUTE_PGM_RSRC2:TGID_Z_EN: 0
; COMPUTE_PGM_RSRC2:TIDIG_COMP_CNT: 0
; COMPUTE_PGM_RSRC3_GFX90A:ACCUM_OFFSET: 0
; COMPUTE_PGM_RSRC3_GFX90A:TG_SPLIT: 0
	.section	.text._ZN2at6native32tensor_kernel_scan_innermost_dimIN3c104HalfEZZZNS0_31launch_logcumsumexp_cuda_kernelERKNS_10TensorBaseES6_lENKUlvE_clEvENKUlvE3_clEvEUlS3_S3_E_EEvPT_PKSA_jjjSA_T0_,"axG",@progbits,_ZN2at6native32tensor_kernel_scan_innermost_dimIN3c104HalfEZZZNS0_31launch_logcumsumexp_cuda_kernelERKNS_10TensorBaseES6_lENKUlvE_clEvENKUlvE3_clEvEUlS3_S3_E_EEvPT_PKSA_jjjSA_T0_,comdat
	.globl	_ZN2at6native32tensor_kernel_scan_innermost_dimIN3c104HalfEZZZNS0_31launch_logcumsumexp_cuda_kernelERKNS_10TensorBaseES6_lENKUlvE_clEvENKUlvE3_clEvEUlS3_S3_E_EEvPT_PKSA_jjjSA_T0_ ; -- Begin function _ZN2at6native32tensor_kernel_scan_innermost_dimIN3c104HalfEZZZNS0_31launch_logcumsumexp_cuda_kernelERKNS_10TensorBaseES6_lENKUlvE_clEvENKUlvE3_clEvEUlS3_S3_E_EEvPT_PKSA_jjjSA_T0_
	.p2align	8
	.type	_ZN2at6native32tensor_kernel_scan_innermost_dimIN3c104HalfEZZZNS0_31launch_logcumsumexp_cuda_kernelERKNS_10TensorBaseES6_lENKUlvE_clEvENKUlvE3_clEvEUlS3_S3_E_EEvPT_PKSA_jjjSA_T0_,@function
_ZN2at6native32tensor_kernel_scan_innermost_dimIN3c104HalfEZZZNS0_31launch_logcumsumexp_cuda_kernelERKNS_10TensorBaseES6_lENKUlvE_clEvENKUlvE3_clEvEUlS3_S3_E_EEvPT_PKSA_jjjSA_T0_: ; @_ZN2at6native32tensor_kernel_scan_innermost_dimIN3c104HalfEZZZNS0_31launch_logcumsumexp_cuda_kernelERKNS_10TensorBaseES6_lENKUlvE_clEvENKUlvE3_clEvEUlS3_S3_E_EEvPT_PKSA_jjjSA_T0_
; %bb.0:
	s_load_dwordx8 s[16:23], s[0:1], 0x0
	v_bfe_u32 v2, v0, 10, 10
	s_waitcnt lgkmcnt(0)
	s_lshl_b32 s3, 2, s22
	s_mul_hi_u32 s4, s20, s21
	v_mul_lo_u32 v1, s3, v2
	v_lshl_add_u32 v18, v1, 1, 0
	s_cmp_lg_u32 s4, 0
	s_mov_b64 s[4:5], -1
	s_cbranch_scc1 .LBB434_30
; %bb.1:
	s_load_dword s6, s[0:1], 0x2c
	s_add_u32 s4, s0, 32
	s_addc_u32 s5, s1, 0
	s_waitcnt lgkmcnt(0)
	s_lshr_b32 s6, s6, 16
	s_mul_i32 s26, s2, s6
	s_cmp_ge_u32 s26, s20
	s_cbranch_scc1 .LBB434_29
; %bb.2:
	s_load_dword s28, s[4:5], 0x0
	s_lshl_b32 s27, 1, s22
	s_cmp_lg_u32 s21, 0
	s_cselect_b64 s[10:11], -1, 0
	v_and_b32_e32 v1, 0x3ff, v0
	v_lshl_add_u32 v3, v1, 1, v18
	s_lshl_b32 s4, s3, 1
	v_cndmask_b32_e64 v4, 0, 1, s[10:11]
	v_lshl_add_u32 v14, s27, 1, v3
	v_cmp_eq_u32_e64 s[8:9], 0, v1
	v_add3_u32 v15, v18, s4, -2
	s_waitcnt lgkmcnt(0)
	s_mul_i32 s28, s28, s6
	s_add_i32 s29, s22, 1
	v_cmp_ne_u32_e64 s[4:5], 1, v4
	v_mov_b32_e32 v5, 0
	s_movk_i32 s30, 0x1f8
	s_mov_b32 s31, 0x3fb8aa3b
	s_mov_b32 s33, 0xc2ce8ed0
	;; [unrolled: 1-line block ×5, first 2 shown]
	v_mov_b32_e32 v16, 0x3ecc95a3
	s_mov_b32 s37, 0x3f317218
	s_mov_b32 s38, 0x33800000
	v_mov_b32_e32 v17, 0x7f800000
	v_mov_b32_e32 v6, 0x3f317218
                                        ; implicit-def: $vgpr4
	s_branch .LBB434_4
.LBB434_3:                              ;   in Loop: Header=BB434_4 Depth=1
	s_add_i32 s26, s26, s28
	s_cmp_ge_u32 s26, s20
	s_cbranch_scc1 .LBB434_29
.LBB434_4:                              ; =>This Loop Header: Depth=1
                                        ;     Child Loop BB434_7 Depth 2
                                        ;       Child Loop BB434_19 Depth 3
	s_and_b64 vcc, exec, s[4:5]
	s_cbranch_vccnz .LBB434_3
; %bb.5:                                ;   in Loop: Header=BB434_4 Depth=1
	v_add_u32_e32 v7, s26, v2
	v_mul_lo_u32 v4, v7, s21
	v_lshlrev_b64 v[10:11], 1, v[4:5]
	v_lshl_add_u64 v[8:9], s[18:19], 0, v[10:11]
	v_lshl_add_u64 v[10:11], s[16:17], 0, v[10:11]
	v_cmp_gt_u32_e32 vcc, s20, v7
	v_cmp_le_u32_e64 s[6:7], s20, v7
	s_mov_b32 s39, 0
	v_mov_b32_e32 v7, s23
	s_branch .LBB434_7
.LBB434_6:                              ;   in Loop: Header=BB434_7 Depth=2
	s_or_b64 exec, exec, s[12:13]
	ds_read_u16 v7, v15
	s_add_i32 s39, s39, s3
	s_cmp_ge_u32 s39, s21
	s_waitcnt lgkmcnt(0)
	s_barrier
	s_cbranch_scc1 .LBB434_3
.LBB434_7:                              ;   Parent Loop BB434_4 Depth=1
                                        ; =>  This Loop Header: Depth=2
                                        ;       Child Loop BB434_19 Depth 3
	v_add_u32_e32 v4, s39, v1
	v_add_u32_e32 v12, s27, v4
	s_and_saveexec_b64 s[12:13], vcc
	s_cbranch_execz .LBB434_16
; %bb.8:                                ;   in Loop: Header=BB434_7 Depth=2
	v_cmp_gt_u32_e64 s[10:11], s21, v4
	v_mov_b32_e32 v13, s23
	s_and_saveexec_b64 s[14:15], s[10:11]
	s_cbranch_execz .LBB434_10
; %bb.9:                                ;   in Loop: Header=BB434_7 Depth=2
	v_lshl_add_u64 v[20:21], v[4:5], 1, v[8:9]
	global_load_ushort v13, v[20:21], off
.LBB434_10:                             ;   in Loop: Header=BB434_7 Depth=2
	s_or_b64 exec, exec, s[14:15]
	s_waitcnt vmcnt(0)
	ds_write_b16 v3, v13
	v_cmp_gt_u32_e64 s[10:11], s21, v12
	v_mov_b32_e32 v13, s23
	s_and_saveexec_b64 s[14:15], s[10:11]
	s_cbranch_execz .LBB434_12
; %bb.11:                               ;   in Loop: Header=BB434_7 Depth=2
	v_mov_b32_e32 v13, v5
	v_lshl_add_u64 v[20:21], v[12:13], 1, v[8:9]
	global_load_ushort v13, v[20:21], off
.LBB434_12:                             ;   in Loop: Header=BB434_7 Depth=2
	s_or_b64 exec, exec, s[14:15]
	s_waitcnt vmcnt(0)
	ds_write_b16 v14, v13
	s_and_b64 exec, exec, s[8:9]
	s_cbranch_execz .LBB434_16
; %bb.13:                               ;   in Loop: Header=BB434_7 Depth=2
	ds_read_u16 v19, v18
	v_cvt_f32_f16_e32 v13, v7
	s_waitcnt lgkmcnt(0)
	v_cvt_f32_f16_e32 v20, v19
	v_cmp_u_f16_e64 s[10:11], v19, v19
	v_min_f32_e32 v21, v20, v13
	v_max_f32_e32 v22, v20, v13
	v_cndmask_b32_e64 v21, v21, v20, s[10:11]
	v_cndmask_b32_e64 v20, v22, v20, s[10:11]
	v_cmp_u_f16_e64 s[10:11], v7, v7
	s_nop 1
	v_cndmask_b32_e64 v7, v21, v13, s[10:11]
	v_cndmask_b32_e64 v13, v20, v13, s[10:11]
	v_cmp_neq_f32_e64 s[10:11], v7, v13
	v_cmp_class_f32_e64 s[14:15], v7, s30
	s_or_b64 s[10:11], s[10:11], s[14:15]
	s_and_saveexec_b64 s[14:15], s[10:11]
	s_cbranch_execz .LBB434_15
; %bb.14:                               ;   in Loop: Header=BB434_7 Depth=2
	v_sub_f32_e32 v7, v7, v13
	v_mul_f32_e32 v19, 0x3fb8aa3b, v7
	v_fma_f32 v20, v7, s31, -v19
	v_rndne_f32_e32 v21, v19
	v_fmac_f32_e32 v20, 0x32a5705f, v7
	v_sub_f32_e32 v19, v19, v21
	v_add_f32_e32 v19, v19, v20
	v_cvt_i32_f32_e32 v20, v21
	v_exp_f32_e32 v19, v19
	v_cmp_ngt_f32_e64 s[10:11], s33, v7
	v_ldexp_f32 v19, v19, v20
	s_nop 0
	v_cndmask_b32_e64 v19, 0, v19, s[10:11]
	v_cmp_nlt_f32_e64 s[10:11], s34, v7
	s_nop 1
	v_cndmask_b32_e64 v19, v17, v19, s[10:11]
	v_add_f32_e32 v7, 1.0, v19
	v_add_f32_e32 v20, -1.0, v7
	v_sub_f32_e32 v21, v20, v7
	v_add_f32_e32 v21, 1.0, v21
	v_sub_f32_e32 v20, v19, v20
	v_add_f32_e32 v22, v20, v21
	v_frexp_mant_f32_e32 v23, v7
	v_cvt_f64_f32_e32 v[20:21], v7
	v_frexp_exp_i32_f64_e32 v20, v[20:21]
	v_cmp_gt_f32_e64 s[10:11], s36, v23
	s_nop 1
	v_subbrev_co_u32_e64 v28, s[10:11], 0, v20, s[10:11]
	v_sub_u32_e32 v20, 0, v28
	v_ldexp_f32 v7, v7, v20
	v_ldexp_f32 v20, v22, v20
	v_add_f32_e32 v22, -1.0, v7
	v_add_f32_e32 v21, 1.0, v22
	v_sub_f32_e32 v21, v7, v21
	v_add_f32_e32 v23, v20, v21
	v_add_f32_e32 v21, 1.0, v7
	v_add_f32_e32 v24, -1.0, v21
	v_sub_f32_e32 v7, v7, v24
	v_add_f32_e32 v7, v20, v7
	v_add_f32_e32 v29, v21, v7
	v_rcp_f32_e32 v30, v29
	v_sub_f32_e32 v20, v21, v29
	v_add_f32_e32 v21, v22, v23
	v_add_f32_e32 v7, v7, v20
	v_mul_f32_e32 v32, v21, v30
	v_sub_f32_e32 v20, v22, v21
	v_mul_f32_e32 v22, v29, v32
	v_fma_f32 v24, v32, v29, -v22
	v_fmac_f32_e32 v24, v32, v7
	v_add_f32_e32 v31, v23, v20
	v_add_f32_e32 v20, v22, v24
	v_sub_f32_e32 v23, v21, v20
	v_pk_add_f32 v[26:27], v[20:21], v[22:23] neg_lo:[0,1] neg_hi:[0,1]
	v_mov_b32_e32 v25, v20
	v_pk_add_f32 v[20:21], v[26:27], v[24:25] neg_lo:[0,1] neg_hi:[0,1]
	v_cmp_neq_f32_e64 s[10:11], s35, v19
	v_add_f32_e32 v21, v31, v21
	v_add_f32_e32 v20, v20, v21
	;; [unrolled: 1-line block ×3, first 2 shown]
	v_mul_f32_e32 v31, v30, v21
	v_mul_f32_e32 v22, v29, v31
	v_fma_f32 v24, v31, v29, -v22
	v_fmac_f32_e32 v24, v31, v7
	v_sub_f32_e32 v7, v23, v21
	v_add_f32_e32 v7, v20, v7
	v_add_f32_e32 v20, v22, v24
	v_sub_f32_e32 v23, v21, v20
	v_pk_add_f32 v[26:27], v[20:21], v[22:23] neg_lo:[0,1] neg_hi:[0,1]
	v_mov_b32_e32 v25, v20
	v_pk_add_f32 v[20:21], v[26:27], v[24:25] neg_lo:[0,1] neg_hi:[0,1]
	s_nop 0
	v_add_f32_e32 v7, v7, v21
	v_add_f32_e32 v7, v20, v7
	v_add_f32_e32 v21, v32, v31
	v_add_f32_e32 v7, v23, v7
	v_sub_f32_e32 v20, v21, v32
	v_mul_f32_e32 v7, v30, v7
	v_sub_f32_e32 v20, v31, v20
	v_add_f32_e32 v22, v20, v7
	v_add_f32_e32 v24, v21, v22
	v_cvt_f32_i32_e32 v20, v28
	v_mul_f32_e32 v25, v24, v24
	v_sub_f32_e32 v21, v24, v21
	v_fmamk_f32 v7, v25, 0x3e9b6dac, v16
	v_sub_f32_e32 v21, v22, v21
	v_fmaak_f32 v7, v25, v7, 0x3f2aaada
	v_ldexp_f32 v26, v21, 1
	v_mul_f32_e32 v21, v24, v25
	v_ldexp_f32 v23, v24, 1
	v_pk_mul_f32 v[24:25], v[20:21], v[6:7]
	s_nop 0
	v_fma_f32 v22, v20, s37, -v24
	v_fmac_f32_e32 v22, 0xb102e308, v20
	v_pk_add_f32 v[20:21], v[24:25], v[22:23]
	s_nop 0
	v_sub_f32_e32 v7, v21, v23
	v_sub_f32_e32 v7, v25, v7
	v_add_f32_e32 v27, v26, v7
	v_mov_b32_e32 v26, v24
	v_pk_add_f32 v[24:25], v[20:21], v[24:25] neg_lo:[0,1] neg_hi:[0,1]
	v_pk_add_f32 v[28:29], v[20:21], v[26:27]
	v_mov_b32_e32 v23, v20
	v_mov_b32_e32 v25, v29
	v_pk_add_f32 v[30:31], v[22:23], v[24:25] neg_lo:[0,1] neg_hi:[0,1]
	v_pk_add_f32 v[22:23], v[22:23], v[24:25]
	v_mov_b32_e32 v26, v27
	v_pk_add_f32 v[24:25], v[22:23], v[20:21] op_sel:[1,0] op_sel_hi:[0,1] neg_lo:[0,1] neg_hi:[0,1]
	v_pk_add_f32 v[32:33], v[28:29], v[24:25] op_sel_hi:[1,0] neg_lo:[0,1] neg_hi:[0,1]
	v_mov_b32_e32 v28, v29
	v_mov_b32_e32 v29, v23
	v_pk_mov_b32 v[24:25], v[20:21], v[24:25] op_sel:[1,0]
	v_mov_b32_e32 v27, v20
	v_pk_add_f32 v[24:25], v[28:29], v[24:25] neg_lo:[0,1] neg_hi:[0,1]
	v_mov_b32_e32 v32, v30
	v_pk_add_f32 v[20:21], v[26:27], v[24:25] neg_lo:[0,1] neg_hi:[0,1]
	v_mov_b32_e32 v31, v23
	v_pk_add_f32 v[24:25], v[32:33], v[20:21]
	s_nop 0
	v_pk_add_f32 v[26:27], v[24:25], v[24:25] op_sel:[0,1] op_sel_hi:[1,0]
	s_nop 0
	v_pk_add_f32 v[22:23], v[22:23], v[26:27] op_sel:[1,0] op_sel_hi:[0,1]
	v_mov_b32_e32 v25, v22
	v_pk_add_f32 v[28:29], v[24:25], v[30:31] neg_lo:[0,1] neg_hi:[0,1]
	v_mov_b32_e32 v21, v26
	v_sub_f32_e32 v7, v24, v28
	v_pk_add_f32 v[20:21], v[20:21], v[28:29] neg_lo:[0,1] neg_hi:[0,1]
	v_sub_f32_e32 v7, v30, v7
	v_add_f32_e32 v7, v20, v7
	v_add_f32_e32 v7, v7, v21
	;; [unrolled: 1-line block ×3, first 2 shown]
	v_cndmask_b32_e64 v7, v17, v7, s[10:11]
	v_cmp_lt_f32_e64 s[10:11], |v19|, s38
	s_nop 1
	v_cndmask_b32_e64 v7, v7, v19, s[10:11]
	v_add_f32_e32 v7, v13, v7
	v_cvt_f16_f32_e32 v19, v7
.LBB434_15:                             ;   in Loop: Header=BB434_7 Depth=2
	s_or_b64 exec, exec, s[14:15]
	ds_write_b16 v18, v19
.LBB434_16:                             ;   in Loop: Header=BB434_7 Depth=2
	s_or_b64 exec, exec, s[12:13]
	v_mov_b32_e32 v7, 0
	s_mov_b64 s[14:15], 0
	s_waitcnt lgkmcnt(0)
	s_barrier
	s_branch .LBB434_19
.LBB434_17:                             ;   in Loop: Header=BB434_19 Depth=3
	s_or_b64 exec, exec, s[12:13]
	ds_write_b16 v19, v7
.LBB434_18:                             ;   in Loop: Header=BB434_19 Depth=3
	s_or_b64 exec, exec, s[24:25]
	v_cmp_eq_u32_e64 s[10:11], s29, v13
	s_or_b64 s[14:15], s[10:11], s[14:15]
	v_mov_b32_e32 v7, v13
	s_waitcnt lgkmcnt(0)
	s_barrier
	s_andn2_b64 exec, exec, s[14:15]
	s_cbranch_execz .LBB434_24
.LBB434_19:                             ;   Parent Loop BB434_4 Depth=1
                                        ;     Parent Loop BB434_7 Depth=2
                                        ; =>    This Inner Loop Header: Depth=3
	v_add_u32_e32 v13, 1, v7
	s_and_saveexec_b64 s[10:11], s[6:7]
	s_xor_b64 s[10:11], exec, s[10:11]
; %bb.20:                               ;   in Loop: Header=BB434_19 Depth=3
	v_add_u32_e32 v13, 1, v7
                                        ; implicit-def: $vgpr7
; %bb.21:                               ;   in Loop: Header=BB434_19 Depth=3
	s_andn2_saveexec_b64 s[24:25], s[10:11]
	s_cbranch_execz .LBB434_18
; %bb.22:                               ;   in Loop: Header=BB434_19 Depth=3
	v_lshlrev_b32_e64 v19, v7, 1
	v_lshrrev_b32_e32 v20, v7, v1
	v_lshl_or_b32 v19, v20, v13, v19
	v_bfm_b32 v7, v7, 0
	v_and_b32_e32 v7, v7, v1
	v_lshl_add_u32 v20, v19, 1, v18
	v_lshl_add_u32 v19, v7, 1, v20
	v_add_u32_e32 v20, -2, v20
	ds_read_u16 v7, v19
	ds_read_u16 v20, v20
	s_waitcnt lgkmcnt(1)
	v_cvt_f32_f16_e32 v22, v7
	s_waitcnt lgkmcnt(0)
	v_cvt_f32_f16_e32 v23, v20
	v_cmp_u_f16_e64 s[10:11], v7, v7
	v_cmp_u_f16_e64 s[12:13], v20, v20
	v_min_f32_e32 v21, v22, v23
	v_max_f32_e32 v20, v22, v23
	v_cndmask_b32_e64 v21, v21, v22, s[10:11]
	v_cndmask_b32_e64 v20, v20, v22, s[10:11]
	;; [unrolled: 1-line block ×4, first 2 shown]
	v_cmp_neq_f32_e64 s[10:11], v21, v20
	v_cmp_class_f32_e64 s[12:13], v21, s30
	s_or_b64 s[10:11], s[10:11], s[12:13]
	s_and_saveexec_b64 s[12:13], s[10:11]
	s_cbranch_execz .LBB434_17
; %bb.23:                               ;   in Loop: Header=BB434_19 Depth=3
	v_sub_f32_e32 v7, v21, v20
	v_mul_f32_e32 v21, 0x3fb8aa3b, v7
	v_fma_f32 v22, v7, s31, -v21
	v_rndne_f32_e32 v23, v21
	v_fmac_f32_e32 v22, 0x32a5705f, v7
	v_sub_f32_e32 v21, v21, v23
	v_add_f32_e32 v21, v21, v22
	v_cvt_i32_f32_e32 v22, v23
	v_exp_f32_e32 v21, v21
	v_cmp_ngt_f32_e64 s[10:11], s33, v7
	v_ldexp_f32 v21, v21, v22
	s_nop 0
	v_cndmask_b32_e64 v21, 0, v21, s[10:11]
	v_cmp_nlt_f32_e64 s[10:11], s34, v7
	s_nop 1
	v_cndmask_b32_e64 v21, v17, v21, s[10:11]
	v_add_f32_e32 v7, 1.0, v21
	v_add_f32_e32 v22, -1.0, v7
	v_sub_f32_e32 v23, v22, v7
	v_add_f32_e32 v23, 1.0, v23
	v_sub_f32_e32 v22, v21, v22
	v_add_f32_e32 v24, v22, v23
	v_frexp_mant_f32_e32 v25, v7
	v_cvt_f64_f32_e32 v[22:23], v7
	v_frexp_exp_i32_f64_e32 v22, v[22:23]
	v_cmp_gt_f32_e64 s[10:11], s36, v25
	s_nop 1
	v_subbrev_co_u32_e64 v30, s[10:11], 0, v22, s[10:11]
	v_sub_u32_e32 v22, 0, v30
	v_ldexp_f32 v7, v7, v22
	v_ldexp_f32 v22, v24, v22
	v_add_f32_e32 v24, -1.0, v7
	v_add_f32_e32 v23, 1.0, v24
	v_sub_f32_e32 v23, v7, v23
	v_add_f32_e32 v25, v22, v23
	v_add_f32_e32 v23, 1.0, v7
	v_add_f32_e32 v26, -1.0, v23
	v_sub_f32_e32 v7, v7, v26
	v_add_f32_e32 v7, v22, v7
	v_add_f32_e32 v31, v23, v7
	v_rcp_f32_e32 v32, v31
	v_sub_f32_e32 v22, v23, v31
	v_add_f32_e32 v23, v24, v25
	v_add_f32_e32 v7, v7, v22
	v_mul_f32_e32 v34, v23, v32
	v_sub_f32_e32 v22, v24, v23
	v_mul_f32_e32 v24, v31, v34
	v_fma_f32 v26, v34, v31, -v24
	v_fmac_f32_e32 v26, v34, v7
	v_add_f32_e32 v33, v25, v22
	v_add_f32_e32 v22, v24, v26
	v_sub_f32_e32 v25, v23, v22
	v_pk_add_f32 v[28:29], v[22:23], v[24:25] neg_lo:[0,1] neg_hi:[0,1]
	v_mov_b32_e32 v27, v22
	v_pk_add_f32 v[22:23], v[28:29], v[26:27] neg_lo:[0,1] neg_hi:[0,1]
	v_cmp_neq_f32_e64 s[10:11], s35, v21
	v_add_f32_e32 v23, v33, v23
	v_add_f32_e32 v22, v22, v23
	;; [unrolled: 1-line block ×3, first 2 shown]
	v_mul_f32_e32 v33, v32, v23
	v_mul_f32_e32 v24, v31, v33
	v_fma_f32 v26, v33, v31, -v24
	v_fmac_f32_e32 v26, v33, v7
	v_sub_f32_e32 v7, v25, v23
	v_add_f32_e32 v7, v22, v7
	v_add_f32_e32 v22, v24, v26
	v_sub_f32_e32 v25, v23, v22
	v_pk_add_f32 v[28:29], v[22:23], v[24:25] neg_lo:[0,1] neg_hi:[0,1]
	v_mov_b32_e32 v27, v22
	v_pk_add_f32 v[22:23], v[28:29], v[26:27] neg_lo:[0,1] neg_hi:[0,1]
	s_nop 0
	v_add_f32_e32 v7, v7, v23
	v_add_f32_e32 v7, v22, v7
	;; [unrolled: 1-line block ×4, first 2 shown]
	v_sub_f32_e32 v22, v23, v34
	v_mul_f32_e32 v7, v32, v7
	v_sub_f32_e32 v22, v33, v22
	v_add_f32_e32 v24, v22, v7
	v_add_f32_e32 v26, v23, v24
	v_cvt_f32_i32_e32 v22, v30
	v_mul_f32_e32 v27, v26, v26
	v_sub_f32_e32 v23, v26, v23
	v_fmamk_f32 v7, v27, 0x3e9b6dac, v16
	v_sub_f32_e32 v23, v24, v23
	v_fmaak_f32 v7, v27, v7, 0x3f2aaada
	v_ldexp_f32 v28, v23, 1
	v_mul_f32_e32 v23, v26, v27
	v_ldexp_f32 v25, v26, 1
	v_pk_mul_f32 v[26:27], v[22:23], v[6:7]
	s_nop 0
	v_fma_f32 v24, v22, s37, -v26
	v_fmac_f32_e32 v24, 0xb102e308, v22
	v_pk_add_f32 v[22:23], v[26:27], v[24:25]
	s_nop 0
	v_sub_f32_e32 v7, v23, v25
	v_sub_f32_e32 v7, v27, v7
	v_add_f32_e32 v29, v28, v7
	v_mov_b32_e32 v28, v26
	v_pk_add_f32 v[26:27], v[22:23], v[26:27] neg_lo:[0,1] neg_hi:[0,1]
	v_pk_add_f32 v[30:31], v[22:23], v[28:29]
	v_mov_b32_e32 v25, v22
	v_mov_b32_e32 v27, v31
	v_pk_add_f32 v[32:33], v[24:25], v[26:27] neg_lo:[0,1] neg_hi:[0,1]
	v_pk_add_f32 v[24:25], v[24:25], v[26:27]
	v_mov_b32_e32 v28, v29
	v_pk_add_f32 v[26:27], v[24:25], v[22:23] op_sel:[1,0] op_sel_hi:[0,1] neg_lo:[0,1] neg_hi:[0,1]
	v_pk_add_f32 v[34:35], v[30:31], v[26:27] op_sel_hi:[1,0] neg_lo:[0,1] neg_hi:[0,1]
	v_mov_b32_e32 v30, v31
	v_mov_b32_e32 v31, v25
	v_pk_mov_b32 v[26:27], v[22:23], v[26:27] op_sel:[1,0]
	v_mov_b32_e32 v29, v22
	v_pk_add_f32 v[26:27], v[30:31], v[26:27] neg_lo:[0,1] neg_hi:[0,1]
	v_mov_b32_e32 v34, v32
	v_pk_add_f32 v[22:23], v[28:29], v[26:27] neg_lo:[0,1] neg_hi:[0,1]
	v_mov_b32_e32 v33, v25
	v_pk_add_f32 v[26:27], v[34:35], v[22:23]
	s_nop 0
	v_pk_add_f32 v[28:29], v[26:27], v[26:27] op_sel:[0,1] op_sel_hi:[1,0]
	s_nop 0
	v_pk_add_f32 v[24:25], v[24:25], v[28:29] op_sel:[1,0] op_sel_hi:[0,1]
	v_mov_b32_e32 v27, v24
	v_pk_add_f32 v[30:31], v[26:27], v[32:33] neg_lo:[0,1] neg_hi:[0,1]
	v_mov_b32_e32 v23, v28
	v_sub_f32_e32 v7, v26, v30
	v_pk_add_f32 v[22:23], v[22:23], v[30:31] neg_lo:[0,1] neg_hi:[0,1]
	v_sub_f32_e32 v7, v32, v7
	v_add_f32_e32 v7, v22, v7
	v_add_f32_e32 v7, v7, v23
	;; [unrolled: 1-line block ×3, first 2 shown]
	v_cndmask_b32_e64 v7, v17, v7, s[10:11]
	v_cmp_lt_f32_e64 s[10:11], |v21|, s38
	s_nop 1
	v_cndmask_b32_e64 v7, v7, v21, s[10:11]
	v_add_f32_e32 v7, v20, v7
	v_cvt_f16_f32_e32 v7, v7
	s_branch .LBB434_17
.LBB434_24:                             ;   in Loop: Header=BB434_7 Depth=2
	s_or_b64 exec, exec, s[14:15]
	s_and_saveexec_b64 s[12:13], vcc
	s_cbranch_execz .LBB434_6
; %bb.25:                               ;   in Loop: Header=BB434_7 Depth=2
	v_cmp_gt_u32_e64 s[10:11], s21, v4
	s_and_saveexec_b64 s[14:15], s[10:11]
	s_cbranch_execz .LBB434_27
; %bb.26:                               ;   in Loop: Header=BB434_7 Depth=2
	ds_read_u16 v7, v3
	v_lshl_add_u64 v[20:21], v[4:5], 1, v[10:11]
	s_waitcnt lgkmcnt(0)
	global_store_short v[20:21], v7, off
.LBB434_27:                             ;   in Loop: Header=BB434_7 Depth=2
	s_or_b64 exec, exec, s[14:15]
	v_cmp_gt_u32_e64 s[10:11], s21, v12
	s_and_b64 exec, exec, s[10:11]
	s_cbranch_execz .LBB434_6
; %bb.28:                               ;   in Loop: Header=BB434_7 Depth=2
	ds_read_u16 v4, v14
	v_mov_b32_e32 v13, v5
	v_lshl_add_u64 v[12:13], v[12:13], 1, v[10:11]
	s_waitcnt lgkmcnt(0)
	global_store_short v[12:13], v4, off
	s_branch .LBB434_6
.LBB434_29:
	s_mov_b64 s[4:5], 0
.LBB434_30:
	s_andn2_b64 vcc, exec, s[4:5]
	s_cbranch_vccnz .LBB434_61
; %bb.31:
	s_load_dword s3, s[0:1], 0x2c
	s_add_u32 s0, s0, 32
	s_mov_b32 s9, 0
	s_addc_u32 s1, s1, 0
	s_mov_b32 s8, s20
	s_waitcnt lgkmcnt(0)
	s_lshr_b32 s3, s3, 16
	s_mul_hi_u32 s11, s3, s2
	s_mul_i32 s10, s3, s2
	v_mov_b64_e32 v[4:5], s[8:9]
	v_cmp_ge_u64_e32 vcc, s[10:11], v[4:5]
	s_cbranch_vccnz .LBB434_61
; %bb.32:
	s_lshl_b32 s12, 1, s22
	s_and_b32 s4, 0xffff, s3
	s_ashr_i32 s13, s12, 31
	s_load_dword s5, s[0:1], 0x0
	s_cmp_lg_u32 s21, 0
	s_cselect_b64 s[2:3], -1, 0
	s_mov_b32 s14, s21
	v_and_b32_e32 v0, 0x3ff, v0
	s_lshl_b64 s[20:21], s[12:13], 1
	v_cndmask_b32_e64 v4, 0, 1, s[2:3]
	v_mov_b32_e32 v3, 0
	v_lshl_add_u32 v19, v0, 1, v18
	s_lshl_b32 s6, s20, 1
	v_cmp_ne_u32_e64 s[2:3], 1, v4
                                        ; implicit-def: $vgpr4
	s_mov_b32 s15, s9
	v_mov_b32_e32 v1, v3
	v_lshl_add_u32 v20, s12, 1, v19
	v_cmp_eq_u32_e64 s[0:1], 0, v0
	v_add3_u32 v21, v18, s6, -2
	s_waitcnt lgkmcnt(0)
	s_mul_i32 s33, s5, s4
	s_add_i32 s22, s22, 1
	s_movk_i32 s34, 0x1f8
	s_mov_b32 s35, 0x3fb8aa3b
	s_mov_b32 s36, 0xc2ce8ed0
	;; [unrolled: 1-line block ×5, first 2 shown]
	v_mov_b32_e32 v22, 0x3ecc95a3
	s_mov_b32 s40, 0x3f317218
	s_mov_b32 s41, 0x33800000
	v_mov_b32_e32 v23, 0x7f800000
	v_mov_b32_e32 v4, 0x3f317218
	s_branch .LBB434_34
.LBB434_33:                             ;   in Loop: Header=BB434_34 Depth=1
	s_add_u32 s10, s10, s33
	s_addc_u32 s11, s11, 0
	v_mov_b64_e32 v[6:7], s[8:9]
	v_cmp_ge_u64_e32 vcc, s[10:11], v[6:7]
	s_cbranch_vccnz .LBB434_61
.LBB434_34:                             ; =>This Loop Header: Depth=1
                                        ;     Child Loop BB434_37 Depth 2
                                        ;       Child Loop BB434_49 Depth 3
	s_and_b64 vcc, exec, s[2:3]
	s_cbranch_vccnz .LBB434_33
; %bb.35:                               ;   in Loop: Header=BB434_34 Depth=1
	v_lshl_add_u64 v[10:11], s[10:11], 0, v[2:3]
	v_mad_u64_u32 v[6:7], s[4:5], v10, s14, 0
	v_mov_b32_e32 v8, v7
	v_mad_u64_u32 v[8:9], s[4:5], v11, s14, v[8:9]
	v_mov_b32_e32 v7, v8
	v_lshlrev_b64 v[8:9], 1, v[6:7]
	v_lshl_add_u64 v[6:7], s[18:19], 0, v[8:9]
	v_lshl_add_u64 v[8:9], s[16:17], 0, v[8:9]
	v_cmp_gt_u64_e64 s[4:5], s[8:9], v[10:11]
	v_cmp_le_u64_e64 s[6:7], s[8:9], v[10:11]
	s_mov_b64 s[24:25], 0
	v_mov_b32_e32 v5, s23
	s_branch .LBB434_37
.LBB434_36:                             ;   in Loop: Header=BB434_37 Depth=2
	s_or_b64 exec, exec, s[26:27]
	ds_read_u16 v5, v21
	s_add_u32 s24, s24, s20
	s_addc_u32 s25, s25, s21
	v_mov_b64_e32 v[10:11], s[14:15]
	v_cmp_ge_u64_e32 vcc, s[24:25], v[10:11]
	s_waitcnt lgkmcnt(0)
	s_barrier
	s_cbranch_vccnz .LBB434_33
.LBB434_37:                             ;   Parent Loop BB434_34 Depth=1
                                        ; =>  This Loop Header: Depth=2
                                        ;       Child Loop BB434_49 Depth 3
	v_lshl_add_u64 v[12:13], s[24:25], 0, v[0:1]
	v_lshl_add_u64 v[10:11], v[12:13], 0, s[12:13]
	s_and_saveexec_b64 s[26:27], s[4:5]
	s_cbranch_execz .LBB434_46
; %bb.38:                               ;   in Loop: Header=BB434_37 Depth=2
	v_cmp_gt_u64_e32 vcc, s[14:15], v[12:13]
	v_mov_b32_e32 v14, s23
	s_and_saveexec_b64 s[28:29], vcc
	s_cbranch_execz .LBB434_40
; %bb.39:                               ;   in Loop: Header=BB434_37 Depth=2
	v_lshl_add_u64 v[14:15], v[12:13], 1, v[6:7]
	global_load_ushort v14, v[14:15], off
.LBB434_40:                             ;   in Loop: Header=BB434_37 Depth=2
	s_or_b64 exec, exec, s[28:29]
	s_waitcnt vmcnt(0)
	ds_write_b16 v19, v14
	v_cmp_gt_u64_e32 vcc, s[14:15], v[10:11]
	v_mov_b32_e32 v14, s23
	s_and_saveexec_b64 s[28:29], vcc
	s_cbranch_execz .LBB434_42
; %bb.41:                               ;   in Loop: Header=BB434_37 Depth=2
	v_lshl_add_u64 v[14:15], v[10:11], 1, v[6:7]
	global_load_ushort v14, v[14:15], off
.LBB434_42:                             ;   in Loop: Header=BB434_37 Depth=2
	s_or_b64 exec, exec, s[28:29]
	s_waitcnt vmcnt(0)
	ds_write_b16 v20, v14
	s_and_b64 exec, exec, s[0:1]
	s_cbranch_execz .LBB434_46
; %bb.43:                               ;   in Loop: Header=BB434_37 Depth=2
	ds_read_u16 v15, v18
	v_cvt_f32_f16_e32 v14, v5
	s_waitcnt lgkmcnt(0)
	v_cvt_f32_f16_e32 v16, v15
	v_cmp_u_f16_e32 vcc, v15, v15
	v_min_f32_e32 v17, v16, v14
	v_max_f32_e32 v24, v16, v14
	v_cndmask_b32_e32 v17, v17, v16, vcc
	v_cndmask_b32_e32 v16, v24, v16, vcc
	v_cmp_u_f16_e32 vcc, v5, v5
	s_nop 1
	v_cndmask_b32_e32 v5, v17, v14, vcc
	v_cndmask_b32_e32 v14, v16, v14, vcc
	v_cmp_neq_f32_e32 vcc, v5, v14
	v_cmp_class_f32_e64 s[28:29], v5, s34
	s_or_b64 s[30:31], vcc, s[28:29]
	s_and_saveexec_b64 s[28:29], s[30:31]
	s_cbranch_execz .LBB434_45
; %bb.44:                               ;   in Loop: Header=BB434_37 Depth=2
	v_sub_f32_e32 v5, v5, v14
	v_mul_f32_e32 v15, 0x3fb8aa3b, v5
	v_fma_f32 v16, v5, s35, -v15
	v_rndne_f32_e32 v17, v15
	v_fmac_f32_e32 v16, 0x32a5705f, v5
	v_sub_f32_e32 v15, v15, v17
	v_add_f32_e32 v15, v15, v16
	v_cvt_i32_f32_e32 v16, v17
	v_exp_f32_e32 v15, v15
	v_cmp_ngt_f32_e32 vcc, s36, v5
	v_ldexp_f32 v15, v15, v16
	s_nop 0
	v_cndmask_b32_e32 v15, 0, v15, vcc
	v_cmp_nlt_f32_e32 vcc, s37, v5
	s_nop 1
	v_cndmask_b32_e32 v15, v23, v15, vcc
	v_add_f32_e32 v5, 1.0, v15
	v_add_f32_e32 v16, -1.0, v5
	v_sub_f32_e32 v17, v16, v5
	v_add_f32_e32 v17, 1.0, v17
	v_sub_f32_e32 v16, v15, v16
	v_add_f32_e32 v24, v16, v17
	v_frexp_mant_f32_e32 v25, v5
	v_cvt_f64_f32_e32 v[16:17], v5
	v_frexp_exp_i32_f64_e32 v16, v[16:17]
	v_cmp_gt_f32_e32 vcc, s39, v25
	s_nop 1
	v_subbrev_co_u32_e32 v30, vcc, 0, v16, vcc
	v_sub_u32_e32 v16, 0, v30
	v_ldexp_f32 v5, v5, v16
	v_ldexp_f32 v16, v24, v16
	v_add_f32_e32 v24, -1.0, v5
	v_add_f32_e32 v17, 1.0, v24
	v_sub_f32_e32 v17, v5, v17
	v_add_f32_e32 v25, v16, v17
	v_add_f32_e32 v17, 1.0, v5
	v_add_f32_e32 v26, -1.0, v17
	v_sub_f32_e32 v5, v5, v26
	v_add_f32_e32 v5, v16, v5
	v_add_f32_e32 v31, v17, v5
	v_rcp_f32_e32 v32, v31
	v_sub_f32_e32 v16, v17, v31
	v_add_f32_e32 v17, v24, v25
	v_add_f32_e32 v5, v5, v16
	v_mul_f32_e32 v34, v17, v32
	v_sub_f32_e32 v16, v24, v17
	v_mul_f32_e32 v24, v31, v34
	v_fma_f32 v26, v34, v31, -v24
	v_fmac_f32_e32 v26, v34, v5
	v_add_f32_e32 v33, v25, v16
	v_add_f32_e32 v16, v24, v26
	v_sub_f32_e32 v25, v17, v16
	v_pk_add_f32 v[28:29], v[16:17], v[24:25] neg_lo:[0,1] neg_hi:[0,1]
	v_mov_b32_e32 v27, v16
	v_pk_add_f32 v[16:17], v[28:29], v[26:27] neg_lo:[0,1] neg_hi:[0,1]
	v_cmp_neq_f32_e32 vcc, s38, v15
	v_add_f32_e32 v17, v33, v17
	v_add_f32_e32 v16, v16, v17
	;; [unrolled: 1-line block ×3, first 2 shown]
	v_mul_f32_e32 v33, v32, v17
	v_mul_f32_e32 v24, v31, v33
	v_fma_f32 v26, v33, v31, -v24
	v_fmac_f32_e32 v26, v33, v5
	v_sub_f32_e32 v5, v25, v17
	v_add_f32_e32 v5, v16, v5
	v_add_f32_e32 v16, v24, v26
	v_sub_f32_e32 v25, v17, v16
	v_pk_add_f32 v[28:29], v[16:17], v[24:25] neg_lo:[0,1] neg_hi:[0,1]
	v_mov_b32_e32 v27, v16
	v_pk_add_f32 v[16:17], v[28:29], v[26:27] neg_lo:[0,1] neg_hi:[0,1]
	s_nop 0
	v_add_f32_e32 v5, v5, v17
	v_add_f32_e32 v5, v16, v5
	;; [unrolled: 1-line block ×4, first 2 shown]
	v_sub_f32_e32 v16, v17, v34
	v_mul_f32_e32 v5, v32, v5
	v_sub_f32_e32 v16, v33, v16
	v_add_f32_e32 v24, v16, v5
	v_add_f32_e32 v26, v17, v24
	v_cvt_f32_i32_e32 v16, v30
	v_mul_f32_e32 v27, v26, v26
	v_sub_f32_e32 v17, v26, v17
	v_fmamk_f32 v5, v27, 0x3e9b6dac, v22
	v_sub_f32_e32 v17, v24, v17
	v_fmaak_f32 v5, v27, v5, 0x3f2aaada
	v_ldexp_f32 v28, v17, 1
	v_mul_f32_e32 v17, v26, v27
	v_ldexp_f32 v25, v26, 1
	v_pk_mul_f32 v[26:27], v[16:17], v[4:5]
	s_nop 0
	v_fma_f32 v24, v16, s40, -v26
	v_fmac_f32_e32 v24, 0xb102e308, v16
	v_pk_add_f32 v[16:17], v[26:27], v[24:25]
	s_nop 0
	v_sub_f32_e32 v5, v17, v25
	v_sub_f32_e32 v5, v27, v5
	v_add_f32_e32 v29, v28, v5
	v_mov_b32_e32 v28, v26
	v_pk_add_f32 v[26:27], v[16:17], v[26:27] neg_lo:[0,1] neg_hi:[0,1]
	v_pk_add_f32 v[30:31], v[16:17], v[28:29]
	v_mov_b32_e32 v25, v16
	v_mov_b32_e32 v27, v31
	v_pk_add_f32 v[32:33], v[24:25], v[26:27] neg_lo:[0,1] neg_hi:[0,1]
	v_pk_add_f32 v[24:25], v[24:25], v[26:27]
	v_mov_b32_e32 v28, v29
	v_pk_add_f32 v[26:27], v[24:25], v[16:17] op_sel:[1,0] op_sel_hi:[0,1] neg_lo:[0,1] neg_hi:[0,1]
	v_pk_add_f32 v[34:35], v[30:31], v[26:27] op_sel_hi:[1,0] neg_lo:[0,1] neg_hi:[0,1]
	v_mov_b32_e32 v30, v31
	v_mov_b32_e32 v31, v25
	v_pk_mov_b32 v[26:27], v[16:17], v[26:27] op_sel:[1,0]
	v_mov_b32_e32 v29, v16
	v_pk_add_f32 v[26:27], v[30:31], v[26:27] neg_lo:[0,1] neg_hi:[0,1]
	v_mov_b32_e32 v34, v32
	v_pk_add_f32 v[16:17], v[28:29], v[26:27] neg_lo:[0,1] neg_hi:[0,1]
	v_mov_b32_e32 v33, v25
	v_pk_add_f32 v[26:27], v[34:35], v[16:17]
	s_nop 0
	v_pk_add_f32 v[28:29], v[26:27], v[26:27] op_sel:[0,1] op_sel_hi:[1,0]
	s_nop 0
	v_pk_add_f32 v[24:25], v[24:25], v[28:29] op_sel:[1,0] op_sel_hi:[0,1]
	v_mov_b32_e32 v27, v24
	v_pk_add_f32 v[30:31], v[26:27], v[32:33] neg_lo:[0,1] neg_hi:[0,1]
	v_mov_b32_e32 v17, v28
	v_sub_f32_e32 v5, v26, v30
	v_pk_add_f32 v[16:17], v[16:17], v[30:31] neg_lo:[0,1] neg_hi:[0,1]
	v_sub_f32_e32 v5, v32, v5
	v_add_f32_e32 v5, v16, v5
	v_add_f32_e32 v5, v5, v17
	;; [unrolled: 1-line block ×3, first 2 shown]
	v_cndmask_b32_e32 v5, v23, v5, vcc
	v_cmp_lt_f32_e64 vcc, |v15|, s41
	s_nop 1
	v_cndmask_b32_e32 v5, v5, v15, vcc
	v_add_f32_e32 v5, v14, v5
	v_cvt_f16_f32_e32 v15, v5
.LBB434_45:                             ;   in Loop: Header=BB434_37 Depth=2
	s_or_b64 exec, exec, s[28:29]
	ds_write_b16 v18, v15
.LBB434_46:                             ;   in Loop: Header=BB434_37 Depth=2
	s_or_b64 exec, exec, s[26:27]
	v_mov_b32_e32 v5, 0
	s_mov_b64 s[26:27], 0
	s_waitcnt lgkmcnt(0)
	s_barrier
	s_branch .LBB434_49
.LBB434_47:                             ;   in Loop: Header=BB434_49 Depth=3
	s_or_b64 exec, exec, s[30:31]
	ds_write_b16 v14, v5
.LBB434_48:                             ;   in Loop: Header=BB434_49 Depth=3
	s_or_b64 exec, exec, s[28:29]
	v_cmp_eq_u32_e32 vcc, s22, v24
	s_or_b64 s[26:27], vcc, s[26:27]
	v_mov_b32_e32 v5, v24
	s_waitcnt lgkmcnt(0)
	s_barrier
	s_andn2_b64 exec, exec, s[26:27]
	s_cbranch_execz .LBB434_56
.LBB434_49:                             ;   Parent Loop BB434_34 Depth=1
                                        ;     Parent Loop BB434_37 Depth=2
                                        ; =>    This Inner Loop Header: Depth=3
	v_add_u32_e32 v24, 1, v5
	s_and_saveexec_b64 s[28:29], s[6:7]
	s_xor_b64 s[28:29], exec, s[28:29]
; %bb.50:                               ;   in Loop: Header=BB434_49 Depth=3
	v_add_u32_e32 v24, 1, v5
                                        ; implicit-def: $vgpr5
; %bb.51:                               ;   in Loop: Header=BB434_49 Depth=3
	s_andn2_saveexec_b64 s[28:29], s[28:29]
	s_cbranch_execz .LBB434_48
; %bb.52:                               ;   in Loop: Header=BB434_49 Depth=3
	v_lshlrev_b32_e64 v14, v5, 1
	v_ashrrev_i32_e32 v15, 31, v14
	v_cmp_ge_u64_e32 vcc, v[0:1], v[14:15]
	v_mov_b64_e32 v[16:17], v[0:1]
	s_and_saveexec_b64 s[30:31], vcc
	s_cbranch_execz .LBB434_54
; %bb.53:                               ;   in Loop: Header=BB434_49 Depth=3
	v_cvt_f32_u32_e32 v15, v14
	v_sub_u32_e32 v16, 0, v14
	v_rcp_iflag_f32_e32 v15, v15
	s_nop 0
	v_mul_f32_e32 v15, 0x4f7ffffe, v15
	v_cvt_u32_f32_e32 v15, v15
	v_mul_lo_u32 v16, v16, v15
	v_mul_hi_u32 v16, v15, v16
	v_add_u32_e32 v15, v15, v16
	v_mul_hi_u32 v15, v0, v15
	v_mul_lo_u32 v15, v15, v14
	v_sub_u32_e32 v15, v0, v15
	v_sub_u32_e32 v16, v15, v14
	v_cmp_ge_u32_e32 vcc, v15, v14
	s_nop 1
	v_cndmask_b32_e32 v15, v15, v16, vcc
	v_sub_u32_e32 v16, v15, v14
	v_cmp_ge_u32_e32 vcc, v15, v14
	s_nop 1
	v_cndmask_b32_e32 v16, v15, v16, vcc
.LBB434_54:                             ;   in Loop: Header=BB434_49 Depth=3
	s_or_b64 exec, exec, s[30:31]
	v_lshrrev_b32_e32 v5, v5, v0
	v_lshl_or_b32 v5, v5, v24, v14
	v_lshl_add_u32 v5, v5, 1, v18
	v_lshl_add_u32 v14, v16, 1, v5
	v_add_u32_e32 v15, -2, v5
	ds_read_u16 v5, v14
	ds_read_u16 v15, v15
	s_waitcnt lgkmcnt(1)
	v_cvt_f32_f16_e32 v16, v5
	s_waitcnt lgkmcnt(0)
	v_cvt_f32_f16_e32 v17, v15
	v_cmp_u_f16_e32 vcc, v5, v5
	v_min_f32_e32 v25, v16, v17
	v_max_f32_e32 v26, v16, v17
	v_cndmask_b32_e32 v25, v25, v16, vcc
	v_cndmask_b32_e32 v26, v26, v16, vcc
	v_cmp_u_f16_e32 vcc, v15, v15
	s_nop 1
	v_cndmask_b32_e32 v16, v25, v17, vcc
	v_cndmask_b32_e32 v15, v26, v17, vcc
	v_cmp_neq_f32_e32 vcc, v16, v15
	v_cmp_class_f32_e64 s[30:31], v16, s34
	s_or_b64 s[42:43], vcc, s[30:31]
	s_and_saveexec_b64 s[30:31], s[42:43]
	s_cbranch_execz .LBB434_47
; %bb.55:                               ;   in Loop: Header=BB434_49 Depth=3
	v_sub_f32_e32 v5, v16, v15
	v_mul_f32_e32 v16, 0x3fb8aa3b, v5
	v_fma_f32 v17, v5, s35, -v16
	v_rndne_f32_e32 v25, v16
	v_fmac_f32_e32 v17, 0x32a5705f, v5
	v_sub_f32_e32 v16, v16, v25
	v_add_f32_e32 v16, v16, v17
	v_cvt_i32_f32_e32 v17, v25
	v_exp_f32_e32 v16, v16
	v_cmp_ngt_f32_e32 vcc, s36, v5
	v_ldexp_f32 v16, v16, v17
	s_nop 0
	v_cndmask_b32_e32 v16, 0, v16, vcc
	v_cmp_nlt_f32_e32 vcc, s37, v5
	s_nop 1
	v_cndmask_b32_e32 v25, v23, v16, vcc
	v_add_f32_e32 v5, 1.0, v25
	v_add_f32_e32 v16, -1.0, v5
	v_sub_f32_e32 v17, v16, v5
	v_add_f32_e32 v17, 1.0, v17
	v_sub_f32_e32 v16, v25, v16
	v_add_f32_e32 v26, v16, v17
	v_frexp_mant_f32_e32 v27, v5
	v_cvt_f64_f32_e32 v[16:17], v5
	v_frexp_exp_i32_f64_e32 v16, v[16:17]
	v_cmp_gt_f32_e32 vcc, s39, v27
	s_nop 1
	v_subbrev_co_u32_e32 v32, vcc, 0, v16, vcc
	v_sub_u32_e32 v16, 0, v32
	v_ldexp_f32 v5, v5, v16
	v_ldexp_f32 v16, v26, v16
	v_add_f32_e32 v26, -1.0, v5
	v_add_f32_e32 v17, 1.0, v26
	v_sub_f32_e32 v17, v5, v17
	v_add_f32_e32 v27, v16, v17
	v_add_f32_e32 v17, 1.0, v5
	v_add_f32_e32 v28, -1.0, v17
	v_sub_f32_e32 v5, v5, v28
	v_add_f32_e32 v5, v16, v5
	v_add_f32_e32 v33, v17, v5
	v_rcp_f32_e32 v34, v33
	v_sub_f32_e32 v16, v17, v33
	v_add_f32_e32 v17, v26, v27
	v_add_f32_e32 v5, v5, v16
	v_mul_f32_e32 v36, v17, v34
	v_sub_f32_e32 v16, v26, v17
	v_mul_f32_e32 v26, v33, v36
	v_fma_f32 v28, v36, v33, -v26
	v_fmac_f32_e32 v28, v36, v5
	v_add_f32_e32 v35, v27, v16
	v_add_f32_e32 v16, v26, v28
	v_sub_f32_e32 v27, v17, v16
	v_pk_add_f32 v[30:31], v[16:17], v[26:27] neg_lo:[0,1] neg_hi:[0,1]
	v_mov_b32_e32 v29, v16
	v_pk_add_f32 v[16:17], v[30:31], v[28:29] neg_lo:[0,1] neg_hi:[0,1]
	v_cmp_neq_f32_e32 vcc, s38, v25
	v_add_f32_e32 v17, v35, v17
	v_add_f32_e32 v16, v16, v17
	;; [unrolled: 1-line block ×3, first 2 shown]
	v_mul_f32_e32 v35, v34, v17
	v_mul_f32_e32 v26, v33, v35
	v_fma_f32 v28, v35, v33, -v26
	v_fmac_f32_e32 v28, v35, v5
	v_sub_f32_e32 v5, v27, v17
	v_add_f32_e32 v5, v16, v5
	v_add_f32_e32 v16, v26, v28
	v_sub_f32_e32 v27, v17, v16
	v_pk_add_f32 v[30:31], v[16:17], v[26:27] neg_lo:[0,1] neg_hi:[0,1]
	v_mov_b32_e32 v29, v16
	v_pk_add_f32 v[16:17], v[30:31], v[28:29] neg_lo:[0,1] neg_hi:[0,1]
	s_nop 0
	v_add_f32_e32 v5, v5, v17
	v_add_f32_e32 v5, v16, v5
	;; [unrolled: 1-line block ×4, first 2 shown]
	v_sub_f32_e32 v16, v17, v36
	v_mul_f32_e32 v5, v34, v5
	v_sub_f32_e32 v16, v35, v16
	v_add_f32_e32 v26, v16, v5
	v_add_f32_e32 v28, v17, v26
	v_cvt_f32_i32_e32 v16, v32
	v_mul_f32_e32 v29, v28, v28
	v_sub_f32_e32 v17, v28, v17
	v_fmamk_f32 v5, v29, 0x3e9b6dac, v22
	v_sub_f32_e32 v17, v26, v17
	v_fmaak_f32 v5, v29, v5, 0x3f2aaada
	v_ldexp_f32 v30, v17, 1
	v_mul_f32_e32 v17, v28, v29
	v_ldexp_f32 v27, v28, 1
	v_pk_mul_f32 v[28:29], v[16:17], v[4:5]
	s_nop 0
	v_fma_f32 v26, v16, s40, -v28
	v_fmac_f32_e32 v26, 0xb102e308, v16
	v_pk_add_f32 v[16:17], v[28:29], v[26:27]
	s_nop 0
	v_sub_f32_e32 v5, v17, v27
	v_sub_f32_e32 v5, v29, v5
	v_add_f32_e32 v31, v30, v5
	v_mov_b32_e32 v30, v28
	v_pk_add_f32 v[28:29], v[16:17], v[28:29] neg_lo:[0,1] neg_hi:[0,1]
	v_pk_add_f32 v[32:33], v[16:17], v[30:31]
	v_mov_b32_e32 v27, v16
	v_mov_b32_e32 v29, v33
	v_pk_add_f32 v[34:35], v[26:27], v[28:29] neg_lo:[0,1] neg_hi:[0,1]
	v_pk_add_f32 v[26:27], v[26:27], v[28:29]
	v_mov_b32_e32 v30, v31
	v_pk_add_f32 v[28:29], v[26:27], v[16:17] op_sel:[1,0] op_sel_hi:[0,1] neg_lo:[0,1] neg_hi:[0,1]
	v_pk_add_f32 v[36:37], v[32:33], v[28:29] op_sel_hi:[1,0] neg_lo:[0,1] neg_hi:[0,1]
	v_mov_b32_e32 v32, v33
	v_mov_b32_e32 v33, v27
	v_pk_mov_b32 v[28:29], v[16:17], v[28:29] op_sel:[1,0]
	v_mov_b32_e32 v31, v16
	v_pk_add_f32 v[28:29], v[32:33], v[28:29] neg_lo:[0,1] neg_hi:[0,1]
	v_mov_b32_e32 v36, v34
	v_pk_add_f32 v[16:17], v[30:31], v[28:29] neg_lo:[0,1] neg_hi:[0,1]
	v_mov_b32_e32 v35, v27
	v_pk_add_f32 v[28:29], v[36:37], v[16:17]
	s_nop 0
	v_pk_add_f32 v[30:31], v[28:29], v[28:29] op_sel:[0,1] op_sel_hi:[1,0]
	s_nop 0
	v_pk_add_f32 v[26:27], v[26:27], v[30:31] op_sel:[1,0] op_sel_hi:[0,1]
	v_mov_b32_e32 v29, v26
	v_pk_add_f32 v[32:33], v[28:29], v[34:35] neg_lo:[0,1] neg_hi:[0,1]
	v_mov_b32_e32 v17, v30
	v_sub_f32_e32 v5, v28, v32
	v_pk_add_f32 v[16:17], v[16:17], v[32:33] neg_lo:[0,1] neg_hi:[0,1]
	v_sub_f32_e32 v5, v34, v5
	v_add_f32_e32 v5, v16, v5
	v_add_f32_e32 v5, v5, v17
	;; [unrolled: 1-line block ×3, first 2 shown]
	v_cndmask_b32_e32 v5, v23, v5, vcc
	v_cmp_lt_f32_e64 vcc, |v25|, s41
	s_nop 1
	v_cndmask_b32_e32 v5, v5, v25, vcc
	v_add_f32_e32 v5, v15, v5
	v_cvt_f16_f32_e32 v5, v5
	s_branch .LBB434_47
.LBB434_56:                             ;   in Loop: Header=BB434_37 Depth=2
	s_or_b64 exec, exec, s[26:27]
	s_and_saveexec_b64 s[26:27], s[4:5]
	s_cbranch_execz .LBB434_36
; %bb.57:                               ;   in Loop: Header=BB434_37 Depth=2
	v_cmp_gt_u64_e32 vcc, s[14:15], v[12:13]
	s_and_saveexec_b64 s[28:29], vcc
	s_cbranch_execz .LBB434_59
; %bb.58:                               ;   in Loop: Header=BB434_37 Depth=2
	ds_read_u16 v5, v19
	v_lshl_add_u64 v[12:13], v[12:13], 1, v[8:9]
	s_waitcnt lgkmcnt(0)
	global_store_short v[12:13], v5, off
.LBB434_59:                             ;   in Loop: Header=BB434_37 Depth=2
	s_or_b64 exec, exec, s[28:29]
	v_cmp_gt_u64_e32 vcc, s[14:15], v[10:11]
	s_and_b64 exec, exec, vcc
	s_cbranch_execz .LBB434_36
; %bb.60:                               ;   in Loop: Header=BB434_37 Depth=2
	ds_read_u16 v5, v20
	v_lshl_add_u64 v[10:11], v[10:11], 1, v[8:9]
	s_waitcnt lgkmcnt(0)
	global_store_short v[10:11], v5, off
	s_branch .LBB434_36
.LBB434_61:
	s_endpgm
	.section	.rodata,"a",@progbits
	.p2align	6, 0x0
	.amdhsa_kernel _ZN2at6native32tensor_kernel_scan_innermost_dimIN3c104HalfEZZZNS0_31launch_logcumsumexp_cuda_kernelERKNS_10TensorBaseES6_lENKUlvE_clEvENKUlvE3_clEvEUlS3_S3_E_EEvPT_PKSA_jjjSA_T0_
		.amdhsa_group_segment_fixed_size 0
		.amdhsa_private_segment_fixed_size 0
		.amdhsa_kernarg_size 288
		.amdhsa_user_sgpr_count 2
		.amdhsa_user_sgpr_dispatch_ptr 0
		.amdhsa_user_sgpr_queue_ptr 0
		.amdhsa_user_sgpr_kernarg_segment_ptr 1
		.amdhsa_user_sgpr_dispatch_id 0
		.amdhsa_user_sgpr_kernarg_preload_length 0
		.amdhsa_user_sgpr_kernarg_preload_offset 0
		.amdhsa_user_sgpr_private_segment_size 0
		.amdhsa_uses_dynamic_stack 0
		.amdhsa_enable_private_segment 0
		.amdhsa_system_sgpr_workgroup_id_x 1
		.amdhsa_system_sgpr_workgroup_id_y 0
		.amdhsa_system_sgpr_workgroup_id_z 0
		.amdhsa_system_sgpr_workgroup_info 0
		.amdhsa_system_vgpr_workitem_id 1
		.amdhsa_next_free_vgpr 38
		.amdhsa_next_free_sgpr 44
		.amdhsa_accum_offset 40
		.amdhsa_reserve_vcc 1
		.amdhsa_float_round_mode_32 0
		.amdhsa_float_round_mode_16_64 0
		.amdhsa_float_denorm_mode_32 3
		.amdhsa_float_denorm_mode_16_64 3
		.amdhsa_dx10_clamp 1
		.amdhsa_ieee_mode 1
		.amdhsa_fp16_overflow 0
		.amdhsa_tg_split 0
		.amdhsa_exception_fp_ieee_invalid_op 0
		.amdhsa_exception_fp_denorm_src 0
		.amdhsa_exception_fp_ieee_div_zero 0
		.amdhsa_exception_fp_ieee_overflow 0
		.amdhsa_exception_fp_ieee_underflow 0
		.amdhsa_exception_fp_ieee_inexact 0
		.amdhsa_exception_int_div_zero 0
	.end_amdhsa_kernel
	.section	.text._ZN2at6native32tensor_kernel_scan_innermost_dimIN3c104HalfEZZZNS0_31launch_logcumsumexp_cuda_kernelERKNS_10TensorBaseES6_lENKUlvE_clEvENKUlvE3_clEvEUlS3_S3_E_EEvPT_PKSA_jjjSA_T0_,"axG",@progbits,_ZN2at6native32tensor_kernel_scan_innermost_dimIN3c104HalfEZZZNS0_31launch_logcumsumexp_cuda_kernelERKNS_10TensorBaseES6_lENKUlvE_clEvENKUlvE3_clEvEUlS3_S3_E_EEvPT_PKSA_jjjSA_T0_,comdat
.Lfunc_end434:
	.size	_ZN2at6native32tensor_kernel_scan_innermost_dimIN3c104HalfEZZZNS0_31launch_logcumsumexp_cuda_kernelERKNS_10TensorBaseES6_lENKUlvE_clEvENKUlvE3_clEvEUlS3_S3_E_EEvPT_PKSA_jjjSA_T0_, .Lfunc_end434-_ZN2at6native32tensor_kernel_scan_innermost_dimIN3c104HalfEZZZNS0_31launch_logcumsumexp_cuda_kernelERKNS_10TensorBaseES6_lENKUlvE_clEvENKUlvE3_clEvEUlS3_S3_E_EEvPT_PKSA_jjjSA_T0_
                                        ; -- End function
	.set _ZN2at6native32tensor_kernel_scan_innermost_dimIN3c104HalfEZZZNS0_31launch_logcumsumexp_cuda_kernelERKNS_10TensorBaseES6_lENKUlvE_clEvENKUlvE3_clEvEUlS3_S3_E_EEvPT_PKSA_jjjSA_T0_.num_vgpr, 38
	.set _ZN2at6native32tensor_kernel_scan_innermost_dimIN3c104HalfEZZZNS0_31launch_logcumsumexp_cuda_kernelERKNS_10TensorBaseES6_lENKUlvE_clEvENKUlvE3_clEvEUlS3_S3_E_EEvPT_PKSA_jjjSA_T0_.num_agpr, 0
	.set _ZN2at6native32tensor_kernel_scan_innermost_dimIN3c104HalfEZZZNS0_31launch_logcumsumexp_cuda_kernelERKNS_10TensorBaseES6_lENKUlvE_clEvENKUlvE3_clEvEUlS3_S3_E_EEvPT_PKSA_jjjSA_T0_.numbered_sgpr, 44
	.set _ZN2at6native32tensor_kernel_scan_innermost_dimIN3c104HalfEZZZNS0_31launch_logcumsumexp_cuda_kernelERKNS_10TensorBaseES6_lENKUlvE_clEvENKUlvE3_clEvEUlS3_S3_E_EEvPT_PKSA_jjjSA_T0_.num_named_barrier, 0
	.set _ZN2at6native32tensor_kernel_scan_innermost_dimIN3c104HalfEZZZNS0_31launch_logcumsumexp_cuda_kernelERKNS_10TensorBaseES6_lENKUlvE_clEvENKUlvE3_clEvEUlS3_S3_E_EEvPT_PKSA_jjjSA_T0_.private_seg_size, 0
	.set _ZN2at6native32tensor_kernel_scan_innermost_dimIN3c104HalfEZZZNS0_31launch_logcumsumexp_cuda_kernelERKNS_10TensorBaseES6_lENKUlvE_clEvENKUlvE3_clEvEUlS3_S3_E_EEvPT_PKSA_jjjSA_T0_.uses_vcc, 1
	.set _ZN2at6native32tensor_kernel_scan_innermost_dimIN3c104HalfEZZZNS0_31launch_logcumsumexp_cuda_kernelERKNS_10TensorBaseES6_lENKUlvE_clEvENKUlvE3_clEvEUlS3_S3_E_EEvPT_PKSA_jjjSA_T0_.uses_flat_scratch, 0
	.set _ZN2at6native32tensor_kernel_scan_innermost_dimIN3c104HalfEZZZNS0_31launch_logcumsumexp_cuda_kernelERKNS_10TensorBaseES6_lENKUlvE_clEvENKUlvE3_clEvEUlS3_S3_E_EEvPT_PKSA_jjjSA_T0_.has_dyn_sized_stack, 0
	.set _ZN2at6native32tensor_kernel_scan_innermost_dimIN3c104HalfEZZZNS0_31launch_logcumsumexp_cuda_kernelERKNS_10TensorBaseES6_lENKUlvE_clEvENKUlvE3_clEvEUlS3_S3_E_EEvPT_PKSA_jjjSA_T0_.has_recursion, 0
	.set _ZN2at6native32tensor_kernel_scan_innermost_dimIN3c104HalfEZZZNS0_31launch_logcumsumexp_cuda_kernelERKNS_10TensorBaseES6_lENKUlvE_clEvENKUlvE3_clEvEUlS3_S3_E_EEvPT_PKSA_jjjSA_T0_.has_indirect_call, 0
	.section	.AMDGPU.csdata,"",@progbits
; Kernel info:
; codeLenInByte = 4932
; TotalNumSgprs: 50
; NumVgprs: 38
; NumAgprs: 0
; TotalNumVgprs: 38
; ScratchSize: 0
; MemoryBound: 0
; FloatMode: 240
; IeeeMode: 1
; LDSByteSize: 0 bytes/workgroup (compile time only)
; SGPRBlocks: 6
; VGPRBlocks: 4
; NumSGPRsForWavesPerEU: 50
; NumVGPRsForWavesPerEU: 38
; AccumOffset: 40
; Occupancy: 8
; WaveLimiterHint : 0
; COMPUTE_PGM_RSRC2:SCRATCH_EN: 0
; COMPUTE_PGM_RSRC2:USER_SGPR: 2
; COMPUTE_PGM_RSRC2:TRAP_HANDLER: 0
; COMPUTE_PGM_RSRC2:TGID_X_EN: 1
; COMPUTE_PGM_RSRC2:TGID_Y_EN: 0
; COMPUTE_PGM_RSRC2:TGID_Z_EN: 0
; COMPUTE_PGM_RSRC2:TIDIG_COMP_CNT: 1
; COMPUTE_PGM_RSRC3_GFX90A:ACCUM_OFFSET: 9
; COMPUTE_PGM_RSRC3_GFX90A:TG_SPLIT: 0
	.section	.text._ZN2at6native28tensor_kernel_scan_outer_dimIN3c104HalfEjZZZNS0_31launch_logcumsumexp_cuda_kernelERKNS_10TensorBaseES6_lENKUlvE_clEvENKUlvE3_clEvEUlS3_S3_E_EEvPT_PKSA_jjjSA_T1_,"axG",@progbits,_ZN2at6native28tensor_kernel_scan_outer_dimIN3c104HalfEjZZZNS0_31launch_logcumsumexp_cuda_kernelERKNS_10TensorBaseES6_lENKUlvE_clEvENKUlvE3_clEvEUlS3_S3_E_EEvPT_PKSA_jjjSA_T1_,comdat
	.globl	_ZN2at6native28tensor_kernel_scan_outer_dimIN3c104HalfEjZZZNS0_31launch_logcumsumexp_cuda_kernelERKNS_10TensorBaseES6_lENKUlvE_clEvENKUlvE3_clEvEUlS3_S3_E_EEvPT_PKSA_jjjSA_T1_ ; -- Begin function _ZN2at6native28tensor_kernel_scan_outer_dimIN3c104HalfEjZZZNS0_31launch_logcumsumexp_cuda_kernelERKNS_10TensorBaseES6_lENKUlvE_clEvENKUlvE3_clEvEUlS3_S3_E_EEvPT_PKSA_jjjSA_T1_
	.p2align	8
	.type	_ZN2at6native28tensor_kernel_scan_outer_dimIN3c104HalfEjZZZNS0_31launch_logcumsumexp_cuda_kernelERKNS_10TensorBaseES6_lENKUlvE_clEvENKUlvE3_clEvEUlS3_S3_E_EEvPT_PKSA_jjjSA_T1_,@function
_ZN2at6native28tensor_kernel_scan_outer_dimIN3c104HalfEjZZZNS0_31launch_logcumsumexp_cuda_kernelERKNS_10TensorBaseES6_lENKUlvE_clEvENKUlvE3_clEvEUlS3_S3_E_EEvPT_PKSA_jjjSA_T1_: ; @_ZN2at6native28tensor_kernel_scan_outer_dimIN3c104HalfEjZZZNS0_31launch_logcumsumexp_cuda_kernelERKNS_10TensorBaseES6_lENKUlvE_clEvENKUlvE3_clEvEUlS3_S3_E_EEvPT_PKSA_jjjSA_T1_
; %bb.0:
	s_load_dwordx4 s[8:11], s[0:1], 0x10
	s_waitcnt lgkmcnt(0)
	s_cmp_ge_u32 s2, s8
	s_cbranch_scc1 .LBB435_11
; %bb.1:
	s_load_dword s4, s[0:1], 0x2c
	s_load_dwordx4 s[12:15], s[0:1], 0x0
	s_load_dword s28, s[0:1], 0x20
	s_add_u32 s6, s0, 32
	s_addc_u32 s7, s1, 0
	s_waitcnt lgkmcnt(0)
	s_and_b32 s29, s4, 0xffff
	s_mul_i32 s3, s3, s29
	s_cmp_lg_u32 s10, 0
	v_add_u32_e32 v6, s3, v0
	s_cselect_b64 s[4:5], -1, 0
	s_mul_i32 s3, s2, s10
	s_mov_b32 s17, 0
	s_mov_b32 s16, s9
	s_mul_i32 s20, s3, s9
	s_mul_i32 s3, s28, s10
	v_cndmask_b32_e64 v0, 0, 1, s[4:5]
	v_cmp_gt_u32_e64 s[0:1], s9, v6
	s_mul_i32 s3, s3, s9
	s_lshl_b64 s[18:19], s[16:17], 1
	v_cmp_ne_u32_e64 s[4:5], 1, v0
	v_mov_b32_e32 v1, 0
	s_movk_i32 s30, 0x1f8
	s_mov_b32 s31, 0x3fb8aa3b
	s_mov_b32 s33, 0xc2ce8ed0
	;; [unrolled: 1-line block ×5, first 2 shown]
	v_mov_b32_e32 v7, 0x3ecc95a3
	s_mov_b32 s37, 0x3f317218
	s_mov_b32 s38, 0x33800000
	v_mov_b32_e32 v8, 0x7f800000
	v_mov_b32_e32 v2, 0x3f317218
	s_mov_b32 s16, s20
                                        ; implicit-def: $vgpr0
	s_branch .LBB435_3
.LBB435_2:                              ;   in Loop: Header=BB435_3 Depth=1
	s_or_b64 exec, exec, s[20:21]
	s_add_i32 s2, s28, s2
	s_add_i32 s16, s16, s3
	s_cmp_ge_u32 s2, s8
	s_cbranch_scc1 .LBB435_11
.LBB435_3:                              ; =>This Loop Header: Depth=1
                                        ;     Child Loop BB435_6 Depth 2
                                        ;       Child Loop BB435_9 Depth 3
	s_and_saveexec_b64 s[20:21], s[0:1]
	s_cbranch_execz .LBB435_2
; %bb.4:                                ;   in Loop: Header=BB435_3 Depth=1
	s_load_dword s39, s[6:7], 0x4
	s_lshl_b64 s[22:23], s[16:17], 1
	s_mov_b64 s[24:25], 0
	v_mov_b32_e32 v0, v6
	s_waitcnt lgkmcnt(0)
	s_mul_i32 s39, s39, s29
	s_branch .LBB435_6
.LBB435_5:                              ;   in Loop: Header=BB435_6 Depth=2
	v_add_u32_e32 v0, s39, v0
	v_cmp_le_u32_e32 vcc, s9, v0
	s_or_b64 s[24:25], vcc, s[24:25]
	s_andn2_b64 exec, exec, s[24:25]
	s_cbranch_execz .LBB435_2
.LBB435_6:                              ;   Parent Loop BB435_3 Depth=1
                                        ; =>  This Loop Header: Depth=2
                                        ;       Child Loop BB435_9 Depth 3
	s_and_b64 vcc, exec, s[4:5]
	s_cbranch_vccnz .LBB435_5
; %bb.7:                                ;   in Loop: Header=BB435_6 Depth=2
	v_lshl_add_u64 v[4:5], v[0:1], 1, s[22:23]
	v_mov_b32_e32 v3, s11
	s_mov_b32 s40, s10
	s_branch .LBB435_9
.LBB435_8:                              ;   in Loop: Header=BB435_9 Depth=3
	s_or_b64 exec, exec, s[26:27]
	s_add_i32 s40, s40, -1
	v_lshl_add_u64 v[10:11], s[12:13], 0, v[4:5]
	s_cmp_eq_u32 s40, 0
	v_lshl_add_u64 v[4:5], v[4:5], 0, s[18:19]
	global_store_short v[10:11], v3, off
	s_cbranch_scc1 .LBB435_5
.LBB435_9:                              ;   Parent Loop BB435_3 Depth=1
                                        ;     Parent Loop BB435_6 Depth=2
                                        ; =>    This Inner Loop Header: Depth=3
	v_lshl_add_u64 v[10:11], s[14:15], 0, v[4:5]
	global_load_ushort v9, v[10:11], off
	v_cvt_f32_f16_e32 v10, v3
	v_cmp_u_f16_e32 vcc, v3, v3
	s_waitcnt vmcnt(0)
	v_cvt_f32_f16_e32 v11, v9
	v_min_f32_e32 v12, v10, v11
	v_max_f32_e32 v13, v10, v11
	v_cndmask_b32_e32 v12, v12, v10, vcc
	v_cndmask_b32_e32 v13, v13, v10, vcc
	v_cmp_u_f16_e32 vcc, v9, v9
	s_nop 1
	v_cndmask_b32_e32 v10, v12, v11, vcc
	v_cndmask_b32_e32 v9, v13, v11, vcc
	v_cmp_neq_f32_e32 vcc, v10, v9
	v_cmp_class_f32_e64 s[26:27], v10, s30
	s_or_b64 s[42:43], vcc, s[26:27]
	s_and_saveexec_b64 s[26:27], s[42:43]
	s_cbranch_execz .LBB435_8
; %bb.10:                               ;   in Loop: Header=BB435_9 Depth=3
	v_sub_f32_e32 v3, v10, v9
	v_mul_f32_e32 v10, 0x3fb8aa3b, v3
	v_fma_f32 v11, v3, s31, -v10
	v_rndne_f32_e32 v12, v10
	v_fmac_f32_e32 v11, 0x32a5705f, v3
	v_sub_f32_e32 v10, v10, v12
	v_add_f32_e32 v10, v10, v11
	v_cvt_i32_f32_e32 v11, v12
	v_exp_f32_e32 v10, v10
	v_cmp_ngt_f32_e32 vcc, s33, v3
	v_ldexp_f32 v10, v10, v11
	s_nop 0
	v_cndmask_b32_e32 v10, 0, v10, vcc
	v_cmp_nlt_f32_e32 vcc, s34, v3
	s_nop 1
	v_cndmask_b32_e32 v24, v8, v10, vcc
	v_add_f32_e32 v3, 1.0, v24
	v_add_f32_e32 v10, -1.0, v3
	v_sub_f32_e32 v11, v10, v3
	v_add_f32_e32 v11, 1.0, v11
	v_sub_f32_e32 v10, v24, v10
	v_add_f32_e32 v12, v10, v11
	v_frexp_mant_f32_e32 v13, v3
	v_cvt_f64_f32_e32 v[10:11], v3
	v_frexp_exp_i32_f64_e32 v10, v[10:11]
	v_cmp_gt_f32_e32 vcc, s36, v13
	s_nop 1
	v_subbrev_co_u32_e32 v18, vcc, 0, v10, vcc
	v_sub_u32_e32 v10, 0, v18
	v_ldexp_f32 v3, v3, v10
	v_ldexp_f32 v10, v12, v10
	v_add_f32_e32 v12, -1.0, v3
	v_add_f32_e32 v11, 1.0, v12
	v_sub_f32_e32 v11, v3, v11
	v_add_f32_e32 v13, v10, v11
	v_add_f32_e32 v11, 1.0, v3
	v_add_f32_e32 v14, -1.0, v11
	v_sub_f32_e32 v3, v3, v14
	v_add_f32_e32 v3, v10, v3
	v_add_f32_e32 v19, v11, v3
	v_rcp_f32_e32 v20, v19
	v_sub_f32_e32 v10, v11, v19
	v_add_f32_e32 v11, v12, v13
	v_add_f32_e32 v3, v3, v10
	v_mul_f32_e32 v22, v11, v20
	v_sub_f32_e32 v10, v12, v11
	v_mul_f32_e32 v12, v19, v22
	v_fma_f32 v14, v22, v19, -v12
	v_fmac_f32_e32 v14, v22, v3
	v_add_f32_e32 v21, v13, v10
	v_add_f32_e32 v10, v12, v14
	v_sub_f32_e32 v13, v11, v10
	v_pk_add_f32 v[16:17], v[10:11], v[12:13] neg_lo:[0,1] neg_hi:[0,1]
	v_mov_b32_e32 v15, v10
	v_pk_add_f32 v[10:11], v[16:17], v[14:15] neg_lo:[0,1] neg_hi:[0,1]
	v_cmp_neq_f32_e32 vcc, s35, v24
	v_add_f32_e32 v11, v21, v11
	v_add_f32_e32 v10, v10, v11
	v_add_f32_e32 v11, v13, v10
	v_mul_f32_e32 v21, v20, v11
	v_mul_f32_e32 v12, v19, v21
	v_fma_f32 v14, v21, v19, -v12
	v_fmac_f32_e32 v14, v21, v3
	v_sub_f32_e32 v3, v13, v11
	v_add_f32_e32 v3, v10, v3
	v_add_f32_e32 v10, v12, v14
	v_sub_f32_e32 v13, v11, v10
	v_pk_add_f32 v[16:17], v[10:11], v[12:13] neg_lo:[0,1] neg_hi:[0,1]
	v_mov_b32_e32 v15, v10
	v_pk_add_f32 v[10:11], v[16:17], v[14:15] neg_lo:[0,1] neg_hi:[0,1]
	s_nop 0
	v_add_f32_e32 v3, v3, v11
	v_add_f32_e32 v3, v10, v3
	;; [unrolled: 1-line block ×4, first 2 shown]
	v_sub_f32_e32 v10, v11, v22
	v_mul_f32_e32 v3, v20, v3
	v_sub_f32_e32 v10, v21, v10
	v_add_f32_e32 v12, v10, v3
	v_add_f32_e32 v14, v11, v12
	v_cvt_f32_i32_e32 v10, v18
	v_mul_f32_e32 v15, v14, v14
	v_sub_f32_e32 v11, v14, v11
	v_fmamk_f32 v3, v15, 0x3e9b6dac, v7
	v_sub_f32_e32 v11, v12, v11
	v_fmaak_f32 v3, v15, v3, 0x3f2aaada
	v_ldexp_f32 v16, v11, 1
	v_mul_f32_e32 v11, v14, v15
	v_ldexp_f32 v13, v14, 1
	v_pk_mul_f32 v[14:15], v[10:11], v[2:3]
	s_nop 0
	v_fma_f32 v12, v10, s37, -v14
	v_fmac_f32_e32 v12, 0xb102e308, v10
	v_pk_add_f32 v[10:11], v[14:15], v[12:13]
	s_nop 0
	v_sub_f32_e32 v3, v11, v13
	v_sub_f32_e32 v3, v15, v3
	v_add_f32_e32 v17, v16, v3
	v_mov_b32_e32 v16, v14
	v_pk_add_f32 v[14:15], v[10:11], v[14:15] neg_lo:[0,1] neg_hi:[0,1]
	v_pk_add_f32 v[18:19], v[10:11], v[16:17]
	v_mov_b32_e32 v13, v10
	v_mov_b32_e32 v15, v19
	v_pk_add_f32 v[20:21], v[12:13], v[14:15] neg_lo:[0,1] neg_hi:[0,1]
	v_pk_add_f32 v[12:13], v[12:13], v[14:15]
	v_mov_b32_e32 v16, v17
	v_pk_add_f32 v[14:15], v[12:13], v[10:11] op_sel:[1,0] op_sel_hi:[0,1] neg_lo:[0,1] neg_hi:[0,1]
	v_pk_add_f32 v[22:23], v[18:19], v[14:15] op_sel_hi:[1,0] neg_lo:[0,1] neg_hi:[0,1]
	v_mov_b32_e32 v18, v19
	v_mov_b32_e32 v19, v13
	v_pk_mov_b32 v[14:15], v[10:11], v[14:15] op_sel:[1,0]
	v_mov_b32_e32 v17, v10
	v_pk_add_f32 v[14:15], v[18:19], v[14:15] neg_lo:[0,1] neg_hi:[0,1]
	v_mov_b32_e32 v22, v20
	v_pk_add_f32 v[10:11], v[16:17], v[14:15] neg_lo:[0,1] neg_hi:[0,1]
	v_mov_b32_e32 v21, v13
	v_pk_add_f32 v[14:15], v[22:23], v[10:11]
	s_nop 0
	v_pk_add_f32 v[16:17], v[14:15], v[14:15] op_sel:[0,1] op_sel_hi:[1,0]
	s_nop 0
	v_pk_add_f32 v[12:13], v[12:13], v[16:17] op_sel:[1,0] op_sel_hi:[0,1]
	v_mov_b32_e32 v15, v12
	v_pk_add_f32 v[18:19], v[14:15], v[20:21] neg_lo:[0,1] neg_hi:[0,1]
	v_mov_b32_e32 v11, v16
	v_sub_f32_e32 v3, v14, v18
	v_pk_add_f32 v[10:11], v[10:11], v[18:19] neg_lo:[0,1] neg_hi:[0,1]
	v_sub_f32_e32 v3, v20, v3
	v_add_f32_e32 v3, v10, v3
	v_add_f32_e32 v3, v3, v11
	;; [unrolled: 1-line block ×3, first 2 shown]
	v_cndmask_b32_e32 v3, v8, v3, vcc
	v_cmp_lt_f32_e64 vcc, |v24|, s38
	s_nop 1
	v_cndmask_b32_e32 v3, v3, v24, vcc
	v_add_f32_e32 v3, v9, v3
	v_cvt_f16_f32_e32 v3, v3
	s_branch .LBB435_8
.LBB435_11:
	s_endpgm
	.section	.rodata,"a",@progbits
	.p2align	6, 0x0
	.amdhsa_kernel _ZN2at6native28tensor_kernel_scan_outer_dimIN3c104HalfEjZZZNS0_31launch_logcumsumexp_cuda_kernelERKNS_10TensorBaseES6_lENKUlvE_clEvENKUlvE3_clEvEUlS3_S3_E_EEvPT_PKSA_jjjSA_T1_
		.amdhsa_group_segment_fixed_size 0
		.amdhsa_private_segment_fixed_size 0
		.amdhsa_kernarg_size 288
		.amdhsa_user_sgpr_count 2
		.amdhsa_user_sgpr_dispatch_ptr 0
		.amdhsa_user_sgpr_queue_ptr 0
		.amdhsa_user_sgpr_kernarg_segment_ptr 1
		.amdhsa_user_sgpr_dispatch_id 0
		.amdhsa_user_sgpr_kernarg_preload_length 0
		.amdhsa_user_sgpr_kernarg_preload_offset 0
		.amdhsa_user_sgpr_private_segment_size 0
		.amdhsa_uses_dynamic_stack 0
		.amdhsa_enable_private_segment 0
		.amdhsa_system_sgpr_workgroup_id_x 1
		.amdhsa_system_sgpr_workgroup_id_y 1
		.amdhsa_system_sgpr_workgroup_id_z 0
		.amdhsa_system_sgpr_workgroup_info 0
		.amdhsa_system_vgpr_workitem_id 0
		.amdhsa_next_free_vgpr 25
		.amdhsa_next_free_sgpr 44
		.amdhsa_accum_offset 28
		.amdhsa_reserve_vcc 1
		.amdhsa_float_round_mode_32 0
		.amdhsa_float_round_mode_16_64 0
		.amdhsa_float_denorm_mode_32 3
		.amdhsa_float_denorm_mode_16_64 3
		.amdhsa_dx10_clamp 1
		.amdhsa_ieee_mode 1
		.amdhsa_fp16_overflow 0
		.amdhsa_tg_split 0
		.amdhsa_exception_fp_ieee_invalid_op 0
		.amdhsa_exception_fp_denorm_src 0
		.amdhsa_exception_fp_ieee_div_zero 0
		.amdhsa_exception_fp_ieee_overflow 0
		.amdhsa_exception_fp_ieee_underflow 0
		.amdhsa_exception_fp_ieee_inexact 0
		.amdhsa_exception_int_div_zero 0
	.end_amdhsa_kernel
	.section	.text._ZN2at6native28tensor_kernel_scan_outer_dimIN3c104HalfEjZZZNS0_31launch_logcumsumexp_cuda_kernelERKNS_10TensorBaseES6_lENKUlvE_clEvENKUlvE3_clEvEUlS3_S3_E_EEvPT_PKSA_jjjSA_T1_,"axG",@progbits,_ZN2at6native28tensor_kernel_scan_outer_dimIN3c104HalfEjZZZNS0_31launch_logcumsumexp_cuda_kernelERKNS_10TensorBaseES6_lENKUlvE_clEvENKUlvE3_clEvEUlS3_S3_E_EEvPT_PKSA_jjjSA_T1_,comdat
.Lfunc_end435:
	.size	_ZN2at6native28tensor_kernel_scan_outer_dimIN3c104HalfEjZZZNS0_31launch_logcumsumexp_cuda_kernelERKNS_10TensorBaseES6_lENKUlvE_clEvENKUlvE3_clEvEUlS3_S3_E_EEvPT_PKSA_jjjSA_T1_, .Lfunc_end435-_ZN2at6native28tensor_kernel_scan_outer_dimIN3c104HalfEjZZZNS0_31launch_logcumsumexp_cuda_kernelERKNS_10TensorBaseES6_lENKUlvE_clEvENKUlvE3_clEvEUlS3_S3_E_EEvPT_PKSA_jjjSA_T1_
                                        ; -- End function
	.set _ZN2at6native28tensor_kernel_scan_outer_dimIN3c104HalfEjZZZNS0_31launch_logcumsumexp_cuda_kernelERKNS_10TensorBaseES6_lENKUlvE_clEvENKUlvE3_clEvEUlS3_S3_E_EEvPT_PKSA_jjjSA_T1_.num_vgpr, 25
	.set _ZN2at6native28tensor_kernel_scan_outer_dimIN3c104HalfEjZZZNS0_31launch_logcumsumexp_cuda_kernelERKNS_10TensorBaseES6_lENKUlvE_clEvENKUlvE3_clEvEUlS3_S3_E_EEvPT_PKSA_jjjSA_T1_.num_agpr, 0
	.set _ZN2at6native28tensor_kernel_scan_outer_dimIN3c104HalfEjZZZNS0_31launch_logcumsumexp_cuda_kernelERKNS_10TensorBaseES6_lENKUlvE_clEvENKUlvE3_clEvEUlS3_S3_E_EEvPT_PKSA_jjjSA_T1_.numbered_sgpr, 44
	.set _ZN2at6native28tensor_kernel_scan_outer_dimIN3c104HalfEjZZZNS0_31launch_logcumsumexp_cuda_kernelERKNS_10TensorBaseES6_lENKUlvE_clEvENKUlvE3_clEvEUlS3_S3_E_EEvPT_PKSA_jjjSA_T1_.num_named_barrier, 0
	.set _ZN2at6native28tensor_kernel_scan_outer_dimIN3c104HalfEjZZZNS0_31launch_logcumsumexp_cuda_kernelERKNS_10TensorBaseES6_lENKUlvE_clEvENKUlvE3_clEvEUlS3_S3_E_EEvPT_PKSA_jjjSA_T1_.private_seg_size, 0
	.set _ZN2at6native28tensor_kernel_scan_outer_dimIN3c104HalfEjZZZNS0_31launch_logcumsumexp_cuda_kernelERKNS_10TensorBaseES6_lENKUlvE_clEvENKUlvE3_clEvEUlS3_S3_E_EEvPT_PKSA_jjjSA_T1_.uses_vcc, 1
	.set _ZN2at6native28tensor_kernel_scan_outer_dimIN3c104HalfEjZZZNS0_31launch_logcumsumexp_cuda_kernelERKNS_10TensorBaseES6_lENKUlvE_clEvENKUlvE3_clEvEUlS3_S3_E_EEvPT_PKSA_jjjSA_T1_.uses_flat_scratch, 0
	.set _ZN2at6native28tensor_kernel_scan_outer_dimIN3c104HalfEjZZZNS0_31launch_logcumsumexp_cuda_kernelERKNS_10TensorBaseES6_lENKUlvE_clEvENKUlvE3_clEvEUlS3_S3_E_EEvPT_PKSA_jjjSA_T1_.has_dyn_sized_stack, 0
	.set _ZN2at6native28tensor_kernel_scan_outer_dimIN3c104HalfEjZZZNS0_31launch_logcumsumexp_cuda_kernelERKNS_10TensorBaseES6_lENKUlvE_clEvENKUlvE3_clEvEUlS3_S3_E_EEvPT_PKSA_jjjSA_T1_.has_recursion, 0
	.set _ZN2at6native28tensor_kernel_scan_outer_dimIN3c104HalfEjZZZNS0_31launch_logcumsumexp_cuda_kernelERKNS_10TensorBaseES6_lENKUlvE_clEvENKUlvE3_clEvEUlS3_S3_E_EEvPT_PKSA_jjjSA_T1_.has_indirect_call, 0
	.section	.AMDGPU.csdata,"",@progbits
; Kernel info:
; codeLenInByte = 1156
; TotalNumSgprs: 50
; NumVgprs: 25
; NumAgprs: 0
; TotalNumVgprs: 25
; ScratchSize: 0
; MemoryBound: 0
; FloatMode: 240
; IeeeMode: 1
; LDSByteSize: 0 bytes/workgroup (compile time only)
; SGPRBlocks: 6
; VGPRBlocks: 3
; NumSGPRsForWavesPerEU: 50
; NumVGPRsForWavesPerEU: 25
; AccumOffset: 28
; Occupancy: 8
; WaveLimiterHint : 0
; COMPUTE_PGM_RSRC2:SCRATCH_EN: 0
; COMPUTE_PGM_RSRC2:USER_SGPR: 2
; COMPUTE_PGM_RSRC2:TRAP_HANDLER: 0
; COMPUTE_PGM_RSRC2:TGID_X_EN: 1
; COMPUTE_PGM_RSRC2:TGID_Y_EN: 1
; COMPUTE_PGM_RSRC2:TGID_Z_EN: 0
; COMPUTE_PGM_RSRC2:TIDIG_COMP_CNT: 0
; COMPUTE_PGM_RSRC3_GFX90A:ACCUM_OFFSET: 6
; COMPUTE_PGM_RSRC3_GFX90A:TG_SPLIT: 0
	.section	.text._ZN2at6native28tensor_kernel_scan_outer_dimIN3c104HalfEmZZZNS0_31launch_logcumsumexp_cuda_kernelERKNS_10TensorBaseES6_lENKUlvE_clEvENKUlvE3_clEvEUlS3_S3_E_EEvPT_PKSA_jjjSA_T1_,"axG",@progbits,_ZN2at6native28tensor_kernel_scan_outer_dimIN3c104HalfEmZZZNS0_31launch_logcumsumexp_cuda_kernelERKNS_10TensorBaseES6_lENKUlvE_clEvENKUlvE3_clEvEUlS3_S3_E_EEvPT_PKSA_jjjSA_T1_,comdat
	.globl	_ZN2at6native28tensor_kernel_scan_outer_dimIN3c104HalfEmZZZNS0_31launch_logcumsumexp_cuda_kernelERKNS_10TensorBaseES6_lENKUlvE_clEvENKUlvE3_clEvEUlS3_S3_E_EEvPT_PKSA_jjjSA_T1_ ; -- Begin function _ZN2at6native28tensor_kernel_scan_outer_dimIN3c104HalfEmZZZNS0_31launch_logcumsumexp_cuda_kernelERKNS_10TensorBaseES6_lENKUlvE_clEvENKUlvE3_clEvEUlS3_S3_E_EEvPT_PKSA_jjjSA_T1_
	.p2align	8
	.type	_ZN2at6native28tensor_kernel_scan_outer_dimIN3c104HalfEmZZZNS0_31launch_logcumsumexp_cuda_kernelERKNS_10TensorBaseES6_lENKUlvE_clEvENKUlvE3_clEvEUlS3_S3_E_EEvPT_PKSA_jjjSA_T1_,@function
_ZN2at6native28tensor_kernel_scan_outer_dimIN3c104HalfEmZZZNS0_31launch_logcumsumexp_cuda_kernelERKNS_10TensorBaseES6_lENKUlvE_clEvENKUlvE3_clEvEUlS3_S3_E_EEvPT_PKSA_jjjSA_T1_: ; @_ZN2at6native28tensor_kernel_scan_outer_dimIN3c104HalfEmZZZNS0_31launch_logcumsumexp_cuda_kernelERKNS_10TensorBaseES6_lENKUlvE_clEvENKUlvE3_clEvEUlS3_S3_E_EEvPT_PKSA_jjjSA_T1_
; %bb.0:
	s_load_dwordx4 s[8:11], s[0:1], 0x10
	s_waitcnt lgkmcnt(0)
	s_cmp_ge_u32 s2, s8
	s_cbranch_scc1 .LBB436_11
; %bb.1:
	s_load_dword s4, s[0:1], 0x2c
	s_load_dwordx4 s[12:15], s[0:1], 0x0
	s_load_dword s28, s[0:1], 0x20
	s_add_u32 s6, s0, 32
	s_addc_u32 s7, s1, 0
	s_waitcnt lgkmcnt(0)
	s_and_b32 s29, s4, 0xffff
	s_cmp_lg_u32 s10, 0
	s_mul_i32 s3, s3, s29
	s_cselect_b64 s[20:21], -1, 0
	v_add_u32_e32 v6, s3, v0
	s_mov_b32 s5, 0
	s_mov_b32 s4, s9
	s_mul_hi_u32 s17, s10, s9
	s_mul_i32 s16, s10, s9
	v_cndmask_b32_e64 v0, 0, 1, s[20:21]
	v_cmp_gt_u32_e64 s[0:1], s9, v6
	s_lshl_b64 s[16:17], s[16:17], 1
	s_lshl_b64 s[18:19], s[4:5], 1
	v_cmp_ne_u32_e64 s[4:5], 1, v0
	v_mov_b32_e32 v1, 0
	s_movk_i32 s3, 0x1f8
	s_mov_b32 s30, 0x3fb8aa3b
	s_mov_b32 s31, 0xc2ce8ed0
	;; [unrolled: 1-line block ×5, first 2 shown]
	v_mov_b32_e32 v7, 0x3ecc95a3
	s_mov_b32 s36, 0x3f317218
	s_mov_b32 s37, 0x33800000
	v_mov_b32_e32 v8, 0x7f800000
	v_mov_b32_e32 v2, 0x3f317218
                                        ; implicit-def: $vgpr0
	s_branch .LBB436_3
.LBB436_2:                              ;   in Loop: Header=BB436_3 Depth=1
	s_or_b64 exec, exec, s[20:21]
	s_add_i32 s2, s2, s28
	s_cmp_ge_u32 s2, s8
	s_cbranch_scc1 .LBB436_11
.LBB436_3:                              ; =>This Loop Header: Depth=1
                                        ;     Child Loop BB436_6 Depth 2
                                        ;       Child Loop BB436_9 Depth 3
	s_and_saveexec_b64 s[20:21], s[0:1]
	s_cbranch_execz .LBB436_2
; %bb.4:                                ;   in Loop: Header=BB436_3 Depth=1
	s_load_dword s38, s[6:7], 0x4
	s_mul_i32 s23, s17, s2
	s_mul_hi_u32 s24, s16, s2
	s_mul_i32 s22, s16, s2
	s_add_i32 s23, s24, s23
	s_waitcnt lgkmcnt(0)
	s_mul_i32 s38, s38, s29
	s_mov_b64 s[24:25], 0
	v_mov_b32_e32 v0, v6
	s_branch .LBB436_6
.LBB436_5:                              ;   in Loop: Header=BB436_6 Depth=2
	v_add_u32_e32 v0, s38, v0
	v_cmp_le_u32_e32 vcc, s9, v0
	s_or_b64 s[24:25], vcc, s[24:25]
	s_andn2_b64 exec, exec, s[24:25]
	s_cbranch_execz .LBB436_2
.LBB436_6:                              ;   Parent Loop BB436_3 Depth=1
                                        ; =>  This Loop Header: Depth=2
                                        ;       Child Loop BB436_9 Depth 3
	s_and_b64 vcc, exec, s[4:5]
	s_cbranch_vccnz .LBB436_5
; %bb.7:                                ;   in Loop: Header=BB436_6 Depth=2
	v_lshl_add_u64 v[4:5], v[0:1], 1, s[22:23]
	v_mov_b32_e32 v3, s11
	s_mov_b32 s39, s10
	s_branch .LBB436_9
.LBB436_8:                              ;   in Loop: Header=BB436_9 Depth=3
	s_or_b64 exec, exec, s[26:27]
	s_add_i32 s39, s39, -1
	v_lshl_add_u64 v[10:11], s[12:13], 0, v[4:5]
	s_cmp_eq_u32 s39, 0
	v_lshl_add_u64 v[4:5], v[4:5], 0, s[18:19]
	global_store_short v[10:11], v3, off
	s_cbranch_scc1 .LBB436_5
.LBB436_9:                              ;   Parent Loop BB436_3 Depth=1
                                        ;     Parent Loop BB436_6 Depth=2
                                        ; =>    This Inner Loop Header: Depth=3
	v_lshl_add_u64 v[10:11], s[14:15], 0, v[4:5]
	global_load_ushort v9, v[10:11], off
	v_cvt_f32_f16_e32 v10, v3
	v_cmp_u_f16_e32 vcc, v3, v3
	s_waitcnt vmcnt(0)
	v_cvt_f32_f16_e32 v11, v9
	v_min_f32_e32 v12, v10, v11
	v_max_f32_e32 v13, v10, v11
	v_cndmask_b32_e32 v12, v12, v10, vcc
	v_cndmask_b32_e32 v13, v13, v10, vcc
	v_cmp_u_f16_e32 vcc, v9, v9
	s_nop 1
	v_cndmask_b32_e32 v10, v12, v11, vcc
	v_cndmask_b32_e32 v9, v13, v11, vcc
	v_cmp_neq_f32_e32 vcc, v10, v9
	v_cmp_class_f32_e64 s[26:27], v10, s3
	s_or_b64 s[40:41], vcc, s[26:27]
	s_and_saveexec_b64 s[26:27], s[40:41]
	s_cbranch_execz .LBB436_8
; %bb.10:                               ;   in Loop: Header=BB436_9 Depth=3
	v_sub_f32_e32 v3, v10, v9
	v_mul_f32_e32 v10, 0x3fb8aa3b, v3
	v_fma_f32 v11, v3, s30, -v10
	v_rndne_f32_e32 v12, v10
	v_fmac_f32_e32 v11, 0x32a5705f, v3
	v_sub_f32_e32 v10, v10, v12
	v_add_f32_e32 v10, v10, v11
	v_cvt_i32_f32_e32 v11, v12
	v_exp_f32_e32 v10, v10
	v_cmp_ngt_f32_e32 vcc, s31, v3
	v_ldexp_f32 v10, v10, v11
	s_nop 0
	v_cndmask_b32_e32 v10, 0, v10, vcc
	v_cmp_nlt_f32_e32 vcc, s33, v3
	s_nop 1
	v_cndmask_b32_e32 v24, v8, v10, vcc
	v_add_f32_e32 v3, 1.0, v24
	v_add_f32_e32 v10, -1.0, v3
	v_sub_f32_e32 v11, v10, v3
	v_add_f32_e32 v11, 1.0, v11
	v_sub_f32_e32 v10, v24, v10
	v_add_f32_e32 v12, v10, v11
	v_frexp_mant_f32_e32 v13, v3
	v_cvt_f64_f32_e32 v[10:11], v3
	v_frexp_exp_i32_f64_e32 v10, v[10:11]
	v_cmp_gt_f32_e32 vcc, s35, v13
	s_nop 1
	v_subbrev_co_u32_e32 v18, vcc, 0, v10, vcc
	v_sub_u32_e32 v10, 0, v18
	v_ldexp_f32 v3, v3, v10
	v_ldexp_f32 v10, v12, v10
	v_add_f32_e32 v12, -1.0, v3
	v_add_f32_e32 v11, 1.0, v12
	v_sub_f32_e32 v11, v3, v11
	v_add_f32_e32 v13, v10, v11
	v_add_f32_e32 v11, 1.0, v3
	v_add_f32_e32 v14, -1.0, v11
	v_sub_f32_e32 v3, v3, v14
	v_add_f32_e32 v3, v10, v3
	v_add_f32_e32 v19, v11, v3
	v_rcp_f32_e32 v20, v19
	v_sub_f32_e32 v10, v11, v19
	v_add_f32_e32 v11, v12, v13
	v_add_f32_e32 v3, v3, v10
	v_mul_f32_e32 v22, v11, v20
	v_sub_f32_e32 v10, v12, v11
	v_mul_f32_e32 v12, v19, v22
	v_fma_f32 v14, v22, v19, -v12
	v_fmac_f32_e32 v14, v22, v3
	v_add_f32_e32 v21, v13, v10
	v_add_f32_e32 v10, v12, v14
	v_sub_f32_e32 v13, v11, v10
	v_pk_add_f32 v[16:17], v[10:11], v[12:13] neg_lo:[0,1] neg_hi:[0,1]
	v_mov_b32_e32 v15, v10
	v_pk_add_f32 v[10:11], v[16:17], v[14:15] neg_lo:[0,1] neg_hi:[0,1]
	v_cmp_neq_f32_e32 vcc, s34, v24
	v_add_f32_e32 v11, v21, v11
	v_add_f32_e32 v10, v10, v11
	;; [unrolled: 1-line block ×3, first 2 shown]
	v_mul_f32_e32 v21, v20, v11
	v_mul_f32_e32 v12, v19, v21
	v_fma_f32 v14, v21, v19, -v12
	v_fmac_f32_e32 v14, v21, v3
	v_sub_f32_e32 v3, v13, v11
	v_add_f32_e32 v3, v10, v3
	v_add_f32_e32 v10, v12, v14
	v_sub_f32_e32 v13, v11, v10
	v_pk_add_f32 v[16:17], v[10:11], v[12:13] neg_lo:[0,1] neg_hi:[0,1]
	v_mov_b32_e32 v15, v10
	v_pk_add_f32 v[10:11], v[16:17], v[14:15] neg_lo:[0,1] neg_hi:[0,1]
	s_nop 0
	v_add_f32_e32 v3, v3, v11
	v_add_f32_e32 v3, v10, v3
	;; [unrolled: 1-line block ×4, first 2 shown]
	v_sub_f32_e32 v10, v11, v22
	v_mul_f32_e32 v3, v20, v3
	v_sub_f32_e32 v10, v21, v10
	v_add_f32_e32 v12, v10, v3
	v_add_f32_e32 v14, v11, v12
	v_cvt_f32_i32_e32 v10, v18
	v_mul_f32_e32 v15, v14, v14
	v_sub_f32_e32 v11, v14, v11
	v_fmamk_f32 v3, v15, 0x3e9b6dac, v7
	v_sub_f32_e32 v11, v12, v11
	v_fmaak_f32 v3, v15, v3, 0x3f2aaada
	v_ldexp_f32 v16, v11, 1
	v_mul_f32_e32 v11, v14, v15
	v_ldexp_f32 v13, v14, 1
	v_pk_mul_f32 v[14:15], v[10:11], v[2:3]
	s_nop 0
	v_fma_f32 v12, v10, s36, -v14
	v_fmac_f32_e32 v12, 0xb102e308, v10
	v_pk_add_f32 v[10:11], v[14:15], v[12:13]
	s_nop 0
	v_sub_f32_e32 v3, v11, v13
	v_sub_f32_e32 v3, v15, v3
	v_add_f32_e32 v17, v16, v3
	v_mov_b32_e32 v16, v14
	v_pk_add_f32 v[14:15], v[10:11], v[14:15] neg_lo:[0,1] neg_hi:[0,1]
	v_pk_add_f32 v[18:19], v[10:11], v[16:17]
	v_mov_b32_e32 v13, v10
	v_mov_b32_e32 v15, v19
	v_pk_add_f32 v[20:21], v[12:13], v[14:15] neg_lo:[0,1] neg_hi:[0,1]
	v_pk_add_f32 v[12:13], v[12:13], v[14:15]
	v_mov_b32_e32 v16, v17
	v_pk_add_f32 v[14:15], v[12:13], v[10:11] op_sel:[1,0] op_sel_hi:[0,1] neg_lo:[0,1] neg_hi:[0,1]
	v_pk_add_f32 v[22:23], v[18:19], v[14:15] op_sel_hi:[1,0] neg_lo:[0,1] neg_hi:[0,1]
	v_mov_b32_e32 v18, v19
	v_mov_b32_e32 v19, v13
	v_pk_mov_b32 v[14:15], v[10:11], v[14:15] op_sel:[1,0]
	v_mov_b32_e32 v17, v10
	v_pk_add_f32 v[14:15], v[18:19], v[14:15] neg_lo:[0,1] neg_hi:[0,1]
	v_mov_b32_e32 v22, v20
	v_pk_add_f32 v[10:11], v[16:17], v[14:15] neg_lo:[0,1] neg_hi:[0,1]
	v_mov_b32_e32 v21, v13
	v_pk_add_f32 v[14:15], v[22:23], v[10:11]
	s_nop 0
	v_pk_add_f32 v[16:17], v[14:15], v[14:15] op_sel:[0,1] op_sel_hi:[1,0]
	s_nop 0
	v_pk_add_f32 v[12:13], v[12:13], v[16:17] op_sel:[1,0] op_sel_hi:[0,1]
	v_mov_b32_e32 v15, v12
	v_pk_add_f32 v[18:19], v[14:15], v[20:21] neg_lo:[0,1] neg_hi:[0,1]
	v_mov_b32_e32 v11, v16
	v_sub_f32_e32 v3, v14, v18
	v_pk_add_f32 v[10:11], v[10:11], v[18:19] neg_lo:[0,1] neg_hi:[0,1]
	v_sub_f32_e32 v3, v20, v3
	v_add_f32_e32 v3, v10, v3
	v_add_f32_e32 v3, v3, v11
	;; [unrolled: 1-line block ×3, first 2 shown]
	v_cndmask_b32_e32 v3, v8, v3, vcc
	v_cmp_lt_f32_e64 vcc, |v24|, s37
	s_nop 1
	v_cndmask_b32_e32 v3, v3, v24, vcc
	v_add_f32_e32 v3, v9, v3
	v_cvt_f16_f32_e32 v3, v3
	s_branch .LBB436_8
.LBB436_11:
	s_endpgm
	.section	.rodata,"a",@progbits
	.p2align	6, 0x0
	.amdhsa_kernel _ZN2at6native28tensor_kernel_scan_outer_dimIN3c104HalfEmZZZNS0_31launch_logcumsumexp_cuda_kernelERKNS_10TensorBaseES6_lENKUlvE_clEvENKUlvE3_clEvEUlS3_S3_E_EEvPT_PKSA_jjjSA_T1_
		.amdhsa_group_segment_fixed_size 0
		.amdhsa_private_segment_fixed_size 0
		.amdhsa_kernarg_size 288
		.amdhsa_user_sgpr_count 2
		.amdhsa_user_sgpr_dispatch_ptr 0
		.amdhsa_user_sgpr_queue_ptr 0
		.amdhsa_user_sgpr_kernarg_segment_ptr 1
		.amdhsa_user_sgpr_dispatch_id 0
		.amdhsa_user_sgpr_kernarg_preload_length 0
		.amdhsa_user_sgpr_kernarg_preload_offset 0
		.amdhsa_user_sgpr_private_segment_size 0
		.amdhsa_uses_dynamic_stack 0
		.amdhsa_enable_private_segment 0
		.amdhsa_system_sgpr_workgroup_id_x 1
		.amdhsa_system_sgpr_workgroup_id_y 1
		.amdhsa_system_sgpr_workgroup_id_z 0
		.amdhsa_system_sgpr_workgroup_info 0
		.amdhsa_system_vgpr_workitem_id 0
		.amdhsa_next_free_vgpr 25
		.amdhsa_next_free_sgpr 42
		.amdhsa_accum_offset 28
		.amdhsa_reserve_vcc 1
		.amdhsa_float_round_mode_32 0
		.amdhsa_float_round_mode_16_64 0
		.amdhsa_float_denorm_mode_32 3
		.amdhsa_float_denorm_mode_16_64 3
		.amdhsa_dx10_clamp 1
		.amdhsa_ieee_mode 1
		.amdhsa_fp16_overflow 0
		.amdhsa_tg_split 0
		.amdhsa_exception_fp_ieee_invalid_op 0
		.amdhsa_exception_fp_denorm_src 0
		.amdhsa_exception_fp_ieee_div_zero 0
		.amdhsa_exception_fp_ieee_overflow 0
		.amdhsa_exception_fp_ieee_underflow 0
		.amdhsa_exception_fp_ieee_inexact 0
		.amdhsa_exception_int_div_zero 0
	.end_amdhsa_kernel
	.section	.text._ZN2at6native28tensor_kernel_scan_outer_dimIN3c104HalfEmZZZNS0_31launch_logcumsumexp_cuda_kernelERKNS_10TensorBaseES6_lENKUlvE_clEvENKUlvE3_clEvEUlS3_S3_E_EEvPT_PKSA_jjjSA_T1_,"axG",@progbits,_ZN2at6native28tensor_kernel_scan_outer_dimIN3c104HalfEmZZZNS0_31launch_logcumsumexp_cuda_kernelERKNS_10TensorBaseES6_lENKUlvE_clEvENKUlvE3_clEvEUlS3_S3_E_EEvPT_PKSA_jjjSA_T1_,comdat
.Lfunc_end436:
	.size	_ZN2at6native28tensor_kernel_scan_outer_dimIN3c104HalfEmZZZNS0_31launch_logcumsumexp_cuda_kernelERKNS_10TensorBaseES6_lENKUlvE_clEvENKUlvE3_clEvEUlS3_S3_E_EEvPT_PKSA_jjjSA_T1_, .Lfunc_end436-_ZN2at6native28tensor_kernel_scan_outer_dimIN3c104HalfEmZZZNS0_31launch_logcumsumexp_cuda_kernelERKNS_10TensorBaseES6_lENKUlvE_clEvENKUlvE3_clEvEUlS3_S3_E_EEvPT_PKSA_jjjSA_T1_
                                        ; -- End function
	.set _ZN2at6native28tensor_kernel_scan_outer_dimIN3c104HalfEmZZZNS0_31launch_logcumsumexp_cuda_kernelERKNS_10TensorBaseES6_lENKUlvE_clEvENKUlvE3_clEvEUlS3_S3_E_EEvPT_PKSA_jjjSA_T1_.num_vgpr, 25
	.set _ZN2at6native28tensor_kernel_scan_outer_dimIN3c104HalfEmZZZNS0_31launch_logcumsumexp_cuda_kernelERKNS_10TensorBaseES6_lENKUlvE_clEvENKUlvE3_clEvEUlS3_S3_E_EEvPT_PKSA_jjjSA_T1_.num_agpr, 0
	.set _ZN2at6native28tensor_kernel_scan_outer_dimIN3c104HalfEmZZZNS0_31launch_logcumsumexp_cuda_kernelERKNS_10TensorBaseES6_lENKUlvE_clEvENKUlvE3_clEvEUlS3_S3_E_EEvPT_PKSA_jjjSA_T1_.numbered_sgpr, 42
	.set _ZN2at6native28tensor_kernel_scan_outer_dimIN3c104HalfEmZZZNS0_31launch_logcumsumexp_cuda_kernelERKNS_10TensorBaseES6_lENKUlvE_clEvENKUlvE3_clEvEUlS3_S3_E_EEvPT_PKSA_jjjSA_T1_.num_named_barrier, 0
	.set _ZN2at6native28tensor_kernel_scan_outer_dimIN3c104HalfEmZZZNS0_31launch_logcumsumexp_cuda_kernelERKNS_10TensorBaseES6_lENKUlvE_clEvENKUlvE3_clEvEUlS3_S3_E_EEvPT_PKSA_jjjSA_T1_.private_seg_size, 0
	.set _ZN2at6native28tensor_kernel_scan_outer_dimIN3c104HalfEmZZZNS0_31launch_logcumsumexp_cuda_kernelERKNS_10TensorBaseES6_lENKUlvE_clEvENKUlvE3_clEvEUlS3_S3_E_EEvPT_PKSA_jjjSA_T1_.uses_vcc, 1
	.set _ZN2at6native28tensor_kernel_scan_outer_dimIN3c104HalfEmZZZNS0_31launch_logcumsumexp_cuda_kernelERKNS_10TensorBaseES6_lENKUlvE_clEvENKUlvE3_clEvEUlS3_S3_E_EEvPT_PKSA_jjjSA_T1_.uses_flat_scratch, 0
	.set _ZN2at6native28tensor_kernel_scan_outer_dimIN3c104HalfEmZZZNS0_31launch_logcumsumexp_cuda_kernelERKNS_10TensorBaseES6_lENKUlvE_clEvENKUlvE3_clEvEUlS3_S3_E_EEvPT_PKSA_jjjSA_T1_.has_dyn_sized_stack, 0
	.set _ZN2at6native28tensor_kernel_scan_outer_dimIN3c104HalfEmZZZNS0_31launch_logcumsumexp_cuda_kernelERKNS_10TensorBaseES6_lENKUlvE_clEvENKUlvE3_clEvEUlS3_S3_E_EEvPT_PKSA_jjjSA_T1_.has_recursion, 0
	.set _ZN2at6native28tensor_kernel_scan_outer_dimIN3c104HalfEmZZZNS0_31launch_logcumsumexp_cuda_kernelERKNS_10TensorBaseES6_lENKUlvE_clEvENKUlvE3_clEvEUlS3_S3_E_EEvPT_PKSA_jjjSA_T1_.has_indirect_call, 0
	.section	.AMDGPU.csdata,"",@progbits
; Kernel info:
; codeLenInByte = 1156
; TotalNumSgprs: 48
; NumVgprs: 25
; NumAgprs: 0
; TotalNumVgprs: 25
; ScratchSize: 0
; MemoryBound: 0
; FloatMode: 240
; IeeeMode: 1
; LDSByteSize: 0 bytes/workgroup (compile time only)
; SGPRBlocks: 5
; VGPRBlocks: 3
; NumSGPRsForWavesPerEU: 48
; NumVGPRsForWavesPerEU: 25
; AccumOffset: 28
; Occupancy: 8
; WaveLimiterHint : 0
; COMPUTE_PGM_RSRC2:SCRATCH_EN: 0
; COMPUTE_PGM_RSRC2:USER_SGPR: 2
; COMPUTE_PGM_RSRC2:TRAP_HANDLER: 0
; COMPUTE_PGM_RSRC2:TGID_X_EN: 1
; COMPUTE_PGM_RSRC2:TGID_Y_EN: 1
; COMPUTE_PGM_RSRC2:TGID_Z_EN: 0
; COMPUTE_PGM_RSRC2:TIDIG_COMP_CNT: 0
; COMPUTE_PGM_RSRC3_GFX90A:ACCUM_OFFSET: 6
; COMPUTE_PGM_RSRC3_GFX90A:TG_SPLIT: 0
	.section	.text._ZN7rocprim17ROCPRIM_400000_NS6detail31init_lookback_scan_state_kernelINS1_19lookback_scan_stateIN3c108BFloat16ELb0ELb1EEENS1_16block_id_wrapperIjLb0EEEEEvT_jT0_jPNS9_10value_typeE,"axG",@progbits,_ZN7rocprim17ROCPRIM_400000_NS6detail31init_lookback_scan_state_kernelINS1_19lookback_scan_stateIN3c108BFloat16ELb0ELb1EEENS1_16block_id_wrapperIjLb0EEEEEvT_jT0_jPNS9_10value_typeE,comdat
	.protected	_ZN7rocprim17ROCPRIM_400000_NS6detail31init_lookback_scan_state_kernelINS1_19lookback_scan_stateIN3c108BFloat16ELb0ELb1EEENS1_16block_id_wrapperIjLb0EEEEEvT_jT0_jPNS9_10value_typeE ; -- Begin function _ZN7rocprim17ROCPRIM_400000_NS6detail31init_lookback_scan_state_kernelINS1_19lookback_scan_stateIN3c108BFloat16ELb0ELb1EEENS1_16block_id_wrapperIjLb0EEEEEvT_jT0_jPNS9_10value_typeE
	.globl	_ZN7rocprim17ROCPRIM_400000_NS6detail31init_lookback_scan_state_kernelINS1_19lookback_scan_stateIN3c108BFloat16ELb0ELb1EEENS1_16block_id_wrapperIjLb0EEEEEvT_jT0_jPNS9_10value_typeE
	.p2align	8
	.type	_ZN7rocprim17ROCPRIM_400000_NS6detail31init_lookback_scan_state_kernelINS1_19lookback_scan_stateIN3c108BFloat16ELb0ELb1EEENS1_16block_id_wrapperIjLb0EEEEEvT_jT0_jPNS9_10value_typeE,@function
_ZN7rocprim17ROCPRIM_400000_NS6detail31init_lookback_scan_state_kernelINS1_19lookback_scan_stateIN3c108BFloat16ELb0ELb1EEENS1_16block_id_wrapperIjLb0EEEEEvT_jT0_jPNS9_10value_typeE: ; @_ZN7rocprim17ROCPRIM_400000_NS6detail31init_lookback_scan_state_kernelINS1_19lookback_scan_stateIN3c108BFloat16ELb0ELb1EEENS1_16block_id_wrapperIjLb0EEEEEvT_jT0_jPNS9_10value_typeE
; %bb.0:
	s_load_dword s3, s[0:1], 0x2c
	s_load_dwordx2 s[6:7], s[0:1], 0x18
	s_load_dwordx2 s[4:5], s[0:1], 0x0
	s_load_dword s8, s[0:1], 0x8
	s_waitcnt lgkmcnt(0)
	s_and_b32 s3, s3, 0xffff
	s_mul_i32 s2, s2, s3
	s_cmp_eq_u64 s[6:7], 0
	v_add_u32_e32 v0, s2, v0
	s_cbranch_scc1 .LBB437_6
; %bb.1:
	s_load_dword s2, s[0:1], 0x10
	s_mov_b32 s3, 0
	s_waitcnt lgkmcnt(0)
	s_cmp_lt_u32 s2, s8
	s_cselect_b32 s0, s2, 0
	v_cmp_eq_u32_e32 vcc, s0, v0
	s_and_saveexec_b64 s[0:1], vcc
	s_cbranch_execz .LBB437_5
; %bb.2:
	s_add_i32 s2, s2, 64
	s_lshl_b64 s[2:3], s[2:3], 2
	s_add_u32 s2, s4, s2
	s_addc_u32 s3, s5, s3
	v_mov_b32_e32 v2, 0
	global_load_dword v1, v2, s[2:3] sc1
	s_waitcnt vmcnt(0)
	v_and_b32_e32 v3, 0xff0000, v1
	v_cmp_ne_u32_e32 vcc, 0, v3
	s_cbranch_vccnz .LBB437_4
.LBB437_3:                              ; =>This Inner Loop Header: Depth=1
	global_load_dword v1, v2, s[2:3] sc1
	s_waitcnt vmcnt(0)
	v_and_b32_e32 v3, 0xff0000, v1
	v_cmp_eq_u32_e32 vcc, 0, v3
	s_cbranch_vccnz .LBB437_3
.LBB437_4:
	v_mov_b32_e32 v2, 0
	global_store_short v2, v1, s[6:7]
.LBB437_5:
	s_or_b64 exec, exec, s[0:1]
.LBB437_6:
	v_cmp_gt_u32_e32 vcc, s8, v0
	s_and_saveexec_b64 s[0:1], vcc
	s_cbranch_execnz .LBB437_9
; %bb.7:
	s_or_b64 exec, exec, s[0:1]
	v_cmp_gt_u32_e32 vcc, 64, v0
	s_and_saveexec_b64 s[0:1], vcc
	s_cbranch_execnz .LBB437_10
.LBB437_8:
	s_endpgm
.LBB437_9:
	v_add_u32_e32 v2, 64, v0
	v_mov_b32_e32 v3, 0
	v_lshl_add_u64 v[4:5], v[2:3], 2, s[4:5]
	global_store_dword v[4:5], v3, off
	s_or_b64 exec, exec, s[0:1]
	v_cmp_gt_u32_e32 vcc, 64, v0
	s_and_saveexec_b64 s[0:1], vcc
	s_cbranch_execz .LBB437_8
.LBB437_10:
	v_mov_b32_e32 v1, 0
	v_lshl_add_u64 v[0:1], v[0:1], 2, s[4:5]
	v_mov_b32_e32 v2, 0xff0000
	global_store_dword v[0:1], v2, off
	s_endpgm
	.section	.rodata,"a",@progbits
	.p2align	6, 0x0
	.amdhsa_kernel _ZN7rocprim17ROCPRIM_400000_NS6detail31init_lookback_scan_state_kernelINS1_19lookback_scan_stateIN3c108BFloat16ELb0ELb1EEENS1_16block_id_wrapperIjLb0EEEEEvT_jT0_jPNS9_10value_typeE
		.amdhsa_group_segment_fixed_size 0
		.amdhsa_private_segment_fixed_size 0
		.amdhsa_kernarg_size 288
		.amdhsa_user_sgpr_count 2
		.amdhsa_user_sgpr_dispatch_ptr 0
		.amdhsa_user_sgpr_queue_ptr 0
		.amdhsa_user_sgpr_kernarg_segment_ptr 1
		.amdhsa_user_sgpr_dispatch_id 0
		.amdhsa_user_sgpr_kernarg_preload_length 0
		.amdhsa_user_sgpr_kernarg_preload_offset 0
		.amdhsa_user_sgpr_private_segment_size 0
		.amdhsa_uses_dynamic_stack 0
		.amdhsa_enable_private_segment 0
		.amdhsa_system_sgpr_workgroup_id_x 1
		.amdhsa_system_sgpr_workgroup_id_y 0
		.amdhsa_system_sgpr_workgroup_id_z 0
		.amdhsa_system_sgpr_workgroup_info 0
		.amdhsa_system_vgpr_workitem_id 0
		.amdhsa_next_free_vgpr 6
		.amdhsa_next_free_sgpr 9
		.amdhsa_accum_offset 8
		.amdhsa_reserve_vcc 1
		.amdhsa_float_round_mode_32 0
		.amdhsa_float_round_mode_16_64 0
		.amdhsa_float_denorm_mode_32 3
		.amdhsa_float_denorm_mode_16_64 3
		.amdhsa_dx10_clamp 1
		.amdhsa_ieee_mode 1
		.amdhsa_fp16_overflow 0
		.amdhsa_tg_split 0
		.amdhsa_exception_fp_ieee_invalid_op 0
		.amdhsa_exception_fp_denorm_src 0
		.amdhsa_exception_fp_ieee_div_zero 0
		.amdhsa_exception_fp_ieee_overflow 0
		.amdhsa_exception_fp_ieee_underflow 0
		.amdhsa_exception_fp_ieee_inexact 0
		.amdhsa_exception_int_div_zero 0
	.end_amdhsa_kernel
	.section	.text._ZN7rocprim17ROCPRIM_400000_NS6detail31init_lookback_scan_state_kernelINS1_19lookback_scan_stateIN3c108BFloat16ELb0ELb1EEENS1_16block_id_wrapperIjLb0EEEEEvT_jT0_jPNS9_10value_typeE,"axG",@progbits,_ZN7rocprim17ROCPRIM_400000_NS6detail31init_lookback_scan_state_kernelINS1_19lookback_scan_stateIN3c108BFloat16ELb0ELb1EEENS1_16block_id_wrapperIjLb0EEEEEvT_jT0_jPNS9_10value_typeE,comdat
.Lfunc_end437:
	.size	_ZN7rocprim17ROCPRIM_400000_NS6detail31init_lookback_scan_state_kernelINS1_19lookback_scan_stateIN3c108BFloat16ELb0ELb1EEENS1_16block_id_wrapperIjLb0EEEEEvT_jT0_jPNS9_10value_typeE, .Lfunc_end437-_ZN7rocprim17ROCPRIM_400000_NS6detail31init_lookback_scan_state_kernelINS1_19lookback_scan_stateIN3c108BFloat16ELb0ELb1EEENS1_16block_id_wrapperIjLb0EEEEEvT_jT0_jPNS9_10value_typeE
                                        ; -- End function
	.set _ZN7rocprim17ROCPRIM_400000_NS6detail31init_lookback_scan_state_kernelINS1_19lookback_scan_stateIN3c108BFloat16ELb0ELb1EEENS1_16block_id_wrapperIjLb0EEEEEvT_jT0_jPNS9_10value_typeE.num_vgpr, 6
	.set _ZN7rocprim17ROCPRIM_400000_NS6detail31init_lookback_scan_state_kernelINS1_19lookback_scan_stateIN3c108BFloat16ELb0ELb1EEENS1_16block_id_wrapperIjLb0EEEEEvT_jT0_jPNS9_10value_typeE.num_agpr, 0
	.set _ZN7rocprim17ROCPRIM_400000_NS6detail31init_lookback_scan_state_kernelINS1_19lookback_scan_stateIN3c108BFloat16ELb0ELb1EEENS1_16block_id_wrapperIjLb0EEEEEvT_jT0_jPNS9_10value_typeE.numbered_sgpr, 9
	.set _ZN7rocprim17ROCPRIM_400000_NS6detail31init_lookback_scan_state_kernelINS1_19lookback_scan_stateIN3c108BFloat16ELb0ELb1EEENS1_16block_id_wrapperIjLb0EEEEEvT_jT0_jPNS9_10value_typeE.num_named_barrier, 0
	.set _ZN7rocprim17ROCPRIM_400000_NS6detail31init_lookback_scan_state_kernelINS1_19lookback_scan_stateIN3c108BFloat16ELb0ELb1EEENS1_16block_id_wrapperIjLb0EEEEEvT_jT0_jPNS9_10value_typeE.private_seg_size, 0
	.set _ZN7rocprim17ROCPRIM_400000_NS6detail31init_lookback_scan_state_kernelINS1_19lookback_scan_stateIN3c108BFloat16ELb0ELb1EEENS1_16block_id_wrapperIjLb0EEEEEvT_jT0_jPNS9_10value_typeE.uses_vcc, 1
	.set _ZN7rocprim17ROCPRIM_400000_NS6detail31init_lookback_scan_state_kernelINS1_19lookback_scan_stateIN3c108BFloat16ELb0ELb1EEENS1_16block_id_wrapperIjLb0EEEEEvT_jT0_jPNS9_10value_typeE.uses_flat_scratch, 0
	.set _ZN7rocprim17ROCPRIM_400000_NS6detail31init_lookback_scan_state_kernelINS1_19lookback_scan_stateIN3c108BFloat16ELb0ELb1EEENS1_16block_id_wrapperIjLb0EEEEEvT_jT0_jPNS9_10value_typeE.has_dyn_sized_stack, 0
	.set _ZN7rocprim17ROCPRIM_400000_NS6detail31init_lookback_scan_state_kernelINS1_19lookback_scan_stateIN3c108BFloat16ELb0ELb1EEENS1_16block_id_wrapperIjLb0EEEEEvT_jT0_jPNS9_10value_typeE.has_recursion, 0
	.set _ZN7rocprim17ROCPRIM_400000_NS6detail31init_lookback_scan_state_kernelINS1_19lookback_scan_stateIN3c108BFloat16ELb0ELb1EEENS1_16block_id_wrapperIjLb0EEEEEvT_jT0_jPNS9_10value_typeE.has_indirect_call, 0
	.section	.AMDGPU.csdata,"",@progbits
; Kernel info:
; codeLenInByte = 292
; TotalNumSgprs: 15
; NumVgprs: 6
; NumAgprs: 0
; TotalNumVgprs: 6
; ScratchSize: 0
; MemoryBound: 0
; FloatMode: 240
; IeeeMode: 1
; LDSByteSize: 0 bytes/workgroup (compile time only)
; SGPRBlocks: 1
; VGPRBlocks: 0
; NumSGPRsForWavesPerEU: 15
; NumVGPRsForWavesPerEU: 6
; AccumOffset: 8
; Occupancy: 8
; WaveLimiterHint : 0
; COMPUTE_PGM_RSRC2:SCRATCH_EN: 0
; COMPUTE_PGM_RSRC2:USER_SGPR: 2
; COMPUTE_PGM_RSRC2:TRAP_HANDLER: 0
; COMPUTE_PGM_RSRC2:TGID_X_EN: 1
; COMPUTE_PGM_RSRC2:TGID_Y_EN: 0
; COMPUTE_PGM_RSRC2:TGID_Z_EN: 0
; COMPUTE_PGM_RSRC2:TIDIG_COMP_CNT: 0
; COMPUTE_PGM_RSRC3_GFX90A:ACCUM_OFFSET: 1
; COMPUTE_PGM_RSRC3_GFX90A:TG_SPLIT: 0
	.section	.text._ZN7rocprim17ROCPRIM_400000_NS6detail17trampoline_kernelINS0_14default_configENS1_20scan_config_selectorIN3c108BFloat16EEEZZNS1_9scan_implILNS1_25lookback_scan_determinismE0ELb0ELb0ES3_PKS6_PS6_S6_ZZZN2at6native31launch_logcumsumexp_cuda_kernelERKNSD_10TensorBaseESH_lENKUlvE_clEvENKUlvE4_clEvEUlS6_S6_E_S6_EEDaPvRmT3_T4_T5_mT6_P12ihipStream_tbENKUlT_T0_E_clISt17integral_constantIbLb0EESY_EEDaST_SU_EUlST_E_NS1_11comp_targetILNS1_3genE0ELNS1_11target_archE4294967295ELNS1_3gpuE0ELNS1_3repE0EEENS1_30default_config_static_selectorELNS0_4arch9wavefront6targetE1EEEvT1_,"axG",@progbits,_ZN7rocprim17ROCPRIM_400000_NS6detail17trampoline_kernelINS0_14default_configENS1_20scan_config_selectorIN3c108BFloat16EEEZZNS1_9scan_implILNS1_25lookback_scan_determinismE0ELb0ELb0ES3_PKS6_PS6_S6_ZZZN2at6native31launch_logcumsumexp_cuda_kernelERKNSD_10TensorBaseESH_lENKUlvE_clEvENKUlvE4_clEvEUlS6_S6_E_S6_EEDaPvRmT3_T4_T5_mT6_P12ihipStream_tbENKUlT_T0_E_clISt17integral_constantIbLb0EESY_EEDaST_SU_EUlST_E_NS1_11comp_targetILNS1_3genE0ELNS1_11target_archE4294967295ELNS1_3gpuE0ELNS1_3repE0EEENS1_30default_config_static_selectorELNS0_4arch9wavefront6targetE1EEEvT1_,comdat
	.globl	_ZN7rocprim17ROCPRIM_400000_NS6detail17trampoline_kernelINS0_14default_configENS1_20scan_config_selectorIN3c108BFloat16EEEZZNS1_9scan_implILNS1_25lookback_scan_determinismE0ELb0ELb0ES3_PKS6_PS6_S6_ZZZN2at6native31launch_logcumsumexp_cuda_kernelERKNSD_10TensorBaseESH_lENKUlvE_clEvENKUlvE4_clEvEUlS6_S6_E_S6_EEDaPvRmT3_T4_T5_mT6_P12ihipStream_tbENKUlT_T0_E_clISt17integral_constantIbLb0EESY_EEDaST_SU_EUlST_E_NS1_11comp_targetILNS1_3genE0ELNS1_11target_archE4294967295ELNS1_3gpuE0ELNS1_3repE0EEENS1_30default_config_static_selectorELNS0_4arch9wavefront6targetE1EEEvT1_ ; -- Begin function _ZN7rocprim17ROCPRIM_400000_NS6detail17trampoline_kernelINS0_14default_configENS1_20scan_config_selectorIN3c108BFloat16EEEZZNS1_9scan_implILNS1_25lookback_scan_determinismE0ELb0ELb0ES3_PKS6_PS6_S6_ZZZN2at6native31launch_logcumsumexp_cuda_kernelERKNSD_10TensorBaseESH_lENKUlvE_clEvENKUlvE4_clEvEUlS6_S6_E_S6_EEDaPvRmT3_T4_T5_mT6_P12ihipStream_tbENKUlT_T0_E_clISt17integral_constantIbLb0EESY_EEDaST_SU_EUlST_E_NS1_11comp_targetILNS1_3genE0ELNS1_11target_archE4294967295ELNS1_3gpuE0ELNS1_3repE0EEENS1_30default_config_static_selectorELNS0_4arch9wavefront6targetE1EEEvT1_
	.p2align	8
	.type	_ZN7rocprim17ROCPRIM_400000_NS6detail17trampoline_kernelINS0_14default_configENS1_20scan_config_selectorIN3c108BFloat16EEEZZNS1_9scan_implILNS1_25lookback_scan_determinismE0ELb0ELb0ES3_PKS6_PS6_S6_ZZZN2at6native31launch_logcumsumexp_cuda_kernelERKNSD_10TensorBaseESH_lENKUlvE_clEvENKUlvE4_clEvEUlS6_S6_E_S6_EEDaPvRmT3_T4_T5_mT6_P12ihipStream_tbENKUlT_T0_E_clISt17integral_constantIbLb0EESY_EEDaST_SU_EUlST_E_NS1_11comp_targetILNS1_3genE0ELNS1_11target_archE4294967295ELNS1_3gpuE0ELNS1_3repE0EEENS1_30default_config_static_selectorELNS0_4arch9wavefront6targetE1EEEvT1_,@function
_ZN7rocprim17ROCPRIM_400000_NS6detail17trampoline_kernelINS0_14default_configENS1_20scan_config_selectorIN3c108BFloat16EEEZZNS1_9scan_implILNS1_25lookback_scan_determinismE0ELb0ELb0ES3_PKS6_PS6_S6_ZZZN2at6native31launch_logcumsumexp_cuda_kernelERKNSD_10TensorBaseESH_lENKUlvE_clEvENKUlvE4_clEvEUlS6_S6_E_S6_EEDaPvRmT3_T4_T5_mT6_P12ihipStream_tbENKUlT_T0_E_clISt17integral_constantIbLb0EESY_EEDaST_SU_EUlST_E_NS1_11comp_targetILNS1_3genE0ELNS1_11target_archE4294967295ELNS1_3gpuE0ELNS1_3repE0EEENS1_30default_config_static_selectorELNS0_4arch9wavefront6targetE1EEEvT1_: ; @_ZN7rocprim17ROCPRIM_400000_NS6detail17trampoline_kernelINS0_14default_configENS1_20scan_config_selectorIN3c108BFloat16EEEZZNS1_9scan_implILNS1_25lookback_scan_determinismE0ELb0ELb0ES3_PKS6_PS6_S6_ZZZN2at6native31launch_logcumsumexp_cuda_kernelERKNSD_10TensorBaseESH_lENKUlvE_clEvENKUlvE4_clEvEUlS6_S6_E_S6_EEDaPvRmT3_T4_T5_mT6_P12ihipStream_tbENKUlT_T0_E_clISt17integral_constantIbLb0EESY_EEDaST_SU_EUlST_E_NS1_11comp_targetILNS1_3genE0ELNS1_11target_archE4294967295ELNS1_3gpuE0ELNS1_3repE0EEENS1_30default_config_static_selectorELNS0_4arch9wavefront6targetE1EEEvT1_
; %bb.0:
	s_load_dwordx8 s[36:43], s[0:1], 0x0
	s_load_dword s3, s[0:1], 0x30
	s_mul_i32 s4, s2, 0x700
	s_mov_b32 s5, 0
	v_lshlrev_b32_e32 v2, 1, v0
	s_waitcnt lgkmcnt(0)
	s_lshl_b64 s[38:39], s[38:39], 1
	s_add_u32 s6, s36, s38
	s_addc_u32 s7, s37, s39
	s_add_i32 s3, s3, -1
	s_mul_i32 s8, s3, 0x700
	s_sub_u32 s33, s42, s8
	s_subb_u32 s56, s43, 0
	s_cmp_lg_u32 s2, s3
	s_cselect_b64 s[42:43], -1, 0
	s_lshl_b64 s[52:53], s[4:5], 1
	s_add_u32 s6, s6, s52
	s_addc_u32 s7, s7, s53
	s_mov_b64 s[4:5], -1
	s_and_b64 vcc, exec, s[42:43]
	s_cbranch_vccz .LBB438_2
; %bb.1:
	global_load_ushort v1, v2, s[6:7]
	global_load_ushort v3, v2, s[6:7] offset:256
	global_load_ushort v4, v2, s[6:7] offset:512
	global_load_ushort v5, v2, s[6:7] offset:768
	global_load_ushort v6, v2, s[6:7] offset:1024
	global_load_ushort v7, v2, s[6:7] offset:1280
	global_load_ushort v8, v2, s[6:7] offset:1536
	global_load_ushort v9, v2, s[6:7] offset:1792
	global_load_ushort v10, v2, s[6:7] offset:2048
	global_load_ushort v11, v2, s[6:7] offset:2304
	global_load_ushort v12, v2, s[6:7] offset:2560
	global_load_ushort v13, v2, s[6:7] offset:2816
	global_load_ushort v14, v2, s[6:7] offset:3072
	global_load_ushort v15, v2, s[6:7] offset:3328
	s_mov_b64 s[4:5], 0
	s_waitcnt vmcnt(13)
	ds_write_b16 v2, v1
	s_waitcnt vmcnt(12)
	ds_write_b16 v2, v3 offset:256
	s_waitcnt vmcnt(11)
	ds_write_b16 v2, v4 offset:512
	;; [unrolled: 2-line block ×13, first 2 shown]
	s_waitcnt lgkmcnt(0)
	s_barrier
.LBB438_2:
	s_load_dwordx2 s[54:55], s[0:1], 0x28
	s_andn2_b64 vcc, exec, s[4:5]
	v_cmp_gt_u32_e64 s[4:5], s33, v0
	s_cbranch_vccnz .LBB438_32
; %bb.3:
	v_mov_b32_e32 v1, 0
	global_load_ushort v1, v1, s[6:7]
	s_waitcnt vmcnt(0)
	v_mov_b32_e32 v3, v1
	s_and_saveexec_b64 s[8:9], s[4:5]
	s_cbranch_execz .LBB438_5
; %bb.4:
	global_load_ushort v3, v2, s[6:7]
.LBB438_5:
	s_or_b64 exec, exec, s[8:9]
	v_or_b32_e32 v4, 0x80, v0
	v_cmp_gt_u32_e32 vcc, s33, v4
	v_mov_b32_e32 v4, v1
	s_and_saveexec_b64 s[4:5], vcc
	s_cbranch_execz .LBB438_7
; %bb.6:
	global_load_ushort v4, v2, s[6:7] offset:256
.LBB438_7:
	s_or_b64 exec, exec, s[4:5]
	v_or_b32_e32 v5, 0x100, v0
	v_cmp_gt_u32_e32 vcc, s33, v5
	v_mov_b32_e32 v5, v1
	s_and_saveexec_b64 s[4:5], vcc
	s_cbranch_execz .LBB438_9
; %bb.8:
	global_load_ushort v5, v2, s[6:7] offset:512
.LBB438_9:
	;; [unrolled: 9-line block ×12, first 2 shown]
	s_or_b64 exec, exec, s[4:5]
	v_or_b32_e32 v16, 0x680, v0
	v_cmp_gt_u32_e32 vcc, s33, v16
	s_and_saveexec_b64 s[4:5], vcc
	s_cbranch_execz .LBB438_31
; %bb.30:
	global_load_ushort v1, v2, s[6:7] offset:3328
.LBB438_31:
	s_or_b64 exec, exec, s[4:5]
	s_waitcnt vmcnt(0)
	ds_write_b16 v2, v3
	ds_write_b16 v2, v4 offset:256
	ds_write_b16 v2, v5 offset:512
	;; [unrolled: 1-line block ×13, first 2 shown]
	s_waitcnt lgkmcnt(0)
	s_barrier
.LBB438_32:
	v_mul_u32_u24_e32 v1, 28, v0
	s_waitcnt lgkmcnt(0)
	ds_read2_b32 v[8:9], v1 offset1:1
	ds_read2_b32 v[6:7], v1 offset0:2 offset1:3
	ds_read2_b32 v[4:5], v1 offset0:4 offset1:5
	ds_read_b32 v3, v1 offset:24
	s_cmp_lg_u32 s2, 0
	s_waitcnt lgkmcnt(0)
	s_barrier
	s_cbranch_scc0 .LBB438_160
; %bb.33:
	v_mov_b32_e32 v10, 16
	v_lshlrev_b32_e32 v44, 16, v8
	v_lshlrev_b32_sdwa v18, v10, v8 dst_sel:DWORD dst_unused:UNUSED_PAD src0_sel:DWORD src1_sel:WORD_1
	v_max_f32_e32 v19, v18, v18
	v_max_f32_e32 v45, v44, v44
	v_min_f32_e32 v11, v45, v19
	v_cmp_u_f32_e64 s[28:29], v44, v44
	v_cmp_u_f32_e64 s[36:37], v18, v18
	s_movk_i32 s3, 0x1f8
	v_cndmask_b32_e64 v11, v11, v44, s[28:29]
	v_cndmask_b32_e64 v13, v11, v18, s[36:37]
	v_max_f32_e32 v11, v45, v19
	v_cndmask_b32_e64 v11, v11, v44, s[28:29]
	v_cndmask_b32_e64 v11, v11, v18, s[36:37]
	v_cmp_neq_f32_e32 vcc, v13, v11
	v_cmp_class_f32_e64 s[4:5], v13, s3
	s_or_b64 s[6:7], vcc, s[4:5]
	v_mov_b32_e32 v12, v44
	s_and_saveexec_b64 s[4:5], s[6:7]
	s_cbranch_execz .LBB438_35
; %bb.34:
	v_sub_f32_e32 v12, v13, v11
	s_mov_b32 s6, 0x3fb8aa3b
	v_mul_f32_e32 v13, 0x3fb8aa3b, v12
	v_fma_f32 v14, v12, s6, -v13
	v_rndne_f32_e32 v15, v13
	v_fmamk_f32 v14, v12, 0x32a5705f, v14
	v_sub_f32_e32 v13, v13, v15
	v_add_f32_e32 v13, v13, v14
	v_exp_f32_e32 v13, v13
	v_cvt_i32_f32_e32 v14, v15
	s_mov_b32 s6, 0xc2ce8ed0
	v_cmp_ngt_f32_e32 vcc, s6, v12
	s_mov_b32 s6, 0x42b17218
	v_ldexp_f32 v13, v13, v14
	v_cndmask_b32_e32 v13, 0, v13, vcc
	v_mov_b32_e32 v28, 0x7f800000
	v_cmp_nlt_f32_e32 vcc, s6, v12
	s_mov_b32 s6, 0x3f2aaaab
	s_mov_b32 s7, 0x7f800000
	v_cndmask_b32_e32 v29, v28, v13, vcc
	v_add_f32_e32 v14, 1.0, v29
	v_add_f32_e32 v12, -1.0, v14
	v_sub_f32_e32 v13, v12, v14
	v_add_f32_e32 v13, 1.0, v13
	v_sub_f32_e32 v12, v29, v12
	v_add_f32_e32 v15, v12, v13
	v_frexp_mant_f32_e32 v16, v14
	v_cvt_f64_f32_e32 v[12:13], v14
	v_frexp_exp_i32_f64_e32 v12, v[12:13]
	v_cmp_gt_f32_e32 vcc, s6, v16
	s_mov_b32 s6, 0x3f317218
	s_nop 0
	v_subbrev_co_u32_e32 v22, vcc, 0, v12, vcc
	v_sub_u32_e32 v12, 0, v22
	v_ldexp_f32 v13, v14, v12
	v_add_f32_e32 v14, -1.0, v13
	v_add_f32_e32 v16, 1.0, v13
	v_ldexp_f32 v12, v15, v12
	v_add_f32_e32 v15, 1.0, v14
	v_add_f32_e32 v17, -1.0, v16
	v_sub_f32_e32 v15, v13, v15
	v_sub_f32_e32 v13, v13, v17
	v_add_f32_e32 v15, v12, v15
	v_add_f32_e32 v12, v12, v13
	;; [unrolled: 1-line block ×3, first 2 shown]
	v_rcp_f32_e32 v25, v23
	v_sub_f32_e32 v13, v16, v23
	v_add_f32_e32 v24, v12, v13
	v_add_f32_e32 v13, v14, v15
	v_mul_f32_e32 v27, v13, v25
	v_sub_f32_e32 v12, v14, v13
	v_mul_f32_e32 v14, v23, v27
	v_fma_f32 v16, v27, v23, -v14
	v_fmac_f32_e32 v16, v27, v24
	v_add_f32_e32 v26, v15, v12
	v_add_f32_e32 v12, v14, v16
	v_sub_f32_e32 v15, v13, v12
	v_pk_add_f32 v[20:21], v[12:13], v[14:15] neg_lo:[0,1] neg_hi:[0,1]
	v_mov_b32_e32 v17, v12
	v_pk_add_f32 v[12:13], v[20:21], v[16:17] neg_lo:[0,1] neg_hi:[0,1]
	v_cmp_neq_f32_e32 vcc, s7, v29
	v_add_f32_e32 v13, v26, v13
	v_add_f32_e32 v12, v12, v13
	;; [unrolled: 1-line block ×3, first 2 shown]
	v_mul_f32_e32 v26, v25, v13
	v_mul_f32_e32 v14, v23, v26
	v_fma_f32 v16, v26, v23, -v14
	v_fmac_f32_e32 v16, v26, v24
	v_sub_f32_e32 v15, v15, v13
	v_add_f32_e32 v23, v12, v15
	v_add_f32_e32 v12, v14, v16
	v_sub_f32_e32 v15, v13, v12
	v_pk_add_f32 v[20:21], v[12:13], v[14:15] neg_lo:[0,1] neg_hi:[0,1]
	v_mov_b32_e32 v17, v12
	v_pk_add_f32 v[12:13], v[20:21], v[16:17] neg_lo:[0,1] neg_hi:[0,1]
	v_cvt_f32_i32_e32 v14, v22
	v_add_f32_e32 v13, v23, v13
	v_add_f32_e32 v12, v12, v13
	;; [unrolled: 1-line block ×4, first 2 shown]
	v_sub_f32_e32 v13, v15, v27
	v_mul_f32_e32 v12, v25, v12
	v_sub_f32_e32 v13, v26, v13
	v_add_f32_e32 v12, v13, v12
	v_add_f32_e32 v16, v15, v12
	v_mul_f32_e32 v20, v16, v16
	v_mov_b32_e32 v13, 0x3ecc95a3
	v_sub_f32_e32 v15, v16, v15
	v_fmac_f32_e32 v13, 0x3e9b6dac, v20
	v_sub_f32_e32 v12, v12, v15
	v_fmaak_f32 v13, v20, v13, 0x3f2aaada
	v_ldexp_f32 v21, v12, 1
	v_mul_f32_e32 v15, v16, v20
	v_mov_b32_e32 v12, 0x3f317218
	v_pk_mul_f32 v[12:13], v[14:15], v[12:13]
	v_ldexp_f32 v17, v16, 1
	v_fma_f32 v15, v14, s6, -v12
	v_fmamk_f32 v16, v14, 0xb102e308, v15
	v_pk_add_f32 v[14:15], v[12:13], v[16:17]
	v_mov_b32_e32 v20, v12
	v_sub_f32_e32 v17, v15, v17
	v_sub_f32_e32 v17, v13, v17
	v_add_f32_e32 v21, v21, v17
	v_pk_add_f32 v[12:13], v[14:15], v[12:13] neg_lo:[0,1] neg_hi:[0,1]
	v_pk_add_f32 v[22:23], v[14:15], v[20:21]
	v_mov_b32_e32 v17, v14
	v_mov_b32_e32 v13, v23
	v_pk_add_f32 v[24:25], v[16:17], v[12:13] neg_lo:[0,1] neg_hi:[0,1]
	v_pk_add_f32 v[12:13], v[16:17], v[12:13]
	v_mov_b32_e32 v20, v21
	v_pk_add_f32 v[16:17], v[12:13], v[14:15] op_sel:[1,0] op_sel_hi:[0,1] neg_lo:[0,1] neg_hi:[0,1]
	v_pk_add_f32 v[26:27], v[22:23], v[16:17] op_sel_hi:[1,0] neg_lo:[0,1] neg_hi:[0,1]
	v_mov_b32_e32 v22, v23
	v_mov_b32_e32 v23, v13
	v_pk_mov_b32 v[16:17], v[14:15], v[16:17] op_sel:[1,0]
	v_mov_b32_e32 v21, v14
	v_pk_add_f32 v[16:17], v[22:23], v[16:17] neg_lo:[0,1] neg_hi:[0,1]
	v_mov_b32_e32 v26, v24
	v_pk_add_f32 v[14:15], v[20:21], v[16:17] neg_lo:[0,1] neg_hi:[0,1]
	v_mov_b32_e32 v25, v13
	v_pk_add_f32 v[16:17], v[26:27], v[14:15]
	s_mov_b32 s6, 0x33800000
	v_pk_add_f32 v[20:21], v[16:17], v[16:17] op_sel:[0,1] op_sel_hi:[1,0]
	s_nop 0
	v_pk_add_f32 v[12:13], v[12:13], v[20:21] op_sel:[1,0] op_sel_hi:[0,1]
	v_mov_b32_e32 v17, v12
	v_pk_add_f32 v[22:23], v[16:17], v[24:25] neg_lo:[0,1] neg_hi:[0,1]
	v_mov_b32_e32 v15, v20
	v_sub_f32_e32 v13, v16, v22
	v_pk_add_f32 v[14:15], v[14:15], v[22:23] neg_lo:[0,1] neg_hi:[0,1]
	v_sub_f32_e32 v13, v24, v13
	v_add_f32_e32 v13, v14, v13
	v_add_f32_e32 v13, v13, v15
	;; [unrolled: 1-line block ×3, first 2 shown]
	v_cndmask_b32_e32 v12, v28, v12, vcc
	v_cmp_lt_f32_e64 vcc, |v29|, s6
	s_nop 1
	v_cndmask_b32_e32 v12, v12, v29, vcc
	v_add_f32_e32 v12, v11, v12
.LBB438_35:
	s_or_b64 exec, exec, s[4:5]
	v_bfe_u32 v11, v12, 16, 1
	s_movk_i32 s8, 0x7fff
	v_add3_u32 v11, v12, v11, s8
	v_and_b32_e32 v13, 0xffff0000, v11
	v_mov_b32_e32 v11, 0x7fc00000
	v_cmp_o_f32_e32 vcc, v12, v12
	v_lshlrev_b32_sdwa v20, v10, v9 dst_sel:DWORD dst_unused:UNUSED_PAD src0_sel:DWORD src1_sel:WORD_0
	v_max_f32_e32 v22, v20, v20
	v_cndmask_b32_e32 v12, v11, v13, vcc
	v_max_f32_e32 v10, v12, v12
	v_min_f32_e32 v13, v10, v22
	v_cmp_u_f32_e32 vcc, v12, v12
	v_max_f32_e32 v10, v10, v22
	v_cmp_u_f32_e64 s[4:5], v20, v20
	v_cndmask_b32_e32 v13, v13, v12, vcc
	v_cndmask_b32_e32 v10, v10, v12, vcc
	v_cndmask_b32_e64 v13, v13, v20, s[4:5]
	v_cndmask_b32_e64 v10, v10, v20, s[4:5]
	v_cmp_neq_f32_e32 vcc, v13, v10
	v_cmp_class_f32_e64 s[6:7], v13, s3
	s_or_b64 s[10:11], vcc, s[6:7]
	s_and_saveexec_b64 s[6:7], s[10:11]
	s_cbranch_execz .LBB438_37
; %bb.36:
	v_sub_f32_e32 v12, v13, v10
	s_mov_b32 s3, 0x3fb8aa3b
	v_mul_f32_e32 v13, 0x3fb8aa3b, v12
	v_fma_f32 v14, v12, s3, -v13
	v_rndne_f32_e32 v15, v13
	v_fmamk_f32 v14, v12, 0x32a5705f, v14
	v_sub_f32_e32 v13, v13, v15
	v_add_f32_e32 v13, v13, v14
	v_exp_f32_e32 v13, v13
	v_cvt_i32_f32_e32 v14, v15
	s_mov_b32 s3, 0xc2ce8ed0
	v_cmp_ngt_f32_e32 vcc, s3, v12
	s_mov_b32 s3, 0x42b17218
	v_ldexp_f32 v13, v13, v14
	v_cndmask_b32_e32 v13, 0, v13, vcc
	v_mov_b32_e32 v21, 0x7f800000
	v_cmp_nlt_f32_e32 vcc, s3, v12
	s_mov_b32 s3, 0x3f2aaaab
	s_mov_b32 s9, 0x7f800000
	v_cndmask_b32_e32 v23, v21, v13, vcc
	v_add_f32_e32 v14, 1.0, v23
	v_add_f32_e32 v12, -1.0, v14
	v_sub_f32_e32 v13, v12, v14
	v_add_f32_e32 v13, 1.0, v13
	v_sub_f32_e32 v12, v23, v12
	v_add_f32_e32 v15, v12, v13
	v_frexp_mant_f32_e32 v16, v14
	v_cvt_f64_f32_e32 v[12:13], v14
	v_frexp_exp_i32_f64_e32 v12, v[12:13]
	v_cmp_gt_f32_e32 vcc, s3, v16
	s_mov_b32 s3, 0x3f317218
	s_nop 0
	v_subbrev_co_u32_e32 v26, vcc, 0, v12, vcc
	v_sub_u32_e32 v12, 0, v26
	v_ldexp_f32 v13, v14, v12
	v_add_f32_e32 v14, -1.0, v13
	v_add_f32_e32 v16, 1.0, v13
	v_ldexp_f32 v12, v15, v12
	v_add_f32_e32 v15, 1.0, v14
	v_add_f32_e32 v17, -1.0, v16
	v_sub_f32_e32 v15, v13, v15
	v_sub_f32_e32 v13, v13, v17
	v_add_f32_e32 v15, v12, v15
	v_add_f32_e32 v12, v12, v13
	;; [unrolled: 1-line block ×3, first 2 shown]
	v_rcp_f32_e32 v29, v27
	v_sub_f32_e32 v13, v16, v27
	v_add_f32_e32 v28, v12, v13
	v_add_f32_e32 v13, v14, v15
	v_mul_f32_e32 v31, v13, v29
	v_sub_f32_e32 v12, v14, v13
	v_mul_f32_e32 v14, v27, v31
	v_fma_f32 v16, v31, v27, -v14
	v_fmac_f32_e32 v16, v31, v28
	v_add_f32_e32 v30, v15, v12
	v_add_f32_e32 v12, v14, v16
	v_sub_f32_e32 v15, v13, v12
	v_pk_add_f32 v[24:25], v[12:13], v[14:15] neg_lo:[0,1] neg_hi:[0,1]
	v_mov_b32_e32 v17, v12
	v_pk_add_f32 v[12:13], v[24:25], v[16:17] neg_lo:[0,1] neg_hi:[0,1]
	v_cmp_neq_f32_e32 vcc, s9, v23
	v_add_f32_e32 v13, v30, v13
	v_add_f32_e32 v12, v12, v13
	;; [unrolled: 1-line block ×3, first 2 shown]
	v_mul_f32_e32 v30, v29, v13
	v_mul_f32_e32 v14, v27, v30
	v_fma_f32 v16, v30, v27, -v14
	v_fmac_f32_e32 v16, v30, v28
	v_sub_f32_e32 v15, v15, v13
	v_add_f32_e32 v27, v12, v15
	v_add_f32_e32 v12, v14, v16
	v_sub_f32_e32 v15, v13, v12
	v_pk_add_f32 v[24:25], v[12:13], v[14:15] neg_lo:[0,1] neg_hi:[0,1]
	v_mov_b32_e32 v17, v12
	v_pk_add_f32 v[12:13], v[24:25], v[16:17] neg_lo:[0,1] neg_hi:[0,1]
	v_cvt_f32_i32_e32 v14, v26
	v_add_f32_e32 v13, v27, v13
	v_add_f32_e32 v12, v12, v13
	;; [unrolled: 1-line block ×4, first 2 shown]
	v_sub_f32_e32 v13, v15, v31
	v_mul_f32_e32 v12, v29, v12
	v_sub_f32_e32 v13, v30, v13
	v_add_f32_e32 v12, v13, v12
	v_add_f32_e32 v16, v15, v12
	v_mul_f32_e32 v24, v16, v16
	v_mov_b32_e32 v13, 0x3ecc95a3
	v_sub_f32_e32 v15, v16, v15
	v_fmac_f32_e32 v13, 0x3e9b6dac, v24
	v_sub_f32_e32 v12, v12, v15
	v_fmaak_f32 v13, v24, v13, 0x3f2aaada
	v_ldexp_f32 v25, v12, 1
	v_mul_f32_e32 v15, v16, v24
	v_mov_b32_e32 v12, 0x3f317218
	v_pk_mul_f32 v[12:13], v[14:15], v[12:13]
	v_ldexp_f32 v17, v16, 1
	v_fma_f32 v15, v14, s3, -v12
	v_fmamk_f32 v16, v14, 0xb102e308, v15
	v_pk_add_f32 v[14:15], v[12:13], v[16:17]
	v_mov_b32_e32 v24, v12
	v_sub_f32_e32 v17, v15, v17
	v_sub_f32_e32 v17, v13, v17
	v_add_f32_e32 v25, v25, v17
	v_pk_add_f32 v[12:13], v[14:15], v[12:13] neg_lo:[0,1] neg_hi:[0,1]
	v_pk_add_f32 v[26:27], v[14:15], v[24:25]
	v_mov_b32_e32 v17, v14
	v_mov_b32_e32 v13, v27
	v_pk_add_f32 v[28:29], v[16:17], v[12:13] neg_lo:[0,1] neg_hi:[0,1]
	v_pk_add_f32 v[12:13], v[16:17], v[12:13]
	v_mov_b32_e32 v24, v25
	v_pk_add_f32 v[16:17], v[12:13], v[14:15] op_sel:[1,0] op_sel_hi:[0,1] neg_lo:[0,1] neg_hi:[0,1]
	v_pk_add_f32 v[30:31], v[26:27], v[16:17] op_sel_hi:[1,0] neg_lo:[0,1] neg_hi:[0,1]
	v_mov_b32_e32 v26, v27
	v_mov_b32_e32 v27, v13
	v_pk_mov_b32 v[16:17], v[14:15], v[16:17] op_sel:[1,0]
	v_mov_b32_e32 v25, v14
	v_pk_add_f32 v[16:17], v[26:27], v[16:17] neg_lo:[0,1] neg_hi:[0,1]
	v_mov_b32_e32 v30, v28
	v_pk_add_f32 v[14:15], v[24:25], v[16:17] neg_lo:[0,1] neg_hi:[0,1]
	v_mov_b32_e32 v29, v13
	v_pk_add_f32 v[16:17], v[30:31], v[14:15]
	s_mov_b32 s3, 0x33800000
	v_pk_add_f32 v[24:25], v[16:17], v[16:17] op_sel:[0,1] op_sel_hi:[1,0]
	s_nop 0
	v_pk_add_f32 v[12:13], v[12:13], v[24:25] op_sel:[1,0] op_sel_hi:[0,1]
	v_mov_b32_e32 v17, v12
	v_pk_add_f32 v[26:27], v[16:17], v[28:29] neg_lo:[0,1] neg_hi:[0,1]
	v_mov_b32_e32 v15, v24
	v_sub_f32_e32 v13, v16, v26
	v_pk_add_f32 v[14:15], v[14:15], v[26:27] neg_lo:[0,1] neg_hi:[0,1]
	v_sub_f32_e32 v13, v28, v13
	v_add_f32_e32 v13, v14, v13
	v_add_f32_e32 v13, v13, v15
	;; [unrolled: 1-line block ×3, first 2 shown]
	v_cndmask_b32_e32 v12, v21, v12, vcc
	v_cmp_lt_f32_e64 vcc, |v23|, s3
	s_nop 1
	v_cndmask_b32_e32 v12, v12, v23, vcc
	v_add_f32_e32 v12, v10, v12
.LBB438_37:
	s_or_b64 exec, exec, s[6:7]
	v_bfe_u32 v10, v12, 16, 1
	v_add3_u32 v10, v12, v10, s8
	v_and_b32_e32 v10, 0xffff0000, v10
	v_cmp_o_f32_e32 vcc, v12, v12
	s_movk_i32 s3, 0x1f8
	s_nop 0
	v_cndmask_b32_e32 v12, v11, v10, vcc
	v_mov_b32_e32 v10, 16
	v_lshlrev_b32_sdwa v21, v10, v9 dst_sel:DWORD dst_unused:UNUSED_PAD src0_sel:DWORD src1_sel:WORD_1
	v_max_f32_e32 v11, v12, v12
	v_max_f32_e32 v23, v21, v21
	v_min_f32_e32 v13, v11, v23
	v_cmp_u_f32_e32 vcc, v12, v12
	v_max_f32_e32 v11, v11, v23
	v_cmp_u_f32_e64 s[6:7], v21, v21
	v_cndmask_b32_e32 v13, v13, v12, vcc
	v_cndmask_b32_e32 v11, v11, v12, vcc
	v_cndmask_b32_e64 v13, v13, v21, s[6:7]
	v_cndmask_b32_e64 v11, v11, v21, s[6:7]
	v_cmp_neq_f32_e32 vcc, v13, v11
	v_cmp_class_f32_e64 s[8:9], v13, s3
	s_or_b64 s[10:11], vcc, s[8:9]
	s_and_saveexec_b64 s[8:9], s[10:11]
	s_cbranch_execz .LBB438_39
; %bb.38:
	v_sub_f32_e32 v12, v13, v11
	s_mov_b32 s10, 0x3fb8aa3b
	v_mul_f32_e32 v13, 0x3fb8aa3b, v12
	v_fma_f32 v14, v12, s10, -v13
	v_rndne_f32_e32 v15, v13
	v_fmamk_f32 v14, v12, 0x32a5705f, v14
	v_sub_f32_e32 v13, v13, v15
	v_add_f32_e32 v13, v13, v14
	v_exp_f32_e32 v13, v13
	v_cvt_i32_f32_e32 v14, v15
	s_mov_b32 s10, 0xc2ce8ed0
	v_cmp_ngt_f32_e32 vcc, s10, v12
	s_mov_b32 s10, 0x42b17218
	v_ldexp_f32 v13, v13, v14
	v_cndmask_b32_e32 v13, 0, v13, vcc
	v_mov_b32_e32 v32, 0x7f800000
	v_cmp_nlt_f32_e32 vcc, s10, v12
	s_mov_b32 s10, 0x3f2aaaab
	s_mov_b32 s11, 0x7f800000
	v_cndmask_b32_e32 v33, v32, v13, vcc
	v_add_f32_e32 v14, 1.0, v33
	v_add_f32_e32 v12, -1.0, v14
	v_sub_f32_e32 v13, v12, v14
	v_add_f32_e32 v13, 1.0, v13
	v_sub_f32_e32 v12, v33, v12
	v_add_f32_e32 v15, v12, v13
	v_frexp_mant_f32_e32 v16, v14
	v_cvt_f64_f32_e32 v[12:13], v14
	v_frexp_exp_i32_f64_e32 v12, v[12:13]
	v_cmp_gt_f32_e32 vcc, s10, v16
	s_mov_b32 s10, 0x3f317218
	s_nop 0
	v_subbrev_co_u32_e32 v26, vcc, 0, v12, vcc
	v_sub_u32_e32 v12, 0, v26
	v_ldexp_f32 v13, v14, v12
	v_add_f32_e32 v14, -1.0, v13
	v_add_f32_e32 v16, 1.0, v13
	v_ldexp_f32 v12, v15, v12
	v_add_f32_e32 v15, 1.0, v14
	v_add_f32_e32 v17, -1.0, v16
	v_sub_f32_e32 v15, v13, v15
	v_sub_f32_e32 v13, v13, v17
	v_add_f32_e32 v15, v12, v15
	v_add_f32_e32 v12, v12, v13
	;; [unrolled: 1-line block ×3, first 2 shown]
	v_rcp_f32_e32 v29, v27
	v_sub_f32_e32 v13, v16, v27
	v_add_f32_e32 v28, v12, v13
	v_add_f32_e32 v13, v14, v15
	v_mul_f32_e32 v31, v13, v29
	v_sub_f32_e32 v12, v14, v13
	v_mul_f32_e32 v14, v27, v31
	v_fma_f32 v16, v31, v27, -v14
	v_fmac_f32_e32 v16, v31, v28
	v_add_f32_e32 v30, v15, v12
	v_add_f32_e32 v12, v14, v16
	v_sub_f32_e32 v15, v13, v12
	v_pk_add_f32 v[24:25], v[12:13], v[14:15] neg_lo:[0,1] neg_hi:[0,1]
	v_mov_b32_e32 v17, v12
	v_pk_add_f32 v[12:13], v[24:25], v[16:17] neg_lo:[0,1] neg_hi:[0,1]
	v_cmp_neq_f32_e32 vcc, s11, v33
	v_add_f32_e32 v13, v30, v13
	v_add_f32_e32 v12, v12, v13
	;; [unrolled: 1-line block ×3, first 2 shown]
	v_mul_f32_e32 v30, v29, v13
	v_mul_f32_e32 v14, v27, v30
	v_fma_f32 v16, v30, v27, -v14
	v_fmac_f32_e32 v16, v30, v28
	v_sub_f32_e32 v15, v15, v13
	v_add_f32_e32 v27, v12, v15
	v_add_f32_e32 v12, v14, v16
	v_sub_f32_e32 v15, v13, v12
	v_pk_add_f32 v[24:25], v[12:13], v[14:15] neg_lo:[0,1] neg_hi:[0,1]
	v_mov_b32_e32 v17, v12
	v_pk_add_f32 v[12:13], v[24:25], v[16:17] neg_lo:[0,1] neg_hi:[0,1]
	v_cvt_f32_i32_e32 v14, v26
	v_add_f32_e32 v13, v27, v13
	v_add_f32_e32 v12, v12, v13
	;; [unrolled: 1-line block ×4, first 2 shown]
	v_sub_f32_e32 v13, v15, v31
	v_mul_f32_e32 v12, v29, v12
	v_sub_f32_e32 v13, v30, v13
	v_add_f32_e32 v12, v13, v12
	v_add_f32_e32 v16, v15, v12
	v_mul_f32_e32 v24, v16, v16
	v_mov_b32_e32 v13, 0x3ecc95a3
	v_sub_f32_e32 v15, v16, v15
	v_fmac_f32_e32 v13, 0x3e9b6dac, v24
	v_sub_f32_e32 v12, v12, v15
	v_fmaak_f32 v13, v24, v13, 0x3f2aaada
	v_ldexp_f32 v25, v12, 1
	v_mul_f32_e32 v15, v16, v24
	v_mov_b32_e32 v12, 0x3f317218
	v_pk_mul_f32 v[12:13], v[14:15], v[12:13]
	v_ldexp_f32 v17, v16, 1
	v_fma_f32 v15, v14, s10, -v12
	v_fmamk_f32 v16, v14, 0xb102e308, v15
	v_pk_add_f32 v[14:15], v[12:13], v[16:17]
	v_mov_b32_e32 v24, v12
	v_sub_f32_e32 v17, v15, v17
	v_sub_f32_e32 v17, v13, v17
	v_add_f32_e32 v25, v25, v17
	v_pk_add_f32 v[12:13], v[14:15], v[12:13] neg_lo:[0,1] neg_hi:[0,1]
	v_pk_add_f32 v[26:27], v[14:15], v[24:25]
	v_mov_b32_e32 v17, v14
	v_mov_b32_e32 v13, v27
	v_pk_add_f32 v[28:29], v[16:17], v[12:13] neg_lo:[0,1] neg_hi:[0,1]
	v_pk_add_f32 v[12:13], v[16:17], v[12:13]
	v_mov_b32_e32 v24, v25
	v_pk_add_f32 v[16:17], v[12:13], v[14:15] op_sel:[1,0] op_sel_hi:[0,1] neg_lo:[0,1] neg_hi:[0,1]
	v_pk_add_f32 v[30:31], v[26:27], v[16:17] op_sel_hi:[1,0] neg_lo:[0,1] neg_hi:[0,1]
	v_mov_b32_e32 v26, v27
	v_mov_b32_e32 v27, v13
	v_pk_mov_b32 v[16:17], v[14:15], v[16:17] op_sel:[1,0]
	v_mov_b32_e32 v25, v14
	v_pk_add_f32 v[16:17], v[26:27], v[16:17] neg_lo:[0,1] neg_hi:[0,1]
	v_mov_b32_e32 v30, v28
	v_pk_add_f32 v[14:15], v[24:25], v[16:17] neg_lo:[0,1] neg_hi:[0,1]
	v_mov_b32_e32 v29, v13
	v_pk_add_f32 v[16:17], v[30:31], v[14:15]
	s_mov_b32 s10, 0x33800000
	v_pk_add_f32 v[24:25], v[16:17], v[16:17] op_sel:[0,1] op_sel_hi:[1,0]
	s_nop 0
	v_pk_add_f32 v[12:13], v[12:13], v[24:25] op_sel:[1,0] op_sel_hi:[0,1]
	v_mov_b32_e32 v17, v12
	v_pk_add_f32 v[26:27], v[16:17], v[28:29] neg_lo:[0,1] neg_hi:[0,1]
	v_mov_b32_e32 v15, v24
	v_sub_f32_e32 v13, v16, v26
	v_pk_add_f32 v[14:15], v[14:15], v[26:27] neg_lo:[0,1] neg_hi:[0,1]
	v_sub_f32_e32 v13, v28, v13
	v_add_f32_e32 v13, v14, v13
	v_add_f32_e32 v13, v13, v15
	;; [unrolled: 1-line block ×3, first 2 shown]
	v_cndmask_b32_e32 v12, v32, v12, vcc
	v_cmp_lt_f32_e64 vcc, |v33|, s10
	s_nop 1
	v_cndmask_b32_e32 v12, v12, v33, vcc
	v_add_f32_e32 v12, v11, v12
.LBB438_39:
	s_or_b64 exec, exec, s[8:9]
	v_bfe_u32 v11, v12, 16, 1
	s_movk_i32 s12, 0x7fff
	v_add3_u32 v11, v12, v11, s12
	v_and_b32_e32 v13, 0xffff0000, v11
	v_mov_b32_e32 v11, 0x7fc00000
	v_cmp_o_f32_e32 vcc, v12, v12
	v_lshlrev_b32_sdwa v24, v10, v6 dst_sel:DWORD dst_unused:UNUSED_PAD src0_sel:DWORD src1_sel:WORD_0
	v_max_f32_e32 v26, v24, v24
	v_cndmask_b32_e32 v12, v11, v13, vcc
	v_max_f32_e32 v10, v12, v12
	v_min_f32_e32 v13, v10, v26
	v_cmp_u_f32_e32 vcc, v12, v12
	v_max_f32_e32 v10, v10, v26
	v_cmp_u_f32_e64 s[8:9], v24, v24
	v_cndmask_b32_e32 v13, v13, v12, vcc
	v_cndmask_b32_e32 v10, v10, v12, vcc
	v_cndmask_b32_e64 v13, v13, v24, s[8:9]
	v_cndmask_b32_e64 v10, v10, v24, s[8:9]
	v_cmp_neq_f32_e32 vcc, v13, v10
	v_cmp_class_f32_e64 s[10:11], v13, s3
	s_or_b64 s[14:15], vcc, s[10:11]
	s_and_saveexec_b64 s[10:11], s[14:15]
	s_cbranch_execz .LBB438_41
; %bb.40:
	v_sub_f32_e32 v12, v13, v10
	s_mov_b32 s3, 0x3fb8aa3b
	v_mul_f32_e32 v13, 0x3fb8aa3b, v12
	v_fma_f32 v14, v12, s3, -v13
	v_rndne_f32_e32 v15, v13
	v_fmamk_f32 v14, v12, 0x32a5705f, v14
	v_sub_f32_e32 v13, v13, v15
	v_add_f32_e32 v13, v13, v14
	v_exp_f32_e32 v13, v13
	v_cvt_i32_f32_e32 v14, v15
	s_mov_b32 s3, 0xc2ce8ed0
	v_cmp_ngt_f32_e32 vcc, s3, v12
	s_mov_b32 s3, 0x42b17218
	v_ldexp_f32 v13, v13, v14
	v_cndmask_b32_e32 v13, 0, v13, vcc
	v_mov_b32_e32 v25, 0x7f800000
	v_cmp_nlt_f32_e32 vcc, s3, v12
	s_mov_b32 s3, 0x3f2aaaab
	s_mov_b32 s13, 0x7f800000
	v_cndmask_b32_e32 v27, v25, v13, vcc
	v_add_f32_e32 v14, 1.0, v27
	v_add_f32_e32 v12, -1.0, v14
	v_sub_f32_e32 v13, v12, v14
	v_add_f32_e32 v13, 1.0, v13
	v_sub_f32_e32 v12, v27, v12
	v_add_f32_e32 v15, v12, v13
	v_frexp_mant_f32_e32 v16, v14
	v_cvt_f64_f32_e32 v[12:13], v14
	v_frexp_exp_i32_f64_e32 v12, v[12:13]
	v_cmp_gt_f32_e32 vcc, s3, v16
	s_mov_b32 s3, 0x3f317218
	s_nop 0
	v_subbrev_co_u32_e32 v30, vcc, 0, v12, vcc
	v_sub_u32_e32 v12, 0, v30
	v_ldexp_f32 v13, v14, v12
	v_add_f32_e32 v14, -1.0, v13
	v_add_f32_e32 v16, 1.0, v13
	v_ldexp_f32 v12, v15, v12
	v_add_f32_e32 v15, 1.0, v14
	v_add_f32_e32 v17, -1.0, v16
	v_sub_f32_e32 v15, v13, v15
	v_sub_f32_e32 v13, v13, v17
	v_add_f32_e32 v15, v12, v15
	v_add_f32_e32 v12, v12, v13
	;; [unrolled: 1-line block ×3, first 2 shown]
	v_rcp_f32_e32 v33, v31
	v_sub_f32_e32 v13, v16, v31
	v_add_f32_e32 v32, v12, v13
	v_add_f32_e32 v13, v14, v15
	v_mul_f32_e32 v35, v13, v33
	v_sub_f32_e32 v12, v14, v13
	v_mul_f32_e32 v14, v31, v35
	v_fma_f32 v16, v35, v31, -v14
	v_fmac_f32_e32 v16, v35, v32
	v_add_f32_e32 v34, v15, v12
	v_add_f32_e32 v12, v14, v16
	v_sub_f32_e32 v15, v13, v12
	v_pk_add_f32 v[28:29], v[12:13], v[14:15] neg_lo:[0,1] neg_hi:[0,1]
	v_mov_b32_e32 v17, v12
	v_pk_add_f32 v[12:13], v[28:29], v[16:17] neg_lo:[0,1] neg_hi:[0,1]
	v_cmp_neq_f32_e32 vcc, s13, v27
	v_add_f32_e32 v13, v34, v13
	v_add_f32_e32 v12, v12, v13
	;; [unrolled: 1-line block ×3, first 2 shown]
	v_mul_f32_e32 v34, v33, v13
	v_mul_f32_e32 v14, v31, v34
	v_fma_f32 v16, v34, v31, -v14
	v_fmac_f32_e32 v16, v34, v32
	v_sub_f32_e32 v15, v15, v13
	v_add_f32_e32 v31, v12, v15
	v_add_f32_e32 v12, v14, v16
	v_sub_f32_e32 v15, v13, v12
	v_pk_add_f32 v[28:29], v[12:13], v[14:15] neg_lo:[0,1] neg_hi:[0,1]
	v_mov_b32_e32 v17, v12
	v_pk_add_f32 v[12:13], v[28:29], v[16:17] neg_lo:[0,1] neg_hi:[0,1]
	v_cvt_f32_i32_e32 v14, v30
	v_add_f32_e32 v13, v31, v13
	v_add_f32_e32 v12, v12, v13
	;; [unrolled: 1-line block ×4, first 2 shown]
	v_sub_f32_e32 v13, v15, v35
	v_mul_f32_e32 v12, v33, v12
	v_sub_f32_e32 v13, v34, v13
	v_add_f32_e32 v12, v13, v12
	v_add_f32_e32 v16, v15, v12
	v_mul_f32_e32 v28, v16, v16
	v_mov_b32_e32 v13, 0x3ecc95a3
	v_sub_f32_e32 v15, v16, v15
	v_fmac_f32_e32 v13, 0x3e9b6dac, v28
	v_sub_f32_e32 v12, v12, v15
	v_fmaak_f32 v13, v28, v13, 0x3f2aaada
	v_ldexp_f32 v29, v12, 1
	v_mul_f32_e32 v15, v16, v28
	v_mov_b32_e32 v12, 0x3f317218
	v_pk_mul_f32 v[12:13], v[14:15], v[12:13]
	v_ldexp_f32 v17, v16, 1
	v_fma_f32 v15, v14, s3, -v12
	v_fmamk_f32 v16, v14, 0xb102e308, v15
	v_pk_add_f32 v[14:15], v[12:13], v[16:17]
	v_mov_b32_e32 v28, v12
	v_sub_f32_e32 v17, v15, v17
	v_sub_f32_e32 v17, v13, v17
	v_add_f32_e32 v29, v29, v17
	v_pk_add_f32 v[12:13], v[14:15], v[12:13] neg_lo:[0,1] neg_hi:[0,1]
	v_pk_add_f32 v[30:31], v[14:15], v[28:29]
	v_mov_b32_e32 v17, v14
	v_mov_b32_e32 v13, v31
	v_pk_add_f32 v[32:33], v[16:17], v[12:13] neg_lo:[0,1] neg_hi:[0,1]
	v_pk_add_f32 v[12:13], v[16:17], v[12:13]
	v_mov_b32_e32 v28, v29
	v_pk_add_f32 v[16:17], v[12:13], v[14:15] op_sel:[1,0] op_sel_hi:[0,1] neg_lo:[0,1] neg_hi:[0,1]
	v_pk_add_f32 v[34:35], v[30:31], v[16:17] op_sel_hi:[1,0] neg_lo:[0,1] neg_hi:[0,1]
	v_mov_b32_e32 v30, v31
	v_mov_b32_e32 v31, v13
	v_pk_mov_b32 v[16:17], v[14:15], v[16:17] op_sel:[1,0]
	v_mov_b32_e32 v29, v14
	v_pk_add_f32 v[16:17], v[30:31], v[16:17] neg_lo:[0,1] neg_hi:[0,1]
	v_mov_b32_e32 v34, v32
	v_pk_add_f32 v[14:15], v[28:29], v[16:17] neg_lo:[0,1] neg_hi:[0,1]
	v_mov_b32_e32 v33, v13
	v_pk_add_f32 v[16:17], v[34:35], v[14:15]
	s_mov_b32 s3, 0x33800000
	v_pk_add_f32 v[28:29], v[16:17], v[16:17] op_sel:[0,1] op_sel_hi:[1,0]
	s_nop 0
	v_pk_add_f32 v[12:13], v[12:13], v[28:29] op_sel:[1,0] op_sel_hi:[0,1]
	v_mov_b32_e32 v17, v12
	v_pk_add_f32 v[30:31], v[16:17], v[32:33] neg_lo:[0,1] neg_hi:[0,1]
	v_mov_b32_e32 v15, v28
	v_sub_f32_e32 v13, v16, v30
	v_pk_add_f32 v[14:15], v[14:15], v[30:31] neg_lo:[0,1] neg_hi:[0,1]
	v_sub_f32_e32 v13, v32, v13
	v_add_f32_e32 v13, v14, v13
	v_add_f32_e32 v13, v13, v15
	v_add_f32_e32 v12, v12, v13
	v_cndmask_b32_e32 v12, v25, v12, vcc
	v_cmp_lt_f32_e64 vcc, |v27|, s3
	s_nop 1
	v_cndmask_b32_e32 v12, v12, v27, vcc
	v_add_f32_e32 v12, v10, v12
.LBB438_41:
	s_or_b64 exec, exec, s[10:11]
	v_bfe_u32 v10, v12, 16, 1
	v_add3_u32 v10, v12, v10, s12
	v_and_b32_e32 v10, 0xffff0000, v10
	v_cmp_o_f32_e32 vcc, v12, v12
	s_movk_i32 s3, 0x1f8
	s_nop 0
	v_cndmask_b32_e32 v12, v11, v10, vcc
	v_mov_b32_e32 v10, 16
	v_lshlrev_b32_sdwa v25, v10, v6 dst_sel:DWORD dst_unused:UNUSED_PAD src0_sel:DWORD src1_sel:WORD_1
	v_max_f32_e32 v11, v12, v12
	v_max_f32_e32 v27, v25, v25
	v_min_f32_e32 v13, v11, v27
	v_cmp_u_f32_e32 vcc, v12, v12
	v_max_f32_e32 v11, v11, v27
	v_cmp_u_f32_e64 s[10:11], v25, v25
	v_cndmask_b32_e32 v13, v13, v12, vcc
	v_cndmask_b32_e32 v11, v11, v12, vcc
	v_cndmask_b32_e64 v13, v13, v25, s[10:11]
	v_cndmask_b32_e64 v11, v11, v25, s[10:11]
	v_cmp_neq_f32_e32 vcc, v13, v11
	v_cmp_class_f32_e64 s[12:13], v13, s3
	s_or_b64 s[14:15], vcc, s[12:13]
	s_and_saveexec_b64 s[12:13], s[14:15]
	s_cbranch_execz .LBB438_43
; %bb.42:
	v_sub_f32_e32 v12, v13, v11
	s_mov_b32 s14, 0x3fb8aa3b
	v_mul_f32_e32 v13, 0x3fb8aa3b, v12
	v_fma_f32 v14, v12, s14, -v13
	v_rndne_f32_e32 v15, v13
	v_fmamk_f32 v14, v12, 0x32a5705f, v14
	v_sub_f32_e32 v13, v13, v15
	v_add_f32_e32 v13, v13, v14
	v_exp_f32_e32 v13, v13
	v_cvt_i32_f32_e32 v14, v15
	s_mov_b32 s14, 0xc2ce8ed0
	v_cmp_ngt_f32_e32 vcc, s14, v12
	s_mov_b32 s14, 0x42b17218
	v_ldexp_f32 v13, v13, v14
	v_cndmask_b32_e32 v13, 0, v13, vcc
	v_mov_b32_e32 v36, 0x7f800000
	v_cmp_nlt_f32_e32 vcc, s14, v12
	s_mov_b32 s14, 0x3f2aaaab
	s_mov_b32 s15, 0x7f800000
	v_cndmask_b32_e32 v37, v36, v13, vcc
	v_add_f32_e32 v14, 1.0, v37
	v_add_f32_e32 v12, -1.0, v14
	v_sub_f32_e32 v13, v12, v14
	v_add_f32_e32 v13, 1.0, v13
	v_sub_f32_e32 v12, v37, v12
	v_add_f32_e32 v15, v12, v13
	v_frexp_mant_f32_e32 v16, v14
	v_cvt_f64_f32_e32 v[12:13], v14
	v_frexp_exp_i32_f64_e32 v12, v[12:13]
	v_cmp_gt_f32_e32 vcc, s14, v16
	s_mov_b32 s14, 0x3f317218
	s_nop 0
	v_subbrev_co_u32_e32 v30, vcc, 0, v12, vcc
	v_sub_u32_e32 v12, 0, v30
	v_ldexp_f32 v13, v14, v12
	v_add_f32_e32 v14, -1.0, v13
	v_add_f32_e32 v16, 1.0, v13
	v_ldexp_f32 v12, v15, v12
	v_add_f32_e32 v15, 1.0, v14
	v_add_f32_e32 v17, -1.0, v16
	v_sub_f32_e32 v15, v13, v15
	v_sub_f32_e32 v13, v13, v17
	v_add_f32_e32 v15, v12, v15
	v_add_f32_e32 v12, v12, v13
	;; [unrolled: 1-line block ×3, first 2 shown]
	v_rcp_f32_e32 v33, v31
	v_sub_f32_e32 v13, v16, v31
	v_add_f32_e32 v32, v12, v13
	v_add_f32_e32 v13, v14, v15
	v_mul_f32_e32 v35, v13, v33
	v_sub_f32_e32 v12, v14, v13
	v_mul_f32_e32 v14, v31, v35
	v_fma_f32 v16, v35, v31, -v14
	v_fmac_f32_e32 v16, v35, v32
	v_add_f32_e32 v34, v15, v12
	v_add_f32_e32 v12, v14, v16
	v_sub_f32_e32 v15, v13, v12
	v_pk_add_f32 v[28:29], v[12:13], v[14:15] neg_lo:[0,1] neg_hi:[0,1]
	v_mov_b32_e32 v17, v12
	v_pk_add_f32 v[12:13], v[28:29], v[16:17] neg_lo:[0,1] neg_hi:[0,1]
	v_cmp_neq_f32_e32 vcc, s15, v37
	v_add_f32_e32 v13, v34, v13
	v_add_f32_e32 v12, v12, v13
	;; [unrolled: 1-line block ×3, first 2 shown]
	v_mul_f32_e32 v34, v33, v13
	v_mul_f32_e32 v14, v31, v34
	v_fma_f32 v16, v34, v31, -v14
	v_fmac_f32_e32 v16, v34, v32
	v_sub_f32_e32 v15, v15, v13
	v_add_f32_e32 v31, v12, v15
	v_add_f32_e32 v12, v14, v16
	v_sub_f32_e32 v15, v13, v12
	v_pk_add_f32 v[28:29], v[12:13], v[14:15] neg_lo:[0,1] neg_hi:[0,1]
	v_mov_b32_e32 v17, v12
	v_pk_add_f32 v[12:13], v[28:29], v[16:17] neg_lo:[0,1] neg_hi:[0,1]
	v_cvt_f32_i32_e32 v14, v30
	v_add_f32_e32 v13, v31, v13
	v_add_f32_e32 v12, v12, v13
	;; [unrolled: 1-line block ×4, first 2 shown]
	v_sub_f32_e32 v13, v15, v35
	v_mul_f32_e32 v12, v33, v12
	v_sub_f32_e32 v13, v34, v13
	v_add_f32_e32 v12, v13, v12
	v_add_f32_e32 v16, v15, v12
	v_mul_f32_e32 v28, v16, v16
	v_mov_b32_e32 v13, 0x3ecc95a3
	v_sub_f32_e32 v15, v16, v15
	v_fmac_f32_e32 v13, 0x3e9b6dac, v28
	v_sub_f32_e32 v12, v12, v15
	v_fmaak_f32 v13, v28, v13, 0x3f2aaada
	v_ldexp_f32 v29, v12, 1
	v_mul_f32_e32 v15, v16, v28
	v_mov_b32_e32 v12, 0x3f317218
	v_pk_mul_f32 v[12:13], v[14:15], v[12:13]
	v_ldexp_f32 v17, v16, 1
	v_fma_f32 v15, v14, s14, -v12
	v_fmamk_f32 v16, v14, 0xb102e308, v15
	v_pk_add_f32 v[14:15], v[12:13], v[16:17]
	v_mov_b32_e32 v28, v12
	v_sub_f32_e32 v17, v15, v17
	v_sub_f32_e32 v17, v13, v17
	v_add_f32_e32 v29, v29, v17
	v_pk_add_f32 v[12:13], v[14:15], v[12:13] neg_lo:[0,1] neg_hi:[0,1]
	v_pk_add_f32 v[30:31], v[14:15], v[28:29]
	v_mov_b32_e32 v17, v14
	v_mov_b32_e32 v13, v31
	v_pk_add_f32 v[32:33], v[16:17], v[12:13] neg_lo:[0,1] neg_hi:[0,1]
	v_pk_add_f32 v[12:13], v[16:17], v[12:13]
	v_mov_b32_e32 v28, v29
	v_pk_add_f32 v[16:17], v[12:13], v[14:15] op_sel:[1,0] op_sel_hi:[0,1] neg_lo:[0,1] neg_hi:[0,1]
	v_pk_add_f32 v[34:35], v[30:31], v[16:17] op_sel_hi:[1,0] neg_lo:[0,1] neg_hi:[0,1]
	v_mov_b32_e32 v30, v31
	v_mov_b32_e32 v31, v13
	v_pk_mov_b32 v[16:17], v[14:15], v[16:17] op_sel:[1,0]
	v_mov_b32_e32 v29, v14
	v_pk_add_f32 v[16:17], v[30:31], v[16:17] neg_lo:[0,1] neg_hi:[0,1]
	v_mov_b32_e32 v34, v32
	v_pk_add_f32 v[14:15], v[28:29], v[16:17] neg_lo:[0,1] neg_hi:[0,1]
	v_mov_b32_e32 v33, v13
	v_pk_add_f32 v[16:17], v[34:35], v[14:15]
	s_mov_b32 s14, 0x33800000
	v_pk_add_f32 v[28:29], v[16:17], v[16:17] op_sel:[0,1] op_sel_hi:[1,0]
	s_nop 0
	v_pk_add_f32 v[12:13], v[12:13], v[28:29] op_sel:[1,0] op_sel_hi:[0,1]
	v_mov_b32_e32 v17, v12
	v_pk_add_f32 v[30:31], v[16:17], v[32:33] neg_lo:[0,1] neg_hi:[0,1]
	v_mov_b32_e32 v15, v28
	v_sub_f32_e32 v13, v16, v30
	v_pk_add_f32 v[14:15], v[14:15], v[30:31] neg_lo:[0,1] neg_hi:[0,1]
	v_sub_f32_e32 v13, v32, v13
	v_add_f32_e32 v13, v14, v13
	v_add_f32_e32 v13, v13, v15
	;; [unrolled: 1-line block ×3, first 2 shown]
	v_cndmask_b32_e32 v12, v36, v12, vcc
	v_cmp_lt_f32_e64 vcc, |v37|, s14
	s_nop 1
	v_cndmask_b32_e32 v12, v12, v37, vcc
	v_add_f32_e32 v12, v11, v12
.LBB438_43:
	s_or_b64 exec, exec, s[12:13]
	v_bfe_u32 v11, v12, 16, 1
	s_movk_i32 s16, 0x7fff
	v_add3_u32 v11, v12, v11, s16
	v_and_b32_e32 v13, 0xffff0000, v11
	v_mov_b32_e32 v11, 0x7fc00000
	v_cmp_o_f32_e32 vcc, v12, v12
	v_lshlrev_b32_sdwa v28, v10, v7 dst_sel:DWORD dst_unused:UNUSED_PAD src0_sel:DWORD src1_sel:WORD_0
	v_max_f32_e32 v30, v28, v28
	v_cndmask_b32_e32 v12, v11, v13, vcc
	v_max_f32_e32 v10, v12, v12
	v_min_f32_e32 v13, v10, v30
	v_cmp_u_f32_e32 vcc, v12, v12
	v_max_f32_e32 v10, v10, v30
	v_cmp_u_f32_e64 s[12:13], v28, v28
	v_cndmask_b32_e32 v13, v13, v12, vcc
	v_cndmask_b32_e32 v10, v10, v12, vcc
	v_cndmask_b32_e64 v13, v13, v28, s[12:13]
	v_cndmask_b32_e64 v10, v10, v28, s[12:13]
	v_cmp_neq_f32_e32 vcc, v13, v10
	v_cmp_class_f32_e64 s[14:15], v13, s3
	s_or_b64 s[18:19], vcc, s[14:15]
	s_and_saveexec_b64 s[14:15], s[18:19]
	s_cbranch_execz .LBB438_45
; %bb.44:
	v_sub_f32_e32 v12, v13, v10
	s_mov_b32 s3, 0x3fb8aa3b
	v_mul_f32_e32 v13, 0x3fb8aa3b, v12
	v_fma_f32 v14, v12, s3, -v13
	v_rndne_f32_e32 v15, v13
	v_fmamk_f32 v14, v12, 0x32a5705f, v14
	v_sub_f32_e32 v13, v13, v15
	v_add_f32_e32 v13, v13, v14
	v_exp_f32_e32 v13, v13
	v_cvt_i32_f32_e32 v14, v15
	s_mov_b32 s3, 0xc2ce8ed0
	v_cmp_ngt_f32_e32 vcc, s3, v12
	s_mov_b32 s3, 0x42b17218
	v_ldexp_f32 v13, v13, v14
	v_cndmask_b32_e32 v13, 0, v13, vcc
	v_mov_b32_e32 v29, 0x7f800000
	v_cmp_nlt_f32_e32 vcc, s3, v12
	s_mov_b32 s3, 0x3f2aaaab
	s_mov_b32 s17, 0x7f800000
	v_cndmask_b32_e32 v31, v29, v13, vcc
	v_add_f32_e32 v14, 1.0, v31
	v_add_f32_e32 v12, -1.0, v14
	v_sub_f32_e32 v13, v12, v14
	v_add_f32_e32 v13, 1.0, v13
	v_sub_f32_e32 v12, v31, v12
	v_add_f32_e32 v15, v12, v13
	v_frexp_mant_f32_e32 v16, v14
	v_cvt_f64_f32_e32 v[12:13], v14
	v_frexp_exp_i32_f64_e32 v12, v[12:13]
	v_cmp_gt_f32_e32 vcc, s3, v16
	s_mov_b32 s3, 0x3f317218
	s_nop 0
	v_subbrev_co_u32_e32 v34, vcc, 0, v12, vcc
	v_sub_u32_e32 v12, 0, v34
	v_ldexp_f32 v13, v14, v12
	v_add_f32_e32 v14, -1.0, v13
	v_add_f32_e32 v16, 1.0, v13
	v_ldexp_f32 v12, v15, v12
	v_add_f32_e32 v15, 1.0, v14
	v_add_f32_e32 v17, -1.0, v16
	v_sub_f32_e32 v15, v13, v15
	v_sub_f32_e32 v13, v13, v17
	v_add_f32_e32 v15, v12, v15
	v_add_f32_e32 v12, v12, v13
	;; [unrolled: 1-line block ×3, first 2 shown]
	v_rcp_f32_e32 v37, v35
	v_sub_f32_e32 v13, v16, v35
	v_add_f32_e32 v36, v12, v13
	v_add_f32_e32 v13, v14, v15
	v_mul_f32_e32 v39, v13, v37
	v_sub_f32_e32 v12, v14, v13
	v_mul_f32_e32 v14, v35, v39
	v_fma_f32 v16, v39, v35, -v14
	v_fmac_f32_e32 v16, v39, v36
	v_add_f32_e32 v38, v15, v12
	v_add_f32_e32 v12, v14, v16
	v_sub_f32_e32 v15, v13, v12
	v_pk_add_f32 v[32:33], v[12:13], v[14:15] neg_lo:[0,1] neg_hi:[0,1]
	v_mov_b32_e32 v17, v12
	v_pk_add_f32 v[12:13], v[32:33], v[16:17] neg_lo:[0,1] neg_hi:[0,1]
	v_cmp_neq_f32_e32 vcc, s17, v31
	v_add_f32_e32 v13, v38, v13
	v_add_f32_e32 v12, v12, v13
	;; [unrolled: 1-line block ×3, first 2 shown]
	v_mul_f32_e32 v38, v37, v13
	v_mul_f32_e32 v14, v35, v38
	v_fma_f32 v16, v38, v35, -v14
	v_fmac_f32_e32 v16, v38, v36
	v_sub_f32_e32 v15, v15, v13
	v_add_f32_e32 v35, v12, v15
	v_add_f32_e32 v12, v14, v16
	v_sub_f32_e32 v15, v13, v12
	v_pk_add_f32 v[32:33], v[12:13], v[14:15] neg_lo:[0,1] neg_hi:[0,1]
	v_mov_b32_e32 v17, v12
	v_pk_add_f32 v[12:13], v[32:33], v[16:17] neg_lo:[0,1] neg_hi:[0,1]
	v_cvt_f32_i32_e32 v14, v34
	v_add_f32_e32 v13, v35, v13
	v_add_f32_e32 v12, v12, v13
	;; [unrolled: 1-line block ×4, first 2 shown]
	v_sub_f32_e32 v13, v15, v39
	v_mul_f32_e32 v12, v37, v12
	v_sub_f32_e32 v13, v38, v13
	v_add_f32_e32 v12, v13, v12
	v_add_f32_e32 v16, v15, v12
	v_mul_f32_e32 v32, v16, v16
	v_mov_b32_e32 v13, 0x3ecc95a3
	v_sub_f32_e32 v15, v16, v15
	v_fmac_f32_e32 v13, 0x3e9b6dac, v32
	v_sub_f32_e32 v12, v12, v15
	v_fmaak_f32 v13, v32, v13, 0x3f2aaada
	v_ldexp_f32 v33, v12, 1
	v_mul_f32_e32 v15, v16, v32
	v_mov_b32_e32 v12, 0x3f317218
	v_pk_mul_f32 v[12:13], v[14:15], v[12:13]
	v_ldexp_f32 v17, v16, 1
	v_fma_f32 v15, v14, s3, -v12
	v_fmamk_f32 v16, v14, 0xb102e308, v15
	v_pk_add_f32 v[14:15], v[12:13], v[16:17]
	v_mov_b32_e32 v32, v12
	v_sub_f32_e32 v17, v15, v17
	v_sub_f32_e32 v17, v13, v17
	v_add_f32_e32 v33, v33, v17
	v_pk_add_f32 v[12:13], v[14:15], v[12:13] neg_lo:[0,1] neg_hi:[0,1]
	v_pk_add_f32 v[34:35], v[14:15], v[32:33]
	v_mov_b32_e32 v17, v14
	v_mov_b32_e32 v13, v35
	v_pk_add_f32 v[36:37], v[16:17], v[12:13] neg_lo:[0,1] neg_hi:[0,1]
	v_pk_add_f32 v[12:13], v[16:17], v[12:13]
	v_mov_b32_e32 v32, v33
	v_pk_add_f32 v[16:17], v[12:13], v[14:15] op_sel:[1,0] op_sel_hi:[0,1] neg_lo:[0,1] neg_hi:[0,1]
	v_pk_add_f32 v[38:39], v[34:35], v[16:17] op_sel_hi:[1,0] neg_lo:[0,1] neg_hi:[0,1]
	v_mov_b32_e32 v34, v35
	v_mov_b32_e32 v35, v13
	v_pk_mov_b32 v[16:17], v[14:15], v[16:17] op_sel:[1,0]
	v_mov_b32_e32 v33, v14
	v_pk_add_f32 v[16:17], v[34:35], v[16:17] neg_lo:[0,1] neg_hi:[0,1]
	v_mov_b32_e32 v38, v36
	v_pk_add_f32 v[14:15], v[32:33], v[16:17] neg_lo:[0,1] neg_hi:[0,1]
	v_mov_b32_e32 v37, v13
	v_pk_add_f32 v[16:17], v[38:39], v[14:15]
	s_mov_b32 s3, 0x33800000
	v_pk_add_f32 v[32:33], v[16:17], v[16:17] op_sel:[0,1] op_sel_hi:[1,0]
	s_nop 0
	v_pk_add_f32 v[12:13], v[12:13], v[32:33] op_sel:[1,0] op_sel_hi:[0,1]
	v_mov_b32_e32 v17, v12
	v_pk_add_f32 v[34:35], v[16:17], v[36:37] neg_lo:[0,1] neg_hi:[0,1]
	v_mov_b32_e32 v15, v32
	v_sub_f32_e32 v13, v16, v34
	v_pk_add_f32 v[14:15], v[14:15], v[34:35] neg_lo:[0,1] neg_hi:[0,1]
	v_sub_f32_e32 v13, v36, v13
	v_add_f32_e32 v13, v14, v13
	v_add_f32_e32 v13, v13, v15
	;; [unrolled: 1-line block ×3, first 2 shown]
	v_cndmask_b32_e32 v12, v29, v12, vcc
	v_cmp_lt_f32_e64 vcc, |v31|, s3
	s_nop 1
	v_cndmask_b32_e32 v12, v12, v31, vcc
	v_add_f32_e32 v12, v10, v12
.LBB438_45:
	s_or_b64 exec, exec, s[14:15]
	v_bfe_u32 v10, v12, 16, 1
	v_add3_u32 v10, v12, v10, s16
	v_and_b32_e32 v10, 0xffff0000, v10
	v_cmp_o_f32_e32 vcc, v12, v12
	s_movk_i32 s3, 0x1f8
	s_nop 0
	v_cndmask_b32_e32 v12, v11, v10, vcc
	v_mov_b32_e32 v10, 16
	v_lshlrev_b32_sdwa v29, v10, v7 dst_sel:DWORD dst_unused:UNUSED_PAD src0_sel:DWORD src1_sel:WORD_1
	v_max_f32_e32 v11, v12, v12
	v_max_f32_e32 v31, v29, v29
	v_min_f32_e32 v13, v11, v31
	v_cmp_u_f32_e32 vcc, v12, v12
	v_max_f32_e32 v11, v11, v31
	v_cmp_u_f32_e64 s[14:15], v29, v29
	v_cndmask_b32_e32 v13, v13, v12, vcc
	v_cndmask_b32_e32 v11, v11, v12, vcc
	v_cndmask_b32_e64 v13, v13, v29, s[14:15]
	v_cndmask_b32_e64 v11, v11, v29, s[14:15]
	v_cmp_neq_f32_e32 vcc, v13, v11
	v_cmp_class_f32_e64 s[16:17], v13, s3
	s_or_b64 s[18:19], vcc, s[16:17]
	s_and_saveexec_b64 s[16:17], s[18:19]
	s_cbranch_execz .LBB438_47
; %bb.46:
	v_sub_f32_e32 v12, v13, v11
	s_mov_b32 s18, 0x3fb8aa3b
	v_mul_f32_e32 v13, 0x3fb8aa3b, v12
	v_fma_f32 v14, v12, s18, -v13
	v_rndne_f32_e32 v15, v13
	v_fmamk_f32 v14, v12, 0x32a5705f, v14
	v_sub_f32_e32 v13, v13, v15
	v_add_f32_e32 v13, v13, v14
	v_exp_f32_e32 v13, v13
	v_cvt_i32_f32_e32 v14, v15
	s_mov_b32 s18, 0xc2ce8ed0
	v_cmp_ngt_f32_e32 vcc, s18, v12
	s_mov_b32 s18, 0x42b17218
	v_ldexp_f32 v13, v13, v14
	v_cndmask_b32_e32 v13, 0, v13, vcc
	v_mov_b32_e32 v40, 0x7f800000
	v_cmp_nlt_f32_e32 vcc, s18, v12
	s_mov_b32 s18, 0x3f2aaaab
	s_mov_b32 s19, 0x7f800000
	v_cndmask_b32_e32 v41, v40, v13, vcc
	v_add_f32_e32 v14, 1.0, v41
	v_add_f32_e32 v12, -1.0, v14
	v_sub_f32_e32 v13, v12, v14
	v_add_f32_e32 v13, 1.0, v13
	v_sub_f32_e32 v12, v41, v12
	v_add_f32_e32 v15, v12, v13
	v_frexp_mant_f32_e32 v16, v14
	v_cvt_f64_f32_e32 v[12:13], v14
	v_frexp_exp_i32_f64_e32 v12, v[12:13]
	v_cmp_gt_f32_e32 vcc, s18, v16
	s_mov_b32 s18, 0x3f317218
	s_nop 0
	v_subbrev_co_u32_e32 v34, vcc, 0, v12, vcc
	v_sub_u32_e32 v12, 0, v34
	v_ldexp_f32 v13, v14, v12
	v_add_f32_e32 v14, -1.0, v13
	v_add_f32_e32 v16, 1.0, v13
	v_ldexp_f32 v12, v15, v12
	v_add_f32_e32 v15, 1.0, v14
	v_add_f32_e32 v17, -1.0, v16
	v_sub_f32_e32 v15, v13, v15
	v_sub_f32_e32 v13, v13, v17
	v_add_f32_e32 v15, v12, v15
	v_add_f32_e32 v12, v12, v13
	;; [unrolled: 1-line block ×3, first 2 shown]
	v_rcp_f32_e32 v37, v35
	v_sub_f32_e32 v13, v16, v35
	v_add_f32_e32 v36, v12, v13
	v_add_f32_e32 v13, v14, v15
	v_mul_f32_e32 v39, v13, v37
	v_sub_f32_e32 v12, v14, v13
	v_mul_f32_e32 v14, v35, v39
	v_fma_f32 v16, v39, v35, -v14
	v_fmac_f32_e32 v16, v39, v36
	v_add_f32_e32 v38, v15, v12
	v_add_f32_e32 v12, v14, v16
	v_sub_f32_e32 v15, v13, v12
	v_pk_add_f32 v[32:33], v[12:13], v[14:15] neg_lo:[0,1] neg_hi:[0,1]
	v_mov_b32_e32 v17, v12
	v_pk_add_f32 v[12:13], v[32:33], v[16:17] neg_lo:[0,1] neg_hi:[0,1]
	v_cmp_neq_f32_e32 vcc, s19, v41
	v_add_f32_e32 v13, v38, v13
	v_add_f32_e32 v12, v12, v13
	;; [unrolled: 1-line block ×3, first 2 shown]
	v_mul_f32_e32 v38, v37, v13
	v_mul_f32_e32 v14, v35, v38
	v_fma_f32 v16, v38, v35, -v14
	v_fmac_f32_e32 v16, v38, v36
	v_sub_f32_e32 v15, v15, v13
	v_add_f32_e32 v35, v12, v15
	v_add_f32_e32 v12, v14, v16
	v_sub_f32_e32 v15, v13, v12
	v_pk_add_f32 v[32:33], v[12:13], v[14:15] neg_lo:[0,1] neg_hi:[0,1]
	v_mov_b32_e32 v17, v12
	v_pk_add_f32 v[12:13], v[32:33], v[16:17] neg_lo:[0,1] neg_hi:[0,1]
	v_cvt_f32_i32_e32 v14, v34
	v_add_f32_e32 v13, v35, v13
	v_add_f32_e32 v12, v12, v13
	;; [unrolled: 1-line block ×4, first 2 shown]
	v_sub_f32_e32 v13, v15, v39
	v_mul_f32_e32 v12, v37, v12
	v_sub_f32_e32 v13, v38, v13
	v_add_f32_e32 v12, v13, v12
	v_add_f32_e32 v16, v15, v12
	v_mul_f32_e32 v32, v16, v16
	v_mov_b32_e32 v13, 0x3ecc95a3
	v_sub_f32_e32 v15, v16, v15
	v_fmac_f32_e32 v13, 0x3e9b6dac, v32
	v_sub_f32_e32 v12, v12, v15
	v_fmaak_f32 v13, v32, v13, 0x3f2aaada
	v_ldexp_f32 v33, v12, 1
	v_mul_f32_e32 v15, v16, v32
	v_mov_b32_e32 v12, 0x3f317218
	v_pk_mul_f32 v[12:13], v[14:15], v[12:13]
	v_ldexp_f32 v17, v16, 1
	v_fma_f32 v15, v14, s18, -v12
	v_fmamk_f32 v16, v14, 0xb102e308, v15
	v_pk_add_f32 v[14:15], v[12:13], v[16:17]
	v_mov_b32_e32 v32, v12
	v_sub_f32_e32 v17, v15, v17
	v_sub_f32_e32 v17, v13, v17
	v_add_f32_e32 v33, v33, v17
	v_pk_add_f32 v[12:13], v[14:15], v[12:13] neg_lo:[0,1] neg_hi:[0,1]
	v_pk_add_f32 v[34:35], v[14:15], v[32:33]
	v_mov_b32_e32 v17, v14
	v_mov_b32_e32 v13, v35
	v_pk_add_f32 v[36:37], v[16:17], v[12:13] neg_lo:[0,1] neg_hi:[0,1]
	v_pk_add_f32 v[12:13], v[16:17], v[12:13]
	v_mov_b32_e32 v32, v33
	v_pk_add_f32 v[16:17], v[12:13], v[14:15] op_sel:[1,0] op_sel_hi:[0,1] neg_lo:[0,1] neg_hi:[0,1]
	v_pk_add_f32 v[38:39], v[34:35], v[16:17] op_sel_hi:[1,0] neg_lo:[0,1] neg_hi:[0,1]
	v_mov_b32_e32 v34, v35
	v_mov_b32_e32 v35, v13
	v_pk_mov_b32 v[16:17], v[14:15], v[16:17] op_sel:[1,0]
	v_mov_b32_e32 v33, v14
	v_pk_add_f32 v[16:17], v[34:35], v[16:17] neg_lo:[0,1] neg_hi:[0,1]
	v_mov_b32_e32 v38, v36
	v_pk_add_f32 v[14:15], v[32:33], v[16:17] neg_lo:[0,1] neg_hi:[0,1]
	v_mov_b32_e32 v37, v13
	v_pk_add_f32 v[16:17], v[38:39], v[14:15]
	s_mov_b32 s18, 0x33800000
	v_pk_add_f32 v[32:33], v[16:17], v[16:17] op_sel:[0,1] op_sel_hi:[1,0]
	s_nop 0
	v_pk_add_f32 v[12:13], v[12:13], v[32:33] op_sel:[1,0] op_sel_hi:[0,1]
	v_mov_b32_e32 v17, v12
	v_pk_add_f32 v[34:35], v[16:17], v[36:37] neg_lo:[0,1] neg_hi:[0,1]
	v_mov_b32_e32 v15, v32
	v_sub_f32_e32 v13, v16, v34
	v_pk_add_f32 v[14:15], v[14:15], v[34:35] neg_lo:[0,1] neg_hi:[0,1]
	v_sub_f32_e32 v13, v36, v13
	v_add_f32_e32 v13, v14, v13
	v_add_f32_e32 v13, v13, v15
	v_add_f32_e32 v12, v12, v13
	v_cndmask_b32_e32 v12, v40, v12, vcc
	v_cmp_lt_f32_e64 vcc, |v41|, s18
	s_nop 1
	v_cndmask_b32_e32 v12, v12, v41, vcc
	v_add_f32_e32 v12, v11, v12
.LBB438_47:
	s_or_b64 exec, exec, s[16:17]
	v_bfe_u32 v11, v12, 16, 1
	s_movk_i32 s20, 0x7fff
	v_add3_u32 v11, v12, v11, s20
	v_and_b32_e32 v13, 0xffff0000, v11
	v_mov_b32_e32 v11, 0x7fc00000
	v_cmp_o_f32_e32 vcc, v12, v12
	v_lshlrev_b32_sdwa v32, v10, v4 dst_sel:DWORD dst_unused:UNUSED_PAD src0_sel:DWORD src1_sel:WORD_0
	v_max_f32_e32 v34, v32, v32
	v_cndmask_b32_e32 v12, v11, v13, vcc
	v_max_f32_e32 v10, v12, v12
	v_min_f32_e32 v13, v10, v34
	v_cmp_u_f32_e32 vcc, v12, v12
	v_max_f32_e32 v10, v10, v34
	v_cmp_u_f32_e64 s[16:17], v32, v32
	v_cndmask_b32_e32 v13, v13, v12, vcc
	v_cndmask_b32_e32 v10, v10, v12, vcc
	v_cndmask_b32_e64 v13, v13, v32, s[16:17]
	v_cndmask_b32_e64 v10, v10, v32, s[16:17]
	v_cmp_neq_f32_e32 vcc, v13, v10
	v_cmp_class_f32_e64 s[18:19], v13, s3
	s_or_b64 s[22:23], vcc, s[18:19]
	s_and_saveexec_b64 s[18:19], s[22:23]
	s_cbranch_execz .LBB438_49
; %bb.48:
	v_sub_f32_e32 v12, v13, v10
	s_mov_b32 s3, 0x3fb8aa3b
	v_mul_f32_e32 v13, 0x3fb8aa3b, v12
	v_fma_f32 v14, v12, s3, -v13
	v_rndne_f32_e32 v15, v13
	v_fmamk_f32 v14, v12, 0x32a5705f, v14
	v_sub_f32_e32 v13, v13, v15
	v_add_f32_e32 v13, v13, v14
	v_exp_f32_e32 v13, v13
	v_cvt_i32_f32_e32 v14, v15
	s_mov_b32 s3, 0xc2ce8ed0
	v_cmp_ngt_f32_e32 vcc, s3, v12
	s_mov_b32 s3, 0x42b17218
	v_ldexp_f32 v13, v13, v14
	v_cndmask_b32_e32 v13, 0, v13, vcc
	v_mov_b32_e32 v33, 0x7f800000
	v_cmp_nlt_f32_e32 vcc, s3, v12
	s_mov_b32 s3, 0x3f2aaaab
	s_mov_b32 s21, 0x7f800000
	v_cndmask_b32_e32 v35, v33, v13, vcc
	v_add_f32_e32 v14, 1.0, v35
	v_add_f32_e32 v12, -1.0, v14
	v_sub_f32_e32 v13, v12, v14
	v_add_f32_e32 v13, 1.0, v13
	v_sub_f32_e32 v12, v35, v12
	v_add_f32_e32 v15, v12, v13
	v_frexp_mant_f32_e32 v16, v14
	v_cvt_f64_f32_e32 v[12:13], v14
	v_frexp_exp_i32_f64_e32 v12, v[12:13]
	v_cmp_gt_f32_e32 vcc, s3, v16
	s_mov_b32 s3, 0x3f317218
	s_nop 0
	v_subbrev_co_u32_e32 v38, vcc, 0, v12, vcc
	v_sub_u32_e32 v12, 0, v38
	v_ldexp_f32 v13, v14, v12
	v_add_f32_e32 v14, -1.0, v13
	v_add_f32_e32 v16, 1.0, v13
	v_ldexp_f32 v12, v15, v12
	v_add_f32_e32 v15, 1.0, v14
	v_add_f32_e32 v17, -1.0, v16
	v_sub_f32_e32 v15, v13, v15
	v_sub_f32_e32 v13, v13, v17
	v_add_f32_e32 v15, v12, v15
	v_add_f32_e32 v12, v12, v13
	;; [unrolled: 1-line block ×3, first 2 shown]
	v_rcp_f32_e32 v41, v39
	v_sub_f32_e32 v13, v16, v39
	v_add_f32_e32 v40, v12, v13
	v_add_f32_e32 v13, v14, v15
	v_mul_f32_e32 v43, v13, v41
	v_sub_f32_e32 v12, v14, v13
	v_mul_f32_e32 v14, v39, v43
	v_fma_f32 v16, v43, v39, -v14
	v_fmac_f32_e32 v16, v43, v40
	v_add_f32_e32 v42, v15, v12
	v_add_f32_e32 v12, v14, v16
	v_sub_f32_e32 v15, v13, v12
	v_pk_add_f32 v[36:37], v[12:13], v[14:15] neg_lo:[0,1] neg_hi:[0,1]
	v_mov_b32_e32 v17, v12
	v_pk_add_f32 v[12:13], v[36:37], v[16:17] neg_lo:[0,1] neg_hi:[0,1]
	v_cmp_neq_f32_e32 vcc, s21, v35
	v_add_f32_e32 v13, v42, v13
	v_add_f32_e32 v12, v12, v13
	;; [unrolled: 1-line block ×3, first 2 shown]
	v_mul_f32_e32 v42, v41, v13
	v_mul_f32_e32 v14, v39, v42
	v_fma_f32 v16, v42, v39, -v14
	v_fmac_f32_e32 v16, v42, v40
	v_sub_f32_e32 v15, v15, v13
	v_add_f32_e32 v39, v12, v15
	v_add_f32_e32 v12, v14, v16
	v_sub_f32_e32 v15, v13, v12
	v_pk_add_f32 v[36:37], v[12:13], v[14:15] neg_lo:[0,1] neg_hi:[0,1]
	v_mov_b32_e32 v17, v12
	v_pk_add_f32 v[12:13], v[36:37], v[16:17] neg_lo:[0,1] neg_hi:[0,1]
	v_cvt_f32_i32_e32 v14, v38
	v_add_f32_e32 v13, v39, v13
	v_add_f32_e32 v12, v12, v13
	;; [unrolled: 1-line block ×4, first 2 shown]
	v_sub_f32_e32 v13, v15, v43
	v_mul_f32_e32 v12, v41, v12
	v_sub_f32_e32 v13, v42, v13
	v_add_f32_e32 v12, v13, v12
	v_add_f32_e32 v16, v15, v12
	v_mul_f32_e32 v36, v16, v16
	v_mov_b32_e32 v13, 0x3ecc95a3
	v_sub_f32_e32 v15, v16, v15
	v_fmac_f32_e32 v13, 0x3e9b6dac, v36
	v_sub_f32_e32 v12, v12, v15
	v_fmaak_f32 v13, v36, v13, 0x3f2aaada
	v_ldexp_f32 v37, v12, 1
	v_mul_f32_e32 v15, v16, v36
	v_mov_b32_e32 v12, 0x3f317218
	v_pk_mul_f32 v[12:13], v[14:15], v[12:13]
	v_ldexp_f32 v17, v16, 1
	v_fma_f32 v15, v14, s3, -v12
	v_fmamk_f32 v16, v14, 0xb102e308, v15
	v_pk_add_f32 v[14:15], v[12:13], v[16:17]
	v_mov_b32_e32 v36, v12
	v_sub_f32_e32 v17, v15, v17
	v_sub_f32_e32 v17, v13, v17
	v_add_f32_e32 v37, v37, v17
	v_pk_add_f32 v[12:13], v[14:15], v[12:13] neg_lo:[0,1] neg_hi:[0,1]
	v_pk_add_f32 v[38:39], v[14:15], v[36:37]
	v_mov_b32_e32 v17, v14
	v_mov_b32_e32 v13, v39
	v_pk_add_f32 v[40:41], v[16:17], v[12:13] neg_lo:[0,1] neg_hi:[0,1]
	v_pk_add_f32 v[12:13], v[16:17], v[12:13]
	v_mov_b32_e32 v36, v37
	v_pk_add_f32 v[16:17], v[12:13], v[14:15] op_sel:[1,0] op_sel_hi:[0,1] neg_lo:[0,1] neg_hi:[0,1]
	v_pk_add_f32 v[42:43], v[38:39], v[16:17] op_sel_hi:[1,0] neg_lo:[0,1] neg_hi:[0,1]
	v_mov_b32_e32 v38, v39
	v_mov_b32_e32 v39, v13
	v_pk_mov_b32 v[16:17], v[14:15], v[16:17] op_sel:[1,0]
	v_mov_b32_e32 v37, v14
	v_pk_add_f32 v[16:17], v[38:39], v[16:17] neg_lo:[0,1] neg_hi:[0,1]
	v_mov_b32_e32 v42, v40
	v_pk_add_f32 v[14:15], v[36:37], v[16:17] neg_lo:[0,1] neg_hi:[0,1]
	v_mov_b32_e32 v41, v13
	v_pk_add_f32 v[16:17], v[42:43], v[14:15]
	s_mov_b32 s3, 0x33800000
	v_pk_add_f32 v[36:37], v[16:17], v[16:17] op_sel:[0,1] op_sel_hi:[1,0]
	s_nop 0
	v_pk_add_f32 v[12:13], v[12:13], v[36:37] op_sel:[1,0] op_sel_hi:[0,1]
	v_mov_b32_e32 v17, v12
	v_pk_add_f32 v[38:39], v[16:17], v[40:41] neg_lo:[0,1] neg_hi:[0,1]
	v_mov_b32_e32 v15, v36
	v_sub_f32_e32 v13, v16, v38
	v_pk_add_f32 v[14:15], v[14:15], v[38:39] neg_lo:[0,1] neg_hi:[0,1]
	v_sub_f32_e32 v13, v40, v13
	v_add_f32_e32 v13, v14, v13
	v_add_f32_e32 v13, v13, v15
	v_add_f32_e32 v12, v12, v13
	v_cndmask_b32_e32 v12, v33, v12, vcc
	v_cmp_lt_f32_e64 vcc, |v35|, s3
	s_nop 1
	v_cndmask_b32_e32 v12, v12, v35, vcc
	v_add_f32_e32 v12, v10, v12
.LBB438_49:
	s_or_b64 exec, exec, s[18:19]
	v_bfe_u32 v10, v12, 16, 1
	v_add3_u32 v10, v12, v10, s20
	v_and_b32_e32 v10, 0xffff0000, v10
	v_cmp_o_f32_e32 vcc, v12, v12
	s_movk_i32 s3, 0x1f8
	s_nop 0
	v_cndmask_b32_e32 v12, v11, v10, vcc
	v_mov_b32_e32 v10, 16
	v_lshlrev_b32_sdwa v33, v10, v4 dst_sel:DWORD dst_unused:UNUSED_PAD src0_sel:DWORD src1_sel:WORD_1
	v_max_f32_e32 v11, v12, v12
	v_max_f32_e32 v35, v33, v33
	v_min_f32_e32 v13, v11, v35
	v_cmp_u_f32_e32 vcc, v12, v12
	v_max_f32_e32 v11, v11, v35
	v_cmp_u_f32_e64 s[18:19], v33, v33
	v_cndmask_b32_e32 v13, v13, v12, vcc
	v_cndmask_b32_e32 v11, v11, v12, vcc
	v_cndmask_b32_e64 v13, v13, v33, s[18:19]
	v_cndmask_b32_e64 v11, v11, v33, s[18:19]
	v_cmp_neq_f32_e32 vcc, v13, v11
	v_cmp_class_f32_e64 s[20:21], v13, s3
	s_or_b64 s[22:23], vcc, s[20:21]
	s_and_saveexec_b64 s[20:21], s[22:23]
	s_cbranch_execz .LBB438_51
; %bb.50:
	v_sub_f32_e32 v12, v13, v11
	s_mov_b32 s22, 0x3fb8aa3b
	v_mul_f32_e32 v13, 0x3fb8aa3b, v12
	v_fma_f32 v14, v12, s22, -v13
	v_rndne_f32_e32 v15, v13
	v_fmamk_f32 v14, v12, 0x32a5705f, v14
	v_sub_f32_e32 v13, v13, v15
	v_add_f32_e32 v13, v13, v14
	v_exp_f32_e32 v13, v13
	v_cvt_i32_f32_e32 v14, v15
	s_mov_b32 s22, 0xc2ce8ed0
	v_cmp_ngt_f32_e32 vcc, s22, v12
	s_mov_b32 s22, 0x42b17218
	v_ldexp_f32 v13, v13, v14
	v_cndmask_b32_e32 v13, 0, v13, vcc
	v_mov_b32_e32 v46, 0x7f800000
	v_cmp_nlt_f32_e32 vcc, s22, v12
	s_mov_b32 s22, 0x3f2aaaab
	s_mov_b32 s23, 0x7f800000
	v_cndmask_b32_e32 v47, v46, v13, vcc
	v_add_f32_e32 v14, 1.0, v47
	v_add_f32_e32 v12, -1.0, v14
	v_sub_f32_e32 v13, v12, v14
	v_add_f32_e32 v13, 1.0, v13
	v_sub_f32_e32 v12, v47, v12
	v_add_f32_e32 v15, v12, v13
	v_frexp_mant_f32_e32 v16, v14
	v_cvt_f64_f32_e32 v[12:13], v14
	v_frexp_exp_i32_f64_e32 v12, v[12:13]
	v_cmp_gt_f32_e32 vcc, s22, v16
	s_mov_b32 s22, 0x3f317218
	s_nop 0
	v_subbrev_co_u32_e32 v38, vcc, 0, v12, vcc
	v_sub_u32_e32 v12, 0, v38
	v_ldexp_f32 v13, v14, v12
	v_add_f32_e32 v14, -1.0, v13
	v_add_f32_e32 v16, 1.0, v13
	v_ldexp_f32 v12, v15, v12
	v_add_f32_e32 v15, 1.0, v14
	v_add_f32_e32 v17, -1.0, v16
	v_sub_f32_e32 v15, v13, v15
	v_sub_f32_e32 v13, v13, v17
	v_add_f32_e32 v15, v12, v15
	v_add_f32_e32 v12, v12, v13
	;; [unrolled: 1-line block ×3, first 2 shown]
	v_rcp_f32_e32 v41, v39
	v_sub_f32_e32 v13, v16, v39
	v_add_f32_e32 v40, v12, v13
	v_add_f32_e32 v13, v14, v15
	v_mul_f32_e32 v43, v13, v41
	v_sub_f32_e32 v12, v14, v13
	v_mul_f32_e32 v14, v39, v43
	v_fma_f32 v16, v43, v39, -v14
	v_fmac_f32_e32 v16, v43, v40
	v_add_f32_e32 v42, v15, v12
	v_add_f32_e32 v12, v14, v16
	v_sub_f32_e32 v15, v13, v12
	v_pk_add_f32 v[36:37], v[12:13], v[14:15] neg_lo:[0,1] neg_hi:[0,1]
	v_mov_b32_e32 v17, v12
	v_pk_add_f32 v[12:13], v[36:37], v[16:17] neg_lo:[0,1] neg_hi:[0,1]
	v_cmp_neq_f32_e32 vcc, s23, v47
	v_add_f32_e32 v13, v42, v13
	v_add_f32_e32 v12, v12, v13
	;; [unrolled: 1-line block ×3, first 2 shown]
	v_mul_f32_e32 v42, v41, v13
	v_mul_f32_e32 v14, v39, v42
	v_fma_f32 v16, v42, v39, -v14
	v_fmac_f32_e32 v16, v42, v40
	v_sub_f32_e32 v15, v15, v13
	v_add_f32_e32 v39, v12, v15
	v_add_f32_e32 v12, v14, v16
	v_sub_f32_e32 v15, v13, v12
	v_pk_add_f32 v[36:37], v[12:13], v[14:15] neg_lo:[0,1] neg_hi:[0,1]
	v_mov_b32_e32 v17, v12
	v_pk_add_f32 v[12:13], v[36:37], v[16:17] neg_lo:[0,1] neg_hi:[0,1]
	v_cvt_f32_i32_e32 v14, v38
	v_add_f32_e32 v13, v39, v13
	v_add_f32_e32 v12, v12, v13
	;; [unrolled: 1-line block ×4, first 2 shown]
	v_sub_f32_e32 v13, v15, v43
	v_mul_f32_e32 v12, v41, v12
	v_sub_f32_e32 v13, v42, v13
	v_add_f32_e32 v12, v13, v12
	v_add_f32_e32 v16, v15, v12
	v_mul_f32_e32 v36, v16, v16
	v_mov_b32_e32 v13, 0x3ecc95a3
	v_sub_f32_e32 v15, v16, v15
	v_fmac_f32_e32 v13, 0x3e9b6dac, v36
	v_sub_f32_e32 v12, v12, v15
	v_fmaak_f32 v13, v36, v13, 0x3f2aaada
	v_ldexp_f32 v37, v12, 1
	v_mul_f32_e32 v15, v16, v36
	v_mov_b32_e32 v12, 0x3f317218
	v_pk_mul_f32 v[12:13], v[14:15], v[12:13]
	v_ldexp_f32 v17, v16, 1
	v_fma_f32 v15, v14, s22, -v12
	v_fmamk_f32 v16, v14, 0xb102e308, v15
	v_pk_add_f32 v[14:15], v[12:13], v[16:17]
	v_mov_b32_e32 v36, v12
	v_sub_f32_e32 v17, v15, v17
	v_sub_f32_e32 v17, v13, v17
	v_add_f32_e32 v37, v37, v17
	v_pk_add_f32 v[12:13], v[14:15], v[12:13] neg_lo:[0,1] neg_hi:[0,1]
	v_pk_add_f32 v[38:39], v[14:15], v[36:37]
	v_mov_b32_e32 v17, v14
	v_mov_b32_e32 v13, v39
	v_pk_add_f32 v[40:41], v[16:17], v[12:13] neg_lo:[0,1] neg_hi:[0,1]
	v_pk_add_f32 v[12:13], v[16:17], v[12:13]
	v_mov_b32_e32 v36, v37
	v_pk_add_f32 v[16:17], v[12:13], v[14:15] op_sel:[1,0] op_sel_hi:[0,1] neg_lo:[0,1] neg_hi:[0,1]
	v_pk_add_f32 v[42:43], v[38:39], v[16:17] op_sel_hi:[1,0] neg_lo:[0,1] neg_hi:[0,1]
	v_mov_b32_e32 v38, v39
	v_mov_b32_e32 v39, v13
	v_pk_mov_b32 v[16:17], v[14:15], v[16:17] op_sel:[1,0]
	v_mov_b32_e32 v37, v14
	v_pk_add_f32 v[16:17], v[38:39], v[16:17] neg_lo:[0,1] neg_hi:[0,1]
	v_mov_b32_e32 v42, v40
	v_pk_add_f32 v[14:15], v[36:37], v[16:17] neg_lo:[0,1] neg_hi:[0,1]
	v_mov_b32_e32 v41, v13
	v_pk_add_f32 v[16:17], v[42:43], v[14:15]
	s_mov_b32 s22, 0x33800000
	v_pk_add_f32 v[36:37], v[16:17], v[16:17] op_sel:[0,1] op_sel_hi:[1,0]
	s_nop 0
	v_pk_add_f32 v[12:13], v[12:13], v[36:37] op_sel:[1,0] op_sel_hi:[0,1]
	v_mov_b32_e32 v17, v12
	v_pk_add_f32 v[38:39], v[16:17], v[40:41] neg_lo:[0,1] neg_hi:[0,1]
	v_mov_b32_e32 v15, v36
	v_sub_f32_e32 v13, v16, v38
	v_pk_add_f32 v[14:15], v[14:15], v[38:39] neg_lo:[0,1] neg_hi:[0,1]
	v_sub_f32_e32 v13, v40, v13
	v_add_f32_e32 v13, v14, v13
	v_add_f32_e32 v13, v13, v15
	;; [unrolled: 1-line block ×3, first 2 shown]
	v_cndmask_b32_e32 v12, v46, v12, vcc
	v_cmp_lt_f32_e64 vcc, |v47|, s22
	s_nop 1
	v_cndmask_b32_e32 v12, v12, v47, vcc
	v_add_f32_e32 v12, v11, v12
.LBB438_51:
	s_or_b64 exec, exec, s[20:21]
	v_bfe_u32 v11, v12, 16, 1
	s_movk_i32 s24, 0x7fff
	v_add3_u32 v11, v12, v11, s24
	v_and_b32_e32 v13, 0xffff0000, v11
	v_mov_b32_e32 v11, 0x7fc00000
	v_cmp_o_f32_e32 vcc, v12, v12
	v_lshlrev_b32_sdwa v36, v10, v5 dst_sel:DWORD dst_unused:UNUSED_PAD src0_sel:DWORD src1_sel:WORD_0
	v_max_f32_e32 v38, v36, v36
	v_cndmask_b32_e32 v12, v11, v13, vcc
	v_max_f32_e32 v10, v12, v12
	v_min_f32_e32 v13, v10, v38
	v_cmp_u_f32_e32 vcc, v12, v12
	v_max_f32_e32 v10, v10, v38
	v_cmp_u_f32_e64 s[20:21], v36, v36
	v_cndmask_b32_e32 v13, v13, v12, vcc
	v_cndmask_b32_e32 v10, v10, v12, vcc
	v_cndmask_b32_e64 v13, v13, v36, s[20:21]
	v_cndmask_b32_e64 v10, v10, v36, s[20:21]
	v_cmp_neq_f32_e32 vcc, v13, v10
	v_cmp_class_f32_e64 s[22:23], v13, s3
	s_or_b64 s[26:27], vcc, s[22:23]
	s_and_saveexec_b64 s[22:23], s[26:27]
	s_cbranch_execz .LBB438_53
; %bb.52:
	v_sub_f32_e32 v12, v13, v10
	s_mov_b32 s3, 0x3fb8aa3b
	v_mul_f32_e32 v13, 0x3fb8aa3b, v12
	v_fma_f32 v14, v12, s3, -v13
	v_rndne_f32_e32 v15, v13
	v_fmamk_f32 v14, v12, 0x32a5705f, v14
	v_sub_f32_e32 v13, v13, v15
	v_add_f32_e32 v13, v13, v14
	v_exp_f32_e32 v13, v13
	v_cvt_i32_f32_e32 v14, v15
	s_mov_b32 s3, 0xc2ce8ed0
	v_cmp_ngt_f32_e32 vcc, s3, v12
	s_mov_b32 s3, 0x42b17218
	v_ldexp_f32 v13, v13, v14
	v_cndmask_b32_e32 v13, 0, v13, vcc
	v_mov_b32_e32 v37, 0x7f800000
	v_cmp_nlt_f32_e32 vcc, s3, v12
	s_mov_b32 s3, 0x3f2aaaab
	s_mov_b32 s25, 0x7f800000
	v_cndmask_b32_e32 v39, v37, v13, vcc
	v_add_f32_e32 v14, 1.0, v39
	v_add_f32_e32 v12, -1.0, v14
	v_sub_f32_e32 v13, v12, v14
	v_add_f32_e32 v13, 1.0, v13
	v_sub_f32_e32 v12, v39, v12
	v_add_f32_e32 v15, v12, v13
	v_frexp_mant_f32_e32 v16, v14
	v_cvt_f64_f32_e32 v[12:13], v14
	v_frexp_exp_i32_f64_e32 v12, v[12:13]
	v_cmp_gt_f32_e32 vcc, s3, v16
	s_mov_b32 s3, 0x3f317218
	s_nop 0
	v_subbrev_co_u32_e32 v42, vcc, 0, v12, vcc
	v_sub_u32_e32 v12, 0, v42
	v_ldexp_f32 v13, v14, v12
	v_add_f32_e32 v14, -1.0, v13
	v_add_f32_e32 v16, 1.0, v13
	v_ldexp_f32 v12, v15, v12
	v_add_f32_e32 v15, 1.0, v14
	v_add_f32_e32 v17, -1.0, v16
	v_sub_f32_e32 v15, v13, v15
	v_sub_f32_e32 v13, v13, v17
	v_add_f32_e32 v15, v12, v15
	v_add_f32_e32 v12, v12, v13
	;; [unrolled: 1-line block ×3, first 2 shown]
	v_rcp_f32_e32 v47, v43
	v_sub_f32_e32 v13, v16, v43
	v_add_f32_e32 v46, v12, v13
	v_add_f32_e32 v13, v14, v15
	v_mul_f32_e32 v49, v13, v47
	v_sub_f32_e32 v12, v14, v13
	v_mul_f32_e32 v14, v43, v49
	v_fma_f32 v16, v49, v43, -v14
	v_fmac_f32_e32 v16, v49, v46
	v_add_f32_e32 v48, v15, v12
	v_add_f32_e32 v12, v14, v16
	v_sub_f32_e32 v15, v13, v12
	v_pk_add_f32 v[40:41], v[12:13], v[14:15] neg_lo:[0,1] neg_hi:[0,1]
	v_mov_b32_e32 v17, v12
	v_pk_add_f32 v[12:13], v[40:41], v[16:17] neg_lo:[0,1] neg_hi:[0,1]
	v_cmp_neq_f32_e32 vcc, s25, v39
	v_add_f32_e32 v13, v48, v13
	v_add_f32_e32 v12, v12, v13
	;; [unrolled: 1-line block ×3, first 2 shown]
	v_mul_f32_e32 v48, v47, v13
	v_mul_f32_e32 v14, v43, v48
	v_fma_f32 v16, v48, v43, -v14
	v_fmac_f32_e32 v16, v48, v46
	v_sub_f32_e32 v15, v15, v13
	v_add_f32_e32 v43, v12, v15
	v_add_f32_e32 v12, v14, v16
	v_sub_f32_e32 v15, v13, v12
	v_pk_add_f32 v[40:41], v[12:13], v[14:15] neg_lo:[0,1] neg_hi:[0,1]
	v_mov_b32_e32 v17, v12
	v_pk_add_f32 v[12:13], v[40:41], v[16:17] neg_lo:[0,1] neg_hi:[0,1]
	v_cvt_f32_i32_e32 v14, v42
	v_add_f32_e32 v13, v43, v13
	v_add_f32_e32 v12, v12, v13
	;; [unrolled: 1-line block ×4, first 2 shown]
	v_sub_f32_e32 v13, v15, v49
	v_mul_f32_e32 v12, v47, v12
	v_sub_f32_e32 v13, v48, v13
	v_add_f32_e32 v12, v13, v12
	v_add_f32_e32 v16, v15, v12
	v_mul_f32_e32 v40, v16, v16
	v_mov_b32_e32 v13, 0x3ecc95a3
	v_sub_f32_e32 v15, v16, v15
	v_fmac_f32_e32 v13, 0x3e9b6dac, v40
	v_sub_f32_e32 v12, v12, v15
	v_fmaak_f32 v13, v40, v13, 0x3f2aaada
	v_ldexp_f32 v41, v12, 1
	v_mul_f32_e32 v15, v16, v40
	v_mov_b32_e32 v12, 0x3f317218
	v_pk_mul_f32 v[12:13], v[14:15], v[12:13]
	v_ldexp_f32 v17, v16, 1
	v_fma_f32 v15, v14, s3, -v12
	v_fmamk_f32 v16, v14, 0xb102e308, v15
	v_pk_add_f32 v[14:15], v[12:13], v[16:17]
	v_mov_b32_e32 v40, v12
	v_sub_f32_e32 v17, v15, v17
	v_sub_f32_e32 v17, v13, v17
	v_add_f32_e32 v41, v41, v17
	v_pk_add_f32 v[12:13], v[14:15], v[12:13] neg_lo:[0,1] neg_hi:[0,1]
	v_pk_add_f32 v[42:43], v[14:15], v[40:41]
	v_mov_b32_e32 v17, v14
	v_mov_b32_e32 v13, v43
	v_pk_add_f32 v[46:47], v[16:17], v[12:13] neg_lo:[0,1] neg_hi:[0,1]
	v_pk_add_f32 v[12:13], v[16:17], v[12:13]
	v_mov_b32_e32 v40, v41
	v_pk_add_f32 v[16:17], v[12:13], v[14:15] op_sel:[1,0] op_sel_hi:[0,1] neg_lo:[0,1] neg_hi:[0,1]
	v_pk_add_f32 v[48:49], v[42:43], v[16:17] op_sel_hi:[1,0] neg_lo:[0,1] neg_hi:[0,1]
	v_mov_b32_e32 v42, v43
	v_mov_b32_e32 v43, v13
	v_pk_mov_b32 v[16:17], v[14:15], v[16:17] op_sel:[1,0]
	v_mov_b32_e32 v41, v14
	v_pk_add_f32 v[16:17], v[42:43], v[16:17] neg_lo:[0,1] neg_hi:[0,1]
	v_mov_b32_e32 v48, v46
	v_pk_add_f32 v[14:15], v[40:41], v[16:17] neg_lo:[0,1] neg_hi:[0,1]
	v_mov_b32_e32 v47, v13
	v_pk_add_f32 v[16:17], v[48:49], v[14:15]
	s_mov_b32 s3, 0x33800000
	v_pk_add_f32 v[40:41], v[16:17], v[16:17] op_sel:[0,1] op_sel_hi:[1,0]
	s_nop 0
	v_pk_add_f32 v[12:13], v[12:13], v[40:41] op_sel:[1,0] op_sel_hi:[0,1]
	v_mov_b32_e32 v17, v12
	v_pk_add_f32 v[42:43], v[16:17], v[46:47] neg_lo:[0,1] neg_hi:[0,1]
	v_mov_b32_e32 v15, v40
	v_sub_f32_e32 v13, v16, v42
	v_pk_add_f32 v[14:15], v[14:15], v[42:43] neg_lo:[0,1] neg_hi:[0,1]
	v_sub_f32_e32 v13, v46, v13
	v_add_f32_e32 v13, v14, v13
	v_add_f32_e32 v13, v13, v15
	;; [unrolled: 1-line block ×3, first 2 shown]
	v_cndmask_b32_e32 v12, v37, v12, vcc
	v_cmp_lt_f32_e64 vcc, |v39|, s3
	s_nop 1
	v_cndmask_b32_e32 v12, v12, v39, vcc
	v_add_f32_e32 v12, v10, v12
.LBB438_53:
	s_or_b64 exec, exec, s[22:23]
	v_bfe_u32 v10, v12, 16, 1
	v_add3_u32 v10, v12, v10, s24
	v_and_b32_e32 v10, 0xffff0000, v10
	v_cmp_o_f32_e32 vcc, v12, v12
	s_movk_i32 s3, 0x1f8
	s_nop 0
	v_cndmask_b32_e32 v12, v11, v10, vcc
	v_mov_b32_e32 v10, 16
	v_lshlrev_b32_sdwa v37, v10, v5 dst_sel:DWORD dst_unused:UNUSED_PAD src0_sel:DWORD src1_sel:WORD_1
	v_max_f32_e32 v11, v12, v12
	v_max_f32_e32 v39, v37, v37
	v_min_f32_e32 v13, v11, v39
	v_cmp_u_f32_e32 vcc, v12, v12
	v_max_f32_e32 v11, v11, v39
	v_cmp_u_f32_e64 s[22:23], v37, v37
	v_cndmask_b32_e32 v13, v13, v12, vcc
	v_cndmask_b32_e32 v11, v11, v12, vcc
	v_cndmask_b32_e64 v13, v13, v37, s[22:23]
	v_cndmask_b32_e64 v11, v11, v37, s[22:23]
	v_cmp_neq_f32_e32 vcc, v13, v11
	v_cmp_class_f32_e64 s[24:25], v13, s3
	s_or_b64 s[26:27], vcc, s[24:25]
	s_and_saveexec_b64 s[24:25], s[26:27]
	s_cbranch_execz .LBB438_55
; %bb.54:
	v_sub_f32_e32 v12, v13, v11
	s_mov_b32 s26, 0x3fb8aa3b
	v_mul_f32_e32 v13, 0x3fb8aa3b, v12
	v_fma_f32 v14, v12, s26, -v13
	v_rndne_f32_e32 v15, v13
	v_fmamk_f32 v14, v12, 0x32a5705f, v14
	v_sub_f32_e32 v13, v13, v15
	v_add_f32_e32 v13, v13, v14
	v_exp_f32_e32 v13, v13
	v_cvt_i32_f32_e32 v14, v15
	s_mov_b32 s26, 0xc2ce8ed0
	v_cmp_ngt_f32_e32 vcc, s26, v12
	s_mov_b32 s26, 0x42b17218
	v_ldexp_f32 v13, v13, v14
	v_cndmask_b32_e32 v13, 0, v13, vcc
	v_mov_b32_e32 v50, 0x7f800000
	v_cmp_nlt_f32_e32 vcc, s26, v12
	s_mov_b32 s26, 0x3f2aaaab
	s_mov_b32 s27, 0x7f800000
	v_cndmask_b32_e32 v51, v50, v13, vcc
	v_add_f32_e32 v14, 1.0, v51
	v_add_f32_e32 v12, -1.0, v14
	v_sub_f32_e32 v13, v12, v14
	v_add_f32_e32 v13, 1.0, v13
	v_sub_f32_e32 v12, v51, v12
	v_add_f32_e32 v15, v12, v13
	v_frexp_mant_f32_e32 v16, v14
	v_cvt_f64_f32_e32 v[12:13], v14
	v_frexp_exp_i32_f64_e32 v12, v[12:13]
	v_cmp_gt_f32_e32 vcc, s26, v16
	s_mov_b32 s26, 0x3f317218
	s_nop 0
	v_subbrev_co_u32_e32 v42, vcc, 0, v12, vcc
	v_sub_u32_e32 v12, 0, v42
	v_ldexp_f32 v13, v14, v12
	v_add_f32_e32 v14, -1.0, v13
	v_add_f32_e32 v16, 1.0, v13
	v_ldexp_f32 v12, v15, v12
	v_add_f32_e32 v15, 1.0, v14
	v_add_f32_e32 v17, -1.0, v16
	v_sub_f32_e32 v15, v13, v15
	v_sub_f32_e32 v13, v13, v17
	v_add_f32_e32 v15, v12, v15
	v_add_f32_e32 v12, v12, v13
	;; [unrolled: 1-line block ×3, first 2 shown]
	v_rcp_f32_e32 v47, v43
	v_sub_f32_e32 v13, v16, v43
	v_add_f32_e32 v46, v12, v13
	v_add_f32_e32 v13, v14, v15
	v_mul_f32_e32 v49, v13, v47
	v_sub_f32_e32 v12, v14, v13
	v_mul_f32_e32 v14, v43, v49
	v_fma_f32 v16, v49, v43, -v14
	v_fmac_f32_e32 v16, v49, v46
	v_add_f32_e32 v48, v15, v12
	v_add_f32_e32 v12, v14, v16
	v_sub_f32_e32 v15, v13, v12
	v_pk_add_f32 v[40:41], v[12:13], v[14:15] neg_lo:[0,1] neg_hi:[0,1]
	v_mov_b32_e32 v17, v12
	v_pk_add_f32 v[12:13], v[40:41], v[16:17] neg_lo:[0,1] neg_hi:[0,1]
	v_cmp_neq_f32_e32 vcc, s27, v51
	v_add_f32_e32 v13, v48, v13
	v_add_f32_e32 v12, v12, v13
	;; [unrolled: 1-line block ×3, first 2 shown]
	v_mul_f32_e32 v48, v47, v13
	v_mul_f32_e32 v14, v43, v48
	v_fma_f32 v16, v48, v43, -v14
	v_fmac_f32_e32 v16, v48, v46
	v_sub_f32_e32 v15, v15, v13
	v_add_f32_e32 v43, v12, v15
	v_add_f32_e32 v12, v14, v16
	v_sub_f32_e32 v15, v13, v12
	v_pk_add_f32 v[40:41], v[12:13], v[14:15] neg_lo:[0,1] neg_hi:[0,1]
	v_mov_b32_e32 v17, v12
	v_pk_add_f32 v[12:13], v[40:41], v[16:17] neg_lo:[0,1] neg_hi:[0,1]
	v_cvt_f32_i32_e32 v14, v42
	v_add_f32_e32 v13, v43, v13
	v_add_f32_e32 v12, v12, v13
	;; [unrolled: 1-line block ×4, first 2 shown]
	v_sub_f32_e32 v13, v15, v49
	v_mul_f32_e32 v12, v47, v12
	v_sub_f32_e32 v13, v48, v13
	v_add_f32_e32 v12, v13, v12
	v_add_f32_e32 v16, v15, v12
	v_mul_f32_e32 v40, v16, v16
	v_mov_b32_e32 v13, 0x3ecc95a3
	v_sub_f32_e32 v15, v16, v15
	v_fmac_f32_e32 v13, 0x3e9b6dac, v40
	v_sub_f32_e32 v12, v12, v15
	v_fmaak_f32 v13, v40, v13, 0x3f2aaada
	v_ldexp_f32 v41, v12, 1
	v_mul_f32_e32 v15, v16, v40
	v_mov_b32_e32 v12, 0x3f317218
	v_pk_mul_f32 v[12:13], v[14:15], v[12:13]
	v_ldexp_f32 v17, v16, 1
	v_fma_f32 v15, v14, s26, -v12
	v_fmamk_f32 v16, v14, 0xb102e308, v15
	v_pk_add_f32 v[14:15], v[12:13], v[16:17]
	v_mov_b32_e32 v40, v12
	v_sub_f32_e32 v17, v15, v17
	v_sub_f32_e32 v17, v13, v17
	v_add_f32_e32 v41, v41, v17
	v_pk_add_f32 v[12:13], v[14:15], v[12:13] neg_lo:[0,1] neg_hi:[0,1]
	v_pk_add_f32 v[42:43], v[14:15], v[40:41]
	v_mov_b32_e32 v17, v14
	v_mov_b32_e32 v13, v43
	v_pk_add_f32 v[46:47], v[16:17], v[12:13] neg_lo:[0,1] neg_hi:[0,1]
	v_pk_add_f32 v[12:13], v[16:17], v[12:13]
	v_mov_b32_e32 v40, v41
	v_pk_add_f32 v[16:17], v[12:13], v[14:15] op_sel:[1,0] op_sel_hi:[0,1] neg_lo:[0,1] neg_hi:[0,1]
	v_pk_add_f32 v[48:49], v[42:43], v[16:17] op_sel_hi:[1,0] neg_lo:[0,1] neg_hi:[0,1]
	v_mov_b32_e32 v42, v43
	v_mov_b32_e32 v43, v13
	v_pk_mov_b32 v[16:17], v[14:15], v[16:17] op_sel:[1,0]
	v_mov_b32_e32 v41, v14
	v_pk_add_f32 v[16:17], v[42:43], v[16:17] neg_lo:[0,1] neg_hi:[0,1]
	v_mov_b32_e32 v48, v46
	v_pk_add_f32 v[14:15], v[40:41], v[16:17] neg_lo:[0,1] neg_hi:[0,1]
	v_mov_b32_e32 v47, v13
	v_pk_add_f32 v[16:17], v[48:49], v[14:15]
	s_mov_b32 s26, 0x33800000
	v_pk_add_f32 v[40:41], v[16:17], v[16:17] op_sel:[0,1] op_sel_hi:[1,0]
	s_nop 0
	v_pk_add_f32 v[12:13], v[12:13], v[40:41] op_sel:[1,0] op_sel_hi:[0,1]
	v_mov_b32_e32 v17, v12
	v_pk_add_f32 v[42:43], v[16:17], v[46:47] neg_lo:[0,1] neg_hi:[0,1]
	v_mov_b32_e32 v15, v40
	v_sub_f32_e32 v13, v16, v42
	v_pk_add_f32 v[14:15], v[14:15], v[42:43] neg_lo:[0,1] neg_hi:[0,1]
	v_sub_f32_e32 v13, v46, v13
	v_add_f32_e32 v13, v14, v13
	v_add_f32_e32 v13, v13, v15
	v_add_f32_e32 v12, v12, v13
	v_cndmask_b32_e32 v12, v50, v12, vcc
	v_cmp_lt_f32_e64 vcc, |v51|, s26
	s_nop 1
	v_cndmask_b32_e32 v12, v12, v51, vcc
	v_add_f32_e32 v12, v11, v12
.LBB438_55:
	s_or_b64 exec, exec, s[24:25]
	v_bfe_u32 v11, v12, 16, 1
	s_movk_i32 s30, 0x7fff
	v_add3_u32 v11, v12, v11, s30
	v_and_b32_e32 v13, 0xffff0000, v11
	v_mov_b32_e32 v11, 0x7fc00000
	v_cmp_o_f32_e32 vcc, v12, v12
	v_lshlrev_b32_sdwa v40, v10, v3 dst_sel:DWORD dst_unused:UNUSED_PAD src0_sel:DWORD src1_sel:WORD_0
	v_max_f32_e32 v42, v40, v40
	v_cndmask_b32_e32 v12, v11, v13, vcc
	v_max_f32_e32 v10, v12, v12
	v_min_f32_e32 v13, v10, v42
	v_cmp_u_f32_e32 vcc, v12, v12
	v_max_f32_e32 v10, v10, v42
	v_cmp_u_f32_e64 s[24:25], v40, v40
	v_cndmask_b32_e32 v13, v13, v12, vcc
	v_cndmask_b32_e32 v10, v10, v12, vcc
	v_cndmask_b32_e64 v13, v13, v40, s[24:25]
	v_cndmask_b32_e64 v10, v10, v40, s[24:25]
	v_cmp_neq_f32_e32 vcc, v13, v10
	v_cmp_class_f32_e64 s[26:27], v13, s3
	s_or_b64 s[34:35], vcc, s[26:27]
	s_and_saveexec_b64 s[26:27], s[34:35]
	s_cbranch_execz .LBB438_57
; %bb.56:
	v_sub_f32_e32 v12, v13, v10
	s_mov_b32 s3, 0x3fb8aa3b
	v_mul_f32_e32 v13, 0x3fb8aa3b, v12
	v_fma_f32 v14, v12, s3, -v13
	v_rndne_f32_e32 v15, v13
	v_fmamk_f32 v14, v12, 0x32a5705f, v14
	v_sub_f32_e32 v13, v13, v15
	v_add_f32_e32 v13, v13, v14
	v_exp_f32_e32 v13, v13
	v_cvt_i32_f32_e32 v14, v15
	s_mov_b32 s3, 0xc2ce8ed0
	v_cmp_ngt_f32_e32 vcc, s3, v12
	s_mov_b32 s3, 0x42b17218
	v_ldexp_f32 v13, v13, v14
	v_cndmask_b32_e32 v13, 0, v13, vcc
	v_mov_b32_e32 v41, 0x7f800000
	v_cmp_nlt_f32_e32 vcc, s3, v12
	s_mov_b32 s3, 0x3f2aaaab
	s_mov_b32 s31, 0x7f800000
	v_cndmask_b32_e32 v43, v41, v13, vcc
	v_add_f32_e32 v14, 1.0, v43
	v_add_f32_e32 v12, -1.0, v14
	v_sub_f32_e32 v13, v12, v14
	v_add_f32_e32 v13, 1.0, v13
	v_sub_f32_e32 v12, v43, v12
	v_add_f32_e32 v15, v12, v13
	v_frexp_mant_f32_e32 v16, v14
	v_cvt_f64_f32_e32 v[12:13], v14
	v_frexp_exp_i32_f64_e32 v12, v[12:13]
	v_cmp_gt_f32_e32 vcc, s3, v16
	s_mov_b32 s3, 0x3f317218
	s_nop 0
	v_subbrev_co_u32_e32 v48, vcc, 0, v12, vcc
	v_sub_u32_e32 v12, 0, v48
	v_ldexp_f32 v13, v14, v12
	v_add_f32_e32 v14, -1.0, v13
	v_add_f32_e32 v16, 1.0, v13
	v_ldexp_f32 v12, v15, v12
	v_add_f32_e32 v15, 1.0, v14
	v_add_f32_e32 v17, -1.0, v16
	v_sub_f32_e32 v15, v13, v15
	v_sub_f32_e32 v13, v13, v17
	v_add_f32_e32 v15, v12, v15
	v_add_f32_e32 v12, v12, v13
	;; [unrolled: 1-line block ×3, first 2 shown]
	v_rcp_f32_e32 v51, v49
	v_sub_f32_e32 v13, v16, v49
	v_add_f32_e32 v50, v12, v13
	v_add_f32_e32 v13, v14, v15
	v_mul_f32_e32 v53, v13, v51
	v_sub_f32_e32 v12, v14, v13
	v_mul_f32_e32 v14, v49, v53
	v_fma_f32 v16, v53, v49, -v14
	v_fmac_f32_e32 v16, v53, v50
	v_add_f32_e32 v52, v15, v12
	v_add_f32_e32 v12, v14, v16
	v_sub_f32_e32 v15, v13, v12
	v_pk_add_f32 v[46:47], v[12:13], v[14:15] neg_lo:[0,1] neg_hi:[0,1]
	v_mov_b32_e32 v17, v12
	v_pk_add_f32 v[12:13], v[46:47], v[16:17] neg_lo:[0,1] neg_hi:[0,1]
	v_cmp_neq_f32_e32 vcc, s31, v43
	v_add_f32_e32 v13, v52, v13
	v_add_f32_e32 v12, v12, v13
	;; [unrolled: 1-line block ×3, first 2 shown]
	v_mul_f32_e32 v52, v51, v13
	v_mul_f32_e32 v14, v49, v52
	v_fma_f32 v16, v52, v49, -v14
	v_fmac_f32_e32 v16, v52, v50
	v_sub_f32_e32 v15, v15, v13
	v_add_f32_e32 v49, v12, v15
	v_add_f32_e32 v12, v14, v16
	v_sub_f32_e32 v15, v13, v12
	v_pk_add_f32 v[46:47], v[12:13], v[14:15] neg_lo:[0,1] neg_hi:[0,1]
	v_mov_b32_e32 v17, v12
	v_pk_add_f32 v[12:13], v[46:47], v[16:17] neg_lo:[0,1] neg_hi:[0,1]
	v_cvt_f32_i32_e32 v14, v48
	v_add_f32_e32 v13, v49, v13
	v_add_f32_e32 v12, v12, v13
	v_add_f32_e32 v12, v15, v12
	v_add_f32_e32 v15, v53, v52
	v_sub_f32_e32 v13, v15, v53
	v_mul_f32_e32 v12, v51, v12
	v_sub_f32_e32 v13, v52, v13
	v_add_f32_e32 v12, v13, v12
	v_add_f32_e32 v16, v15, v12
	v_mul_f32_e32 v46, v16, v16
	v_mov_b32_e32 v13, 0x3ecc95a3
	v_sub_f32_e32 v15, v16, v15
	v_fmac_f32_e32 v13, 0x3e9b6dac, v46
	v_sub_f32_e32 v12, v12, v15
	v_fmaak_f32 v13, v46, v13, 0x3f2aaada
	v_ldexp_f32 v47, v12, 1
	v_mul_f32_e32 v15, v16, v46
	v_mov_b32_e32 v12, 0x3f317218
	v_pk_mul_f32 v[12:13], v[14:15], v[12:13]
	v_ldexp_f32 v17, v16, 1
	v_fma_f32 v15, v14, s3, -v12
	v_fmamk_f32 v16, v14, 0xb102e308, v15
	v_pk_add_f32 v[14:15], v[12:13], v[16:17]
	v_mov_b32_e32 v46, v12
	v_sub_f32_e32 v17, v15, v17
	v_sub_f32_e32 v17, v13, v17
	v_add_f32_e32 v47, v47, v17
	v_pk_add_f32 v[12:13], v[14:15], v[12:13] neg_lo:[0,1] neg_hi:[0,1]
	v_pk_add_f32 v[48:49], v[14:15], v[46:47]
	v_mov_b32_e32 v17, v14
	v_mov_b32_e32 v13, v49
	v_pk_add_f32 v[50:51], v[16:17], v[12:13] neg_lo:[0,1] neg_hi:[0,1]
	v_pk_add_f32 v[12:13], v[16:17], v[12:13]
	v_mov_b32_e32 v46, v47
	v_pk_add_f32 v[16:17], v[12:13], v[14:15] op_sel:[1,0] op_sel_hi:[0,1] neg_lo:[0,1] neg_hi:[0,1]
	v_pk_add_f32 v[52:53], v[48:49], v[16:17] op_sel_hi:[1,0] neg_lo:[0,1] neg_hi:[0,1]
	v_mov_b32_e32 v48, v49
	v_mov_b32_e32 v49, v13
	v_pk_mov_b32 v[16:17], v[14:15], v[16:17] op_sel:[1,0]
	v_mov_b32_e32 v47, v14
	v_pk_add_f32 v[16:17], v[48:49], v[16:17] neg_lo:[0,1] neg_hi:[0,1]
	v_mov_b32_e32 v52, v50
	v_pk_add_f32 v[14:15], v[46:47], v[16:17] neg_lo:[0,1] neg_hi:[0,1]
	v_mov_b32_e32 v51, v13
	v_pk_add_f32 v[16:17], v[52:53], v[14:15]
	s_mov_b32 s3, 0x33800000
	v_pk_add_f32 v[46:47], v[16:17], v[16:17] op_sel:[0,1] op_sel_hi:[1,0]
	s_nop 0
	v_pk_add_f32 v[12:13], v[12:13], v[46:47] op_sel:[1,0] op_sel_hi:[0,1]
	v_mov_b32_e32 v17, v12
	v_pk_add_f32 v[48:49], v[16:17], v[50:51] neg_lo:[0,1] neg_hi:[0,1]
	v_mov_b32_e32 v15, v46
	v_sub_f32_e32 v13, v16, v48
	v_pk_add_f32 v[14:15], v[14:15], v[48:49] neg_lo:[0,1] neg_hi:[0,1]
	v_sub_f32_e32 v13, v50, v13
	v_add_f32_e32 v13, v14, v13
	v_add_f32_e32 v13, v13, v15
	;; [unrolled: 1-line block ×3, first 2 shown]
	v_cndmask_b32_e32 v12, v41, v12, vcc
	v_cmp_lt_f32_e64 vcc, |v43|, s3
	s_nop 1
	v_cndmask_b32_e32 v12, v12, v43, vcc
	v_add_f32_e32 v12, v10, v12
.LBB438_57:
	s_or_b64 exec, exec, s[26:27]
	v_bfe_u32 v10, v12, 16, 1
	v_add3_u32 v10, v12, v10, s30
	v_and_b32_e32 v10, 0xffff0000, v10
	v_cmp_o_f32_e32 vcc, v12, v12
	s_movk_i32 s3, 0x1f8
	s_nop 0
	v_cndmask_b32_e32 v11, v11, v10, vcc
	v_mov_b32_e32 v10, 16
	v_lshlrev_b32_sdwa v41, v10, v3 dst_sel:DWORD dst_unused:UNUSED_PAD src0_sel:DWORD src1_sel:WORD_1
	v_max_f32_e32 v10, v11, v11
	v_max_f32_e32 v43, v41, v41
	v_min_f32_e32 v12, v10, v43
	v_cmp_u_f32_e32 vcc, v11, v11
	v_max_f32_e32 v10, v10, v43
	v_cmp_u_f32_e64 s[26:27], v41, v41
	v_cndmask_b32_e32 v12, v12, v11, vcc
	v_cndmask_b32_e32 v10, v10, v11, vcc
	v_cndmask_b32_e64 v12, v12, v41, s[26:27]
	v_cndmask_b32_e64 v10, v10, v41, s[26:27]
	v_cmp_neq_f32_e32 vcc, v12, v10
	v_cmp_class_f32_e64 s[30:31], v12, s3
	s_or_b64 s[34:35], vcc, s[30:31]
	s_and_saveexec_b64 s[30:31], s[34:35]
	s_cbranch_execz .LBB438_59
; %bb.58:
	v_sub_f32_e32 v11, v12, v10
	s_mov_b32 s3, 0x3fb8aa3b
	v_mul_f32_e32 v12, 0x3fb8aa3b, v11
	v_fma_f32 v13, v11, s3, -v12
	v_rndne_f32_e32 v14, v12
	v_fmamk_f32 v13, v11, 0x32a5705f, v13
	v_sub_f32_e32 v12, v12, v14
	v_add_f32_e32 v12, v12, v13
	v_exp_f32_e32 v12, v12
	v_cvt_i32_f32_e32 v13, v14
	s_mov_b32 s3, 0xc2ce8ed0
	v_cmp_ngt_f32_e32 vcc, s3, v11
	s_mov_b32 s3, 0x42b17218
	v_ldexp_f32 v12, v12, v13
	v_cndmask_b32_e32 v12, 0, v12, vcc
	v_mov_b32_e32 v54, 0x7f800000
	v_cmp_nlt_f32_e32 vcc, s3, v11
	s_mov_b32 s3, 0x3f2aaaab
	s_mov_b32 s34, 0x7f800000
	v_cndmask_b32_e32 v11, v54, v12, vcc
	v_add_f32_e32 v14, 1.0, v11
	v_add_f32_e32 v12, -1.0, v14
	v_sub_f32_e32 v13, v12, v14
	v_add_f32_e32 v13, 1.0, v13
	v_sub_f32_e32 v12, v11, v12
	v_add_f32_e32 v15, v12, v13
	v_frexp_mant_f32_e32 v16, v14
	v_cvt_f64_f32_e32 v[12:13], v14
	v_frexp_exp_i32_f64_e32 v12, v[12:13]
	v_cmp_gt_f32_e32 vcc, s3, v16
	s_mov_b32 s3, 0x3f317218
	s_nop 0
	v_subbrev_co_u32_e32 v48, vcc, 0, v12, vcc
	v_sub_u32_e32 v12, 0, v48
	v_ldexp_f32 v13, v14, v12
	v_add_f32_e32 v14, -1.0, v13
	v_add_f32_e32 v16, 1.0, v13
	v_ldexp_f32 v12, v15, v12
	v_add_f32_e32 v15, 1.0, v14
	v_add_f32_e32 v17, -1.0, v16
	v_sub_f32_e32 v15, v13, v15
	v_sub_f32_e32 v13, v13, v17
	v_add_f32_e32 v15, v12, v15
	v_add_f32_e32 v12, v12, v13
	;; [unrolled: 1-line block ×3, first 2 shown]
	v_rcp_f32_e32 v51, v49
	v_sub_f32_e32 v13, v16, v49
	v_add_f32_e32 v50, v12, v13
	v_add_f32_e32 v13, v14, v15
	v_mul_f32_e32 v53, v13, v51
	v_sub_f32_e32 v12, v14, v13
	v_mul_f32_e32 v14, v49, v53
	v_fma_f32 v16, v53, v49, -v14
	v_fmac_f32_e32 v16, v53, v50
	v_add_f32_e32 v52, v15, v12
	v_add_f32_e32 v12, v14, v16
	v_sub_f32_e32 v15, v13, v12
	v_pk_add_f32 v[46:47], v[12:13], v[14:15] neg_lo:[0,1] neg_hi:[0,1]
	v_mov_b32_e32 v17, v12
	v_pk_add_f32 v[12:13], v[46:47], v[16:17] neg_lo:[0,1] neg_hi:[0,1]
	v_cmp_neq_f32_e32 vcc, s34, v11
	v_add_f32_e32 v13, v52, v13
	v_add_f32_e32 v12, v12, v13
	;; [unrolled: 1-line block ×3, first 2 shown]
	v_mul_f32_e32 v52, v51, v13
	v_mul_f32_e32 v14, v49, v52
	v_fma_f32 v16, v52, v49, -v14
	v_fmac_f32_e32 v16, v52, v50
	v_sub_f32_e32 v15, v15, v13
	v_add_f32_e32 v49, v12, v15
	v_add_f32_e32 v12, v14, v16
	v_sub_f32_e32 v15, v13, v12
	v_pk_add_f32 v[46:47], v[12:13], v[14:15] neg_lo:[0,1] neg_hi:[0,1]
	v_mov_b32_e32 v17, v12
	v_pk_add_f32 v[12:13], v[46:47], v[16:17] neg_lo:[0,1] neg_hi:[0,1]
	v_cvt_f32_i32_e32 v14, v48
	v_add_f32_e32 v13, v49, v13
	v_add_f32_e32 v12, v12, v13
	;; [unrolled: 1-line block ×4, first 2 shown]
	v_sub_f32_e32 v13, v15, v53
	v_mul_f32_e32 v12, v51, v12
	v_sub_f32_e32 v13, v52, v13
	v_add_f32_e32 v12, v13, v12
	v_add_f32_e32 v16, v15, v12
	v_mul_f32_e32 v46, v16, v16
	v_mov_b32_e32 v13, 0x3ecc95a3
	v_sub_f32_e32 v15, v16, v15
	v_fmac_f32_e32 v13, 0x3e9b6dac, v46
	v_sub_f32_e32 v12, v12, v15
	v_fmaak_f32 v13, v46, v13, 0x3f2aaada
	v_ldexp_f32 v47, v12, 1
	v_mul_f32_e32 v15, v16, v46
	v_mov_b32_e32 v12, 0x3f317218
	v_pk_mul_f32 v[12:13], v[14:15], v[12:13]
	v_ldexp_f32 v17, v16, 1
	v_fma_f32 v15, v14, s3, -v12
	v_fmamk_f32 v16, v14, 0xb102e308, v15
	v_pk_add_f32 v[14:15], v[12:13], v[16:17]
	v_mov_b32_e32 v46, v12
	v_sub_f32_e32 v17, v15, v17
	v_sub_f32_e32 v17, v13, v17
	v_add_f32_e32 v47, v47, v17
	v_pk_add_f32 v[12:13], v[14:15], v[12:13] neg_lo:[0,1] neg_hi:[0,1]
	v_pk_add_f32 v[48:49], v[14:15], v[46:47]
	v_mov_b32_e32 v17, v14
	v_mov_b32_e32 v13, v49
	v_pk_add_f32 v[50:51], v[16:17], v[12:13] neg_lo:[0,1] neg_hi:[0,1]
	v_pk_add_f32 v[12:13], v[16:17], v[12:13]
	v_mov_b32_e32 v46, v47
	v_pk_add_f32 v[16:17], v[12:13], v[14:15] op_sel:[1,0] op_sel_hi:[0,1] neg_lo:[0,1] neg_hi:[0,1]
	v_pk_add_f32 v[52:53], v[48:49], v[16:17] op_sel_hi:[1,0] neg_lo:[0,1] neg_hi:[0,1]
	v_mov_b32_e32 v48, v49
	v_mov_b32_e32 v49, v13
	v_pk_mov_b32 v[16:17], v[14:15], v[16:17] op_sel:[1,0]
	v_mov_b32_e32 v47, v14
	v_pk_add_f32 v[16:17], v[48:49], v[16:17] neg_lo:[0,1] neg_hi:[0,1]
	v_mov_b32_e32 v52, v50
	v_pk_add_f32 v[14:15], v[46:47], v[16:17] neg_lo:[0,1] neg_hi:[0,1]
	v_mov_b32_e32 v51, v13
	v_pk_add_f32 v[16:17], v[52:53], v[14:15]
	s_mov_b32 s3, 0x33800000
	v_pk_add_f32 v[46:47], v[16:17], v[16:17] op_sel:[0,1] op_sel_hi:[1,0]
	s_nop 0
	v_pk_add_f32 v[12:13], v[12:13], v[46:47] op_sel:[1,0] op_sel_hi:[0,1]
	v_mov_b32_e32 v17, v12
	v_pk_add_f32 v[48:49], v[16:17], v[50:51] neg_lo:[0,1] neg_hi:[0,1]
	v_mov_b32_e32 v15, v46
	v_sub_f32_e32 v13, v16, v48
	v_pk_add_f32 v[14:15], v[14:15], v[48:49] neg_lo:[0,1] neg_hi:[0,1]
	v_sub_f32_e32 v13, v50, v13
	v_add_f32_e32 v13, v14, v13
	v_add_f32_e32 v13, v13, v15
	;; [unrolled: 1-line block ×3, first 2 shown]
	v_cndmask_b32_e32 v12, v54, v12, vcc
	v_cmp_lt_f32_e64 vcc, |v11|, s3
	s_nop 1
	v_cndmask_b32_e32 v11, v12, v11, vcc
	v_add_f32_e32 v11, v10, v11
.LBB438_59:
	s_or_b64 exec, exec, s[30:31]
	v_bfe_u32 v10, v11, 16, 1
	s_movk_i32 s3, 0x7fff
	v_add3_u32 v10, v11, v10, s3
	v_cmp_o_f32_e32 vcc, v11, v11
	v_mov_b32_e32 v11, 0x7fc0
	s_nop 0
	v_cndmask_b32_sdwa v12, v11, v10, vcc dst_sel:DWORD dst_unused:UNUSED_PAD src0_sel:DWORD src1_sel:WORD_1
	v_mbcnt_lo_u32_b32 v10, -1, 0
	v_mbcnt_hi_u32_b32 v11, -1, v10
	v_and_b32_e32 v10, 15, v11
	v_and_b32_e32 v13, 0xffff, v12
	v_cmp_ne_u32_e32 vcc, 0, v10
	s_nop 0
	v_mov_b32_dpp v14, v13 row_shr:1 row_mask:0xf bank_mask:0xf
	s_and_saveexec_b64 s[34:35], vcc
	s_cbranch_execz .LBB438_63
; %bb.60:
	v_lshlrev_b32_e32 v14, 16, v14
	v_lshlrev_b32_e32 v12, 16, v13
	v_max_f32_e32 v15, v12, v12
	v_max_f32_e32 v16, v14, v14
	v_min_f32_e32 v13, v16, v15
	v_cmp_u_f32_e32 vcc, v14, v14
	v_max_f32_e32 v15, v16, v15
	v_cmp_u_f32_e64 s[30:31], v12, v12
	v_cndmask_b32_e32 v13, v13, v14, vcc
	v_cndmask_b32_e32 v15, v15, v14, vcc
	v_cndmask_b32_e64 v13, v13, v12, s[30:31]
	v_cndmask_b32_e64 v12, v15, v12, s[30:31]
	s_movk_i32 s3, 0x1f8
	v_cmp_neq_f32_e32 vcc, v13, v12
	v_cmp_class_f32_e64 s[30:31], v13, s3
	s_or_b64 s[44:45], vcc, s[30:31]
	s_and_saveexec_b64 s[30:31], s[44:45]
	s_cbranch_execz .LBB438_62
; %bb.61:
	v_sub_f32_e32 v13, v13, v12
	s_mov_b32 s3, 0x3fb8aa3b
	v_mul_f32_e32 v14, 0x3fb8aa3b, v13
	v_fma_f32 v15, v13, s3, -v14
	v_rndne_f32_e32 v16, v14
	v_fmamk_f32 v15, v13, 0x32a5705f, v15
	v_sub_f32_e32 v14, v14, v16
	v_add_f32_e32 v14, v14, v15
	v_exp_f32_e32 v14, v14
	v_cvt_i32_f32_e32 v15, v16
	s_mov_b32 s3, 0xc2ce8ed0
	v_cmp_ngt_f32_e32 vcc, s3, v13
	s_mov_b32 s3, 0x42b17218
	v_ldexp_f32 v14, v14, v15
	v_cndmask_b32_e32 v14, 0, v14, vcc
	v_mov_b32_e32 v56, 0x7f800000
	v_cmp_nlt_f32_e32 vcc, s3, v13
	s_mov_b32 s3, 0x3f2aaaab
	s_mov_b32 s44, 0x7f800000
	v_cndmask_b32_e32 v13, v56, v14, vcc
	v_add_f32_e32 v16, 1.0, v13
	v_add_f32_e32 v14, -1.0, v16
	v_sub_f32_e32 v15, v14, v16
	v_add_f32_e32 v15, 1.0, v15
	v_sub_f32_e32 v14, v13, v14
	v_add_f32_e32 v17, v14, v15
	v_frexp_mant_f32_e32 v46, v16
	v_cvt_f64_f32_e32 v[14:15], v16
	v_frexp_exp_i32_f64_e32 v14, v[14:15]
	v_cmp_gt_f32_e32 vcc, s3, v46
	s_mov_b32 s3, 0x3f317218
	s_nop 0
	v_subbrev_co_u32_e32 v50, vcc, 0, v14, vcc
	v_sub_u32_e32 v14, 0, v50
	v_ldexp_f32 v15, v16, v14
	v_add_f32_e32 v16, -1.0, v15
	v_add_f32_e32 v46, 1.0, v15
	v_ldexp_f32 v14, v17, v14
	v_add_f32_e32 v17, 1.0, v16
	v_add_f32_e32 v47, -1.0, v46
	v_sub_f32_e32 v17, v15, v17
	v_sub_f32_e32 v15, v15, v47
	v_add_f32_e32 v17, v14, v17
	v_add_f32_e32 v14, v14, v15
	;; [unrolled: 1-line block ×3, first 2 shown]
	v_rcp_f32_e32 v53, v51
	v_sub_f32_e32 v15, v46, v51
	v_add_f32_e32 v52, v14, v15
	v_add_f32_e32 v15, v16, v17
	v_mul_f32_e32 v55, v15, v53
	v_sub_f32_e32 v14, v16, v15
	v_mul_f32_e32 v16, v51, v55
	v_fma_f32 v46, v55, v51, -v16
	v_fmac_f32_e32 v46, v55, v52
	v_add_f32_e32 v54, v17, v14
	v_add_f32_e32 v14, v16, v46
	v_sub_f32_e32 v17, v15, v14
	v_pk_add_f32 v[48:49], v[14:15], v[16:17] neg_lo:[0,1] neg_hi:[0,1]
	v_mov_b32_e32 v47, v14
	v_pk_add_f32 v[14:15], v[48:49], v[46:47] neg_lo:[0,1] neg_hi:[0,1]
	v_cmp_neq_f32_e32 vcc, s44, v13
	v_add_f32_e32 v15, v54, v15
	v_add_f32_e32 v14, v14, v15
	;; [unrolled: 1-line block ×3, first 2 shown]
	v_mul_f32_e32 v54, v53, v15
	v_mul_f32_e32 v16, v51, v54
	v_fma_f32 v46, v54, v51, -v16
	v_fmac_f32_e32 v46, v54, v52
	v_sub_f32_e32 v17, v17, v15
	v_add_f32_e32 v51, v14, v17
	v_add_f32_e32 v14, v16, v46
	v_sub_f32_e32 v17, v15, v14
	v_pk_add_f32 v[48:49], v[14:15], v[16:17] neg_lo:[0,1] neg_hi:[0,1]
	v_mov_b32_e32 v47, v14
	v_pk_add_f32 v[14:15], v[48:49], v[46:47] neg_lo:[0,1] neg_hi:[0,1]
	v_cvt_f32_i32_e32 v16, v50
	v_add_f32_e32 v15, v51, v15
	v_add_f32_e32 v14, v14, v15
	;; [unrolled: 1-line block ×4, first 2 shown]
	v_sub_f32_e32 v15, v17, v55
	v_mul_f32_e32 v14, v53, v14
	v_sub_f32_e32 v15, v54, v15
	v_add_f32_e32 v14, v15, v14
	v_add_f32_e32 v46, v17, v14
	v_mul_f32_e32 v48, v46, v46
	v_mov_b32_e32 v15, 0x3ecc95a3
	v_sub_f32_e32 v17, v46, v17
	v_fmac_f32_e32 v15, 0x3e9b6dac, v48
	v_sub_f32_e32 v14, v14, v17
	v_fmaak_f32 v15, v48, v15, 0x3f2aaada
	v_ldexp_f32 v49, v14, 1
	v_mul_f32_e32 v17, v46, v48
	v_mov_b32_e32 v14, 0x3f317218
	v_pk_mul_f32 v[14:15], v[16:17], v[14:15]
	v_ldexp_f32 v47, v46, 1
	v_fma_f32 v17, v16, s3, -v14
	v_fmamk_f32 v46, v16, 0xb102e308, v17
	v_pk_add_f32 v[16:17], v[14:15], v[46:47]
	v_mov_b32_e32 v48, v14
	v_sub_f32_e32 v47, v17, v47
	v_sub_f32_e32 v47, v15, v47
	v_add_f32_e32 v49, v49, v47
	v_pk_add_f32 v[14:15], v[16:17], v[14:15] neg_lo:[0,1] neg_hi:[0,1]
	v_pk_add_f32 v[50:51], v[16:17], v[48:49]
	v_mov_b32_e32 v47, v16
	v_mov_b32_e32 v15, v51
	v_pk_add_f32 v[52:53], v[46:47], v[14:15] neg_lo:[0,1] neg_hi:[0,1]
	v_pk_add_f32 v[14:15], v[46:47], v[14:15]
	v_mov_b32_e32 v48, v49
	v_pk_add_f32 v[46:47], v[14:15], v[16:17] op_sel:[1,0] op_sel_hi:[0,1] neg_lo:[0,1] neg_hi:[0,1]
	v_pk_add_f32 v[54:55], v[50:51], v[46:47] op_sel_hi:[1,0] neg_lo:[0,1] neg_hi:[0,1]
	v_mov_b32_e32 v50, v51
	v_mov_b32_e32 v51, v15
	v_pk_mov_b32 v[46:47], v[16:17], v[46:47] op_sel:[1,0]
	v_mov_b32_e32 v49, v16
	v_pk_add_f32 v[46:47], v[50:51], v[46:47] neg_lo:[0,1] neg_hi:[0,1]
	v_mov_b32_e32 v54, v52
	v_pk_add_f32 v[16:17], v[48:49], v[46:47] neg_lo:[0,1] neg_hi:[0,1]
	v_mov_b32_e32 v53, v15
	v_pk_add_f32 v[46:47], v[54:55], v[16:17]
	s_mov_b32 s3, 0x33800000
	v_pk_add_f32 v[48:49], v[46:47], v[46:47] op_sel:[0,1] op_sel_hi:[1,0]
	s_nop 0
	v_pk_add_f32 v[14:15], v[14:15], v[48:49] op_sel:[1,0] op_sel_hi:[0,1]
	v_mov_b32_e32 v47, v14
	v_pk_add_f32 v[50:51], v[46:47], v[52:53] neg_lo:[0,1] neg_hi:[0,1]
	v_mov_b32_e32 v17, v48
	v_sub_f32_e32 v15, v46, v50
	v_pk_add_f32 v[16:17], v[16:17], v[50:51] neg_lo:[0,1] neg_hi:[0,1]
	v_sub_f32_e32 v15, v52, v15
	v_add_f32_e32 v15, v16, v15
	v_add_f32_e32 v15, v15, v17
	;; [unrolled: 1-line block ×3, first 2 shown]
	v_cndmask_b32_e32 v14, v56, v14, vcc
	v_cmp_lt_f32_e64 vcc, |v13|, s3
	s_nop 1
	v_cndmask_b32_e32 v13, v14, v13, vcc
	v_add_f32_e32 v14, v12, v13
.LBB438_62:
	s_or_b64 exec, exec, s[30:31]
	v_bfe_u32 v12, v14, 16, 1
	s_movk_i32 s3, 0x7fff
	v_add3_u32 v12, v14, v12, s3
	v_cmp_o_f32_e32 vcc, v14, v14
	v_mov_b32_e32 v13, 0x7fc0
	s_nop 0
	v_cndmask_b32_sdwa v12, v13, v12, vcc dst_sel:DWORD dst_unused:UNUSED_PAD src0_sel:DWORD src1_sel:WORD_1
	v_and_b32_e32 v13, 0xffff, v12
.LBB438_63:
	s_or_b64 exec, exec, s[34:35]
	s_nop 0
	v_mov_b32_dpp v14, v13 row_shr:2 row_mask:0xf bank_mask:0xf
	v_cmp_lt_u32_e32 vcc, 1, v10
	s_and_saveexec_b64 s[34:35], vcc
	s_cbranch_execz .LBB438_67
; %bb.64:
	v_lshlrev_b32_e32 v14, 16, v14
	v_lshlrev_b32_e32 v12, 16, v13
	v_max_f32_e32 v15, v12, v12
	v_max_f32_e32 v16, v14, v14
	v_min_f32_e32 v13, v16, v15
	v_cmp_u_f32_e32 vcc, v14, v14
	v_max_f32_e32 v15, v16, v15
	v_cmp_u_f32_e64 s[30:31], v12, v12
	v_cndmask_b32_e32 v13, v13, v14, vcc
	v_cndmask_b32_e32 v15, v15, v14, vcc
	v_cndmask_b32_e64 v13, v13, v12, s[30:31]
	v_cndmask_b32_e64 v12, v15, v12, s[30:31]
	s_movk_i32 s3, 0x1f8
	v_cmp_neq_f32_e32 vcc, v13, v12
	v_cmp_class_f32_e64 s[30:31], v13, s3
	s_or_b64 s[44:45], vcc, s[30:31]
	s_and_saveexec_b64 s[30:31], s[44:45]
	s_cbranch_execz .LBB438_66
; %bb.65:
	v_sub_f32_e32 v13, v13, v12
	s_mov_b32 s3, 0x3fb8aa3b
	v_mul_f32_e32 v14, 0x3fb8aa3b, v13
	v_fma_f32 v15, v13, s3, -v14
	v_rndne_f32_e32 v16, v14
	v_fmamk_f32 v15, v13, 0x32a5705f, v15
	v_sub_f32_e32 v14, v14, v16
	v_add_f32_e32 v14, v14, v15
	v_exp_f32_e32 v14, v14
	v_cvt_i32_f32_e32 v15, v16
	s_mov_b32 s3, 0xc2ce8ed0
	v_cmp_ngt_f32_e32 vcc, s3, v13
	s_mov_b32 s3, 0x42b17218
	v_ldexp_f32 v14, v14, v15
	v_cndmask_b32_e32 v14, 0, v14, vcc
	v_mov_b32_e32 v56, 0x7f800000
	v_cmp_nlt_f32_e32 vcc, s3, v13
	s_mov_b32 s3, 0x3f2aaaab
	s_mov_b32 s44, 0x7f800000
	v_cndmask_b32_e32 v13, v56, v14, vcc
	v_add_f32_e32 v16, 1.0, v13
	v_add_f32_e32 v14, -1.0, v16
	v_sub_f32_e32 v15, v14, v16
	v_add_f32_e32 v15, 1.0, v15
	v_sub_f32_e32 v14, v13, v14
	v_add_f32_e32 v17, v14, v15
	v_frexp_mant_f32_e32 v46, v16
	v_cvt_f64_f32_e32 v[14:15], v16
	v_frexp_exp_i32_f64_e32 v14, v[14:15]
	v_cmp_gt_f32_e32 vcc, s3, v46
	s_mov_b32 s3, 0x3f317218
	s_nop 0
	v_subbrev_co_u32_e32 v50, vcc, 0, v14, vcc
	v_sub_u32_e32 v14, 0, v50
	v_ldexp_f32 v15, v16, v14
	v_add_f32_e32 v16, -1.0, v15
	v_add_f32_e32 v46, 1.0, v15
	v_ldexp_f32 v14, v17, v14
	v_add_f32_e32 v17, 1.0, v16
	v_add_f32_e32 v47, -1.0, v46
	v_sub_f32_e32 v17, v15, v17
	v_sub_f32_e32 v15, v15, v47
	v_add_f32_e32 v17, v14, v17
	v_add_f32_e32 v14, v14, v15
	;; [unrolled: 1-line block ×3, first 2 shown]
	v_rcp_f32_e32 v53, v51
	v_sub_f32_e32 v15, v46, v51
	v_add_f32_e32 v52, v14, v15
	v_add_f32_e32 v15, v16, v17
	v_mul_f32_e32 v55, v15, v53
	v_sub_f32_e32 v14, v16, v15
	v_mul_f32_e32 v16, v51, v55
	v_fma_f32 v46, v55, v51, -v16
	v_fmac_f32_e32 v46, v55, v52
	v_add_f32_e32 v54, v17, v14
	v_add_f32_e32 v14, v16, v46
	v_sub_f32_e32 v17, v15, v14
	v_pk_add_f32 v[48:49], v[14:15], v[16:17] neg_lo:[0,1] neg_hi:[0,1]
	v_mov_b32_e32 v47, v14
	v_pk_add_f32 v[14:15], v[48:49], v[46:47] neg_lo:[0,1] neg_hi:[0,1]
	v_cmp_neq_f32_e32 vcc, s44, v13
	v_add_f32_e32 v15, v54, v15
	v_add_f32_e32 v14, v14, v15
	v_add_f32_e32 v15, v17, v14
	v_mul_f32_e32 v54, v53, v15
	v_mul_f32_e32 v16, v51, v54
	v_fma_f32 v46, v54, v51, -v16
	v_fmac_f32_e32 v46, v54, v52
	v_sub_f32_e32 v17, v17, v15
	v_add_f32_e32 v51, v14, v17
	v_add_f32_e32 v14, v16, v46
	v_sub_f32_e32 v17, v15, v14
	v_pk_add_f32 v[48:49], v[14:15], v[16:17] neg_lo:[0,1] neg_hi:[0,1]
	v_mov_b32_e32 v47, v14
	v_pk_add_f32 v[14:15], v[48:49], v[46:47] neg_lo:[0,1] neg_hi:[0,1]
	v_cvt_f32_i32_e32 v16, v50
	v_add_f32_e32 v15, v51, v15
	v_add_f32_e32 v14, v14, v15
	;; [unrolled: 1-line block ×4, first 2 shown]
	v_sub_f32_e32 v15, v17, v55
	v_mul_f32_e32 v14, v53, v14
	v_sub_f32_e32 v15, v54, v15
	v_add_f32_e32 v14, v15, v14
	v_add_f32_e32 v46, v17, v14
	v_mul_f32_e32 v48, v46, v46
	v_mov_b32_e32 v15, 0x3ecc95a3
	v_sub_f32_e32 v17, v46, v17
	v_fmac_f32_e32 v15, 0x3e9b6dac, v48
	v_sub_f32_e32 v14, v14, v17
	v_fmaak_f32 v15, v48, v15, 0x3f2aaada
	v_ldexp_f32 v49, v14, 1
	v_mul_f32_e32 v17, v46, v48
	v_mov_b32_e32 v14, 0x3f317218
	v_pk_mul_f32 v[14:15], v[16:17], v[14:15]
	v_ldexp_f32 v47, v46, 1
	v_fma_f32 v17, v16, s3, -v14
	v_fmamk_f32 v46, v16, 0xb102e308, v17
	v_pk_add_f32 v[16:17], v[14:15], v[46:47]
	v_mov_b32_e32 v48, v14
	v_sub_f32_e32 v47, v17, v47
	v_sub_f32_e32 v47, v15, v47
	v_add_f32_e32 v49, v49, v47
	v_pk_add_f32 v[14:15], v[16:17], v[14:15] neg_lo:[0,1] neg_hi:[0,1]
	v_pk_add_f32 v[50:51], v[16:17], v[48:49]
	v_mov_b32_e32 v47, v16
	v_mov_b32_e32 v15, v51
	v_pk_add_f32 v[52:53], v[46:47], v[14:15] neg_lo:[0,1] neg_hi:[0,1]
	v_pk_add_f32 v[14:15], v[46:47], v[14:15]
	v_mov_b32_e32 v48, v49
	v_pk_add_f32 v[46:47], v[14:15], v[16:17] op_sel:[1,0] op_sel_hi:[0,1] neg_lo:[0,1] neg_hi:[0,1]
	v_pk_add_f32 v[54:55], v[50:51], v[46:47] op_sel_hi:[1,0] neg_lo:[0,1] neg_hi:[0,1]
	v_mov_b32_e32 v50, v51
	v_mov_b32_e32 v51, v15
	v_pk_mov_b32 v[46:47], v[16:17], v[46:47] op_sel:[1,0]
	v_mov_b32_e32 v49, v16
	v_pk_add_f32 v[46:47], v[50:51], v[46:47] neg_lo:[0,1] neg_hi:[0,1]
	v_mov_b32_e32 v54, v52
	v_pk_add_f32 v[16:17], v[48:49], v[46:47] neg_lo:[0,1] neg_hi:[0,1]
	v_mov_b32_e32 v53, v15
	v_pk_add_f32 v[46:47], v[54:55], v[16:17]
	s_mov_b32 s3, 0x33800000
	v_pk_add_f32 v[48:49], v[46:47], v[46:47] op_sel:[0,1] op_sel_hi:[1,0]
	s_nop 0
	v_pk_add_f32 v[14:15], v[14:15], v[48:49] op_sel:[1,0] op_sel_hi:[0,1]
	v_mov_b32_e32 v47, v14
	v_pk_add_f32 v[50:51], v[46:47], v[52:53] neg_lo:[0,1] neg_hi:[0,1]
	v_mov_b32_e32 v17, v48
	v_sub_f32_e32 v15, v46, v50
	v_pk_add_f32 v[16:17], v[16:17], v[50:51] neg_lo:[0,1] neg_hi:[0,1]
	v_sub_f32_e32 v15, v52, v15
	v_add_f32_e32 v15, v16, v15
	v_add_f32_e32 v15, v15, v17
	v_add_f32_e32 v14, v14, v15
	v_cndmask_b32_e32 v14, v56, v14, vcc
	v_cmp_lt_f32_e64 vcc, |v13|, s3
	s_nop 1
	v_cndmask_b32_e32 v13, v14, v13, vcc
	v_add_f32_e32 v14, v12, v13
.LBB438_66:
	s_or_b64 exec, exec, s[30:31]
	v_bfe_u32 v12, v14, 16, 1
	s_movk_i32 s3, 0x7fff
	v_add3_u32 v12, v14, v12, s3
	v_cmp_o_f32_e32 vcc, v14, v14
	v_mov_b32_e32 v13, 0x7fc0
	s_nop 0
	v_cndmask_b32_sdwa v12, v13, v12, vcc dst_sel:DWORD dst_unused:UNUSED_PAD src0_sel:DWORD src1_sel:WORD_1
	v_and_b32_e32 v13, 0xffff, v12
.LBB438_67:
	s_or_b64 exec, exec, s[34:35]
	s_nop 0
	v_mov_b32_dpp v14, v13 row_shr:4 row_mask:0xf bank_mask:0xf
	v_cmp_lt_u32_e32 vcc, 3, v10
	s_and_saveexec_b64 s[34:35], vcc
	s_cbranch_execz .LBB438_71
; %bb.68:
	v_lshlrev_b32_e32 v14, 16, v14
	v_lshlrev_b32_e32 v12, 16, v13
	v_max_f32_e32 v15, v12, v12
	v_max_f32_e32 v16, v14, v14
	v_min_f32_e32 v13, v16, v15
	v_cmp_u_f32_e32 vcc, v14, v14
	v_max_f32_e32 v15, v16, v15
	v_cmp_u_f32_e64 s[30:31], v12, v12
	v_cndmask_b32_e32 v13, v13, v14, vcc
	v_cndmask_b32_e32 v15, v15, v14, vcc
	v_cndmask_b32_e64 v13, v13, v12, s[30:31]
	v_cndmask_b32_e64 v12, v15, v12, s[30:31]
	s_movk_i32 s3, 0x1f8
	v_cmp_neq_f32_e32 vcc, v13, v12
	v_cmp_class_f32_e64 s[30:31], v13, s3
	s_or_b64 s[44:45], vcc, s[30:31]
	s_and_saveexec_b64 s[30:31], s[44:45]
	s_cbranch_execz .LBB438_70
; %bb.69:
	v_sub_f32_e32 v13, v13, v12
	s_mov_b32 s3, 0x3fb8aa3b
	v_mul_f32_e32 v14, 0x3fb8aa3b, v13
	v_fma_f32 v15, v13, s3, -v14
	v_rndne_f32_e32 v16, v14
	v_fmamk_f32 v15, v13, 0x32a5705f, v15
	v_sub_f32_e32 v14, v14, v16
	v_add_f32_e32 v14, v14, v15
	v_exp_f32_e32 v14, v14
	v_cvt_i32_f32_e32 v15, v16
	s_mov_b32 s3, 0xc2ce8ed0
	v_cmp_ngt_f32_e32 vcc, s3, v13
	s_mov_b32 s3, 0x42b17218
	v_ldexp_f32 v14, v14, v15
	v_cndmask_b32_e32 v14, 0, v14, vcc
	v_mov_b32_e32 v56, 0x7f800000
	v_cmp_nlt_f32_e32 vcc, s3, v13
	s_mov_b32 s3, 0x3f2aaaab
	s_mov_b32 s44, 0x7f800000
	v_cndmask_b32_e32 v13, v56, v14, vcc
	v_add_f32_e32 v16, 1.0, v13
	v_add_f32_e32 v14, -1.0, v16
	v_sub_f32_e32 v15, v14, v16
	v_add_f32_e32 v15, 1.0, v15
	v_sub_f32_e32 v14, v13, v14
	v_add_f32_e32 v17, v14, v15
	v_frexp_mant_f32_e32 v46, v16
	v_cvt_f64_f32_e32 v[14:15], v16
	v_frexp_exp_i32_f64_e32 v14, v[14:15]
	v_cmp_gt_f32_e32 vcc, s3, v46
	s_mov_b32 s3, 0x3f317218
	s_nop 0
	v_subbrev_co_u32_e32 v50, vcc, 0, v14, vcc
	v_sub_u32_e32 v14, 0, v50
	v_ldexp_f32 v15, v16, v14
	v_add_f32_e32 v16, -1.0, v15
	v_add_f32_e32 v46, 1.0, v15
	v_ldexp_f32 v14, v17, v14
	v_add_f32_e32 v17, 1.0, v16
	v_add_f32_e32 v47, -1.0, v46
	v_sub_f32_e32 v17, v15, v17
	v_sub_f32_e32 v15, v15, v47
	v_add_f32_e32 v17, v14, v17
	v_add_f32_e32 v14, v14, v15
	;; [unrolled: 1-line block ×3, first 2 shown]
	v_rcp_f32_e32 v53, v51
	v_sub_f32_e32 v15, v46, v51
	v_add_f32_e32 v52, v14, v15
	v_add_f32_e32 v15, v16, v17
	v_mul_f32_e32 v55, v15, v53
	v_sub_f32_e32 v14, v16, v15
	v_mul_f32_e32 v16, v51, v55
	v_fma_f32 v46, v55, v51, -v16
	v_fmac_f32_e32 v46, v55, v52
	v_add_f32_e32 v54, v17, v14
	v_add_f32_e32 v14, v16, v46
	v_sub_f32_e32 v17, v15, v14
	v_pk_add_f32 v[48:49], v[14:15], v[16:17] neg_lo:[0,1] neg_hi:[0,1]
	v_mov_b32_e32 v47, v14
	v_pk_add_f32 v[14:15], v[48:49], v[46:47] neg_lo:[0,1] neg_hi:[0,1]
	v_cmp_neq_f32_e32 vcc, s44, v13
	v_add_f32_e32 v15, v54, v15
	v_add_f32_e32 v14, v14, v15
	;; [unrolled: 1-line block ×3, first 2 shown]
	v_mul_f32_e32 v54, v53, v15
	v_mul_f32_e32 v16, v51, v54
	v_fma_f32 v46, v54, v51, -v16
	v_fmac_f32_e32 v46, v54, v52
	v_sub_f32_e32 v17, v17, v15
	v_add_f32_e32 v51, v14, v17
	v_add_f32_e32 v14, v16, v46
	v_sub_f32_e32 v17, v15, v14
	v_pk_add_f32 v[48:49], v[14:15], v[16:17] neg_lo:[0,1] neg_hi:[0,1]
	v_mov_b32_e32 v47, v14
	v_pk_add_f32 v[14:15], v[48:49], v[46:47] neg_lo:[0,1] neg_hi:[0,1]
	v_cvt_f32_i32_e32 v16, v50
	v_add_f32_e32 v15, v51, v15
	v_add_f32_e32 v14, v14, v15
	v_add_f32_e32 v14, v17, v14
	v_add_f32_e32 v17, v55, v54
	v_sub_f32_e32 v15, v17, v55
	v_mul_f32_e32 v14, v53, v14
	v_sub_f32_e32 v15, v54, v15
	v_add_f32_e32 v14, v15, v14
	v_add_f32_e32 v46, v17, v14
	v_mul_f32_e32 v48, v46, v46
	v_mov_b32_e32 v15, 0x3ecc95a3
	v_sub_f32_e32 v17, v46, v17
	v_fmac_f32_e32 v15, 0x3e9b6dac, v48
	v_sub_f32_e32 v14, v14, v17
	v_fmaak_f32 v15, v48, v15, 0x3f2aaada
	v_ldexp_f32 v49, v14, 1
	v_mul_f32_e32 v17, v46, v48
	v_mov_b32_e32 v14, 0x3f317218
	v_pk_mul_f32 v[14:15], v[16:17], v[14:15]
	v_ldexp_f32 v47, v46, 1
	v_fma_f32 v17, v16, s3, -v14
	v_fmamk_f32 v46, v16, 0xb102e308, v17
	v_pk_add_f32 v[16:17], v[14:15], v[46:47]
	v_mov_b32_e32 v48, v14
	v_sub_f32_e32 v47, v17, v47
	v_sub_f32_e32 v47, v15, v47
	v_add_f32_e32 v49, v49, v47
	v_pk_add_f32 v[14:15], v[16:17], v[14:15] neg_lo:[0,1] neg_hi:[0,1]
	v_pk_add_f32 v[50:51], v[16:17], v[48:49]
	v_mov_b32_e32 v47, v16
	v_mov_b32_e32 v15, v51
	v_pk_add_f32 v[52:53], v[46:47], v[14:15] neg_lo:[0,1] neg_hi:[0,1]
	v_pk_add_f32 v[14:15], v[46:47], v[14:15]
	v_mov_b32_e32 v48, v49
	v_pk_add_f32 v[46:47], v[14:15], v[16:17] op_sel:[1,0] op_sel_hi:[0,1] neg_lo:[0,1] neg_hi:[0,1]
	v_pk_add_f32 v[54:55], v[50:51], v[46:47] op_sel_hi:[1,0] neg_lo:[0,1] neg_hi:[0,1]
	v_mov_b32_e32 v50, v51
	v_mov_b32_e32 v51, v15
	v_pk_mov_b32 v[46:47], v[16:17], v[46:47] op_sel:[1,0]
	v_mov_b32_e32 v49, v16
	v_pk_add_f32 v[46:47], v[50:51], v[46:47] neg_lo:[0,1] neg_hi:[0,1]
	v_mov_b32_e32 v54, v52
	v_pk_add_f32 v[16:17], v[48:49], v[46:47] neg_lo:[0,1] neg_hi:[0,1]
	v_mov_b32_e32 v53, v15
	v_pk_add_f32 v[46:47], v[54:55], v[16:17]
	s_mov_b32 s3, 0x33800000
	v_pk_add_f32 v[48:49], v[46:47], v[46:47] op_sel:[0,1] op_sel_hi:[1,0]
	s_nop 0
	v_pk_add_f32 v[14:15], v[14:15], v[48:49] op_sel:[1,0] op_sel_hi:[0,1]
	v_mov_b32_e32 v47, v14
	v_pk_add_f32 v[50:51], v[46:47], v[52:53] neg_lo:[0,1] neg_hi:[0,1]
	v_mov_b32_e32 v17, v48
	v_sub_f32_e32 v15, v46, v50
	v_pk_add_f32 v[16:17], v[16:17], v[50:51] neg_lo:[0,1] neg_hi:[0,1]
	v_sub_f32_e32 v15, v52, v15
	v_add_f32_e32 v15, v16, v15
	v_add_f32_e32 v15, v15, v17
	;; [unrolled: 1-line block ×3, first 2 shown]
	v_cndmask_b32_e32 v14, v56, v14, vcc
	v_cmp_lt_f32_e64 vcc, |v13|, s3
	s_nop 1
	v_cndmask_b32_e32 v13, v14, v13, vcc
	v_add_f32_e32 v14, v12, v13
.LBB438_70:
	s_or_b64 exec, exec, s[30:31]
	v_bfe_u32 v12, v14, 16, 1
	s_movk_i32 s3, 0x7fff
	v_add3_u32 v12, v14, v12, s3
	v_cmp_o_f32_e32 vcc, v14, v14
	v_mov_b32_e32 v13, 0x7fc0
	s_nop 0
	v_cndmask_b32_sdwa v12, v13, v12, vcc dst_sel:DWORD dst_unused:UNUSED_PAD src0_sel:DWORD src1_sel:WORD_1
	v_and_b32_e32 v13, 0xffff, v12
.LBB438_71:
	s_or_b64 exec, exec, s[34:35]
	s_nop 0
	v_mov_b32_dpp v14, v13 row_shr:8 row_mask:0xf bank_mask:0xf
	v_cmp_lt_u32_e32 vcc, 7, v10
	s_and_saveexec_b64 s[34:35], vcc
	s_cbranch_execz .LBB438_75
; %bb.72:
	v_lshlrev_b32_e32 v12, 16, v14
	v_lshlrev_b32_e32 v10, 16, v13
	v_max_f32_e32 v14, v10, v10
	v_max_f32_e32 v15, v12, v12
	v_min_f32_e32 v13, v15, v14
	v_cmp_u_f32_e32 vcc, v12, v12
	v_max_f32_e32 v14, v15, v14
	v_cmp_u_f32_e64 s[30:31], v10, v10
	v_cndmask_b32_e32 v13, v13, v12, vcc
	v_cndmask_b32_e32 v14, v14, v12, vcc
	v_cndmask_b32_e64 v13, v13, v10, s[30:31]
	v_cndmask_b32_e64 v10, v14, v10, s[30:31]
	s_movk_i32 s3, 0x1f8
	v_cmp_neq_f32_e32 vcc, v13, v10
	v_cmp_class_f32_e64 s[30:31], v13, s3
	s_or_b64 s[44:45], vcc, s[30:31]
	s_and_saveexec_b64 s[30:31], s[44:45]
	s_cbranch_execz .LBB438_74
; %bb.73:
	v_sub_f32_e32 v12, v13, v10
	s_mov_b32 s3, 0x3fb8aa3b
	v_mul_f32_e32 v13, 0x3fb8aa3b, v12
	v_fma_f32 v14, v12, s3, -v13
	v_rndne_f32_e32 v15, v13
	v_fmamk_f32 v14, v12, 0x32a5705f, v14
	v_sub_f32_e32 v13, v13, v15
	v_add_f32_e32 v13, v13, v14
	v_exp_f32_e32 v13, v13
	v_cvt_i32_f32_e32 v14, v15
	s_mov_b32 s3, 0xc2ce8ed0
	v_cmp_ngt_f32_e32 vcc, s3, v12
	s_mov_b32 s3, 0x42b17218
	v_ldexp_f32 v13, v13, v14
	v_cndmask_b32_e32 v13, 0, v13, vcc
	v_mov_b32_e32 v54, 0x7f800000
	v_cmp_nlt_f32_e32 vcc, s3, v12
	s_mov_b32 s3, 0x3f2aaaab
	s_mov_b32 s44, 0x7f800000
	v_cndmask_b32_e32 v55, v54, v13, vcc
	v_add_f32_e32 v14, 1.0, v55
	v_add_f32_e32 v12, -1.0, v14
	v_sub_f32_e32 v13, v12, v14
	v_add_f32_e32 v13, 1.0, v13
	v_sub_f32_e32 v12, v55, v12
	v_add_f32_e32 v15, v12, v13
	v_frexp_mant_f32_e32 v16, v14
	v_cvt_f64_f32_e32 v[12:13], v14
	v_frexp_exp_i32_f64_e32 v12, v[12:13]
	v_cmp_gt_f32_e32 vcc, s3, v16
	s_mov_b32 s3, 0x3f317218
	s_nop 0
	v_subbrev_co_u32_e32 v48, vcc, 0, v12, vcc
	v_sub_u32_e32 v12, 0, v48
	v_ldexp_f32 v13, v14, v12
	v_add_f32_e32 v14, -1.0, v13
	v_add_f32_e32 v16, 1.0, v13
	v_ldexp_f32 v12, v15, v12
	v_add_f32_e32 v15, 1.0, v14
	v_add_f32_e32 v17, -1.0, v16
	v_sub_f32_e32 v15, v13, v15
	v_sub_f32_e32 v13, v13, v17
	v_add_f32_e32 v15, v12, v15
	v_add_f32_e32 v12, v12, v13
	;; [unrolled: 1-line block ×3, first 2 shown]
	v_rcp_f32_e32 v51, v49
	v_sub_f32_e32 v13, v16, v49
	v_add_f32_e32 v50, v12, v13
	v_add_f32_e32 v13, v14, v15
	v_mul_f32_e32 v53, v13, v51
	v_sub_f32_e32 v12, v14, v13
	v_mul_f32_e32 v14, v49, v53
	v_fma_f32 v16, v53, v49, -v14
	v_fmac_f32_e32 v16, v53, v50
	v_add_f32_e32 v52, v15, v12
	v_add_f32_e32 v12, v14, v16
	v_sub_f32_e32 v15, v13, v12
	v_pk_add_f32 v[46:47], v[12:13], v[14:15] neg_lo:[0,1] neg_hi:[0,1]
	v_mov_b32_e32 v17, v12
	v_pk_add_f32 v[12:13], v[46:47], v[16:17] neg_lo:[0,1] neg_hi:[0,1]
	v_cmp_neq_f32_e32 vcc, s44, v55
	v_add_f32_e32 v13, v52, v13
	v_add_f32_e32 v12, v12, v13
	;; [unrolled: 1-line block ×3, first 2 shown]
	v_mul_f32_e32 v52, v51, v13
	v_mul_f32_e32 v14, v49, v52
	v_fma_f32 v16, v52, v49, -v14
	v_fmac_f32_e32 v16, v52, v50
	v_sub_f32_e32 v15, v15, v13
	v_add_f32_e32 v49, v12, v15
	v_add_f32_e32 v12, v14, v16
	v_sub_f32_e32 v15, v13, v12
	v_pk_add_f32 v[46:47], v[12:13], v[14:15] neg_lo:[0,1] neg_hi:[0,1]
	v_mov_b32_e32 v17, v12
	v_pk_add_f32 v[12:13], v[46:47], v[16:17] neg_lo:[0,1] neg_hi:[0,1]
	v_cvt_f32_i32_e32 v14, v48
	v_add_f32_e32 v13, v49, v13
	v_add_f32_e32 v12, v12, v13
	;; [unrolled: 1-line block ×4, first 2 shown]
	v_sub_f32_e32 v13, v15, v53
	v_mul_f32_e32 v12, v51, v12
	v_sub_f32_e32 v13, v52, v13
	v_add_f32_e32 v12, v13, v12
	v_add_f32_e32 v16, v15, v12
	v_mul_f32_e32 v46, v16, v16
	v_mov_b32_e32 v13, 0x3ecc95a3
	v_sub_f32_e32 v15, v16, v15
	v_fmac_f32_e32 v13, 0x3e9b6dac, v46
	v_sub_f32_e32 v12, v12, v15
	v_fmaak_f32 v13, v46, v13, 0x3f2aaada
	v_ldexp_f32 v47, v12, 1
	v_mul_f32_e32 v15, v16, v46
	v_mov_b32_e32 v12, 0x3f317218
	v_pk_mul_f32 v[12:13], v[14:15], v[12:13]
	v_ldexp_f32 v17, v16, 1
	v_fma_f32 v15, v14, s3, -v12
	v_fmamk_f32 v16, v14, 0xb102e308, v15
	v_pk_add_f32 v[14:15], v[12:13], v[16:17]
	v_mov_b32_e32 v46, v12
	v_sub_f32_e32 v17, v15, v17
	v_sub_f32_e32 v17, v13, v17
	v_add_f32_e32 v47, v47, v17
	v_pk_add_f32 v[12:13], v[14:15], v[12:13] neg_lo:[0,1] neg_hi:[0,1]
	v_pk_add_f32 v[48:49], v[14:15], v[46:47]
	v_mov_b32_e32 v17, v14
	v_mov_b32_e32 v13, v49
	v_pk_add_f32 v[50:51], v[16:17], v[12:13] neg_lo:[0,1] neg_hi:[0,1]
	v_pk_add_f32 v[12:13], v[16:17], v[12:13]
	v_mov_b32_e32 v46, v47
	v_pk_add_f32 v[16:17], v[12:13], v[14:15] op_sel:[1,0] op_sel_hi:[0,1] neg_lo:[0,1] neg_hi:[0,1]
	v_pk_add_f32 v[52:53], v[48:49], v[16:17] op_sel_hi:[1,0] neg_lo:[0,1] neg_hi:[0,1]
	v_mov_b32_e32 v48, v49
	v_mov_b32_e32 v49, v13
	v_pk_mov_b32 v[16:17], v[14:15], v[16:17] op_sel:[1,0]
	v_mov_b32_e32 v47, v14
	v_pk_add_f32 v[16:17], v[48:49], v[16:17] neg_lo:[0,1] neg_hi:[0,1]
	v_mov_b32_e32 v52, v50
	v_pk_add_f32 v[14:15], v[46:47], v[16:17] neg_lo:[0,1] neg_hi:[0,1]
	v_mov_b32_e32 v51, v13
	v_pk_add_f32 v[16:17], v[52:53], v[14:15]
	s_mov_b32 s3, 0x33800000
	v_pk_add_f32 v[46:47], v[16:17], v[16:17] op_sel:[0,1] op_sel_hi:[1,0]
	s_nop 0
	v_pk_add_f32 v[12:13], v[12:13], v[46:47] op_sel:[1,0] op_sel_hi:[0,1]
	v_mov_b32_e32 v17, v12
	v_pk_add_f32 v[48:49], v[16:17], v[50:51] neg_lo:[0,1] neg_hi:[0,1]
	v_mov_b32_e32 v15, v46
	v_sub_f32_e32 v13, v16, v48
	v_pk_add_f32 v[14:15], v[14:15], v[48:49] neg_lo:[0,1] neg_hi:[0,1]
	v_sub_f32_e32 v13, v50, v13
	v_add_f32_e32 v13, v14, v13
	v_add_f32_e32 v13, v13, v15
	;; [unrolled: 1-line block ×3, first 2 shown]
	v_cndmask_b32_e32 v12, v54, v12, vcc
	v_cmp_lt_f32_e64 vcc, |v55|, s3
	s_nop 1
	v_cndmask_b32_e32 v12, v12, v55, vcc
	v_add_f32_e32 v12, v10, v12
.LBB438_74:
	s_or_b64 exec, exec, s[30:31]
	v_bfe_u32 v10, v12, 16, 1
	s_movk_i32 s3, 0x7fff
	v_add3_u32 v10, v12, v10, s3
	v_cmp_o_f32_e32 vcc, v12, v12
	v_mov_b32_e32 v12, 0x7fc0
	s_nop 0
	v_cndmask_b32_sdwa v12, v12, v10, vcc dst_sel:DWORD dst_unused:UNUSED_PAD src0_sel:DWORD src1_sel:WORD_1
	v_and_b32_e32 v13, 0xffff, v12
.LBB438_75:
	s_or_b64 exec, exec, s[34:35]
	v_and_b32_e32 v14, 16, v11
	v_mov_b32_dpp v10, v13 row_bcast:15 row_mask:0xf bank_mask:0xf
	v_cmp_ne_u32_e32 vcc, 0, v14
	s_and_saveexec_b64 s[34:35], vcc
	s_cbranch_execz .LBB438_79
; %bb.76:
	v_lshlrev_b32_e32 v12, 16, v10
	v_lshlrev_b32_e32 v10, 16, v13
	v_max_f32_e32 v14, v10, v10
	v_max_f32_e32 v15, v12, v12
	v_min_f32_e32 v13, v15, v14
	v_cmp_u_f32_e32 vcc, v12, v12
	v_max_f32_e32 v14, v15, v14
	v_cmp_u_f32_e64 s[30:31], v10, v10
	v_cndmask_b32_e32 v13, v13, v12, vcc
	v_cndmask_b32_e32 v14, v14, v12, vcc
	v_cndmask_b32_e64 v13, v13, v10, s[30:31]
	v_cndmask_b32_e64 v10, v14, v10, s[30:31]
	s_movk_i32 s3, 0x1f8
	v_cmp_neq_f32_e32 vcc, v13, v10
	v_cmp_class_f32_e64 s[30:31], v13, s3
	s_or_b64 s[44:45], vcc, s[30:31]
	s_and_saveexec_b64 s[30:31], s[44:45]
	s_cbranch_execz .LBB438_78
; %bb.77:
	v_sub_f32_e32 v12, v13, v10
	s_mov_b32 s3, 0x3fb8aa3b
	v_mul_f32_e32 v13, 0x3fb8aa3b, v12
	v_fma_f32 v14, v12, s3, -v13
	v_rndne_f32_e32 v15, v13
	v_fmamk_f32 v14, v12, 0x32a5705f, v14
	v_sub_f32_e32 v13, v13, v15
	v_add_f32_e32 v13, v13, v14
	v_exp_f32_e32 v13, v13
	v_cvt_i32_f32_e32 v14, v15
	s_mov_b32 s3, 0xc2ce8ed0
	v_cmp_ngt_f32_e32 vcc, s3, v12
	s_mov_b32 s3, 0x42b17218
	v_ldexp_f32 v13, v13, v14
	v_cndmask_b32_e32 v13, 0, v13, vcc
	v_mov_b32_e32 v54, 0x7f800000
	v_cmp_nlt_f32_e32 vcc, s3, v12
	s_mov_b32 s3, 0x3f2aaaab
	s_mov_b32 s44, 0x7f800000
	v_cndmask_b32_e32 v55, v54, v13, vcc
	v_add_f32_e32 v14, 1.0, v55
	v_add_f32_e32 v12, -1.0, v14
	v_sub_f32_e32 v13, v12, v14
	v_add_f32_e32 v13, 1.0, v13
	v_sub_f32_e32 v12, v55, v12
	v_add_f32_e32 v15, v12, v13
	v_frexp_mant_f32_e32 v16, v14
	v_cvt_f64_f32_e32 v[12:13], v14
	v_frexp_exp_i32_f64_e32 v12, v[12:13]
	v_cmp_gt_f32_e32 vcc, s3, v16
	s_mov_b32 s3, 0x3f317218
	s_nop 0
	v_subbrev_co_u32_e32 v48, vcc, 0, v12, vcc
	v_sub_u32_e32 v12, 0, v48
	v_ldexp_f32 v13, v14, v12
	v_add_f32_e32 v14, -1.0, v13
	v_add_f32_e32 v16, 1.0, v13
	v_ldexp_f32 v12, v15, v12
	v_add_f32_e32 v15, 1.0, v14
	v_add_f32_e32 v17, -1.0, v16
	v_sub_f32_e32 v15, v13, v15
	v_sub_f32_e32 v13, v13, v17
	v_add_f32_e32 v15, v12, v15
	v_add_f32_e32 v12, v12, v13
	;; [unrolled: 1-line block ×3, first 2 shown]
	v_rcp_f32_e32 v51, v49
	v_sub_f32_e32 v13, v16, v49
	v_add_f32_e32 v50, v12, v13
	v_add_f32_e32 v13, v14, v15
	v_mul_f32_e32 v53, v13, v51
	v_sub_f32_e32 v12, v14, v13
	v_mul_f32_e32 v14, v49, v53
	v_fma_f32 v16, v53, v49, -v14
	v_fmac_f32_e32 v16, v53, v50
	v_add_f32_e32 v52, v15, v12
	v_add_f32_e32 v12, v14, v16
	v_sub_f32_e32 v15, v13, v12
	v_pk_add_f32 v[46:47], v[12:13], v[14:15] neg_lo:[0,1] neg_hi:[0,1]
	v_mov_b32_e32 v17, v12
	v_pk_add_f32 v[12:13], v[46:47], v[16:17] neg_lo:[0,1] neg_hi:[0,1]
	v_cmp_neq_f32_e32 vcc, s44, v55
	v_add_f32_e32 v13, v52, v13
	v_add_f32_e32 v12, v12, v13
	;; [unrolled: 1-line block ×3, first 2 shown]
	v_mul_f32_e32 v52, v51, v13
	v_mul_f32_e32 v14, v49, v52
	v_fma_f32 v16, v52, v49, -v14
	v_fmac_f32_e32 v16, v52, v50
	v_sub_f32_e32 v15, v15, v13
	v_add_f32_e32 v49, v12, v15
	v_add_f32_e32 v12, v14, v16
	v_sub_f32_e32 v15, v13, v12
	v_pk_add_f32 v[46:47], v[12:13], v[14:15] neg_lo:[0,1] neg_hi:[0,1]
	v_mov_b32_e32 v17, v12
	v_pk_add_f32 v[12:13], v[46:47], v[16:17] neg_lo:[0,1] neg_hi:[0,1]
	v_cvt_f32_i32_e32 v14, v48
	v_add_f32_e32 v13, v49, v13
	v_add_f32_e32 v12, v12, v13
	;; [unrolled: 1-line block ×4, first 2 shown]
	v_sub_f32_e32 v13, v15, v53
	v_mul_f32_e32 v12, v51, v12
	v_sub_f32_e32 v13, v52, v13
	v_add_f32_e32 v12, v13, v12
	v_add_f32_e32 v16, v15, v12
	v_mul_f32_e32 v46, v16, v16
	v_mov_b32_e32 v13, 0x3ecc95a3
	v_sub_f32_e32 v15, v16, v15
	v_fmac_f32_e32 v13, 0x3e9b6dac, v46
	v_sub_f32_e32 v12, v12, v15
	v_fmaak_f32 v13, v46, v13, 0x3f2aaada
	v_ldexp_f32 v47, v12, 1
	v_mul_f32_e32 v15, v16, v46
	v_mov_b32_e32 v12, 0x3f317218
	v_pk_mul_f32 v[12:13], v[14:15], v[12:13]
	v_ldexp_f32 v17, v16, 1
	v_fma_f32 v15, v14, s3, -v12
	v_fmamk_f32 v16, v14, 0xb102e308, v15
	v_pk_add_f32 v[14:15], v[12:13], v[16:17]
	v_mov_b32_e32 v46, v12
	v_sub_f32_e32 v17, v15, v17
	v_sub_f32_e32 v17, v13, v17
	v_add_f32_e32 v47, v47, v17
	v_pk_add_f32 v[12:13], v[14:15], v[12:13] neg_lo:[0,1] neg_hi:[0,1]
	v_pk_add_f32 v[48:49], v[14:15], v[46:47]
	v_mov_b32_e32 v17, v14
	v_mov_b32_e32 v13, v49
	v_pk_add_f32 v[50:51], v[16:17], v[12:13] neg_lo:[0,1] neg_hi:[0,1]
	v_pk_add_f32 v[12:13], v[16:17], v[12:13]
	v_mov_b32_e32 v46, v47
	v_pk_add_f32 v[16:17], v[12:13], v[14:15] op_sel:[1,0] op_sel_hi:[0,1] neg_lo:[0,1] neg_hi:[0,1]
	v_pk_add_f32 v[52:53], v[48:49], v[16:17] op_sel_hi:[1,0] neg_lo:[0,1] neg_hi:[0,1]
	v_mov_b32_e32 v48, v49
	v_mov_b32_e32 v49, v13
	v_pk_mov_b32 v[16:17], v[14:15], v[16:17] op_sel:[1,0]
	v_mov_b32_e32 v47, v14
	v_pk_add_f32 v[16:17], v[48:49], v[16:17] neg_lo:[0,1] neg_hi:[0,1]
	v_mov_b32_e32 v52, v50
	v_pk_add_f32 v[14:15], v[46:47], v[16:17] neg_lo:[0,1] neg_hi:[0,1]
	v_mov_b32_e32 v51, v13
	v_pk_add_f32 v[16:17], v[52:53], v[14:15]
	s_mov_b32 s3, 0x33800000
	v_pk_add_f32 v[46:47], v[16:17], v[16:17] op_sel:[0,1] op_sel_hi:[1,0]
	s_nop 0
	v_pk_add_f32 v[12:13], v[12:13], v[46:47] op_sel:[1,0] op_sel_hi:[0,1]
	v_mov_b32_e32 v17, v12
	v_pk_add_f32 v[48:49], v[16:17], v[50:51] neg_lo:[0,1] neg_hi:[0,1]
	v_mov_b32_e32 v15, v46
	v_sub_f32_e32 v13, v16, v48
	v_pk_add_f32 v[14:15], v[14:15], v[48:49] neg_lo:[0,1] neg_hi:[0,1]
	v_sub_f32_e32 v13, v50, v13
	v_add_f32_e32 v13, v14, v13
	v_add_f32_e32 v13, v13, v15
	;; [unrolled: 1-line block ×3, first 2 shown]
	v_cndmask_b32_e32 v12, v54, v12, vcc
	v_cmp_lt_f32_e64 vcc, |v55|, s3
	s_nop 1
	v_cndmask_b32_e32 v12, v12, v55, vcc
	v_add_f32_e32 v12, v10, v12
.LBB438_78:
	s_or_b64 exec, exec, s[30:31]
	v_bfe_u32 v10, v12, 16, 1
	s_movk_i32 s3, 0x7fff
	v_add3_u32 v10, v12, v10, s3
	v_cmp_o_f32_e32 vcc, v12, v12
	v_mov_b32_e32 v12, 0x7fc0
	s_nop 0
	v_cndmask_b32_sdwa v12, v12, v10, vcc dst_sel:DWORD dst_unused:UNUSED_PAD src0_sel:DWORD src1_sel:WORD_1
	v_and_b32_e32 v13, 0xffff, v12
.LBB438_79:
	s_or_b64 exec, exec, s[34:35]
	s_nop 0
	v_mov_b32_dpp v10, v13 row_bcast:31 row_mask:0xf bank_mask:0xf
	v_cmp_lt_u32_e32 vcc, 31, v11
	s_and_saveexec_b64 s[34:35], vcc
	s_cbranch_execz .LBB438_83
; %bb.80:
	v_lshlrev_b32_e32 v12, 16, v10
	v_lshlrev_b32_e32 v10, 16, v13
	v_max_f32_e32 v14, v10, v10
	v_max_f32_e32 v15, v12, v12
	v_min_f32_e32 v13, v15, v14
	v_cmp_u_f32_e32 vcc, v12, v12
	v_max_f32_e32 v14, v15, v14
	v_cmp_u_f32_e64 s[30:31], v10, v10
	v_cndmask_b32_e32 v13, v13, v12, vcc
	v_cndmask_b32_e32 v14, v14, v12, vcc
	v_cndmask_b32_e64 v13, v13, v10, s[30:31]
	v_cndmask_b32_e64 v10, v14, v10, s[30:31]
	s_movk_i32 s3, 0x1f8
	v_cmp_neq_f32_e32 vcc, v13, v10
	v_cmp_class_f32_e64 s[30:31], v13, s3
	s_or_b64 s[44:45], vcc, s[30:31]
	s_and_saveexec_b64 s[30:31], s[44:45]
	s_cbranch_execz .LBB438_82
; %bb.81:
	v_sub_f32_e32 v12, v13, v10
	s_mov_b32 s3, 0x3fb8aa3b
	v_mul_f32_e32 v13, 0x3fb8aa3b, v12
	v_fma_f32 v14, v12, s3, -v13
	v_rndne_f32_e32 v15, v13
	v_fmamk_f32 v14, v12, 0x32a5705f, v14
	v_sub_f32_e32 v13, v13, v15
	v_add_f32_e32 v13, v13, v14
	v_exp_f32_e32 v13, v13
	v_cvt_i32_f32_e32 v14, v15
	s_mov_b32 s3, 0xc2ce8ed0
	v_cmp_ngt_f32_e32 vcc, s3, v12
	s_mov_b32 s3, 0x42b17218
	v_ldexp_f32 v13, v13, v14
	v_cndmask_b32_e32 v13, 0, v13, vcc
	v_mov_b32_e32 v54, 0x7f800000
	v_cmp_nlt_f32_e32 vcc, s3, v12
	s_mov_b32 s3, 0x3f2aaaab
	s_mov_b32 s44, 0x7f800000
	v_cndmask_b32_e32 v55, v54, v13, vcc
	v_add_f32_e32 v14, 1.0, v55
	v_add_f32_e32 v12, -1.0, v14
	v_sub_f32_e32 v13, v12, v14
	v_add_f32_e32 v13, 1.0, v13
	v_sub_f32_e32 v12, v55, v12
	v_add_f32_e32 v15, v12, v13
	v_frexp_mant_f32_e32 v16, v14
	v_cvt_f64_f32_e32 v[12:13], v14
	v_frexp_exp_i32_f64_e32 v12, v[12:13]
	v_cmp_gt_f32_e32 vcc, s3, v16
	s_mov_b32 s3, 0x3f317218
	s_nop 0
	v_subbrev_co_u32_e32 v48, vcc, 0, v12, vcc
	v_sub_u32_e32 v12, 0, v48
	v_ldexp_f32 v13, v14, v12
	v_add_f32_e32 v14, -1.0, v13
	v_add_f32_e32 v16, 1.0, v13
	v_ldexp_f32 v12, v15, v12
	v_add_f32_e32 v15, 1.0, v14
	v_add_f32_e32 v17, -1.0, v16
	v_sub_f32_e32 v15, v13, v15
	v_sub_f32_e32 v13, v13, v17
	v_add_f32_e32 v15, v12, v15
	v_add_f32_e32 v12, v12, v13
	;; [unrolled: 1-line block ×3, first 2 shown]
	v_rcp_f32_e32 v51, v49
	v_sub_f32_e32 v13, v16, v49
	v_add_f32_e32 v50, v12, v13
	v_add_f32_e32 v13, v14, v15
	v_mul_f32_e32 v53, v13, v51
	v_sub_f32_e32 v12, v14, v13
	v_mul_f32_e32 v14, v49, v53
	v_fma_f32 v16, v53, v49, -v14
	v_fmac_f32_e32 v16, v53, v50
	v_add_f32_e32 v52, v15, v12
	v_add_f32_e32 v12, v14, v16
	v_sub_f32_e32 v15, v13, v12
	v_pk_add_f32 v[46:47], v[12:13], v[14:15] neg_lo:[0,1] neg_hi:[0,1]
	v_mov_b32_e32 v17, v12
	v_pk_add_f32 v[12:13], v[46:47], v[16:17] neg_lo:[0,1] neg_hi:[0,1]
	v_cmp_neq_f32_e32 vcc, s44, v55
	v_add_f32_e32 v13, v52, v13
	v_add_f32_e32 v12, v12, v13
	;; [unrolled: 1-line block ×3, first 2 shown]
	v_mul_f32_e32 v52, v51, v13
	v_mul_f32_e32 v14, v49, v52
	v_fma_f32 v16, v52, v49, -v14
	v_fmac_f32_e32 v16, v52, v50
	v_sub_f32_e32 v15, v15, v13
	v_add_f32_e32 v49, v12, v15
	v_add_f32_e32 v12, v14, v16
	v_sub_f32_e32 v15, v13, v12
	v_pk_add_f32 v[46:47], v[12:13], v[14:15] neg_lo:[0,1] neg_hi:[0,1]
	v_mov_b32_e32 v17, v12
	v_pk_add_f32 v[12:13], v[46:47], v[16:17] neg_lo:[0,1] neg_hi:[0,1]
	v_cvt_f32_i32_e32 v14, v48
	v_add_f32_e32 v13, v49, v13
	v_add_f32_e32 v12, v12, v13
	;; [unrolled: 1-line block ×4, first 2 shown]
	v_sub_f32_e32 v13, v15, v53
	v_mul_f32_e32 v12, v51, v12
	v_sub_f32_e32 v13, v52, v13
	v_add_f32_e32 v12, v13, v12
	v_add_f32_e32 v16, v15, v12
	v_mul_f32_e32 v46, v16, v16
	v_mov_b32_e32 v13, 0x3ecc95a3
	v_sub_f32_e32 v15, v16, v15
	v_fmac_f32_e32 v13, 0x3e9b6dac, v46
	v_sub_f32_e32 v12, v12, v15
	v_fmaak_f32 v13, v46, v13, 0x3f2aaada
	v_ldexp_f32 v47, v12, 1
	v_mul_f32_e32 v15, v16, v46
	v_mov_b32_e32 v12, 0x3f317218
	v_pk_mul_f32 v[12:13], v[14:15], v[12:13]
	v_ldexp_f32 v17, v16, 1
	v_fma_f32 v15, v14, s3, -v12
	v_fmamk_f32 v16, v14, 0xb102e308, v15
	v_pk_add_f32 v[14:15], v[12:13], v[16:17]
	v_mov_b32_e32 v46, v12
	v_sub_f32_e32 v17, v15, v17
	v_sub_f32_e32 v17, v13, v17
	v_add_f32_e32 v47, v47, v17
	v_pk_add_f32 v[12:13], v[14:15], v[12:13] neg_lo:[0,1] neg_hi:[0,1]
	v_pk_add_f32 v[48:49], v[14:15], v[46:47]
	v_mov_b32_e32 v17, v14
	v_mov_b32_e32 v13, v49
	v_pk_add_f32 v[50:51], v[16:17], v[12:13] neg_lo:[0,1] neg_hi:[0,1]
	v_pk_add_f32 v[12:13], v[16:17], v[12:13]
	v_mov_b32_e32 v46, v47
	v_pk_add_f32 v[16:17], v[12:13], v[14:15] op_sel:[1,0] op_sel_hi:[0,1] neg_lo:[0,1] neg_hi:[0,1]
	v_pk_add_f32 v[52:53], v[48:49], v[16:17] op_sel_hi:[1,0] neg_lo:[0,1] neg_hi:[0,1]
	v_mov_b32_e32 v48, v49
	v_mov_b32_e32 v49, v13
	v_pk_mov_b32 v[16:17], v[14:15], v[16:17] op_sel:[1,0]
	v_mov_b32_e32 v47, v14
	v_pk_add_f32 v[16:17], v[48:49], v[16:17] neg_lo:[0,1] neg_hi:[0,1]
	v_mov_b32_e32 v52, v50
	v_pk_add_f32 v[14:15], v[46:47], v[16:17] neg_lo:[0,1] neg_hi:[0,1]
	v_mov_b32_e32 v51, v13
	v_pk_add_f32 v[16:17], v[52:53], v[14:15]
	s_mov_b32 s3, 0x33800000
	v_pk_add_f32 v[46:47], v[16:17], v[16:17] op_sel:[0,1] op_sel_hi:[1,0]
	s_nop 0
	v_pk_add_f32 v[12:13], v[12:13], v[46:47] op_sel:[1,0] op_sel_hi:[0,1]
	v_mov_b32_e32 v17, v12
	v_pk_add_f32 v[48:49], v[16:17], v[50:51] neg_lo:[0,1] neg_hi:[0,1]
	v_mov_b32_e32 v15, v46
	v_sub_f32_e32 v13, v16, v48
	v_pk_add_f32 v[14:15], v[14:15], v[48:49] neg_lo:[0,1] neg_hi:[0,1]
	v_sub_f32_e32 v13, v50, v13
	v_add_f32_e32 v13, v14, v13
	v_add_f32_e32 v13, v13, v15
	;; [unrolled: 1-line block ×3, first 2 shown]
	v_cndmask_b32_e32 v12, v54, v12, vcc
	v_cmp_lt_f32_e64 vcc, |v55|, s3
	s_nop 1
	v_cndmask_b32_e32 v12, v12, v55, vcc
	v_add_f32_e32 v12, v10, v12
.LBB438_82:
	s_or_b64 exec, exec, s[30:31]
	v_bfe_u32 v10, v12, 16, 1
	s_movk_i32 s3, 0x7fff
	v_add3_u32 v10, v12, v10, s3
	v_cmp_o_f32_e32 vcc, v12, v12
	v_mov_b32_e32 v12, 0x7fc0
	s_nop 0
	v_cndmask_b32_sdwa v12, v12, v10, vcc dst_sel:DWORD dst_unused:UNUSED_PAD src0_sel:DWORD src1_sel:WORD_1
.LBB438_83:
	s_or_b64 exec, exec, s[34:35]
	v_or_b32_e32 v13, 63, v0
	v_lshrrev_b32_e32 v10, 6, v0
	v_cmp_eq_u32_e32 vcc, v0, v13
	s_and_saveexec_b64 s[30:31], vcc
; %bb.84:
	v_lshlrev_b32_e32 v13, 1, v10
	ds_write_b16 v13, v12
; %bb.85:
	s_or_b64 exec, exec, s[30:31]
	v_cmp_gt_u32_e32 vcc, 2, v0
	s_waitcnt lgkmcnt(0)
	s_barrier
	s_and_saveexec_b64 s[34:35], vcc
	s_cbranch_execz .LBB438_91
; %bb.86:
	ds_read_u16 v13, v2
	v_and_b32_e32 v16, 1, v11
	v_cmp_eq_u32_e32 vcc, 1, v16
	s_waitcnt lgkmcnt(0)
	v_and_b32_e32 v15, 0xffff, v13
	s_nop 1
	v_mov_b32_dpp v14, v15 row_shr:1 row_mask:0xf bank_mask:0xf
	s_and_saveexec_b64 s[44:45], vcc
	s_cbranch_execz .LBB438_90
; %bb.87:
	v_lshlrev_b32_e32 v14, 16, v14
	v_lshlrev_b32_e32 v13, 16, v15
	v_max_f32_e32 v16, v13, v13
	v_max_f32_e32 v17, v14, v14
	v_min_f32_e32 v15, v17, v16
	v_cmp_u_f32_e32 vcc, v14, v14
	v_max_f32_e32 v16, v17, v16
	v_cmp_u_f32_e64 s[30:31], v13, v13
	v_cndmask_b32_e32 v15, v15, v14, vcc
	v_cndmask_b32_e32 v16, v16, v14, vcc
	v_cndmask_b32_e64 v15, v15, v13, s[30:31]
	v_cndmask_b32_e64 v13, v16, v13, s[30:31]
	s_movk_i32 s3, 0x1f8
	v_cmp_neq_f32_e32 vcc, v15, v13
	v_cmp_class_f32_e64 s[30:31], v15, s3
	s_or_b64 s[46:47], vcc, s[30:31]
	s_and_saveexec_b64 s[30:31], s[46:47]
	s_cbranch_execz .LBB438_89
; %bb.88:
	v_sub_f32_e32 v14, v15, v13
	s_mov_b32 s3, 0x3fb8aa3b
	v_mul_f32_e32 v15, 0x3fb8aa3b, v14
	v_fma_f32 v16, v14, s3, -v15
	v_rndne_f32_e32 v17, v15
	v_fmamk_f32 v16, v14, 0x32a5705f, v16
	v_sub_f32_e32 v15, v15, v17
	v_add_f32_e32 v15, v15, v16
	v_exp_f32_e32 v15, v15
	v_cvt_i32_f32_e32 v16, v17
	s_mov_b32 s3, 0xc2ce8ed0
	v_cmp_ngt_f32_e32 vcc, s3, v14
	s_mov_b32 s3, 0x42b17218
	v_ldexp_f32 v15, v15, v16
	v_cndmask_b32_e32 v15, 0, v15, vcc
	v_mov_b32_e32 v56, 0x7f800000
	v_cmp_nlt_f32_e32 vcc, s3, v14
	s_mov_b32 s3, 0x3f2aaaab
	s_mov_b32 s46, 0x7f800000
	v_cndmask_b32_e32 v57, v56, v15, vcc
	v_add_f32_e32 v16, 1.0, v57
	v_add_f32_e32 v14, -1.0, v16
	v_sub_f32_e32 v15, v14, v16
	v_add_f32_e32 v15, 1.0, v15
	v_sub_f32_e32 v14, v57, v14
	v_add_f32_e32 v17, v14, v15
	v_frexp_mant_f32_e32 v46, v16
	v_cvt_f64_f32_e32 v[14:15], v16
	v_frexp_exp_i32_f64_e32 v14, v[14:15]
	v_cmp_gt_f32_e32 vcc, s3, v46
	s_mov_b32 s3, 0x3f317218
	s_nop 0
	v_subbrev_co_u32_e32 v50, vcc, 0, v14, vcc
	v_sub_u32_e32 v14, 0, v50
	v_ldexp_f32 v15, v16, v14
	v_add_f32_e32 v16, -1.0, v15
	v_add_f32_e32 v46, 1.0, v15
	v_ldexp_f32 v14, v17, v14
	v_add_f32_e32 v17, 1.0, v16
	v_add_f32_e32 v47, -1.0, v46
	v_sub_f32_e32 v17, v15, v17
	v_sub_f32_e32 v15, v15, v47
	v_add_f32_e32 v17, v14, v17
	v_add_f32_e32 v14, v14, v15
	;; [unrolled: 1-line block ×3, first 2 shown]
	v_rcp_f32_e32 v53, v51
	v_sub_f32_e32 v15, v46, v51
	v_add_f32_e32 v52, v14, v15
	v_add_f32_e32 v15, v16, v17
	v_mul_f32_e32 v55, v15, v53
	v_sub_f32_e32 v14, v16, v15
	v_mul_f32_e32 v16, v51, v55
	v_fma_f32 v46, v55, v51, -v16
	v_fmac_f32_e32 v46, v55, v52
	v_add_f32_e32 v54, v17, v14
	v_add_f32_e32 v14, v16, v46
	v_sub_f32_e32 v17, v15, v14
	v_pk_add_f32 v[48:49], v[14:15], v[16:17] neg_lo:[0,1] neg_hi:[0,1]
	v_mov_b32_e32 v47, v14
	v_pk_add_f32 v[14:15], v[48:49], v[46:47] neg_lo:[0,1] neg_hi:[0,1]
	v_cmp_neq_f32_e32 vcc, s46, v57
	v_add_f32_e32 v15, v54, v15
	v_add_f32_e32 v14, v14, v15
	;; [unrolled: 1-line block ×3, first 2 shown]
	v_mul_f32_e32 v54, v53, v15
	v_mul_f32_e32 v16, v51, v54
	v_fma_f32 v46, v54, v51, -v16
	v_fmac_f32_e32 v46, v54, v52
	v_sub_f32_e32 v17, v17, v15
	v_add_f32_e32 v51, v14, v17
	v_add_f32_e32 v14, v16, v46
	v_sub_f32_e32 v17, v15, v14
	v_pk_add_f32 v[48:49], v[14:15], v[16:17] neg_lo:[0,1] neg_hi:[0,1]
	v_mov_b32_e32 v47, v14
	v_pk_add_f32 v[14:15], v[48:49], v[46:47] neg_lo:[0,1] neg_hi:[0,1]
	v_cvt_f32_i32_e32 v16, v50
	v_add_f32_e32 v15, v51, v15
	v_add_f32_e32 v14, v14, v15
	;; [unrolled: 1-line block ×4, first 2 shown]
	v_sub_f32_e32 v15, v17, v55
	v_mul_f32_e32 v14, v53, v14
	v_sub_f32_e32 v15, v54, v15
	v_add_f32_e32 v14, v15, v14
	v_add_f32_e32 v46, v17, v14
	v_mul_f32_e32 v48, v46, v46
	v_mov_b32_e32 v15, 0x3ecc95a3
	v_sub_f32_e32 v17, v46, v17
	v_fmac_f32_e32 v15, 0x3e9b6dac, v48
	v_sub_f32_e32 v14, v14, v17
	v_fmaak_f32 v15, v48, v15, 0x3f2aaada
	v_ldexp_f32 v49, v14, 1
	v_mul_f32_e32 v17, v46, v48
	v_mov_b32_e32 v14, 0x3f317218
	v_pk_mul_f32 v[14:15], v[16:17], v[14:15]
	v_ldexp_f32 v47, v46, 1
	v_fma_f32 v17, v16, s3, -v14
	v_fmamk_f32 v46, v16, 0xb102e308, v17
	v_pk_add_f32 v[16:17], v[14:15], v[46:47]
	v_mov_b32_e32 v48, v14
	v_sub_f32_e32 v47, v17, v47
	v_sub_f32_e32 v47, v15, v47
	v_add_f32_e32 v49, v49, v47
	v_pk_add_f32 v[14:15], v[16:17], v[14:15] neg_lo:[0,1] neg_hi:[0,1]
	v_pk_add_f32 v[50:51], v[16:17], v[48:49]
	v_mov_b32_e32 v47, v16
	v_mov_b32_e32 v15, v51
	v_pk_add_f32 v[52:53], v[46:47], v[14:15] neg_lo:[0,1] neg_hi:[0,1]
	v_pk_add_f32 v[14:15], v[46:47], v[14:15]
	v_mov_b32_e32 v48, v49
	v_pk_add_f32 v[46:47], v[14:15], v[16:17] op_sel:[1,0] op_sel_hi:[0,1] neg_lo:[0,1] neg_hi:[0,1]
	v_pk_add_f32 v[54:55], v[50:51], v[46:47] op_sel_hi:[1,0] neg_lo:[0,1] neg_hi:[0,1]
	v_mov_b32_e32 v50, v51
	v_mov_b32_e32 v51, v15
	v_pk_mov_b32 v[46:47], v[16:17], v[46:47] op_sel:[1,0]
	v_mov_b32_e32 v49, v16
	v_pk_add_f32 v[46:47], v[50:51], v[46:47] neg_lo:[0,1] neg_hi:[0,1]
	v_mov_b32_e32 v54, v52
	v_pk_add_f32 v[16:17], v[48:49], v[46:47] neg_lo:[0,1] neg_hi:[0,1]
	v_mov_b32_e32 v53, v15
	v_pk_add_f32 v[46:47], v[54:55], v[16:17]
	s_mov_b32 s3, 0x33800000
	v_pk_add_f32 v[48:49], v[46:47], v[46:47] op_sel:[0,1] op_sel_hi:[1,0]
	s_nop 0
	v_pk_add_f32 v[14:15], v[14:15], v[48:49] op_sel:[1,0] op_sel_hi:[0,1]
	v_mov_b32_e32 v47, v14
	v_pk_add_f32 v[50:51], v[46:47], v[52:53] neg_lo:[0,1] neg_hi:[0,1]
	v_mov_b32_e32 v17, v48
	v_sub_f32_e32 v15, v46, v50
	v_pk_add_f32 v[16:17], v[16:17], v[50:51] neg_lo:[0,1] neg_hi:[0,1]
	v_sub_f32_e32 v15, v52, v15
	v_add_f32_e32 v15, v16, v15
	v_add_f32_e32 v15, v15, v17
	;; [unrolled: 1-line block ×3, first 2 shown]
	v_cndmask_b32_e32 v14, v56, v14, vcc
	v_cmp_lt_f32_e64 vcc, |v57|, s3
	s_nop 1
	v_cndmask_b32_e32 v14, v14, v57, vcc
	v_add_f32_e32 v14, v13, v14
.LBB438_89:
	s_or_b64 exec, exec, s[30:31]
	v_bfe_u32 v13, v14, 16, 1
	s_movk_i32 s3, 0x7fff
	v_add3_u32 v13, v14, v13, s3
	v_cmp_o_f32_e32 vcc, v14, v14
	v_mov_b32_e32 v14, 0x7fc0
	s_nop 0
	v_cndmask_b32_sdwa v13, v14, v13, vcc dst_sel:DWORD dst_unused:UNUSED_PAD src0_sel:DWORD src1_sel:WORD_1
.LBB438_90:
	s_or_b64 exec, exec, s[44:45]
	ds_write_b16 v2, v13
.LBB438_91:
	s_or_b64 exec, exec, s[34:35]
	v_cmp_gt_u32_e64 s[34:35], 64, v0
	v_cmp_lt_u32_e32 vcc, 63, v0
	s_waitcnt lgkmcnt(0)
	s_barrier
                                        ; implicit-def: $vgpr46
	s_and_saveexec_b64 s[44:45], vcc
	s_cbranch_execz .LBB438_95
; %bb.92:
	v_lshl_add_u32 v10, v10, 1, -2
	ds_read_u16 v46, v10
	v_lshlrev_b32_e32 v10, 16, v12
	v_max_f32_e32 v14, v10, v10
	v_cmp_u_f32_e64 s[30:31], v10, v10
	s_movk_i32 s3, 0x1f8
	s_waitcnt lgkmcnt(0)
	v_lshlrev_b32_e32 v12, 16, v46
	v_max_f32_e32 v15, v12, v12
	v_min_f32_e32 v13, v15, v14
	v_cmp_u_f32_e32 vcc, v12, v12
	v_max_f32_e32 v14, v15, v14
	s_nop 0
	v_cndmask_b32_e32 v13, v13, v12, vcc
	v_cndmask_b32_e32 v14, v14, v12, vcc
	v_cndmask_b32_e64 v13, v13, v10, s[30:31]
	v_cndmask_b32_e64 v10, v14, v10, s[30:31]
	v_cmp_neq_f32_e32 vcc, v13, v10
	v_cmp_class_f32_e64 s[30:31], v13, s3
	s_or_b64 s[46:47], vcc, s[30:31]
	s_and_saveexec_b64 s[30:31], s[46:47]
	s_cbranch_execz .LBB438_94
; %bb.93:
	v_sub_f32_e32 v12, v13, v10
	s_mov_b32 s3, 0x3fb8aa3b
	v_mul_f32_e32 v13, 0x3fb8aa3b, v12
	v_fma_f32 v14, v12, s3, -v13
	v_rndne_f32_e32 v15, v13
	v_fmamk_f32 v14, v12, 0x32a5705f, v14
	v_sub_f32_e32 v13, v13, v15
	v_add_f32_e32 v13, v13, v14
	v_exp_f32_e32 v13, v13
	v_cvt_i32_f32_e32 v14, v15
	s_mov_b32 s3, 0xc2ce8ed0
	v_cmp_ngt_f32_e32 vcc, s3, v12
	s_mov_b32 s3, 0x42b17218
	v_ldexp_f32 v13, v13, v14
	v_cndmask_b32_e32 v13, 0, v13, vcc
	v_mov_b32_e32 v47, 0x7f800000
	v_cmp_nlt_f32_e32 vcc, s3, v12
	s_mov_b32 s3, 0x3f2aaaab
	s_mov_b32 s46, 0x7f800000
	v_cndmask_b32_e32 v56, v47, v13, vcc
	v_add_f32_e32 v14, 1.0, v56
	v_add_f32_e32 v12, -1.0, v14
	v_sub_f32_e32 v13, v12, v14
	v_add_f32_e32 v13, 1.0, v13
	v_sub_f32_e32 v12, v56, v12
	v_add_f32_e32 v15, v12, v13
	v_frexp_mant_f32_e32 v16, v14
	v_cvt_f64_f32_e32 v[12:13], v14
	v_frexp_exp_i32_f64_e32 v12, v[12:13]
	v_cmp_gt_f32_e32 vcc, s3, v16
	s_mov_b32 s3, 0x3f317218
	s_nop 0
	v_subbrev_co_u32_e32 v50, vcc, 0, v12, vcc
	v_sub_u32_e32 v12, 0, v50
	v_ldexp_f32 v13, v14, v12
	v_add_f32_e32 v14, -1.0, v13
	v_add_f32_e32 v16, 1.0, v13
	v_ldexp_f32 v12, v15, v12
	v_add_f32_e32 v15, 1.0, v14
	v_add_f32_e32 v17, -1.0, v16
	v_sub_f32_e32 v15, v13, v15
	v_sub_f32_e32 v13, v13, v17
	v_add_f32_e32 v15, v12, v15
	v_add_f32_e32 v12, v12, v13
	;; [unrolled: 1-line block ×3, first 2 shown]
	v_rcp_f32_e32 v53, v51
	v_sub_f32_e32 v13, v16, v51
	v_add_f32_e32 v52, v12, v13
	v_add_f32_e32 v13, v14, v15
	v_mul_f32_e32 v55, v13, v53
	v_sub_f32_e32 v12, v14, v13
	v_mul_f32_e32 v14, v51, v55
	v_fma_f32 v16, v55, v51, -v14
	v_fmac_f32_e32 v16, v55, v52
	v_add_f32_e32 v54, v15, v12
	v_add_f32_e32 v12, v14, v16
	v_sub_f32_e32 v15, v13, v12
	v_pk_add_f32 v[48:49], v[12:13], v[14:15] neg_lo:[0,1] neg_hi:[0,1]
	v_mov_b32_e32 v17, v12
	v_pk_add_f32 v[12:13], v[48:49], v[16:17] neg_lo:[0,1] neg_hi:[0,1]
	v_cmp_neq_f32_e32 vcc, s46, v56
	v_add_f32_e32 v13, v54, v13
	v_add_f32_e32 v12, v12, v13
	;; [unrolled: 1-line block ×3, first 2 shown]
	v_mul_f32_e32 v54, v53, v13
	v_mul_f32_e32 v14, v51, v54
	v_fma_f32 v16, v54, v51, -v14
	v_fmac_f32_e32 v16, v54, v52
	v_sub_f32_e32 v15, v15, v13
	v_add_f32_e32 v51, v12, v15
	v_add_f32_e32 v12, v14, v16
	v_sub_f32_e32 v15, v13, v12
	v_pk_add_f32 v[48:49], v[12:13], v[14:15] neg_lo:[0,1] neg_hi:[0,1]
	v_mov_b32_e32 v17, v12
	v_pk_add_f32 v[12:13], v[48:49], v[16:17] neg_lo:[0,1] neg_hi:[0,1]
	v_cvt_f32_i32_e32 v14, v50
	v_add_f32_e32 v13, v51, v13
	v_add_f32_e32 v12, v12, v13
	;; [unrolled: 1-line block ×4, first 2 shown]
	v_sub_f32_e32 v13, v15, v55
	v_mul_f32_e32 v12, v53, v12
	v_sub_f32_e32 v13, v54, v13
	v_add_f32_e32 v12, v13, v12
	v_add_f32_e32 v16, v15, v12
	v_mul_f32_e32 v48, v16, v16
	v_mov_b32_e32 v13, 0x3ecc95a3
	v_sub_f32_e32 v15, v16, v15
	v_fmac_f32_e32 v13, 0x3e9b6dac, v48
	v_sub_f32_e32 v12, v12, v15
	v_fmaak_f32 v13, v48, v13, 0x3f2aaada
	v_ldexp_f32 v49, v12, 1
	v_mul_f32_e32 v15, v16, v48
	v_mov_b32_e32 v12, 0x3f317218
	v_pk_mul_f32 v[12:13], v[14:15], v[12:13]
	v_ldexp_f32 v17, v16, 1
	v_fma_f32 v15, v14, s3, -v12
	v_fmamk_f32 v16, v14, 0xb102e308, v15
	v_pk_add_f32 v[14:15], v[12:13], v[16:17]
	v_mov_b32_e32 v48, v12
	v_sub_f32_e32 v17, v15, v17
	v_sub_f32_e32 v17, v13, v17
	v_add_f32_e32 v49, v49, v17
	v_pk_add_f32 v[12:13], v[14:15], v[12:13] neg_lo:[0,1] neg_hi:[0,1]
	v_pk_add_f32 v[50:51], v[14:15], v[48:49]
	v_mov_b32_e32 v17, v14
	v_mov_b32_e32 v13, v51
	v_pk_add_f32 v[52:53], v[16:17], v[12:13] neg_lo:[0,1] neg_hi:[0,1]
	v_pk_add_f32 v[12:13], v[16:17], v[12:13]
	v_mov_b32_e32 v48, v49
	v_pk_add_f32 v[16:17], v[12:13], v[14:15] op_sel:[1,0] op_sel_hi:[0,1] neg_lo:[0,1] neg_hi:[0,1]
	v_pk_add_f32 v[54:55], v[50:51], v[16:17] op_sel_hi:[1,0] neg_lo:[0,1] neg_hi:[0,1]
	v_mov_b32_e32 v50, v51
	v_mov_b32_e32 v51, v13
	v_pk_mov_b32 v[16:17], v[14:15], v[16:17] op_sel:[1,0]
	v_mov_b32_e32 v49, v14
	v_pk_add_f32 v[16:17], v[50:51], v[16:17] neg_lo:[0,1] neg_hi:[0,1]
	v_mov_b32_e32 v54, v52
	v_pk_add_f32 v[14:15], v[48:49], v[16:17] neg_lo:[0,1] neg_hi:[0,1]
	v_mov_b32_e32 v53, v13
	v_pk_add_f32 v[16:17], v[54:55], v[14:15]
	s_mov_b32 s3, 0x33800000
	v_pk_add_f32 v[48:49], v[16:17], v[16:17] op_sel:[0,1] op_sel_hi:[1,0]
	s_nop 0
	v_pk_add_f32 v[12:13], v[12:13], v[48:49] op_sel:[1,0] op_sel_hi:[0,1]
	v_mov_b32_e32 v17, v12
	v_pk_add_f32 v[50:51], v[16:17], v[52:53] neg_lo:[0,1] neg_hi:[0,1]
	v_mov_b32_e32 v15, v48
	v_sub_f32_e32 v13, v16, v50
	v_pk_add_f32 v[14:15], v[14:15], v[50:51] neg_lo:[0,1] neg_hi:[0,1]
	v_sub_f32_e32 v13, v52, v13
	v_add_f32_e32 v13, v14, v13
	v_add_f32_e32 v13, v13, v15
	;; [unrolled: 1-line block ×3, first 2 shown]
	v_cndmask_b32_e32 v12, v47, v12, vcc
	v_cmp_lt_f32_e64 vcc, |v56|, s3
	s_nop 1
	v_cndmask_b32_e32 v12, v12, v56, vcc
	v_add_f32_e32 v12, v10, v12
.LBB438_94:
	s_or_b64 exec, exec, s[30:31]
	v_bfe_u32 v10, v12, 16, 1
	s_movk_i32 s3, 0x7fff
	v_add3_u32 v10, v12, v10, s3
	v_cmp_o_f32_e32 vcc, v12, v12
	v_mov_b32_e32 v12, 0x7fc0
	s_nop 0
	v_cndmask_b32_sdwa v12, v12, v10, vcc dst_sel:DWORD dst_unused:UNUSED_PAD src0_sel:DWORD src1_sel:WORD_1
.LBB438_95:
	s_or_b64 exec, exec, s[44:45]
	v_subrev_co_u32_e64 v10, s[30:31], 1, v11
	v_and_b32_e32 v13, 64, v11
	v_cmp_lt_i32_e32 vcc, v10, v13
	v_and_b32_e32 v12, 0xffff, v12
	s_nop 0
	v_cndmask_b32_e32 v10, v10, v11, vcc
	v_lshlrev_b32_e32 v10, 2, v10
	ds_bpermute_b32 v47, v10, v12
	s_and_saveexec_b64 s[44:45], s[34:35]
	s_cbranch_execz .LBB438_167
; %bb.96:
	v_mov_b32_e32 v13, 0
	ds_read_u16 v48, v13 offset:2
	s_and_saveexec_b64 s[34:35], s[30:31]
	s_cbranch_execz .LBB438_98
; %bb.97:
	s_add_i32 s46, s2, 64
	s_mov_b32 s47, 0
	s_lshl_b64 s[46:47], s[46:47], 2
	s_add_u32 s46, s54, s46
	s_addc_u32 s47, s55, s47
	s_waitcnt lgkmcnt(0)
	v_or_b32_e32 v10, 0x10000, v48
	global_store_dword v13, v10, s[46:47] sc1
.LBB438_98:
	s_or_b64 exec, exec, s[34:35]
	v_xad_u32 v10, v11, -1, s2
	v_add_u32_e32 v12, 64, v10
	v_lshl_add_u64 v[14:15], v[12:13], 2, s[54:55]
	global_load_dword v16, v[14:15], off sc1
	s_waitcnt vmcnt(0)
	v_lshrrev_b32_e32 v49, 16, v16
	v_cmp_eq_u16_sdwa s[46:47], v49, v13 src0_sel:BYTE_0 src1_sel:DWORD
	s_and_saveexec_b64 s[34:35], s[46:47]
	s_cbranch_execz .LBB438_102
; %bb.99:
	s_mov_b64 s[46:47], 0
	v_mov_b32_e32 v12, 0
.LBB438_100:                            ; =>This Inner Loop Header: Depth=1
	global_load_dword v16, v[14:15], off sc1
	s_waitcnt vmcnt(0)
	v_lshrrev_b32_e32 v49, 16, v16
	v_cmp_ne_u16_sdwa s[48:49], v49, v12 src0_sel:BYTE_0 src1_sel:DWORD
	s_or_b64 s[46:47], s[48:49], s[46:47]
	s_andn2_b64 exec, exec, s[46:47]
	s_cbranch_execnz .LBB438_100
; %bb.101:
	s_or_b64 exec, exec, s[46:47]
.LBB438_102:
	s_or_b64 exec, exec, s[34:35]
	v_and_b32_e32 v50, 63, v11
	v_mov_b32_e32 v12, 2
	v_cmp_ne_u32_e32 vcc, 63, v50
	v_cmp_eq_u16_sdwa s[34:35], v49, v12 src0_sel:BYTE_0 src1_sel:DWORD
	v_lshlrev_b64 v[12:13], v11, -1
	v_addc_co_u32_e32 v15, vcc, 0, v11, vcc
	v_and_b32_e32 v14, s35, v13
	v_lshlrev_b32_e32 v51, 2, v15
	v_and_b32_e32 v15, 0xffff, v16
	v_or_b32_e32 v14, 0x80000000, v14
	ds_bpermute_b32 v17, v51, v15
	v_and_b32_e32 v52, s34, v12
	v_ffbl_b32_e32 v14, v14
	v_add_u32_e32 v14, 32, v14
	v_ffbl_b32_e32 v52, v52
	v_min_u32_e32 v14, v52, v14
	v_cmp_lt_u32_e32 vcc, v50, v14
	s_and_saveexec_b64 s[46:47], vcc
	s_cbranch_execz .LBB438_106
; %bb.103:
	s_waitcnt lgkmcnt(0)
	v_lshlrev_b32_e32 v16, 16, v17
	v_lshlrev_b32_e32 v15, 16, v15
	v_max_f32_e32 v52, v15, v15
	v_max_f32_e32 v53, v16, v16
	v_min_f32_e32 v17, v53, v52
	v_cmp_u_f32_e32 vcc, v16, v16
	v_max_f32_e32 v52, v53, v52
	v_cmp_u_f32_e64 s[34:35], v15, v15
	v_cndmask_b32_e32 v17, v17, v16, vcc
	v_cndmask_b32_e32 v52, v52, v16, vcc
	v_cndmask_b32_e64 v17, v17, v15, s[34:35]
	v_cndmask_b32_e64 v15, v52, v15, s[34:35]
	s_movk_i32 s3, 0x1f8
	v_cmp_neq_f32_e32 vcc, v17, v15
	v_cmp_class_f32_e64 s[34:35], v17, s3
	s_or_b64 s[48:49], vcc, s[34:35]
	s_and_saveexec_b64 s[34:35], s[48:49]
	s_cbranch_execz .LBB438_105
; %bb.104:
	v_sub_f32_e32 v16, v17, v15
	s_mov_b32 s3, 0x3fb8aa3b
	v_mul_f32_e32 v17, 0x3fb8aa3b, v16
	v_fma_f32 v52, v16, s3, -v17
	v_rndne_f32_e32 v53, v17
	v_fmamk_f32 v52, v16, 0x32a5705f, v52
	v_sub_f32_e32 v17, v17, v53
	v_add_f32_e32 v17, v17, v52
	v_exp_f32_e32 v17, v17
	v_cvt_i32_f32_e32 v52, v53
	s_mov_b32 s3, 0xc2ce8ed0
	v_cmp_ngt_f32_e32 vcc, s3, v16
	s_mov_b32 s3, 0x42b17218
	v_ldexp_f32 v17, v17, v52
	v_cndmask_b32_e32 v17, 0, v17, vcc
	v_mov_b32_e32 v64, 0x7f800000
	v_cmp_nlt_f32_e32 vcc, s3, v16
	s_mov_b32 s3, 0x3f2aaaab
	s_mov_b32 s48, 0x7f800000
	v_cndmask_b32_e32 v65, v64, v17, vcc
	v_add_f32_e32 v52, 1.0, v65
	v_add_f32_e32 v16, -1.0, v52
	v_sub_f32_e32 v17, v16, v52
	v_add_f32_e32 v17, 1.0, v17
	v_sub_f32_e32 v16, v65, v16
	v_add_f32_e32 v53, v16, v17
	v_frexp_mant_f32_e32 v54, v52
	v_cvt_f64_f32_e32 v[16:17], v52
	v_frexp_exp_i32_f64_e32 v16, v[16:17]
	v_cmp_gt_f32_e32 vcc, s3, v54
	s_mov_b32 s3, 0x3f317218
	s_nop 0
	v_subbrev_co_u32_e32 v58, vcc, 0, v16, vcc
	v_sub_u32_e32 v16, 0, v58
	v_ldexp_f32 v17, v52, v16
	v_add_f32_e32 v52, -1.0, v17
	v_add_f32_e32 v54, 1.0, v17
	v_ldexp_f32 v16, v53, v16
	v_add_f32_e32 v53, 1.0, v52
	v_add_f32_e32 v55, -1.0, v54
	v_sub_f32_e32 v53, v17, v53
	v_sub_f32_e32 v17, v17, v55
	v_add_f32_e32 v53, v16, v53
	v_add_f32_e32 v16, v16, v17
	;; [unrolled: 1-line block ×3, first 2 shown]
	v_rcp_f32_e32 v61, v59
	v_sub_f32_e32 v17, v54, v59
	v_add_f32_e32 v60, v16, v17
	v_add_f32_e32 v17, v52, v53
	v_mul_f32_e32 v63, v17, v61
	v_sub_f32_e32 v16, v52, v17
	v_mul_f32_e32 v52, v59, v63
	v_fma_f32 v54, v63, v59, -v52
	v_fmac_f32_e32 v54, v63, v60
	v_add_f32_e32 v62, v53, v16
	v_add_f32_e32 v16, v52, v54
	v_sub_f32_e32 v53, v17, v16
	v_pk_add_f32 v[56:57], v[16:17], v[52:53] neg_lo:[0,1] neg_hi:[0,1]
	v_mov_b32_e32 v55, v16
	v_pk_add_f32 v[16:17], v[56:57], v[54:55] neg_lo:[0,1] neg_hi:[0,1]
	v_cmp_neq_f32_e32 vcc, s48, v65
	v_add_f32_e32 v17, v62, v17
	v_add_f32_e32 v16, v16, v17
	;; [unrolled: 1-line block ×3, first 2 shown]
	v_mul_f32_e32 v62, v61, v17
	v_mul_f32_e32 v52, v59, v62
	v_fma_f32 v54, v62, v59, -v52
	v_fmac_f32_e32 v54, v62, v60
	v_sub_f32_e32 v53, v53, v17
	v_add_f32_e32 v59, v16, v53
	v_add_f32_e32 v16, v52, v54
	v_sub_f32_e32 v53, v17, v16
	v_pk_add_f32 v[56:57], v[16:17], v[52:53] neg_lo:[0,1] neg_hi:[0,1]
	v_mov_b32_e32 v55, v16
	v_pk_add_f32 v[16:17], v[56:57], v[54:55] neg_lo:[0,1] neg_hi:[0,1]
	v_cvt_f32_i32_e32 v52, v58
	v_add_f32_e32 v17, v59, v17
	v_add_f32_e32 v16, v16, v17
	v_add_f32_e32 v16, v53, v16
	v_add_f32_e32 v53, v63, v62
	v_sub_f32_e32 v17, v53, v63
	v_mul_f32_e32 v16, v61, v16
	v_sub_f32_e32 v17, v62, v17
	v_add_f32_e32 v16, v17, v16
	v_add_f32_e32 v54, v53, v16
	v_mul_f32_e32 v56, v54, v54
	v_mov_b32_e32 v17, 0x3ecc95a3
	v_sub_f32_e32 v53, v54, v53
	v_fmac_f32_e32 v17, 0x3e9b6dac, v56
	v_sub_f32_e32 v16, v16, v53
	v_fmaak_f32 v17, v56, v17, 0x3f2aaada
	v_ldexp_f32 v57, v16, 1
	v_mul_f32_e32 v53, v54, v56
	v_mov_b32_e32 v16, 0x3f317218
	v_pk_mul_f32 v[16:17], v[52:53], v[16:17]
	v_ldexp_f32 v55, v54, 1
	v_fma_f32 v53, v52, s3, -v16
	v_fmamk_f32 v54, v52, 0xb102e308, v53
	v_pk_add_f32 v[52:53], v[16:17], v[54:55]
	v_mov_b32_e32 v56, v16
	v_sub_f32_e32 v55, v53, v55
	v_sub_f32_e32 v55, v17, v55
	v_add_f32_e32 v57, v57, v55
	v_pk_add_f32 v[16:17], v[52:53], v[16:17] neg_lo:[0,1] neg_hi:[0,1]
	v_pk_add_f32 v[58:59], v[52:53], v[56:57]
	v_mov_b32_e32 v55, v52
	v_mov_b32_e32 v17, v59
	v_pk_add_f32 v[60:61], v[54:55], v[16:17] neg_lo:[0,1] neg_hi:[0,1]
	v_pk_add_f32 v[16:17], v[54:55], v[16:17]
	v_mov_b32_e32 v56, v57
	v_pk_add_f32 v[54:55], v[16:17], v[52:53] op_sel:[1,0] op_sel_hi:[0,1] neg_lo:[0,1] neg_hi:[0,1]
	v_pk_add_f32 v[62:63], v[58:59], v[54:55] op_sel_hi:[1,0] neg_lo:[0,1] neg_hi:[0,1]
	v_mov_b32_e32 v58, v59
	v_mov_b32_e32 v59, v17
	v_pk_mov_b32 v[54:55], v[52:53], v[54:55] op_sel:[1,0]
	v_mov_b32_e32 v57, v52
	v_pk_add_f32 v[54:55], v[58:59], v[54:55] neg_lo:[0,1] neg_hi:[0,1]
	v_mov_b32_e32 v62, v60
	v_pk_add_f32 v[52:53], v[56:57], v[54:55] neg_lo:[0,1] neg_hi:[0,1]
	v_mov_b32_e32 v61, v17
	v_pk_add_f32 v[54:55], v[62:63], v[52:53]
	s_mov_b32 s3, 0x33800000
	v_pk_add_f32 v[56:57], v[54:55], v[54:55] op_sel:[0,1] op_sel_hi:[1,0]
	s_nop 0
	v_pk_add_f32 v[16:17], v[16:17], v[56:57] op_sel:[1,0] op_sel_hi:[0,1]
	v_mov_b32_e32 v55, v16
	v_pk_add_f32 v[58:59], v[54:55], v[60:61] neg_lo:[0,1] neg_hi:[0,1]
	v_mov_b32_e32 v53, v56
	v_sub_f32_e32 v17, v54, v58
	v_pk_add_f32 v[52:53], v[52:53], v[58:59] neg_lo:[0,1] neg_hi:[0,1]
	v_sub_f32_e32 v17, v60, v17
	v_add_f32_e32 v17, v52, v17
	v_add_f32_e32 v17, v17, v53
	;; [unrolled: 1-line block ×3, first 2 shown]
	v_cndmask_b32_e32 v16, v64, v16, vcc
	v_cmp_lt_f32_e64 vcc, |v65|, s3
	s_nop 1
	v_cndmask_b32_e32 v16, v16, v65, vcc
	v_add_f32_e32 v16, v15, v16
.LBB438_105:
	s_or_b64 exec, exec, s[34:35]
	v_bfe_u32 v15, v16, 16, 1
	s_movk_i32 s3, 0x7fff
	v_add3_u32 v15, v16, v15, s3
	v_cmp_o_f32_e32 vcc, v16, v16
	v_mov_b32_e32 v16, 0x7fc0
	s_nop 0
	v_cndmask_b32_sdwa v16, v16, v15, vcc dst_sel:DWORD dst_unused:UNUSED_PAD src0_sel:DWORD src1_sel:WORD_1
	v_and_b32_e32 v15, 0xffff, v16
.LBB438_106:
	s_or_b64 exec, exec, s[46:47]
	v_cmp_gt_u32_e32 vcc, 62, v50
	v_add_u32_e32 v53, 2, v50
	s_waitcnt lgkmcnt(0)
	v_cndmask_b32_e64 v17, 0, 2, vcc
	v_add_lshl_u32 v52, v17, v11, 2
	ds_bpermute_b32 v17, v52, v15
	v_cmp_le_u32_e32 vcc, v53, v14
	s_and_saveexec_b64 s[46:47], vcc
	s_cbranch_execz .LBB438_110
; %bb.107:
	s_waitcnt lgkmcnt(0)
	v_lshlrev_b32_e32 v16, 16, v17
	v_lshlrev_b32_e32 v15, 16, v15
	v_max_f32_e32 v54, v15, v15
	v_max_f32_e32 v55, v16, v16
	v_min_f32_e32 v17, v55, v54
	v_cmp_u_f32_e32 vcc, v16, v16
	v_max_f32_e32 v54, v55, v54
	v_cmp_u_f32_e64 s[34:35], v15, v15
	v_cndmask_b32_e32 v17, v17, v16, vcc
	v_cndmask_b32_e32 v54, v54, v16, vcc
	v_cndmask_b32_e64 v17, v17, v15, s[34:35]
	v_cndmask_b32_e64 v15, v54, v15, s[34:35]
	s_movk_i32 s3, 0x1f8
	v_cmp_neq_f32_e32 vcc, v17, v15
	v_cmp_class_f32_e64 s[34:35], v17, s3
	s_or_b64 s[48:49], vcc, s[34:35]
	s_and_saveexec_b64 s[34:35], s[48:49]
	s_cbranch_execz .LBB438_109
; %bb.108:
	v_sub_f32_e32 v16, v17, v15
	s_mov_b32 s3, 0x3fb8aa3b
	v_mul_f32_e32 v17, 0x3fb8aa3b, v16
	v_fma_f32 v54, v16, s3, -v17
	v_rndne_f32_e32 v55, v17
	v_fmamk_f32 v54, v16, 0x32a5705f, v54
	v_sub_f32_e32 v17, v17, v55
	v_add_f32_e32 v17, v17, v54
	v_exp_f32_e32 v17, v17
	v_cvt_i32_f32_e32 v54, v55
	s_mov_b32 s3, 0xc2ce8ed0
	v_cmp_ngt_f32_e32 vcc, s3, v16
	s_mov_b32 s3, 0x42b17218
	v_ldexp_f32 v17, v17, v54
	v_cndmask_b32_e32 v17, 0, v17, vcc
	v_mov_b32_e32 v66, 0x7f800000
	v_cmp_nlt_f32_e32 vcc, s3, v16
	s_mov_b32 s3, 0x3f2aaaab
	s_mov_b32 s48, 0x7f800000
	v_cndmask_b32_e32 v67, v66, v17, vcc
	v_add_f32_e32 v54, 1.0, v67
	v_add_f32_e32 v16, -1.0, v54
	v_sub_f32_e32 v17, v16, v54
	v_add_f32_e32 v17, 1.0, v17
	v_sub_f32_e32 v16, v67, v16
	v_add_f32_e32 v55, v16, v17
	v_frexp_mant_f32_e32 v56, v54
	v_cvt_f64_f32_e32 v[16:17], v54
	v_frexp_exp_i32_f64_e32 v16, v[16:17]
	v_cmp_gt_f32_e32 vcc, s3, v56
	s_mov_b32 s3, 0x3f317218
	s_nop 0
	v_subbrev_co_u32_e32 v60, vcc, 0, v16, vcc
	v_sub_u32_e32 v16, 0, v60
	v_ldexp_f32 v17, v54, v16
	v_add_f32_e32 v54, -1.0, v17
	v_add_f32_e32 v56, 1.0, v17
	v_ldexp_f32 v16, v55, v16
	v_add_f32_e32 v55, 1.0, v54
	v_add_f32_e32 v57, -1.0, v56
	v_sub_f32_e32 v55, v17, v55
	v_sub_f32_e32 v17, v17, v57
	v_add_f32_e32 v55, v16, v55
	v_add_f32_e32 v16, v16, v17
	v_add_f32_e32 v61, v56, v16
	v_rcp_f32_e32 v63, v61
	v_sub_f32_e32 v17, v56, v61
	v_add_f32_e32 v62, v16, v17
	v_add_f32_e32 v17, v54, v55
	v_mul_f32_e32 v65, v17, v63
	v_sub_f32_e32 v16, v54, v17
	v_mul_f32_e32 v54, v61, v65
	v_fma_f32 v56, v65, v61, -v54
	v_fmac_f32_e32 v56, v65, v62
	v_add_f32_e32 v64, v55, v16
	v_add_f32_e32 v16, v54, v56
	v_sub_f32_e32 v55, v17, v16
	v_pk_add_f32 v[58:59], v[16:17], v[54:55] neg_lo:[0,1] neg_hi:[0,1]
	v_mov_b32_e32 v57, v16
	v_pk_add_f32 v[16:17], v[58:59], v[56:57] neg_lo:[0,1] neg_hi:[0,1]
	v_cmp_neq_f32_e32 vcc, s48, v67
	v_add_f32_e32 v17, v64, v17
	v_add_f32_e32 v16, v16, v17
	;; [unrolled: 1-line block ×3, first 2 shown]
	v_mul_f32_e32 v64, v63, v17
	v_mul_f32_e32 v54, v61, v64
	v_fma_f32 v56, v64, v61, -v54
	v_fmac_f32_e32 v56, v64, v62
	v_sub_f32_e32 v55, v55, v17
	v_add_f32_e32 v61, v16, v55
	v_add_f32_e32 v16, v54, v56
	v_sub_f32_e32 v55, v17, v16
	v_pk_add_f32 v[58:59], v[16:17], v[54:55] neg_lo:[0,1] neg_hi:[0,1]
	v_mov_b32_e32 v57, v16
	v_pk_add_f32 v[16:17], v[58:59], v[56:57] neg_lo:[0,1] neg_hi:[0,1]
	v_cvt_f32_i32_e32 v54, v60
	v_add_f32_e32 v17, v61, v17
	v_add_f32_e32 v16, v16, v17
	;; [unrolled: 1-line block ×4, first 2 shown]
	v_sub_f32_e32 v17, v55, v65
	v_mul_f32_e32 v16, v63, v16
	v_sub_f32_e32 v17, v64, v17
	v_add_f32_e32 v16, v17, v16
	v_add_f32_e32 v56, v55, v16
	v_mul_f32_e32 v58, v56, v56
	v_mov_b32_e32 v17, 0x3ecc95a3
	v_sub_f32_e32 v55, v56, v55
	v_fmac_f32_e32 v17, 0x3e9b6dac, v58
	v_sub_f32_e32 v16, v16, v55
	v_fmaak_f32 v17, v58, v17, 0x3f2aaada
	v_ldexp_f32 v59, v16, 1
	v_mul_f32_e32 v55, v56, v58
	v_mov_b32_e32 v16, 0x3f317218
	v_pk_mul_f32 v[16:17], v[54:55], v[16:17]
	v_ldexp_f32 v57, v56, 1
	v_fma_f32 v55, v54, s3, -v16
	v_fmamk_f32 v56, v54, 0xb102e308, v55
	v_pk_add_f32 v[54:55], v[16:17], v[56:57]
	v_mov_b32_e32 v58, v16
	v_sub_f32_e32 v57, v55, v57
	v_sub_f32_e32 v57, v17, v57
	v_add_f32_e32 v59, v59, v57
	v_pk_add_f32 v[16:17], v[54:55], v[16:17] neg_lo:[0,1] neg_hi:[0,1]
	v_pk_add_f32 v[60:61], v[54:55], v[58:59]
	v_mov_b32_e32 v57, v54
	v_mov_b32_e32 v17, v61
	v_pk_add_f32 v[62:63], v[56:57], v[16:17] neg_lo:[0,1] neg_hi:[0,1]
	v_pk_add_f32 v[16:17], v[56:57], v[16:17]
	v_mov_b32_e32 v58, v59
	v_pk_add_f32 v[56:57], v[16:17], v[54:55] op_sel:[1,0] op_sel_hi:[0,1] neg_lo:[0,1] neg_hi:[0,1]
	v_pk_add_f32 v[64:65], v[60:61], v[56:57] op_sel_hi:[1,0] neg_lo:[0,1] neg_hi:[0,1]
	v_mov_b32_e32 v60, v61
	v_mov_b32_e32 v61, v17
	v_pk_mov_b32 v[56:57], v[54:55], v[56:57] op_sel:[1,0]
	v_mov_b32_e32 v59, v54
	v_pk_add_f32 v[56:57], v[60:61], v[56:57] neg_lo:[0,1] neg_hi:[0,1]
	v_mov_b32_e32 v64, v62
	v_pk_add_f32 v[54:55], v[58:59], v[56:57] neg_lo:[0,1] neg_hi:[0,1]
	v_mov_b32_e32 v63, v17
	v_pk_add_f32 v[56:57], v[64:65], v[54:55]
	s_mov_b32 s3, 0x33800000
	v_pk_add_f32 v[58:59], v[56:57], v[56:57] op_sel:[0,1] op_sel_hi:[1,0]
	s_nop 0
	v_pk_add_f32 v[16:17], v[16:17], v[58:59] op_sel:[1,0] op_sel_hi:[0,1]
	v_mov_b32_e32 v57, v16
	v_pk_add_f32 v[60:61], v[56:57], v[62:63] neg_lo:[0,1] neg_hi:[0,1]
	v_mov_b32_e32 v55, v58
	v_sub_f32_e32 v17, v56, v60
	v_pk_add_f32 v[54:55], v[54:55], v[60:61] neg_lo:[0,1] neg_hi:[0,1]
	v_sub_f32_e32 v17, v62, v17
	v_add_f32_e32 v17, v54, v17
	v_add_f32_e32 v17, v17, v55
	;; [unrolled: 1-line block ×3, first 2 shown]
	v_cndmask_b32_e32 v16, v66, v16, vcc
	v_cmp_lt_f32_e64 vcc, |v67|, s3
	s_nop 1
	v_cndmask_b32_e32 v16, v16, v67, vcc
	v_add_f32_e32 v16, v15, v16
.LBB438_109:
	s_or_b64 exec, exec, s[34:35]
	v_bfe_u32 v15, v16, 16, 1
	s_movk_i32 s3, 0x7fff
	v_add3_u32 v15, v16, v15, s3
	v_cmp_o_f32_e32 vcc, v16, v16
	v_mov_b32_e32 v16, 0x7fc0
	s_nop 0
	v_cndmask_b32_sdwa v16, v16, v15, vcc dst_sel:DWORD dst_unused:UNUSED_PAD src0_sel:DWORD src1_sel:WORD_1
	v_and_b32_e32 v15, 0xffff, v16
.LBB438_110:
	s_or_b64 exec, exec, s[46:47]
	v_cmp_gt_u32_e32 vcc, 60, v50
	v_add_u32_e32 v55, 4, v50
	s_waitcnt lgkmcnt(0)
	v_cndmask_b32_e64 v17, 0, 4, vcc
	v_add_lshl_u32 v54, v17, v11, 2
	ds_bpermute_b32 v17, v54, v15
	v_cmp_le_u32_e32 vcc, v55, v14
	s_and_saveexec_b64 s[46:47], vcc
	s_cbranch_execz .LBB438_114
; %bb.111:
	s_waitcnt lgkmcnt(0)
	v_lshlrev_b32_e32 v16, 16, v17
	v_lshlrev_b32_e32 v15, 16, v15
	v_max_f32_e32 v56, v15, v15
	v_max_f32_e32 v57, v16, v16
	v_min_f32_e32 v17, v57, v56
	v_cmp_u_f32_e32 vcc, v16, v16
	v_max_f32_e32 v56, v57, v56
	v_cmp_u_f32_e64 s[34:35], v15, v15
	v_cndmask_b32_e32 v17, v17, v16, vcc
	v_cndmask_b32_e32 v56, v56, v16, vcc
	v_cndmask_b32_e64 v17, v17, v15, s[34:35]
	v_cndmask_b32_e64 v15, v56, v15, s[34:35]
	s_movk_i32 s3, 0x1f8
	v_cmp_neq_f32_e32 vcc, v17, v15
	v_cmp_class_f32_e64 s[34:35], v17, s3
	s_or_b64 s[48:49], vcc, s[34:35]
	s_and_saveexec_b64 s[34:35], s[48:49]
	s_cbranch_execz .LBB438_113
; %bb.112:
	v_sub_f32_e32 v16, v17, v15
	s_mov_b32 s3, 0x3fb8aa3b
	v_mul_f32_e32 v17, 0x3fb8aa3b, v16
	v_fma_f32 v56, v16, s3, -v17
	v_rndne_f32_e32 v57, v17
	v_fmamk_f32 v56, v16, 0x32a5705f, v56
	v_sub_f32_e32 v17, v17, v57
	v_add_f32_e32 v17, v17, v56
	v_exp_f32_e32 v17, v17
	v_cvt_i32_f32_e32 v56, v57
	s_mov_b32 s3, 0xc2ce8ed0
	v_cmp_ngt_f32_e32 vcc, s3, v16
	s_mov_b32 s3, 0x42b17218
	v_ldexp_f32 v17, v17, v56
	v_cndmask_b32_e32 v17, 0, v17, vcc
	v_mov_b32_e32 v68, 0x7f800000
	v_cmp_nlt_f32_e32 vcc, s3, v16
	s_mov_b32 s3, 0x3f2aaaab
	s_mov_b32 s48, 0x7f800000
	v_cndmask_b32_e32 v69, v68, v17, vcc
	v_add_f32_e32 v56, 1.0, v69
	v_add_f32_e32 v16, -1.0, v56
	v_sub_f32_e32 v17, v16, v56
	v_add_f32_e32 v17, 1.0, v17
	v_sub_f32_e32 v16, v69, v16
	v_add_f32_e32 v57, v16, v17
	v_frexp_mant_f32_e32 v58, v56
	v_cvt_f64_f32_e32 v[16:17], v56
	v_frexp_exp_i32_f64_e32 v16, v[16:17]
	v_cmp_gt_f32_e32 vcc, s3, v58
	s_mov_b32 s3, 0x3f317218
	s_nop 0
	v_subbrev_co_u32_e32 v62, vcc, 0, v16, vcc
	v_sub_u32_e32 v16, 0, v62
	v_ldexp_f32 v17, v56, v16
	v_add_f32_e32 v56, -1.0, v17
	v_add_f32_e32 v58, 1.0, v17
	v_ldexp_f32 v16, v57, v16
	v_add_f32_e32 v57, 1.0, v56
	v_add_f32_e32 v59, -1.0, v58
	v_sub_f32_e32 v57, v17, v57
	v_sub_f32_e32 v17, v17, v59
	v_add_f32_e32 v57, v16, v57
	v_add_f32_e32 v16, v16, v17
	;; [unrolled: 1-line block ×3, first 2 shown]
	v_rcp_f32_e32 v65, v63
	v_sub_f32_e32 v17, v58, v63
	v_add_f32_e32 v64, v16, v17
	v_add_f32_e32 v17, v56, v57
	v_mul_f32_e32 v67, v17, v65
	v_sub_f32_e32 v16, v56, v17
	v_mul_f32_e32 v56, v63, v67
	v_fma_f32 v58, v67, v63, -v56
	v_fmac_f32_e32 v58, v67, v64
	v_add_f32_e32 v66, v57, v16
	v_add_f32_e32 v16, v56, v58
	v_sub_f32_e32 v57, v17, v16
	v_pk_add_f32 v[60:61], v[16:17], v[56:57] neg_lo:[0,1] neg_hi:[0,1]
	v_mov_b32_e32 v59, v16
	v_pk_add_f32 v[16:17], v[60:61], v[58:59] neg_lo:[0,1] neg_hi:[0,1]
	v_cmp_neq_f32_e32 vcc, s48, v69
	v_add_f32_e32 v17, v66, v17
	v_add_f32_e32 v16, v16, v17
	;; [unrolled: 1-line block ×3, first 2 shown]
	v_mul_f32_e32 v66, v65, v17
	v_mul_f32_e32 v56, v63, v66
	v_fma_f32 v58, v66, v63, -v56
	v_fmac_f32_e32 v58, v66, v64
	v_sub_f32_e32 v57, v57, v17
	v_add_f32_e32 v63, v16, v57
	v_add_f32_e32 v16, v56, v58
	v_sub_f32_e32 v57, v17, v16
	v_pk_add_f32 v[60:61], v[16:17], v[56:57] neg_lo:[0,1] neg_hi:[0,1]
	v_mov_b32_e32 v59, v16
	v_pk_add_f32 v[16:17], v[60:61], v[58:59] neg_lo:[0,1] neg_hi:[0,1]
	v_cvt_f32_i32_e32 v56, v62
	v_add_f32_e32 v17, v63, v17
	v_add_f32_e32 v16, v16, v17
	;; [unrolled: 1-line block ×4, first 2 shown]
	v_sub_f32_e32 v17, v57, v67
	v_mul_f32_e32 v16, v65, v16
	v_sub_f32_e32 v17, v66, v17
	v_add_f32_e32 v16, v17, v16
	v_add_f32_e32 v58, v57, v16
	v_mul_f32_e32 v60, v58, v58
	v_mov_b32_e32 v17, 0x3ecc95a3
	v_sub_f32_e32 v57, v58, v57
	v_fmac_f32_e32 v17, 0x3e9b6dac, v60
	v_sub_f32_e32 v16, v16, v57
	v_fmaak_f32 v17, v60, v17, 0x3f2aaada
	v_ldexp_f32 v61, v16, 1
	v_mul_f32_e32 v57, v58, v60
	v_mov_b32_e32 v16, 0x3f317218
	v_pk_mul_f32 v[16:17], v[56:57], v[16:17]
	v_ldexp_f32 v59, v58, 1
	v_fma_f32 v57, v56, s3, -v16
	v_fmamk_f32 v58, v56, 0xb102e308, v57
	v_pk_add_f32 v[56:57], v[16:17], v[58:59]
	v_mov_b32_e32 v60, v16
	v_sub_f32_e32 v59, v57, v59
	v_sub_f32_e32 v59, v17, v59
	v_add_f32_e32 v61, v61, v59
	v_pk_add_f32 v[16:17], v[56:57], v[16:17] neg_lo:[0,1] neg_hi:[0,1]
	v_pk_add_f32 v[62:63], v[56:57], v[60:61]
	v_mov_b32_e32 v59, v56
	v_mov_b32_e32 v17, v63
	v_pk_add_f32 v[64:65], v[58:59], v[16:17] neg_lo:[0,1] neg_hi:[0,1]
	v_pk_add_f32 v[16:17], v[58:59], v[16:17]
	v_mov_b32_e32 v60, v61
	v_pk_add_f32 v[58:59], v[16:17], v[56:57] op_sel:[1,0] op_sel_hi:[0,1] neg_lo:[0,1] neg_hi:[0,1]
	v_pk_add_f32 v[66:67], v[62:63], v[58:59] op_sel_hi:[1,0] neg_lo:[0,1] neg_hi:[0,1]
	v_mov_b32_e32 v62, v63
	v_mov_b32_e32 v63, v17
	v_pk_mov_b32 v[58:59], v[56:57], v[58:59] op_sel:[1,0]
	v_mov_b32_e32 v61, v56
	v_pk_add_f32 v[58:59], v[62:63], v[58:59] neg_lo:[0,1] neg_hi:[0,1]
	v_mov_b32_e32 v66, v64
	v_pk_add_f32 v[56:57], v[60:61], v[58:59] neg_lo:[0,1] neg_hi:[0,1]
	v_mov_b32_e32 v65, v17
	v_pk_add_f32 v[58:59], v[66:67], v[56:57]
	s_mov_b32 s3, 0x33800000
	v_pk_add_f32 v[60:61], v[58:59], v[58:59] op_sel:[0,1] op_sel_hi:[1,0]
	s_nop 0
	v_pk_add_f32 v[16:17], v[16:17], v[60:61] op_sel:[1,0] op_sel_hi:[0,1]
	v_mov_b32_e32 v59, v16
	v_pk_add_f32 v[62:63], v[58:59], v[64:65] neg_lo:[0,1] neg_hi:[0,1]
	v_mov_b32_e32 v57, v60
	v_sub_f32_e32 v17, v58, v62
	v_pk_add_f32 v[56:57], v[56:57], v[62:63] neg_lo:[0,1] neg_hi:[0,1]
	v_sub_f32_e32 v17, v64, v17
	v_add_f32_e32 v17, v56, v17
	v_add_f32_e32 v17, v17, v57
	;; [unrolled: 1-line block ×3, first 2 shown]
	v_cndmask_b32_e32 v16, v68, v16, vcc
	v_cmp_lt_f32_e64 vcc, |v69|, s3
	s_nop 1
	v_cndmask_b32_e32 v16, v16, v69, vcc
	v_add_f32_e32 v16, v15, v16
.LBB438_113:
	s_or_b64 exec, exec, s[34:35]
	v_bfe_u32 v15, v16, 16, 1
	s_movk_i32 s3, 0x7fff
	v_add3_u32 v15, v16, v15, s3
	v_cmp_o_f32_e32 vcc, v16, v16
	v_mov_b32_e32 v16, 0x7fc0
	s_nop 0
	v_cndmask_b32_sdwa v16, v16, v15, vcc dst_sel:DWORD dst_unused:UNUSED_PAD src0_sel:DWORD src1_sel:WORD_1
	v_and_b32_e32 v15, 0xffff, v16
.LBB438_114:
	s_or_b64 exec, exec, s[46:47]
	v_cmp_gt_u32_e32 vcc, 56, v50
	v_add_u32_e32 v57, 8, v50
	s_waitcnt lgkmcnt(0)
	v_cndmask_b32_e64 v17, 0, 8, vcc
	v_add_lshl_u32 v56, v17, v11, 2
	ds_bpermute_b32 v17, v56, v15
	v_cmp_le_u32_e32 vcc, v57, v14
	s_and_saveexec_b64 s[46:47], vcc
	s_cbranch_execz .LBB438_118
; %bb.115:
	s_waitcnt lgkmcnt(0)
	v_lshlrev_b32_e32 v16, 16, v17
	v_lshlrev_b32_e32 v15, 16, v15
	v_max_f32_e32 v58, v15, v15
	v_max_f32_e32 v59, v16, v16
	v_min_f32_e32 v17, v59, v58
	v_cmp_u_f32_e32 vcc, v16, v16
	v_max_f32_e32 v58, v59, v58
	v_cmp_u_f32_e64 s[34:35], v15, v15
	v_cndmask_b32_e32 v17, v17, v16, vcc
	v_cndmask_b32_e32 v58, v58, v16, vcc
	v_cndmask_b32_e64 v17, v17, v15, s[34:35]
	v_cndmask_b32_e64 v15, v58, v15, s[34:35]
	s_movk_i32 s3, 0x1f8
	v_cmp_neq_f32_e32 vcc, v17, v15
	v_cmp_class_f32_e64 s[34:35], v17, s3
	s_or_b64 s[48:49], vcc, s[34:35]
	s_and_saveexec_b64 s[34:35], s[48:49]
	s_cbranch_execz .LBB438_117
; %bb.116:
	v_sub_f32_e32 v16, v17, v15
	s_mov_b32 s3, 0x3fb8aa3b
	v_mul_f32_e32 v17, 0x3fb8aa3b, v16
	v_fma_f32 v58, v16, s3, -v17
	v_rndne_f32_e32 v59, v17
	v_fmamk_f32 v58, v16, 0x32a5705f, v58
	v_sub_f32_e32 v17, v17, v59
	v_add_f32_e32 v17, v17, v58
	v_exp_f32_e32 v17, v17
	v_cvt_i32_f32_e32 v58, v59
	s_mov_b32 s3, 0xc2ce8ed0
	v_cmp_ngt_f32_e32 vcc, s3, v16
	s_mov_b32 s3, 0x42b17218
	v_ldexp_f32 v17, v17, v58
	v_cndmask_b32_e32 v17, 0, v17, vcc
	v_mov_b32_e32 v70, 0x7f800000
	v_cmp_nlt_f32_e32 vcc, s3, v16
	s_mov_b32 s3, 0x3f2aaaab
	s_mov_b32 s48, 0x7f800000
	v_cndmask_b32_e32 v71, v70, v17, vcc
	v_add_f32_e32 v58, 1.0, v71
	v_add_f32_e32 v16, -1.0, v58
	v_sub_f32_e32 v17, v16, v58
	v_add_f32_e32 v17, 1.0, v17
	v_sub_f32_e32 v16, v71, v16
	v_add_f32_e32 v59, v16, v17
	v_frexp_mant_f32_e32 v60, v58
	v_cvt_f64_f32_e32 v[16:17], v58
	v_frexp_exp_i32_f64_e32 v16, v[16:17]
	v_cmp_gt_f32_e32 vcc, s3, v60
	s_mov_b32 s3, 0x3f317218
	s_nop 0
	v_subbrev_co_u32_e32 v64, vcc, 0, v16, vcc
	v_sub_u32_e32 v16, 0, v64
	v_ldexp_f32 v17, v58, v16
	v_add_f32_e32 v58, -1.0, v17
	v_add_f32_e32 v60, 1.0, v17
	v_ldexp_f32 v16, v59, v16
	v_add_f32_e32 v59, 1.0, v58
	v_add_f32_e32 v61, -1.0, v60
	v_sub_f32_e32 v59, v17, v59
	v_sub_f32_e32 v17, v17, v61
	v_add_f32_e32 v59, v16, v59
	v_add_f32_e32 v16, v16, v17
	;; [unrolled: 1-line block ×3, first 2 shown]
	v_rcp_f32_e32 v67, v65
	v_sub_f32_e32 v17, v60, v65
	v_add_f32_e32 v66, v16, v17
	v_add_f32_e32 v17, v58, v59
	v_mul_f32_e32 v69, v17, v67
	v_sub_f32_e32 v16, v58, v17
	v_mul_f32_e32 v58, v65, v69
	v_fma_f32 v60, v69, v65, -v58
	v_fmac_f32_e32 v60, v69, v66
	v_add_f32_e32 v68, v59, v16
	v_add_f32_e32 v16, v58, v60
	v_sub_f32_e32 v59, v17, v16
	v_pk_add_f32 v[62:63], v[16:17], v[58:59] neg_lo:[0,1] neg_hi:[0,1]
	v_mov_b32_e32 v61, v16
	v_pk_add_f32 v[16:17], v[62:63], v[60:61] neg_lo:[0,1] neg_hi:[0,1]
	v_cmp_neq_f32_e32 vcc, s48, v71
	v_add_f32_e32 v17, v68, v17
	v_add_f32_e32 v16, v16, v17
	;; [unrolled: 1-line block ×3, first 2 shown]
	v_mul_f32_e32 v68, v67, v17
	v_mul_f32_e32 v58, v65, v68
	v_fma_f32 v60, v68, v65, -v58
	v_fmac_f32_e32 v60, v68, v66
	v_sub_f32_e32 v59, v59, v17
	v_add_f32_e32 v65, v16, v59
	v_add_f32_e32 v16, v58, v60
	v_sub_f32_e32 v59, v17, v16
	v_pk_add_f32 v[62:63], v[16:17], v[58:59] neg_lo:[0,1] neg_hi:[0,1]
	v_mov_b32_e32 v61, v16
	v_pk_add_f32 v[16:17], v[62:63], v[60:61] neg_lo:[0,1] neg_hi:[0,1]
	v_cvt_f32_i32_e32 v58, v64
	v_add_f32_e32 v17, v65, v17
	v_add_f32_e32 v16, v16, v17
	;; [unrolled: 1-line block ×4, first 2 shown]
	v_sub_f32_e32 v17, v59, v69
	v_mul_f32_e32 v16, v67, v16
	v_sub_f32_e32 v17, v68, v17
	v_add_f32_e32 v16, v17, v16
	v_add_f32_e32 v60, v59, v16
	v_mul_f32_e32 v62, v60, v60
	v_mov_b32_e32 v17, 0x3ecc95a3
	v_sub_f32_e32 v59, v60, v59
	v_fmac_f32_e32 v17, 0x3e9b6dac, v62
	v_sub_f32_e32 v16, v16, v59
	v_fmaak_f32 v17, v62, v17, 0x3f2aaada
	v_ldexp_f32 v63, v16, 1
	v_mul_f32_e32 v59, v60, v62
	v_mov_b32_e32 v16, 0x3f317218
	v_pk_mul_f32 v[16:17], v[58:59], v[16:17]
	v_ldexp_f32 v61, v60, 1
	v_fma_f32 v59, v58, s3, -v16
	v_fmamk_f32 v60, v58, 0xb102e308, v59
	v_pk_add_f32 v[58:59], v[16:17], v[60:61]
	v_mov_b32_e32 v62, v16
	v_sub_f32_e32 v61, v59, v61
	v_sub_f32_e32 v61, v17, v61
	v_add_f32_e32 v63, v63, v61
	v_pk_add_f32 v[16:17], v[58:59], v[16:17] neg_lo:[0,1] neg_hi:[0,1]
	v_pk_add_f32 v[64:65], v[58:59], v[62:63]
	v_mov_b32_e32 v61, v58
	v_mov_b32_e32 v17, v65
	v_pk_add_f32 v[66:67], v[60:61], v[16:17] neg_lo:[0,1] neg_hi:[0,1]
	v_pk_add_f32 v[16:17], v[60:61], v[16:17]
	v_mov_b32_e32 v62, v63
	v_pk_add_f32 v[60:61], v[16:17], v[58:59] op_sel:[1,0] op_sel_hi:[0,1] neg_lo:[0,1] neg_hi:[0,1]
	v_pk_add_f32 v[68:69], v[64:65], v[60:61] op_sel_hi:[1,0] neg_lo:[0,1] neg_hi:[0,1]
	v_mov_b32_e32 v64, v65
	v_mov_b32_e32 v65, v17
	v_pk_mov_b32 v[60:61], v[58:59], v[60:61] op_sel:[1,0]
	v_mov_b32_e32 v63, v58
	v_pk_add_f32 v[60:61], v[64:65], v[60:61] neg_lo:[0,1] neg_hi:[0,1]
	v_mov_b32_e32 v68, v66
	v_pk_add_f32 v[58:59], v[62:63], v[60:61] neg_lo:[0,1] neg_hi:[0,1]
	v_mov_b32_e32 v67, v17
	v_pk_add_f32 v[60:61], v[68:69], v[58:59]
	s_mov_b32 s3, 0x33800000
	v_pk_add_f32 v[62:63], v[60:61], v[60:61] op_sel:[0,1] op_sel_hi:[1,0]
	s_nop 0
	v_pk_add_f32 v[16:17], v[16:17], v[62:63] op_sel:[1,0] op_sel_hi:[0,1]
	v_mov_b32_e32 v61, v16
	v_pk_add_f32 v[64:65], v[60:61], v[66:67] neg_lo:[0,1] neg_hi:[0,1]
	v_mov_b32_e32 v59, v62
	v_sub_f32_e32 v17, v60, v64
	v_pk_add_f32 v[58:59], v[58:59], v[64:65] neg_lo:[0,1] neg_hi:[0,1]
	v_sub_f32_e32 v17, v66, v17
	v_add_f32_e32 v17, v58, v17
	v_add_f32_e32 v17, v17, v59
	;; [unrolled: 1-line block ×3, first 2 shown]
	v_cndmask_b32_e32 v16, v70, v16, vcc
	v_cmp_lt_f32_e64 vcc, |v71|, s3
	s_nop 1
	v_cndmask_b32_e32 v16, v16, v71, vcc
	v_add_f32_e32 v16, v15, v16
.LBB438_117:
	s_or_b64 exec, exec, s[34:35]
	v_bfe_u32 v15, v16, 16, 1
	s_movk_i32 s3, 0x7fff
	v_add3_u32 v15, v16, v15, s3
	v_cmp_o_f32_e32 vcc, v16, v16
	v_mov_b32_e32 v16, 0x7fc0
	s_nop 0
	v_cndmask_b32_sdwa v16, v16, v15, vcc dst_sel:DWORD dst_unused:UNUSED_PAD src0_sel:DWORD src1_sel:WORD_1
	v_and_b32_e32 v15, 0xffff, v16
.LBB438_118:
	s_or_b64 exec, exec, s[46:47]
	v_cmp_gt_u32_e32 vcc, 48, v50
	v_add_u32_e32 v59, 16, v50
	s_waitcnt lgkmcnt(0)
	v_cndmask_b32_e64 v17, 0, 16, vcc
	v_add_lshl_u32 v58, v17, v11, 2
	ds_bpermute_b32 v17, v58, v15
	v_cmp_le_u32_e32 vcc, v59, v14
	s_and_saveexec_b64 s[46:47], vcc
	s_cbranch_execz .LBB438_122
; %bb.119:
	s_waitcnt lgkmcnt(0)
	v_lshlrev_b32_e32 v16, 16, v17
	v_lshlrev_b32_e32 v15, 16, v15
	v_max_f32_e32 v60, v15, v15
	v_max_f32_e32 v61, v16, v16
	v_min_f32_e32 v17, v61, v60
	v_cmp_u_f32_e32 vcc, v16, v16
	v_max_f32_e32 v60, v61, v60
	v_cmp_u_f32_e64 s[34:35], v15, v15
	v_cndmask_b32_e32 v17, v17, v16, vcc
	v_cndmask_b32_e32 v60, v60, v16, vcc
	v_cndmask_b32_e64 v17, v17, v15, s[34:35]
	v_cndmask_b32_e64 v15, v60, v15, s[34:35]
	s_movk_i32 s3, 0x1f8
	v_cmp_neq_f32_e32 vcc, v17, v15
	v_cmp_class_f32_e64 s[34:35], v17, s3
	s_or_b64 s[48:49], vcc, s[34:35]
	s_and_saveexec_b64 s[34:35], s[48:49]
	s_cbranch_execz .LBB438_121
; %bb.120:
	v_sub_f32_e32 v16, v17, v15
	s_mov_b32 s3, 0x3fb8aa3b
	v_mul_f32_e32 v17, 0x3fb8aa3b, v16
	v_fma_f32 v60, v16, s3, -v17
	v_rndne_f32_e32 v61, v17
	v_fmamk_f32 v60, v16, 0x32a5705f, v60
	v_sub_f32_e32 v17, v17, v61
	v_add_f32_e32 v17, v17, v60
	v_exp_f32_e32 v17, v17
	v_cvt_i32_f32_e32 v60, v61
	s_mov_b32 s3, 0xc2ce8ed0
	v_cmp_ngt_f32_e32 vcc, s3, v16
	s_mov_b32 s3, 0x42b17218
	v_ldexp_f32 v17, v17, v60
	v_cndmask_b32_e32 v17, 0, v17, vcc
	v_mov_b32_e32 v72, 0x7f800000
	v_cmp_nlt_f32_e32 vcc, s3, v16
	s_mov_b32 s3, 0x3f2aaaab
	s_mov_b32 s48, 0x7f800000
	v_cndmask_b32_e32 v73, v72, v17, vcc
	v_add_f32_e32 v60, 1.0, v73
	v_add_f32_e32 v16, -1.0, v60
	v_sub_f32_e32 v17, v16, v60
	v_add_f32_e32 v17, 1.0, v17
	v_sub_f32_e32 v16, v73, v16
	v_add_f32_e32 v61, v16, v17
	v_frexp_mant_f32_e32 v62, v60
	v_cvt_f64_f32_e32 v[16:17], v60
	v_frexp_exp_i32_f64_e32 v16, v[16:17]
	v_cmp_gt_f32_e32 vcc, s3, v62
	s_mov_b32 s3, 0x3f317218
	s_nop 0
	v_subbrev_co_u32_e32 v66, vcc, 0, v16, vcc
	v_sub_u32_e32 v16, 0, v66
	v_ldexp_f32 v17, v60, v16
	v_add_f32_e32 v60, -1.0, v17
	v_add_f32_e32 v62, 1.0, v17
	v_ldexp_f32 v16, v61, v16
	v_add_f32_e32 v61, 1.0, v60
	v_add_f32_e32 v63, -1.0, v62
	v_sub_f32_e32 v61, v17, v61
	v_sub_f32_e32 v17, v17, v63
	v_add_f32_e32 v61, v16, v61
	v_add_f32_e32 v16, v16, v17
	;; [unrolled: 1-line block ×3, first 2 shown]
	v_rcp_f32_e32 v69, v67
	v_sub_f32_e32 v17, v62, v67
	v_add_f32_e32 v68, v16, v17
	v_add_f32_e32 v17, v60, v61
	v_mul_f32_e32 v71, v17, v69
	v_sub_f32_e32 v16, v60, v17
	v_mul_f32_e32 v60, v67, v71
	v_fma_f32 v62, v71, v67, -v60
	v_fmac_f32_e32 v62, v71, v68
	v_add_f32_e32 v70, v61, v16
	v_add_f32_e32 v16, v60, v62
	v_sub_f32_e32 v61, v17, v16
	v_pk_add_f32 v[64:65], v[16:17], v[60:61] neg_lo:[0,1] neg_hi:[0,1]
	v_mov_b32_e32 v63, v16
	v_pk_add_f32 v[16:17], v[64:65], v[62:63] neg_lo:[0,1] neg_hi:[0,1]
	v_cmp_neq_f32_e32 vcc, s48, v73
	v_add_f32_e32 v17, v70, v17
	v_add_f32_e32 v16, v16, v17
	;; [unrolled: 1-line block ×3, first 2 shown]
	v_mul_f32_e32 v70, v69, v17
	v_mul_f32_e32 v60, v67, v70
	v_fma_f32 v62, v70, v67, -v60
	v_fmac_f32_e32 v62, v70, v68
	v_sub_f32_e32 v61, v61, v17
	v_add_f32_e32 v67, v16, v61
	v_add_f32_e32 v16, v60, v62
	v_sub_f32_e32 v61, v17, v16
	v_pk_add_f32 v[64:65], v[16:17], v[60:61] neg_lo:[0,1] neg_hi:[0,1]
	v_mov_b32_e32 v63, v16
	v_pk_add_f32 v[16:17], v[64:65], v[62:63] neg_lo:[0,1] neg_hi:[0,1]
	v_cvt_f32_i32_e32 v60, v66
	v_add_f32_e32 v17, v67, v17
	v_add_f32_e32 v16, v16, v17
	;; [unrolled: 1-line block ×4, first 2 shown]
	v_sub_f32_e32 v17, v61, v71
	v_mul_f32_e32 v16, v69, v16
	v_sub_f32_e32 v17, v70, v17
	v_add_f32_e32 v16, v17, v16
	v_add_f32_e32 v62, v61, v16
	v_mul_f32_e32 v64, v62, v62
	v_mov_b32_e32 v17, 0x3ecc95a3
	v_sub_f32_e32 v61, v62, v61
	v_fmac_f32_e32 v17, 0x3e9b6dac, v64
	v_sub_f32_e32 v16, v16, v61
	v_fmaak_f32 v17, v64, v17, 0x3f2aaada
	v_ldexp_f32 v65, v16, 1
	v_mul_f32_e32 v61, v62, v64
	v_mov_b32_e32 v16, 0x3f317218
	v_pk_mul_f32 v[16:17], v[60:61], v[16:17]
	v_ldexp_f32 v63, v62, 1
	v_fma_f32 v61, v60, s3, -v16
	v_fmamk_f32 v62, v60, 0xb102e308, v61
	v_pk_add_f32 v[60:61], v[16:17], v[62:63]
	v_mov_b32_e32 v64, v16
	v_sub_f32_e32 v63, v61, v63
	v_sub_f32_e32 v63, v17, v63
	v_add_f32_e32 v65, v65, v63
	v_pk_add_f32 v[16:17], v[60:61], v[16:17] neg_lo:[0,1] neg_hi:[0,1]
	v_pk_add_f32 v[66:67], v[60:61], v[64:65]
	v_mov_b32_e32 v63, v60
	v_mov_b32_e32 v17, v67
	v_pk_add_f32 v[68:69], v[62:63], v[16:17] neg_lo:[0,1] neg_hi:[0,1]
	v_pk_add_f32 v[16:17], v[62:63], v[16:17]
	v_mov_b32_e32 v64, v65
	v_pk_add_f32 v[62:63], v[16:17], v[60:61] op_sel:[1,0] op_sel_hi:[0,1] neg_lo:[0,1] neg_hi:[0,1]
	v_pk_add_f32 v[70:71], v[66:67], v[62:63] op_sel_hi:[1,0] neg_lo:[0,1] neg_hi:[0,1]
	v_mov_b32_e32 v66, v67
	v_mov_b32_e32 v67, v17
	v_pk_mov_b32 v[62:63], v[60:61], v[62:63] op_sel:[1,0]
	v_mov_b32_e32 v65, v60
	v_pk_add_f32 v[62:63], v[66:67], v[62:63] neg_lo:[0,1] neg_hi:[0,1]
	v_mov_b32_e32 v70, v68
	v_pk_add_f32 v[60:61], v[64:65], v[62:63] neg_lo:[0,1] neg_hi:[0,1]
	v_mov_b32_e32 v69, v17
	v_pk_add_f32 v[62:63], v[70:71], v[60:61]
	s_mov_b32 s3, 0x33800000
	v_pk_add_f32 v[64:65], v[62:63], v[62:63] op_sel:[0,1] op_sel_hi:[1,0]
	s_nop 0
	v_pk_add_f32 v[16:17], v[16:17], v[64:65] op_sel:[1,0] op_sel_hi:[0,1]
	v_mov_b32_e32 v63, v16
	v_pk_add_f32 v[66:67], v[62:63], v[68:69] neg_lo:[0,1] neg_hi:[0,1]
	v_mov_b32_e32 v61, v64
	v_sub_f32_e32 v17, v62, v66
	v_pk_add_f32 v[60:61], v[60:61], v[66:67] neg_lo:[0,1] neg_hi:[0,1]
	v_sub_f32_e32 v17, v68, v17
	v_add_f32_e32 v17, v60, v17
	v_add_f32_e32 v17, v17, v61
	;; [unrolled: 1-line block ×3, first 2 shown]
	v_cndmask_b32_e32 v16, v72, v16, vcc
	v_cmp_lt_f32_e64 vcc, |v73|, s3
	s_nop 1
	v_cndmask_b32_e32 v16, v16, v73, vcc
	v_add_f32_e32 v16, v15, v16
.LBB438_121:
	s_or_b64 exec, exec, s[34:35]
	v_bfe_u32 v15, v16, 16, 1
	s_movk_i32 s3, 0x7fff
	v_add3_u32 v15, v16, v15, s3
	v_cmp_o_f32_e32 vcc, v16, v16
	v_mov_b32_e32 v16, 0x7fc0
	s_nop 0
	v_cndmask_b32_sdwa v16, v16, v15, vcc dst_sel:DWORD dst_unused:UNUSED_PAD src0_sel:DWORD src1_sel:WORD_1
	v_and_b32_e32 v15, 0xffff, v16
.LBB438_122:
	s_or_b64 exec, exec, s[46:47]
	s_waitcnt lgkmcnt(0)
	v_mov_b32_e32 v17, 0x80
	v_lshl_or_b32 v60, v11, 2, v17
	ds_bpermute_b32 v11, v60, v15
	v_add_u32_e32 v61, 32, v50
	v_cmp_le_u32_e32 vcc, v61, v14
	s_and_saveexec_b64 s[46:47], vcc
	s_cbranch_execz .LBB438_126
; %bb.123:
	s_waitcnt lgkmcnt(0)
	v_lshlrev_b32_e32 v14, 16, v11
	v_lshlrev_b32_e32 v11, 16, v15
	v_max_f32_e32 v16, v11, v11
	v_max_f32_e32 v17, v14, v14
	v_min_f32_e32 v15, v17, v16
	v_cmp_u_f32_e32 vcc, v14, v14
	v_max_f32_e32 v16, v17, v16
	v_cmp_u_f32_e64 s[34:35], v11, v11
	v_cndmask_b32_e32 v15, v15, v14, vcc
	v_cndmask_b32_e32 v16, v16, v14, vcc
	v_cndmask_b32_e64 v15, v15, v11, s[34:35]
	v_cndmask_b32_e64 v11, v16, v11, s[34:35]
	s_movk_i32 s3, 0x1f8
	v_cmp_neq_f32_e32 vcc, v15, v11
	v_cmp_class_f32_e64 s[34:35], v15, s3
	s_or_b64 s[48:49], vcc, s[34:35]
	s_and_saveexec_b64 s[34:35], s[48:49]
	s_cbranch_execz .LBB438_125
; %bb.124:
	v_sub_f32_e32 v14, v15, v11
	s_mov_b32 s3, 0x3fb8aa3b
	v_mul_f32_e32 v15, 0x3fb8aa3b, v14
	v_fma_f32 v16, v14, s3, -v15
	v_rndne_f32_e32 v17, v15
	v_fmamk_f32 v16, v14, 0x32a5705f, v16
	v_sub_f32_e32 v15, v15, v17
	v_add_f32_e32 v15, v15, v16
	v_exp_f32_e32 v15, v15
	v_cvt_i32_f32_e32 v16, v17
	s_mov_b32 s3, 0xc2ce8ed0
	v_cmp_ngt_f32_e32 vcc, s3, v14
	s_mov_b32 s3, 0x42b17218
	v_ldexp_f32 v15, v15, v16
	v_cndmask_b32_e32 v15, 0, v15, vcc
	v_mov_b32_e32 v72, 0x7f800000
	v_cmp_nlt_f32_e32 vcc, s3, v14
	s_mov_b32 s3, 0x3f2aaaab
	s_mov_b32 s48, 0x7f800000
	v_cndmask_b32_e32 v73, v72, v15, vcc
	v_add_f32_e32 v16, 1.0, v73
	v_add_f32_e32 v14, -1.0, v16
	v_sub_f32_e32 v15, v14, v16
	v_add_f32_e32 v15, 1.0, v15
	v_sub_f32_e32 v14, v73, v14
	v_add_f32_e32 v17, v14, v15
	v_frexp_mant_f32_e32 v62, v16
	v_cvt_f64_f32_e32 v[14:15], v16
	v_frexp_exp_i32_f64_e32 v14, v[14:15]
	v_cmp_gt_f32_e32 vcc, s3, v62
	s_mov_b32 s3, 0x3f317218
	s_nop 0
	v_subbrev_co_u32_e32 v66, vcc, 0, v14, vcc
	v_sub_u32_e32 v14, 0, v66
	v_ldexp_f32 v15, v16, v14
	v_add_f32_e32 v16, -1.0, v15
	v_add_f32_e32 v62, 1.0, v15
	v_ldexp_f32 v14, v17, v14
	v_add_f32_e32 v17, 1.0, v16
	v_add_f32_e32 v63, -1.0, v62
	v_sub_f32_e32 v17, v15, v17
	v_sub_f32_e32 v15, v15, v63
	v_add_f32_e32 v17, v14, v17
	v_add_f32_e32 v14, v14, v15
	;; [unrolled: 1-line block ×3, first 2 shown]
	v_rcp_f32_e32 v69, v67
	v_sub_f32_e32 v15, v62, v67
	v_add_f32_e32 v68, v14, v15
	v_add_f32_e32 v15, v16, v17
	v_mul_f32_e32 v71, v15, v69
	v_sub_f32_e32 v14, v16, v15
	v_mul_f32_e32 v16, v67, v71
	v_fma_f32 v62, v71, v67, -v16
	v_fmac_f32_e32 v62, v71, v68
	v_add_f32_e32 v70, v17, v14
	v_add_f32_e32 v14, v16, v62
	v_sub_f32_e32 v17, v15, v14
	v_pk_add_f32 v[64:65], v[14:15], v[16:17] neg_lo:[0,1] neg_hi:[0,1]
	v_mov_b32_e32 v63, v14
	v_pk_add_f32 v[14:15], v[64:65], v[62:63] neg_lo:[0,1] neg_hi:[0,1]
	v_cmp_neq_f32_e32 vcc, s48, v73
	v_add_f32_e32 v15, v70, v15
	v_add_f32_e32 v14, v14, v15
	;; [unrolled: 1-line block ×3, first 2 shown]
	v_mul_f32_e32 v70, v69, v15
	v_mul_f32_e32 v16, v67, v70
	v_fma_f32 v62, v70, v67, -v16
	v_fmac_f32_e32 v62, v70, v68
	v_sub_f32_e32 v17, v17, v15
	v_add_f32_e32 v67, v14, v17
	v_add_f32_e32 v14, v16, v62
	v_sub_f32_e32 v17, v15, v14
	v_pk_add_f32 v[64:65], v[14:15], v[16:17] neg_lo:[0,1] neg_hi:[0,1]
	v_mov_b32_e32 v63, v14
	v_pk_add_f32 v[14:15], v[64:65], v[62:63] neg_lo:[0,1] neg_hi:[0,1]
	v_cvt_f32_i32_e32 v16, v66
	v_add_f32_e32 v15, v67, v15
	v_add_f32_e32 v14, v14, v15
	;; [unrolled: 1-line block ×4, first 2 shown]
	v_sub_f32_e32 v15, v17, v71
	v_mul_f32_e32 v14, v69, v14
	v_sub_f32_e32 v15, v70, v15
	v_add_f32_e32 v14, v15, v14
	v_add_f32_e32 v62, v17, v14
	v_mul_f32_e32 v64, v62, v62
	v_mov_b32_e32 v15, 0x3ecc95a3
	v_sub_f32_e32 v17, v62, v17
	v_fmac_f32_e32 v15, 0x3e9b6dac, v64
	v_sub_f32_e32 v14, v14, v17
	v_fmaak_f32 v15, v64, v15, 0x3f2aaada
	v_ldexp_f32 v65, v14, 1
	v_mul_f32_e32 v17, v62, v64
	v_mov_b32_e32 v14, 0x3f317218
	v_pk_mul_f32 v[14:15], v[16:17], v[14:15]
	v_ldexp_f32 v63, v62, 1
	v_fma_f32 v17, v16, s3, -v14
	v_fmamk_f32 v62, v16, 0xb102e308, v17
	v_pk_add_f32 v[16:17], v[14:15], v[62:63]
	v_mov_b32_e32 v64, v14
	v_sub_f32_e32 v63, v17, v63
	v_sub_f32_e32 v63, v15, v63
	v_add_f32_e32 v65, v65, v63
	v_pk_add_f32 v[14:15], v[16:17], v[14:15] neg_lo:[0,1] neg_hi:[0,1]
	v_pk_add_f32 v[66:67], v[16:17], v[64:65]
	v_mov_b32_e32 v63, v16
	v_mov_b32_e32 v15, v67
	v_pk_add_f32 v[68:69], v[62:63], v[14:15] neg_lo:[0,1] neg_hi:[0,1]
	v_pk_add_f32 v[14:15], v[62:63], v[14:15]
	v_mov_b32_e32 v64, v65
	v_pk_add_f32 v[62:63], v[14:15], v[16:17] op_sel:[1,0] op_sel_hi:[0,1] neg_lo:[0,1] neg_hi:[0,1]
	v_pk_add_f32 v[70:71], v[66:67], v[62:63] op_sel_hi:[1,0] neg_lo:[0,1] neg_hi:[0,1]
	v_mov_b32_e32 v66, v67
	v_mov_b32_e32 v67, v15
	v_pk_mov_b32 v[62:63], v[16:17], v[62:63] op_sel:[1,0]
	v_mov_b32_e32 v65, v16
	v_pk_add_f32 v[62:63], v[66:67], v[62:63] neg_lo:[0,1] neg_hi:[0,1]
	v_mov_b32_e32 v70, v68
	v_pk_add_f32 v[16:17], v[64:65], v[62:63] neg_lo:[0,1] neg_hi:[0,1]
	v_mov_b32_e32 v69, v15
	v_pk_add_f32 v[62:63], v[70:71], v[16:17]
	s_mov_b32 s3, 0x33800000
	v_pk_add_f32 v[64:65], v[62:63], v[62:63] op_sel:[0,1] op_sel_hi:[1,0]
	s_nop 0
	v_pk_add_f32 v[14:15], v[14:15], v[64:65] op_sel:[1,0] op_sel_hi:[0,1]
	v_mov_b32_e32 v63, v14
	v_pk_add_f32 v[66:67], v[62:63], v[68:69] neg_lo:[0,1] neg_hi:[0,1]
	v_mov_b32_e32 v17, v64
	v_sub_f32_e32 v15, v62, v66
	v_pk_add_f32 v[16:17], v[16:17], v[66:67] neg_lo:[0,1] neg_hi:[0,1]
	v_sub_f32_e32 v15, v68, v15
	v_add_f32_e32 v15, v16, v15
	v_add_f32_e32 v15, v15, v17
	v_add_f32_e32 v14, v14, v15
	v_cndmask_b32_e32 v14, v72, v14, vcc
	v_cmp_lt_f32_e64 vcc, |v73|, s3
	s_nop 1
	v_cndmask_b32_e32 v14, v14, v73, vcc
	v_add_f32_e32 v14, v11, v14
.LBB438_125:
	s_or_b64 exec, exec, s[34:35]
	v_bfe_u32 v11, v14, 16, 1
	s_movk_i32 s3, 0x7fff
	v_add3_u32 v11, v14, v11, s3
	v_cmp_o_f32_e32 vcc, v14, v14
	v_mov_b32_e32 v14, 0x7fc0
	s_nop 0
	v_cndmask_b32_sdwa v16, v14, v11, vcc dst_sel:DWORD dst_unused:UNUSED_PAD src0_sel:DWORD src1_sel:WORD_1
.LBB438_126:
	s_or_b64 exec, exec, s[46:47]
                                        ; implicit-def: $vgpr14
	s_waitcnt lgkmcnt(0)
	v_mov_b32_e32 v11, 0
	s_movk_i32 s3, 0x1f8
	s_mov_b32 s48, 0x3fb8aa3b
	s_mov_b32 s49, 0xc2ce8ed0
	;; [unrolled: 1-line block ×5, first 2 shown]
	v_mov_b32_e32 v63, 0x3ecc95a3
	s_mov_b32 s58, 0x3f317218
	s_mov_b32 s59, 0x33800000
	s_movk_i32 s60, 0x7fff
	v_mov_b32_e32 v64, 2
	v_mov_b32_e32 v65, 0x7f800000
	;; [unrolled: 1-line block ×4, first 2 shown]
	s_branch .LBB438_129
.LBB438_127:                            ;   in Loop: Header=BB438_129 Depth=1
	s_or_b64 exec, exec, s[34:35]
	v_bfe_u32 v16, v15, 16, 1
	v_add3_u32 v16, v15, v16, s60
	v_cmp_o_f32_e32 vcc, v15, v15
	v_subrev_u32_e32 v10, 64, v10
	s_mov_b64 s[34:35], 0
	v_cndmask_b32_sdwa v16, v66, v16, vcc dst_sel:DWORD dst_unused:UNUSED_PAD src0_sel:DWORD src1_sel:WORD_1
.LBB438_128:                            ;   in Loop: Header=BB438_129 Depth=1
	s_and_b64 vcc, exec, s[34:35]
	s_cbranch_vccnz .LBB438_161
.LBB438_129:                            ; =>This Loop Header: Depth=1
                                        ;     Child Loop BB438_132 Depth 2
	v_cmp_ne_u16_sdwa s[34:35], v49, v64 src0_sel:BYTE_0 src1_sel:DWORD
	v_mov_b32_e32 v62, v16
	s_cmp_lg_u64 s[34:35], exec
	s_mov_b64 s[34:35], -1
                                        ; implicit-def: $vgpr16
                                        ; implicit-def: $vgpr49
	s_cbranch_scc1 .LBB438_128
; %bb.130:                              ;   in Loop: Header=BB438_129 Depth=1
	v_lshl_add_u64 v[16:17], v[10:11], 2, s[54:55]
	global_load_dword v15, v[16:17], off sc1
	s_waitcnt vmcnt(0)
	v_lshrrev_b32_e32 v49, 16, v15
	v_cmp_eq_u16_sdwa s[46:47], v49, v11 src0_sel:BYTE_0 src1_sel:DWORD
	s_and_saveexec_b64 s[34:35], s[46:47]
	s_cbranch_execz .LBB438_134
; %bb.131:                              ;   in Loop: Header=BB438_129 Depth=1
	s_mov_b64 s[46:47], 0
.LBB438_132:                            ;   Parent Loop BB438_129 Depth=1
                                        ; =>  This Inner Loop Header: Depth=2
	global_load_dword v15, v[16:17], off sc1
	s_waitcnt vmcnt(0)
	v_lshrrev_b32_e32 v49, 16, v15
	v_cmp_ne_u16_sdwa s[62:63], v49, v11 src0_sel:BYTE_0 src1_sel:DWORD
	s_or_b64 s[46:47], s[62:63], s[46:47]
	s_andn2_b64 exec, exec, s[46:47]
	s_cbranch_execnz .LBB438_132
; %bb.133:                              ;   in Loop: Header=BB438_129 Depth=1
	s_or_b64 exec, exec, s[46:47]
.LBB438_134:                            ;   in Loop: Header=BB438_129 Depth=1
	s_or_b64 exec, exec, s[34:35]
	v_cmp_eq_u16_sdwa s[34:35], v49, v64 src0_sel:BYTE_0 src1_sel:DWORD
	v_and_b32_e32 v17, 0xffff, v15
	ds_bpermute_b32 v67, v51, v17
	v_and_b32_e32 v16, s35, v13
	v_or_b32_e32 v16, 0x80000000, v16
	v_and_b32_e32 v68, s34, v12
	v_ffbl_b32_e32 v16, v16
	v_add_u32_e32 v16, 32, v16
	v_ffbl_b32_e32 v68, v68
	v_min_u32_e32 v16, v68, v16
	v_cmp_lt_u32_e32 vcc, v50, v16
	s_and_saveexec_b64 s[46:47], vcc
	s_cbranch_execz .LBB438_138
; %bb.135:                              ;   in Loop: Header=BB438_129 Depth=1
	s_waitcnt lgkmcnt(0)
	v_lshlrev_b32_e32 v15, 16, v67
	v_lshlrev_b32_e32 v17, 16, v17
	v_max_f32_e32 v68, v17, v17
	v_max_f32_e32 v69, v15, v15
	v_min_f32_e32 v67, v69, v68
	v_cmp_u_f32_e32 vcc, v15, v15
	v_max_f32_e32 v68, v69, v68
	v_cmp_u_f32_e64 s[34:35], v17, v17
	v_cndmask_b32_e32 v67, v67, v15, vcc
	v_cndmask_b32_e32 v68, v68, v15, vcc
	v_cndmask_b32_e64 v67, v67, v17, s[34:35]
	v_cndmask_b32_e64 v17, v68, v17, s[34:35]
	v_cmp_neq_f32_e32 vcc, v67, v17
	v_cmp_class_f32_e64 s[34:35], v67, s3
	s_or_b64 s[62:63], vcc, s[34:35]
	s_and_saveexec_b64 s[34:35], s[62:63]
	s_cbranch_execz .LBB438_137
; %bb.136:                              ;   in Loop: Header=BB438_129 Depth=1
	v_sub_f32_e32 v15, v67, v17
	v_mul_f32_e32 v67, 0x3fb8aa3b, v15
	v_fma_f32 v68, v15, s48, -v67
	v_rndne_f32_e32 v69, v67
	v_fmac_f32_e32 v68, 0x32a5705f, v15
	v_sub_f32_e32 v67, v67, v69
	v_add_f32_e32 v67, v67, v68
	v_cvt_i32_f32_e32 v68, v69
	v_exp_f32_e32 v67, v67
	v_cmp_ngt_f32_e32 vcc, s49, v15
	v_ldexp_f32 v67, v67, v68
	s_nop 0
	v_cndmask_b32_e32 v67, 0, v67, vcc
	v_cmp_nlt_f32_e32 vcc, s50, v15
	s_nop 1
	v_cndmask_b32_e32 v67, v65, v67, vcc
	v_add_f32_e32 v15, 1.0, v67
	v_add_f32_e32 v68, -1.0, v15
	v_sub_f32_e32 v69, v68, v15
	v_add_f32_e32 v69, 1.0, v69
	v_sub_f32_e32 v68, v67, v68
	v_add_f32_e32 v70, v68, v69
	v_frexp_mant_f32_e32 v71, v15
	v_cvt_f64_f32_e32 v[68:69], v15
	v_frexp_exp_i32_f64_e32 v68, v[68:69]
	v_cmp_gt_f32_e32 vcc, s57, v71
	s_nop 1
	v_subbrev_co_u32_e32 v76, vcc, 0, v68, vcc
	v_sub_u32_e32 v68, 0, v76
	v_ldexp_f32 v15, v15, v68
	v_ldexp_f32 v68, v70, v68
	v_add_f32_e32 v70, -1.0, v15
	v_add_f32_e32 v69, 1.0, v70
	v_sub_f32_e32 v69, v15, v69
	v_add_f32_e32 v71, v68, v69
	v_add_f32_e32 v69, 1.0, v15
	v_add_f32_e32 v72, -1.0, v69
	v_sub_f32_e32 v15, v15, v72
	v_add_f32_e32 v15, v68, v15
	v_add_f32_e32 v77, v69, v15
	v_rcp_f32_e32 v78, v77
	v_sub_f32_e32 v68, v69, v77
	v_add_f32_e32 v69, v70, v71
	v_add_f32_e32 v15, v15, v68
	v_mul_f32_e32 v80, v69, v78
	v_sub_f32_e32 v68, v70, v69
	v_mul_f32_e32 v70, v77, v80
	v_fma_f32 v72, v80, v77, -v70
	v_fmac_f32_e32 v72, v80, v15
	v_add_f32_e32 v79, v71, v68
	v_add_f32_e32 v68, v70, v72
	v_sub_f32_e32 v71, v69, v68
	v_pk_add_f32 v[74:75], v[68:69], v[70:71] neg_lo:[0,1] neg_hi:[0,1]
	v_mov_b32_e32 v73, v68
	v_pk_add_f32 v[68:69], v[74:75], v[72:73] neg_lo:[0,1] neg_hi:[0,1]
	v_cmp_neq_f32_e32 vcc, s51, v67
	v_add_f32_e32 v69, v79, v69
	v_add_f32_e32 v68, v68, v69
	;; [unrolled: 1-line block ×3, first 2 shown]
	v_mul_f32_e32 v79, v78, v69
	v_mul_f32_e32 v70, v77, v79
	v_fma_f32 v72, v79, v77, -v70
	v_fmac_f32_e32 v72, v79, v15
	v_sub_f32_e32 v15, v71, v69
	v_add_f32_e32 v15, v68, v15
	v_add_f32_e32 v68, v70, v72
	v_sub_f32_e32 v71, v69, v68
	v_pk_add_f32 v[74:75], v[68:69], v[70:71] neg_lo:[0,1] neg_hi:[0,1]
	v_mov_b32_e32 v73, v68
	v_pk_add_f32 v[68:69], v[74:75], v[72:73] neg_lo:[0,1] neg_hi:[0,1]
	s_nop 0
	v_add_f32_e32 v15, v15, v69
	v_add_f32_e32 v15, v68, v15
	v_add_f32_e32 v69, v80, v79
	v_add_f32_e32 v15, v71, v15
	v_sub_f32_e32 v68, v69, v80
	v_mul_f32_e32 v15, v78, v15
	v_sub_f32_e32 v68, v79, v68
	v_add_f32_e32 v70, v68, v15
	v_add_f32_e32 v72, v69, v70
	v_cvt_f32_i32_e32 v68, v76
	v_mul_f32_e32 v73, v72, v72
	v_sub_f32_e32 v69, v72, v69
	v_fmamk_f32 v15, v73, 0x3e9b6dac, v63
	v_sub_f32_e32 v69, v70, v69
	v_fmaak_f32 v15, v73, v15, 0x3f2aaada
	v_ldexp_f32 v74, v69, 1
	v_mul_f32_e32 v69, v72, v73
	v_ldexp_f32 v71, v72, 1
	v_pk_mul_f32 v[72:73], v[68:69], v[14:15]
	s_nop 0
	v_fma_f32 v70, v68, s58, -v72
	v_fmac_f32_e32 v70, 0xb102e308, v68
	v_pk_add_f32 v[68:69], v[72:73], v[70:71]
	s_nop 0
	v_sub_f32_e32 v15, v69, v71
	v_sub_f32_e32 v15, v73, v15
	v_add_f32_e32 v75, v74, v15
	v_mov_b32_e32 v74, v72
	v_pk_add_f32 v[72:73], v[68:69], v[72:73] neg_lo:[0,1] neg_hi:[0,1]
	v_pk_add_f32 v[76:77], v[68:69], v[74:75]
	v_mov_b32_e32 v71, v68
	v_mov_b32_e32 v73, v77
	v_pk_add_f32 v[78:79], v[70:71], v[72:73] neg_lo:[0,1] neg_hi:[0,1]
	v_pk_add_f32 v[70:71], v[70:71], v[72:73]
	v_mov_b32_e32 v74, v75
	v_pk_add_f32 v[72:73], v[70:71], v[68:69] op_sel:[1,0] op_sel_hi:[0,1] neg_lo:[0,1] neg_hi:[0,1]
	v_pk_add_f32 v[80:81], v[76:77], v[72:73] op_sel_hi:[1,0] neg_lo:[0,1] neg_hi:[0,1]
	v_mov_b32_e32 v76, v77
	v_mov_b32_e32 v77, v71
	v_pk_mov_b32 v[72:73], v[68:69], v[72:73] op_sel:[1,0]
	v_mov_b32_e32 v75, v68
	v_pk_add_f32 v[72:73], v[76:77], v[72:73] neg_lo:[0,1] neg_hi:[0,1]
	v_mov_b32_e32 v80, v78
	v_pk_add_f32 v[68:69], v[74:75], v[72:73] neg_lo:[0,1] neg_hi:[0,1]
	v_mov_b32_e32 v79, v71
	v_pk_add_f32 v[72:73], v[80:81], v[68:69]
	s_nop 0
	v_pk_add_f32 v[74:75], v[72:73], v[72:73] op_sel:[0,1] op_sel_hi:[1,0]
	s_nop 0
	v_pk_add_f32 v[70:71], v[70:71], v[74:75] op_sel:[1,0] op_sel_hi:[0,1]
	v_mov_b32_e32 v73, v70
	v_pk_add_f32 v[76:77], v[72:73], v[78:79] neg_lo:[0,1] neg_hi:[0,1]
	v_mov_b32_e32 v69, v74
	v_sub_f32_e32 v15, v72, v76
	v_pk_add_f32 v[68:69], v[68:69], v[76:77] neg_lo:[0,1] neg_hi:[0,1]
	v_sub_f32_e32 v15, v78, v15
	v_add_f32_e32 v15, v68, v15
	v_add_f32_e32 v15, v15, v69
	v_add_f32_e32 v15, v70, v15
	v_cndmask_b32_e32 v15, v65, v15, vcc
	v_cmp_lt_f32_e64 vcc, |v67|, s59
	s_nop 1
	v_cndmask_b32_e32 v15, v15, v67, vcc
	v_add_f32_e32 v15, v17, v15
.LBB438_137:                            ;   in Loop: Header=BB438_129 Depth=1
	s_or_b64 exec, exec, s[34:35]
	v_bfe_u32 v17, v15, 16, 1
	v_add3_u32 v17, v15, v17, s60
	v_cmp_o_f32_e32 vcc, v15, v15
	s_nop 1
	v_cndmask_b32_sdwa v15, v66, v17, vcc dst_sel:DWORD dst_unused:UNUSED_PAD src0_sel:DWORD src1_sel:WORD_1
	v_and_b32_e32 v17, 0xffff, v15
.LBB438_138:                            ;   in Loop: Header=BB438_129 Depth=1
	s_or_b64 exec, exec, s[46:47]
	s_waitcnt lgkmcnt(0)
	ds_bpermute_b32 v67, v52, v17
	v_cmp_le_u32_e32 vcc, v53, v16
	s_and_saveexec_b64 s[46:47], vcc
	s_cbranch_execz .LBB438_142
; %bb.139:                              ;   in Loop: Header=BB438_129 Depth=1
	s_waitcnt lgkmcnt(0)
	v_lshlrev_b32_e32 v15, 16, v67
	v_lshlrev_b32_e32 v17, 16, v17
	v_max_f32_e32 v68, v17, v17
	v_max_f32_e32 v69, v15, v15
	v_min_f32_e32 v67, v69, v68
	v_cmp_u_f32_e32 vcc, v15, v15
	v_max_f32_e32 v68, v69, v68
	v_cmp_u_f32_e64 s[34:35], v17, v17
	v_cndmask_b32_e32 v67, v67, v15, vcc
	v_cndmask_b32_e32 v68, v68, v15, vcc
	v_cndmask_b32_e64 v67, v67, v17, s[34:35]
	v_cndmask_b32_e64 v17, v68, v17, s[34:35]
	v_cmp_neq_f32_e32 vcc, v67, v17
	v_cmp_class_f32_e64 s[34:35], v67, s3
	s_or_b64 s[62:63], vcc, s[34:35]
	s_and_saveexec_b64 s[34:35], s[62:63]
	s_cbranch_execz .LBB438_141
; %bb.140:                              ;   in Loop: Header=BB438_129 Depth=1
	v_sub_f32_e32 v15, v67, v17
	v_mul_f32_e32 v67, 0x3fb8aa3b, v15
	v_fma_f32 v68, v15, s48, -v67
	v_rndne_f32_e32 v69, v67
	v_fmac_f32_e32 v68, 0x32a5705f, v15
	v_sub_f32_e32 v67, v67, v69
	v_add_f32_e32 v67, v67, v68
	v_cvt_i32_f32_e32 v68, v69
	v_exp_f32_e32 v67, v67
	v_cmp_ngt_f32_e32 vcc, s49, v15
	v_ldexp_f32 v67, v67, v68
	s_nop 0
	v_cndmask_b32_e32 v67, 0, v67, vcc
	v_cmp_nlt_f32_e32 vcc, s50, v15
	s_nop 1
	v_cndmask_b32_e32 v67, v65, v67, vcc
	v_add_f32_e32 v15, 1.0, v67
	v_add_f32_e32 v68, -1.0, v15
	v_sub_f32_e32 v69, v68, v15
	v_add_f32_e32 v69, 1.0, v69
	v_sub_f32_e32 v68, v67, v68
	v_add_f32_e32 v70, v68, v69
	v_frexp_mant_f32_e32 v71, v15
	v_cvt_f64_f32_e32 v[68:69], v15
	v_frexp_exp_i32_f64_e32 v68, v[68:69]
	v_cmp_gt_f32_e32 vcc, s57, v71
	s_nop 1
	v_subbrev_co_u32_e32 v76, vcc, 0, v68, vcc
	v_sub_u32_e32 v68, 0, v76
	v_ldexp_f32 v15, v15, v68
	v_ldexp_f32 v68, v70, v68
	v_add_f32_e32 v70, -1.0, v15
	v_add_f32_e32 v69, 1.0, v70
	v_sub_f32_e32 v69, v15, v69
	v_add_f32_e32 v71, v68, v69
	v_add_f32_e32 v69, 1.0, v15
	v_add_f32_e32 v72, -1.0, v69
	v_sub_f32_e32 v15, v15, v72
	v_add_f32_e32 v15, v68, v15
	v_add_f32_e32 v77, v69, v15
	v_rcp_f32_e32 v78, v77
	v_sub_f32_e32 v68, v69, v77
	v_add_f32_e32 v69, v70, v71
	v_add_f32_e32 v15, v15, v68
	v_mul_f32_e32 v80, v69, v78
	v_sub_f32_e32 v68, v70, v69
	v_mul_f32_e32 v70, v77, v80
	v_fma_f32 v72, v80, v77, -v70
	v_fmac_f32_e32 v72, v80, v15
	v_add_f32_e32 v79, v71, v68
	v_add_f32_e32 v68, v70, v72
	v_sub_f32_e32 v71, v69, v68
	v_pk_add_f32 v[74:75], v[68:69], v[70:71] neg_lo:[0,1] neg_hi:[0,1]
	v_mov_b32_e32 v73, v68
	v_pk_add_f32 v[68:69], v[74:75], v[72:73] neg_lo:[0,1] neg_hi:[0,1]
	v_cmp_neq_f32_e32 vcc, s51, v67
	v_add_f32_e32 v69, v79, v69
	v_add_f32_e32 v68, v68, v69
	;; [unrolled: 1-line block ×3, first 2 shown]
	v_mul_f32_e32 v79, v78, v69
	v_mul_f32_e32 v70, v77, v79
	v_fma_f32 v72, v79, v77, -v70
	v_fmac_f32_e32 v72, v79, v15
	v_sub_f32_e32 v15, v71, v69
	v_add_f32_e32 v15, v68, v15
	v_add_f32_e32 v68, v70, v72
	v_sub_f32_e32 v71, v69, v68
	v_pk_add_f32 v[74:75], v[68:69], v[70:71] neg_lo:[0,1] neg_hi:[0,1]
	v_mov_b32_e32 v73, v68
	v_pk_add_f32 v[68:69], v[74:75], v[72:73] neg_lo:[0,1] neg_hi:[0,1]
	s_nop 0
	v_add_f32_e32 v15, v15, v69
	v_add_f32_e32 v15, v68, v15
	;; [unrolled: 1-line block ×4, first 2 shown]
	v_sub_f32_e32 v68, v69, v80
	v_mul_f32_e32 v15, v78, v15
	v_sub_f32_e32 v68, v79, v68
	v_add_f32_e32 v70, v68, v15
	v_add_f32_e32 v72, v69, v70
	v_cvt_f32_i32_e32 v68, v76
	v_mul_f32_e32 v73, v72, v72
	v_sub_f32_e32 v69, v72, v69
	v_fmamk_f32 v15, v73, 0x3e9b6dac, v63
	v_sub_f32_e32 v69, v70, v69
	v_fmaak_f32 v15, v73, v15, 0x3f2aaada
	v_ldexp_f32 v74, v69, 1
	v_mul_f32_e32 v69, v72, v73
	v_ldexp_f32 v71, v72, 1
	v_pk_mul_f32 v[72:73], v[68:69], v[14:15]
	s_nop 0
	v_fma_f32 v70, v68, s58, -v72
	v_fmac_f32_e32 v70, 0xb102e308, v68
	v_pk_add_f32 v[68:69], v[72:73], v[70:71]
	s_nop 0
	v_sub_f32_e32 v15, v69, v71
	v_sub_f32_e32 v15, v73, v15
	v_add_f32_e32 v75, v74, v15
	v_mov_b32_e32 v74, v72
	v_pk_add_f32 v[72:73], v[68:69], v[72:73] neg_lo:[0,1] neg_hi:[0,1]
	v_pk_add_f32 v[76:77], v[68:69], v[74:75]
	v_mov_b32_e32 v71, v68
	v_mov_b32_e32 v73, v77
	v_pk_add_f32 v[78:79], v[70:71], v[72:73] neg_lo:[0,1] neg_hi:[0,1]
	v_pk_add_f32 v[70:71], v[70:71], v[72:73]
	v_mov_b32_e32 v74, v75
	v_pk_add_f32 v[72:73], v[70:71], v[68:69] op_sel:[1,0] op_sel_hi:[0,1] neg_lo:[0,1] neg_hi:[0,1]
	v_pk_add_f32 v[80:81], v[76:77], v[72:73] op_sel_hi:[1,0] neg_lo:[0,1] neg_hi:[0,1]
	v_mov_b32_e32 v76, v77
	v_mov_b32_e32 v77, v71
	v_pk_mov_b32 v[72:73], v[68:69], v[72:73] op_sel:[1,0]
	v_mov_b32_e32 v75, v68
	v_pk_add_f32 v[72:73], v[76:77], v[72:73] neg_lo:[0,1] neg_hi:[0,1]
	v_mov_b32_e32 v80, v78
	v_pk_add_f32 v[68:69], v[74:75], v[72:73] neg_lo:[0,1] neg_hi:[0,1]
	v_mov_b32_e32 v79, v71
	v_pk_add_f32 v[72:73], v[80:81], v[68:69]
	s_nop 0
	v_pk_add_f32 v[74:75], v[72:73], v[72:73] op_sel:[0,1] op_sel_hi:[1,0]
	s_nop 0
	v_pk_add_f32 v[70:71], v[70:71], v[74:75] op_sel:[1,0] op_sel_hi:[0,1]
	v_mov_b32_e32 v73, v70
	v_pk_add_f32 v[76:77], v[72:73], v[78:79] neg_lo:[0,1] neg_hi:[0,1]
	v_mov_b32_e32 v69, v74
	v_sub_f32_e32 v15, v72, v76
	v_pk_add_f32 v[68:69], v[68:69], v[76:77] neg_lo:[0,1] neg_hi:[0,1]
	v_sub_f32_e32 v15, v78, v15
	v_add_f32_e32 v15, v68, v15
	v_add_f32_e32 v15, v15, v69
	v_add_f32_e32 v15, v70, v15
	v_cndmask_b32_e32 v15, v65, v15, vcc
	v_cmp_lt_f32_e64 vcc, |v67|, s59
	s_nop 1
	v_cndmask_b32_e32 v15, v15, v67, vcc
	v_add_f32_e32 v15, v17, v15
.LBB438_141:                            ;   in Loop: Header=BB438_129 Depth=1
	s_or_b64 exec, exec, s[34:35]
	v_bfe_u32 v17, v15, 16, 1
	v_add3_u32 v17, v15, v17, s60
	v_cmp_o_f32_e32 vcc, v15, v15
	s_nop 1
	v_cndmask_b32_sdwa v15, v66, v17, vcc dst_sel:DWORD dst_unused:UNUSED_PAD src0_sel:DWORD src1_sel:WORD_1
	v_and_b32_e32 v17, 0xffff, v15
.LBB438_142:                            ;   in Loop: Header=BB438_129 Depth=1
	s_or_b64 exec, exec, s[46:47]
	s_waitcnt lgkmcnt(0)
	ds_bpermute_b32 v67, v54, v17
	v_cmp_le_u32_e32 vcc, v55, v16
	s_and_saveexec_b64 s[46:47], vcc
	s_cbranch_execz .LBB438_146
; %bb.143:                              ;   in Loop: Header=BB438_129 Depth=1
	s_waitcnt lgkmcnt(0)
	v_lshlrev_b32_e32 v15, 16, v67
	v_lshlrev_b32_e32 v17, 16, v17
	v_max_f32_e32 v68, v17, v17
	v_max_f32_e32 v69, v15, v15
	v_min_f32_e32 v67, v69, v68
	v_cmp_u_f32_e32 vcc, v15, v15
	v_max_f32_e32 v68, v69, v68
	v_cmp_u_f32_e64 s[34:35], v17, v17
	v_cndmask_b32_e32 v67, v67, v15, vcc
	v_cndmask_b32_e32 v68, v68, v15, vcc
	v_cndmask_b32_e64 v67, v67, v17, s[34:35]
	v_cndmask_b32_e64 v17, v68, v17, s[34:35]
	v_cmp_neq_f32_e32 vcc, v67, v17
	v_cmp_class_f32_e64 s[34:35], v67, s3
	s_or_b64 s[62:63], vcc, s[34:35]
	s_and_saveexec_b64 s[34:35], s[62:63]
	s_cbranch_execz .LBB438_145
; %bb.144:                              ;   in Loop: Header=BB438_129 Depth=1
	v_sub_f32_e32 v15, v67, v17
	v_mul_f32_e32 v67, 0x3fb8aa3b, v15
	v_fma_f32 v68, v15, s48, -v67
	v_rndne_f32_e32 v69, v67
	v_fmac_f32_e32 v68, 0x32a5705f, v15
	v_sub_f32_e32 v67, v67, v69
	v_add_f32_e32 v67, v67, v68
	v_cvt_i32_f32_e32 v68, v69
	v_exp_f32_e32 v67, v67
	v_cmp_ngt_f32_e32 vcc, s49, v15
	v_ldexp_f32 v67, v67, v68
	s_nop 0
	v_cndmask_b32_e32 v67, 0, v67, vcc
	v_cmp_nlt_f32_e32 vcc, s50, v15
	s_nop 1
	v_cndmask_b32_e32 v67, v65, v67, vcc
	v_add_f32_e32 v15, 1.0, v67
	v_add_f32_e32 v68, -1.0, v15
	v_sub_f32_e32 v69, v68, v15
	v_add_f32_e32 v69, 1.0, v69
	v_sub_f32_e32 v68, v67, v68
	v_add_f32_e32 v70, v68, v69
	v_frexp_mant_f32_e32 v71, v15
	v_cvt_f64_f32_e32 v[68:69], v15
	v_frexp_exp_i32_f64_e32 v68, v[68:69]
	v_cmp_gt_f32_e32 vcc, s57, v71
	s_nop 1
	v_subbrev_co_u32_e32 v76, vcc, 0, v68, vcc
	v_sub_u32_e32 v68, 0, v76
	v_ldexp_f32 v15, v15, v68
	v_ldexp_f32 v68, v70, v68
	v_add_f32_e32 v70, -1.0, v15
	v_add_f32_e32 v69, 1.0, v70
	v_sub_f32_e32 v69, v15, v69
	v_add_f32_e32 v71, v68, v69
	v_add_f32_e32 v69, 1.0, v15
	v_add_f32_e32 v72, -1.0, v69
	v_sub_f32_e32 v15, v15, v72
	v_add_f32_e32 v15, v68, v15
	v_add_f32_e32 v77, v69, v15
	v_rcp_f32_e32 v78, v77
	v_sub_f32_e32 v68, v69, v77
	v_add_f32_e32 v69, v70, v71
	v_add_f32_e32 v15, v15, v68
	v_mul_f32_e32 v80, v69, v78
	v_sub_f32_e32 v68, v70, v69
	v_mul_f32_e32 v70, v77, v80
	v_fma_f32 v72, v80, v77, -v70
	v_fmac_f32_e32 v72, v80, v15
	v_add_f32_e32 v79, v71, v68
	v_add_f32_e32 v68, v70, v72
	v_sub_f32_e32 v71, v69, v68
	v_pk_add_f32 v[74:75], v[68:69], v[70:71] neg_lo:[0,1] neg_hi:[0,1]
	v_mov_b32_e32 v73, v68
	v_pk_add_f32 v[68:69], v[74:75], v[72:73] neg_lo:[0,1] neg_hi:[0,1]
	v_cmp_neq_f32_e32 vcc, s51, v67
	v_add_f32_e32 v69, v79, v69
	v_add_f32_e32 v68, v68, v69
	;; [unrolled: 1-line block ×3, first 2 shown]
	v_mul_f32_e32 v79, v78, v69
	v_mul_f32_e32 v70, v77, v79
	v_fma_f32 v72, v79, v77, -v70
	v_fmac_f32_e32 v72, v79, v15
	v_sub_f32_e32 v15, v71, v69
	v_add_f32_e32 v15, v68, v15
	v_add_f32_e32 v68, v70, v72
	v_sub_f32_e32 v71, v69, v68
	v_pk_add_f32 v[74:75], v[68:69], v[70:71] neg_lo:[0,1] neg_hi:[0,1]
	v_mov_b32_e32 v73, v68
	v_pk_add_f32 v[68:69], v[74:75], v[72:73] neg_lo:[0,1] neg_hi:[0,1]
	s_nop 0
	v_add_f32_e32 v15, v15, v69
	v_add_f32_e32 v15, v68, v15
	;; [unrolled: 1-line block ×4, first 2 shown]
	v_sub_f32_e32 v68, v69, v80
	v_mul_f32_e32 v15, v78, v15
	v_sub_f32_e32 v68, v79, v68
	v_add_f32_e32 v70, v68, v15
	v_add_f32_e32 v72, v69, v70
	v_cvt_f32_i32_e32 v68, v76
	v_mul_f32_e32 v73, v72, v72
	v_sub_f32_e32 v69, v72, v69
	v_fmamk_f32 v15, v73, 0x3e9b6dac, v63
	v_sub_f32_e32 v69, v70, v69
	v_fmaak_f32 v15, v73, v15, 0x3f2aaada
	v_ldexp_f32 v74, v69, 1
	v_mul_f32_e32 v69, v72, v73
	v_ldexp_f32 v71, v72, 1
	v_pk_mul_f32 v[72:73], v[68:69], v[14:15]
	s_nop 0
	v_fma_f32 v70, v68, s58, -v72
	v_fmac_f32_e32 v70, 0xb102e308, v68
	v_pk_add_f32 v[68:69], v[72:73], v[70:71]
	s_nop 0
	v_sub_f32_e32 v15, v69, v71
	v_sub_f32_e32 v15, v73, v15
	v_add_f32_e32 v75, v74, v15
	v_mov_b32_e32 v74, v72
	v_pk_add_f32 v[72:73], v[68:69], v[72:73] neg_lo:[0,1] neg_hi:[0,1]
	v_pk_add_f32 v[76:77], v[68:69], v[74:75]
	v_mov_b32_e32 v71, v68
	v_mov_b32_e32 v73, v77
	v_pk_add_f32 v[78:79], v[70:71], v[72:73] neg_lo:[0,1] neg_hi:[0,1]
	v_pk_add_f32 v[70:71], v[70:71], v[72:73]
	v_mov_b32_e32 v74, v75
	v_pk_add_f32 v[72:73], v[70:71], v[68:69] op_sel:[1,0] op_sel_hi:[0,1] neg_lo:[0,1] neg_hi:[0,1]
	v_pk_add_f32 v[80:81], v[76:77], v[72:73] op_sel_hi:[1,0] neg_lo:[0,1] neg_hi:[0,1]
	v_mov_b32_e32 v76, v77
	v_mov_b32_e32 v77, v71
	v_pk_mov_b32 v[72:73], v[68:69], v[72:73] op_sel:[1,0]
	v_mov_b32_e32 v75, v68
	v_pk_add_f32 v[72:73], v[76:77], v[72:73] neg_lo:[0,1] neg_hi:[0,1]
	v_mov_b32_e32 v80, v78
	v_pk_add_f32 v[68:69], v[74:75], v[72:73] neg_lo:[0,1] neg_hi:[0,1]
	v_mov_b32_e32 v79, v71
	v_pk_add_f32 v[72:73], v[80:81], v[68:69]
	s_nop 0
	v_pk_add_f32 v[74:75], v[72:73], v[72:73] op_sel:[0,1] op_sel_hi:[1,0]
	s_nop 0
	v_pk_add_f32 v[70:71], v[70:71], v[74:75] op_sel:[1,0] op_sel_hi:[0,1]
	v_mov_b32_e32 v73, v70
	v_pk_add_f32 v[76:77], v[72:73], v[78:79] neg_lo:[0,1] neg_hi:[0,1]
	v_mov_b32_e32 v69, v74
	v_sub_f32_e32 v15, v72, v76
	v_pk_add_f32 v[68:69], v[68:69], v[76:77] neg_lo:[0,1] neg_hi:[0,1]
	v_sub_f32_e32 v15, v78, v15
	v_add_f32_e32 v15, v68, v15
	v_add_f32_e32 v15, v15, v69
	;; [unrolled: 1-line block ×3, first 2 shown]
	v_cndmask_b32_e32 v15, v65, v15, vcc
	v_cmp_lt_f32_e64 vcc, |v67|, s59
	s_nop 1
	v_cndmask_b32_e32 v15, v15, v67, vcc
	v_add_f32_e32 v15, v17, v15
.LBB438_145:                            ;   in Loop: Header=BB438_129 Depth=1
	s_or_b64 exec, exec, s[34:35]
	v_bfe_u32 v17, v15, 16, 1
	v_add3_u32 v17, v15, v17, s60
	v_cmp_o_f32_e32 vcc, v15, v15
	s_nop 1
	v_cndmask_b32_sdwa v15, v66, v17, vcc dst_sel:DWORD dst_unused:UNUSED_PAD src0_sel:DWORD src1_sel:WORD_1
	v_and_b32_e32 v17, 0xffff, v15
.LBB438_146:                            ;   in Loop: Header=BB438_129 Depth=1
	s_or_b64 exec, exec, s[46:47]
	s_waitcnt lgkmcnt(0)
	ds_bpermute_b32 v67, v56, v17
	v_cmp_le_u32_e32 vcc, v57, v16
	s_and_saveexec_b64 s[46:47], vcc
	s_cbranch_execz .LBB438_150
; %bb.147:                              ;   in Loop: Header=BB438_129 Depth=1
	s_waitcnt lgkmcnt(0)
	v_lshlrev_b32_e32 v15, 16, v67
	v_lshlrev_b32_e32 v17, 16, v17
	v_max_f32_e32 v68, v17, v17
	v_max_f32_e32 v69, v15, v15
	v_min_f32_e32 v67, v69, v68
	v_cmp_u_f32_e32 vcc, v15, v15
	v_max_f32_e32 v68, v69, v68
	v_cmp_u_f32_e64 s[34:35], v17, v17
	v_cndmask_b32_e32 v67, v67, v15, vcc
	v_cndmask_b32_e32 v68, v68, v15, vcc
	v_cndmask_b32_e64 v67, v67, v17, s[34:35]
	v_cndmask_b32_e64 v17, v68, v17, s[34:35]
	v_cmp_neq_f32_e32 vcc, v67, v17
	v_cmp_class_f32_e64 s[34:35], v67, s3
	s_or_b64 s[62:63], vcc, s[34:35]
	s_and_saveexec_b64 s[34:35], s[62:63]
	s_cbranch_execz .LBB438_149
; %bb.148:                              ;   in Loop: Header=BB438_129 Depth=1
	v_sub_f32_e32 v15, v67, v17
	v_mul_f32_e32 v67, 0x3fb8aa3b, v15
	v_fma_f32 v68, v15, s48, -v67
	v_rndne_f32_e32 v69, v67
	v_fmac_f32_e32 v68, 0x32a5705f, v15
	v_sub_f32_e32 v67, v67, v69
	v_add_f32_e32 v67, v67, v68
	v_cvt_i32_f32_e32 v68, v69
	v_exp_f32_e32 v67, v67
	v_cmp_ngt_f32_e32 vcc, s49, v15
	v_ldexp_f32 v67, v67, v68
	s_nop 0
	v_cndmask_b32_e32 v67, 0, v67, vcc
	v_cmp_nlt_f32_e32 vcc, s50, v15
	s_nop 1
	v_cndmask_b32_e32 v67, v65, v67, vcc
	v_add_f32_e32 v15, 1.0, v67
	v_add_f32_e32 v68, -1.0, v15
	v_sub_f32_e32 v69, v68, v15
	v_add_f32_e32 v69, 1.0, v69
	v_sub_f32_e32 v68, v67, v68
	v_add_f32_e32 v70, v68, v69
	v_frexp_mant_f32_e32 v71, v15
	v_cvt_f64_f32_e32 v[68:69], v15
	v_frexp_exp_i32_f64_e32 v68, v[68:69]
	v_cmp_gt_f32_e32 vcc, s57, v71
	s_nop 1
	v_subbrev_co_u32_e32 v76, vcc, 0, v68, vcc
	v_sub_u32_e32 v68, 0, v76
	v_ldexp_f32 v15, v15, v68
	v_ldexp_f32 v68, v70, v68
	v_add_f32_e32 v70, -1.0, v15
	v_add_f32_e32 v69, 1.0, v70
	v_sub_f32_e32 v69, v15, v69
	v_add_f32_e32 v71, v68, v69
	v_add_f32_e32 v69, 1.0, v15
	v_add_f32_e32 v72, -1.0, v69
	v_sub_f32_e32 v15, v15, v72
	v_add_f32_e32 v15, v68, v15
	v_add_f32_e32 v77, v69, v15
	v_rcp_f32_e32 v78, v77
	v_sub_f32_e32 v68, v69, v77
	v_add_f32_e32 v69, v70, v71
	v_add_f32_e32 v15, v15, v68
	v_mul_f32_e32 v80, v69, v78
	v_sub_f32_e32 v68, v70, v69
	v_mul_f32_e32 v70, v77, v80
	v_fma_f32 v72, v80, v77, -v70
	v_fmac_f32_e32 v72, v80, v15
	v_add_f32_e32 v79, v71, v68
	v_add_f32_e32 v68, v70, v72
	v_sub_f32_e32 v71, v69, v68
	v_pk_add_f32 v[74:75], v[68:69], v[70:71] neg_lo:[0,1] neg_hi:[0,1]
	v_mov_b32_e32 v73, v68
	v_pk_add_f32 v[68:69], v[74:75], v[72:73] neg_lo:[0,1] neg_hi:[0,1]
	v_cmp_neq_f32_e32 vcc, s51, v67
	v_add_f32_e32 v69, v79, v69
	v_add_f32_e32 v68, v68, v69
	;; [unrolled: 1-line block ×3, first 2 shown]
	v_mul_f32_e32 v79, v78, v69
	v_mul_f32_e32 v70, v77, v79
	v_fma_f32 v72, v79, v77, -v70
	v_fmac_f32_e32 v72, v79, v15
	v_sub_f32_e32 v15, v71, v69
	v_add_f32_e32 v15, v68, v15
	v_add_f32_e32 v68, v70, v72
	v_sub_f32_e32 v71, v69, v68
	v_pk_add_f32 v[74:75], v[68:69], v[70:71] neg_lo:[0,1] neg_hi:[0,1]
	v_mov_b32_e32 v73, v68
	v_pk_add_f32 v[68:69], v[74:75], v[72:73] neg_lo:[0,1] neg_hi:[0,1]
	s_nop 0
	v_add_f32_e32 v15, v15, v69
	v_add_f32_e32 v15, v68, v15
	;; [unrolled: 1-line block ×4, first 2 shown]
	v_sub_f32_e32 v68, v69, v80
	v_mul_f32_e32 v15, v78, v15
	v_sub_f32_e32 v68, v79, v68
	v_add_f32_e32 v70, v68, v15
	v_add_f32_e32 v72, v69, v70
	v_cvt_f32_i32_e32 v68, v76
	v_mul_f32_e32 v73, v72, v72
	v_sub_f32_e32 v69, v72, v69
	v_fmamk_f32 v15, v73, 0x3e9b6dac, v63
	v_sub_f32_e32 v69, v70, v69
	v_fmaak_f32 v15, v73, v15, 0x3f2aaada
	v_ldexp_f32 v74, v69, 1
	v_mul_f32_e32 v69, v72, v73
	v_ldexp_f32 v71, v72, 1
	v_pk_mul_f32 v[72:73], v[68:69], v[14:15]
	s_nop 0
	v_fma_f32 v70, v68, s58, -v72
	v_fmac_f32_e32 v70, 0xb102e308, v68
	v_pk_add_f32 v[68:69], v[72:73], v[70:71]
	s_nop 0
	v_sub_f32_e32 v15, v69, v71
	v_sub_f32_e32 v15, v73, v15
	v_add_f32_e32 v75, v74, v15
	v_mov_b32_e32 v74, v72
	v_pk_add_f32 v[72:73], v[68:69], v[72:73] neg_lo:[0,1] neg_hi:[0,1]
	v_pk_add_f32 v[76:77], v[68:69], v[74:75]
	v_mov_b32_e32 v71, v68
	v_mov_b32_e32 v73, v77
	v_pk_add_f32 v[78:79], v[70:71], v[72:73] neg_lo:[0,1] neg_hi:[0,1]
	v_pk_add_f32 v[70:71], v[70:71], v[72:73]
	v_mov_b32_e32 v74, v75
	v_pk_add_f32 v[72:73], v[70:71], v[68:69] op_sel:[1,0] op_sel_hi:[0,1] neg_lo:[0,1] neg_hi:[0,1]
	v_pk_add_f32 v[80:81], v[76:77], v[72:73] op_sel_hi:[1,0] neg_lo:[0,1] neg_hi:[0,1]
	v_mov_b32_e32 v76, v77
	v_mov_b32_e32 v77, v71
	v_pk_mov_b32 v[72:73], v[68:69], v[72:73] op_sel:[1,0]
	v_mov_b32_e32 v75, v68
	v_pk_add_f32 v[72:73], v[76:77], v[72:73] neg_lo:[0,1] neg_hi:[0,1]
	v_mov_b32_e32 v80, v78
	v_pk_add_f32 v[68:69], v[74:75], v[72:73] neg_lo:[0,1] neg_hi:[0,1]
	v_mov_b32_e32 v79, v71
	v_pk_add_f32 v[72:73], v[80:81], v[68:69]
	s_nop 0
	v_pk_add_f32 v[74:75], v[72:73], v[72:73] op_sel:[0,1] op_sel_hi:[1,0]
	s_nop 0
	v_pk_add_f32 v[70:71], v[70:71], v[74:75] op_sel:[1,0] op_sel_hi:[0,1]
	v_mov_b32_e32 v73, v70
	v_pk_add_f32 v[76:77], v[72:73], v[78:79] neg_lo:[0,1] neg_hi:[0,1]
	v_mov_b32_e32 v69, v74
	v_sub_f32_e32 v15, v72, v76
	v_pk_add_f32 v[68:69], v[68:69], v[76:77] neg_lo:[0,1] neg_hi:[0,1]
	v_sub_f32_e32 v15, v78, v15
	v_add_f32_e32 v15, v68, v15
	v_add_f32_e32 v15, v15, v69
	;; [unrolled: 1-line block ×3, first 2 shown]
	v_cndmask_b32_e32 v15, v65, v15, vcc
	v_cmp_lt_f32_e64 vcc, |v67|, s59
	s_nop 1
	v_cndmask_b32_e32 v15, v15, v67, vcc
	v_add_f32_e32 v15, v17, v15
.LBB438_149:                            ;   in Loop: Header=BB438_129 Depth=1
	s_or_b64 exec, exec, s[34:35]
	v_bfe_u32 v17, v15, 16, 1
	v_add3_u32 v17, v15, v17, s60
	v_cmp_o_f32_e32 vcc, v15, v15
	s_nop 1
	v_cndmask_b32_sdwa v15, v66, v17, vcc dst_sel:DWORD dst_unused:UNUSED_PAD src0_sel:DWORD src1_sel:WORD_1
	v_and_b32_e32 v17, 0xffff, v15
.LBB438_150:                            ;   in Loop: Header=BB438_129 Depth=1
	s_or_b64 exec, exec, s[46:47]
	s_waitcnt lgkmcnt(0)
	ds_bpermute_b32 v67, v58, v17
	v_cmp_le_u32_e32 vcc, v59, v16
	s_and_saveexec_b64 s[46:47], vcc
	s_cbranch_execz .LBB438_154
; %bb.151:                              ;   in Loop: Header=BB438_129 Depth=1
	s_waitcnt lgkmcnt(0)
	v_lshlrev_b32_e32 v15, 16, v67
	v_lshlrev_b32_e32 v17, 16, v17
	v_max_f32_e32 v68, v17, v17
	v_max_f32_e32 v69, v15, v15
	v_min_f32_e32 v67, v69, v68
	v_cmp_u_f32_e32 vcc, v15, v15
	v_max_f32_e32 v68, v69, v68
	v_cmp_u_f32_e64 s[34:35], v17, v17
	v_cndmask_b32_e32 v67, v67, v15, vcc
	v_cndmask_b32_e32 v68, v68, v15, vcc
	v_cndmask_b32_e64 v67, v67, v17, s[34:35]
	v_cndmask_b32_e64 v17, v68, v17, s[34:35]
	v_cmp_neq_f32_e32 vcc, v67, v17
	v_cmp_class_f32_e64 s[34:35], v67, s3
	s_or_b64 s[62:63], vcc, s[34:35]
	s_and_saveexec_b64 s[34:35], s[62:63]
	s_cbranch_execz .LBB438_153
; %bb.152:                              ;   in Loop: Header=BB438_129 Depth=1
	v_sub_f32_e32 v15, v67, v17
	v_mul_f32_e32 v67, 0x3fb8aa3b, v15
	v_fma_f32 v68, v15, s48, -v67
	v_rndne_f32_e32 v69, v67
	v_fmac_f32_e32 v68, 0x32a5705f, v15
	v_sub_f32_e32 v67, v67, v69
	v_add_f32_e32 v67, v67, v68
	v_cvt_i32_f32_e32 v68, v69
	v_exp_f32_e32 v67, v67
	v_cmp_ngt_f32_e32 vcc, s49, v15
	v_ldexp_f32 v67, v67, v68
	s_nop 0
	v_cndmask_b32_e32 v67, 0, v67, vcc
	v_cmp_nlt_f32_e32 vcc, s50, v15
	s_nop 1
	v_cndmask_b32_e32 v67, v65, v67, vcc
	v_add_f32_e32 v15, 1.0, v67
	v_add_f32_e32 v68, -1.0, v15
	v_sub_f32_e32 v69, v68, v15
	v_add_f32_e32 v69, 1.0, v69
	v_sub_f32_e32 v68, v67, v68
	v_add_f32_e32 v70, v68, v69
	v_frexp_mant_f32_e32 v71, v15
	v_cvt_f64_f32_e32 v[68:69], v15
	v_frexp_exp_i32_f64_e32 v68, v[68:69]
	v_cmp_gt_f32_e32 vcc, s57, v71
	s_nop 1
	v_subbrev_co_u32_e32 v76, vcc, 0, v68, vcc
	v_sub_u32_e32 v68, 0, v76
	v_ldexp_f32 v15, v15, v68
	v_ldexp_f32 v68, v70, v68
	v_add_f32_e32 v70, -1.0, v15
	v_add_f32_e32 v69, 1.0, v70
	v_sub_f32_e32 v69, v15, v69
	v_add_f32_e32 v71, v68, v69
	v_add_f32_e32 v69, 1.0, v15
	v_add_f32_e32 v72, -1.0, v69
	v_sub_f32_e32 v15, v15, v72
	v_add_f32_e32 v15, v68, v15
	v_add_f32_e32 v77, v69, v15
	v_rcp_f32_e32 v78, v77
	v_sub_f32_e32 v68, v69, v77
	v_add_f32_e32 v69, v70, v71
	v_add_f32_e32 v15, v15, v68
	v_mul_f32_e32 v80, v69, v78
	v_sub_f32_e32 v68, v70, v69
	v_mul_f32_e32 v70, v77, v80
	v_fma_f32 v72, v80, v77, -v70
	v_fmac_f32_e32 v72, v80, v15
	v_add_f32_e32 v79, v71, v68
	v_add_f32_e32 v68, v70, v72
	v_sub_f32_e32 v71, v69, v68
	v_pk_add_f32 v[74:75], v[68:69], v[70:71] neg_lo:[0,1] neg_hi:[0,1]
	v_mov_b32_e32 v73, v68
	v_pk_add_f32 v[68:69], v[74:75], v[72:73] neg_lo:[0,1] neg_hi:[0,1]
	v_cmp_neq_f32_e32 vcc, s51, v67
	v_add_f32_e32 v69, v79, v69
	v_add_f32_e32 v68, v68, v69
	;; [unrolled: 1-line block ×3, first 2 shown]
	v_mul_f32_e32 v79, v78, v69
	v_mul_f32_e32 v70, v77, v79
	v_fma_f32 v72, v79, v77, -v70
	v_fmac_f32_e32 v72, v79, v15
	v_sub_f32_e32 v15, v71, v69
	v_add_f32_e32 v15, v68, v15
	v_add_f32_e32 v68, v70, v72
	v_sub_f32_e32 v71, v69, v68
	v_pk_add_f32 v[74:75], v[68:69], v[70:71] neg_lo:[0,1] neg_hi:[0,1]
	v_mov_b32_e32 v73, v68
	v_pk_add_f32 v[68:69], v[74:75], v[72:73] neg_lo:[0,1] neg_hi:[0,1]
	s_nop 0
	v_add_f32_e32 v15, v15, v69
	v_add_f32_e32 v15, v68, v15
	v_add_f32_e32 v69, v80, v79
	v_add_f32_e32 v15, v71, v15
	v_sub_f32_e32 v68, v69, v80
	v_mul_f32_e32 v15, v78, v15
	v_sub_f32_e32 v68, v79, v68
	v_add_f32_e32 v70, v68, v15
	v_add_f32_e32 v72, v69, v70
	v_cvt_f32_i32_e32 v68, v76
	v_mul_f32_e32 v73, v72, v72
	v_sub_f32_e32 v69, v72, v69
	v_fmamk_f32 v15, v73, 0x3e9b6dac, v63
	v_sub_f32_e32 v69, v70, v69
	v_fmaak_f32 v15, v73, v15, 0x3f2aaada
	v_ldexp_f32 v74, v69, 1
	v_mul_f32_e32 v69, v72, v73
	v_ldexp_f32 v71, v72, 1
	v_pk_mul_f32 v[72:73], v[68:69], v[14:15]
	s_nop 0
	v_fma_f32 v70, v68, s58, -v72
	v_fmac_f32_e32 v70, 0xb102e308, v68
	v_pk_add_f32 v[68:69], v[72:73], v[70:71]
	s_nop 0
	v_sub_f32_e32 v15, v69, v71
	v_sub_f32_e32 v15, v73, v15
	v_add_f32_e32 v75, v74, v15
	v_mov_b32_e32 v74, v72
	v_pk_add_f32 v[72:73], v[68:69], v[72:73] neg_lo:[0,1] neg_hi:[0,1]
	v_pk_add_f32 v[76:77], v[68:69], v[74:75]
	v_mov_b32_e32 v71, v68
	v_mov_b32_e32 v73, v77
	v_pk_add_f32 v[78:79], v[70:71], v[72:73] neg_lo:[0,1] neg_hi:[0,1]
	v_pk_add_f32 v[70:71], v[70:71], v[72:73]
	v_mov_b32_e32 v74, v75
	v_pk_add_f32 v[72:73], v[70:71], v[68:69] op_sel:[1,0] op_sel_hi:[0,1] neg_lo:[0,1] neg_hi:[0,1]
	v_pk_add_f32 v[80:81], v[76:77], v[72:73] op_sel_hi:[1,0] neg_lo:[0,1] neg_hi:[0,1]
	v_mov_b32_e32 v76, v77
	v_mov_b32_e32 v77, v71
	v_pk_mov_b32 v[72:73], v[68:69], v[72:73] op_sel:[1,0]
	v_mov_b32_e32 v75, v68
	v_pk_add_f32 v[72:73], v[76:77], v[72:73] neg_lo:[0,1] neg_hi:[0,1]
	v_mov_b32_e32 v80, v78
	v_pk_add_f32 v[68:69], v[74:75], v[72:73] neg_lo:[0,1] neg_hi:[0,1]
	v_mov_b32_e32 v79, v71
	v_pk_add_f32 v[72:73], v[80:81], v[68:69]
	s_nop 0
	v_pk_add_f32 v[74:75], v[72:73], v[72:73] op_sel:[0,1] op_sel_hi:[1,0]
	s_nop 0
	v_pk_add_f32 v[70:71], v[70:71], v[74:75] op_sel:[1,0] op_sel_hi:[0,1]
	v_mov_b32_e32 v73, v70
	v_pk_add_f32 v[76:77], v[72:73], v[78:79] neg_lo:[0,1] neg_hi:[0,1]
	v_mov_b32_e32 v69, v74
	v_sub_f32_e32 v15, v72, v76
	v_pk_add_f32 v[68:69], v[68:69], v[76:77] neg_lo:[0,1] neg_hi:[0,1]
	v_sub_f32_e32 v15, v78, v15
	v_add_f32_e32 v15, v68, v15
	v_add_f32_e32 v15, v15, v69
	;; [unrolled: 1-line block ×3, first 2 shown]
	v_cndmask_b32_e32 v15, v65, v15, vcc
	v_cmp_lt_f32_e64 vcc, |v67|, s59
	s_nop 1
	v_cndmask_b32_e32 v15, v15, v67, vcc
	v_add_f32_e32 v15, v17, v15
.LBB438_153:                            ;   in Loop: Header=BB438_129 Depth=1
	s_or_b64 exec, exec, s[34:35]
	v_bfe_u32 v17, v15, 16, 1
	v_add3_u32 v17, v15, v17, s60
	v_cmp_o_f32_e32 vcc, v15, v15
	s_nop 1
	v_cndmask_b32_sdwa v15, v66, v17, vcc dst_sel:DWORD dst_unused:UNUSED_PAD src0_sel:DWORD src1_sel:WORD_1
	v_and_b32_e32 v17, 0xffff, v15
.LBB438_154:                            ;   in Loop: Header=BB438_129 Depth=1
	s_or_b64 exec, exec, s[46:47]
	s_waitcnt lgkmcnt(0)
	ds_bpermute_b32 v67, v60, v17
	v_cmp_le_u32_e32 vcc, v61, v16
	s_and_saveexec_b64 s[46:47], vcc
	s_cbranch_execz .LBB438_158
; %bb.155:                              ;   in Loop: Header=BB438_129 Depth=1
	s_waitcnt lgkmcnt(0)
	v_lshlrev_b32_e32 v15, 16, v67
	v_lshlrev_b32_e32 v16, 16, v17
	v_max_f32_e32 v67, v16, v16
	v_max_f32_e32 v68, v15, v15
	v_min_f32_e32 v17, v68, v67
	v_cmp_u_f32_e32 vcc, v15, v15
	v_max_f32_e32 v67, v68, v67
	v_cmp_u_f32_e64 s[34:35], v16, v16
	v_cndmask_b32_e32 v17, v17, v15, vcc
	v_cndmask_b32_e32 v67, v67, v15, vcc
	v_cndmask_b32_e64 v17, v17, v16, s[34:35]
	v_cndmask_b32_e64 v16, v67, v16, s[34:35]
	v_cmp_neq_f32_e32 vcc, v17, v16
	v_cmp_class_f32_e64 s[34:35], v17, s3
	s_or_b64 s[62:63], vcc, s[34:35]
	s_and_saveexec_b64 s[34:35], s[62:63]
	s_cbranch_execz .LBB438_157
; %bb.156:                              ;   in Loop: Header=BB438_129 Depth=1
	v_sub_f32_e32 v15, v17, v16
	v_mul_f32_e32 v17, 0x3fb8aa3b, v15
	v_fma_f32 v67, v15, s48, -v17
	v_rndne_f32_e32 v68, v17
	v_fmac_f32_e32 v67, 0x32a5705f, v15
	v_sub_f32_e32 v17, v17, v68
	v_add_f32_e32 v17, v17, v67
	v_cvt_i32_f32_e32 v67, v68
	v_exp_f32_e32 v17, v17
	v_cmp_ngt_f32_e32 vcc, s49, v15
	v_ldexp_f32 v17, v17, v67
	s_nop 0
	v_cndmask_b32_e32 v17, 0, v17, vcc
	v_cmp_nlt_f32_e32 vcc, s50, v15
	s_nop 1
	v_cndmask_b32_e32 v17, v65, v17, vcc
	v_add_f32_e32 v15, 1.0, v17
	v_add_f32_e32 v67, -1.0, v15
	v_sub_f32_e32 v68, v67, v15
	v_add_f32_e32 v68, 1.0, v68
	v_sub_f32_e32 v67, v17, v67
	v_add_f32_e32 v67, v67, v68
	v_frexp_mant_f32_e32 v70, v15
	v_cvt_f64_f32_e32 v[68:69], v15
	v_frexp_exp_i32_f64_e32 v68, v[68:69]
	v_cmp_gt_f32_e32 vcc, s57, v70
	s_nop 1
	v_subbrev_co_u32_e32 v76, vcc, 0, v68, vcc
	v_sub_u32_e32 v68, 0, v76
	v_ldexp_f32 v15, v15, v68
	v_ldexp_f32 v67, v67, v68
	v_add_f32_e32 v68, -1.0, v15
	v_add_f32_e32 v69, 1.0, v68
	v_sub_f32_e32 v69, v15, v69
	v_add_f32_e32 v70, v67, v69
	v_add_f32_e32 v69, 1.0, v15
	v_add_f32_e32 v71, -1.0, v69
	v_sub_f32_e32 v15, v15, v71
	v_add_f32_e32 v15, v67, v15
	v_add_f32_e32 v67, v69, v15
	v_rcp_f32_e32 v77, v67
	v_sub_f32_e32 v69, v69, v67
	v_add_f32_e32 v15, v15, v69
	v_add_f32_e32 v69, v68, v70
	v_sub_f32_e32 v68, v68, v69
	v_mul_f32_e32 v79, v69, v77
	v_add_f32_e32 v78, v70, v68
	v_mul_f32_e32 v70, v67, v79
	v_fma_f32 v72, v79, v67, -v70
	v_fmac_f32_e32 v72, v79, v15
	v_add_f32_e32 v68, v70, v72
	v_sub_f32_e32 v71, v69, v68
	v_pk_add_f32 v[74:75], v[68:69], v[70:71] neg_lo:[0,1] neg_hi:[0,1]
	v_mov_b32_e32 v73, v68
	v_pk_add_f32 v[68:69], v[74:75], v[72:73] neg_lo:[0,1] neg_hi:[0,1]
	v_cmp_neq_f32_e32 vcc, s51, v17
	v_add_f32_e32 v69, v78, v69
	v_add_f32_e32 v68, v68, v69
	;; [unrolled: 1-line block ×3, first 2 shown]
	v_mul_f32_e32 v78, v77, v69
	v_mul_f32_e32 v70, v67, v78
	v_fma_f32 v72, v78, v67, -v70
	v_fmac_f32_e32 v72, v78, v15
	v_sub_f32_e32 v15, v71, v69
	v_add_f32_e32 v15, v68, v15
	v_add_f32_e32 v68, v70, v72
	v_sub_f32_e32 v71, v69, v68
	v_pk_add_f32 v[74:75], v[68:69], v[70:71] neg_lo:[0,1] neg_hi:[0,1]
	v_mov_b32_e32 v73, v68
	v_pk_add_f32 v[68:69], v[74:75], v[72:73] neg_lo:[0,1] neg_hi:[0,1]
	v_add_f32_e32 v67, v79, v78
	v_add_f32_e32 v15, v15, v69
	;; [unrolled: 1-line block ×4, first 2 shown]
	v_sub_f32_e32 v68, v67, v79
	v_mul_f32_e32 v15, v77, v15
	v_sub_f32_e32 v68, v78, v68
	v_add_f32_e32 v69, v68, v15
	v_add_f32_e32 v70, v67, v69
	v_cvt_f32_i32_e32 v68, v76
	v_mul_f32_e32 v72, v70, v70
	v_fmamk_f32 v15, v72, 0x3e9b6dac, v63
	v_sub_f32_e32 v67, v70, v67
	v_fmaak_f32 v15, v72, v15, 0x3f2aaada
	v_sub_f32_e32 v67, v69, v67
	v_mul_f32_e32 v69, v70, v72
	v_pk_mul_f32 v[72:73], v[68:69], v[14:15]
	v_ldexp_f32 v71, v70, 1
	v_fma_f32 v70, v68, s58, -v72
	v_fmac_f32_e32 v70, 0xb102e308, v68
	v_pk_add_f32 v[68:69], v[72:73], v[70:71]
	v_ldexp_f32 v67, v67, 1
	v_sub_f32_e32 v15, v69, v71
	v_sub_f32_e32 v15, v73, v15
	v_add_f32_e32 v75, v67, v15
	v_mov_b32_e32 v74, v72
	v_pk_add_f32 v[72:73], v[68:69], v[72:73] neg_lo:[0,1] neg_hi:[0,1]
	v_pk_add_f32 v[76:77], v[68:69], v[74:75]
	v_mov_b32_e32 v71, v68
	v_mov_b32_e32 v73, v77
	v_pk_add_f32 v[78:79], v[70:71], v[72:73] neg_lo:[0,1] neg_hi:[0,1]
	v_pk_add_f32 v[70:71], v[70:71], v[72:73]
	v_mov_b32_e32 v74, v75
	v_pk_add_f32 v[72:73], v[70:71], v[68:69] op_sel:[1,0] op_sel_hi:[0,1] neg_lo:[0,1] neg_hi:[0,1]
	v_pk_add_f32 v[80:81], v[76:77], v[72:73] op_sel_hi:[1,0] neg_lo:[0,1] neg_hi:[0,1]
	v_mov_b32_e32 v76, v77
	v_mov_b32_e32 v77, v71
	v_pk_mov_b32 v[72:73], v[68:69], v[72:73] op_sel:[1,0]
	v_mov_b32_e32 v75, v68
	v_pk_add_f32 v[72:73], v[76:77], v[72:73] neg_lo:[0,1] neg_hi:[0,1]
	v_mov_b32_e32 v80, v78
	v_pk_add_f32 v[68:69], v[74:75], v[72:73] neg_lo:[0,1] neg_hi:[0,1]
	v_mov_b32_e32 v79, v71
	v_pk_add_f32 v[72:73], v[80:81], v[68:69]
	s_nop 0
	v_pk_add_f32 v[74:75], v[72:73], v[72:73] op_sel:[0,1] op_sel_hi:[1,0]
	s_nop 0
	v_pk_add_f32 v[70:71], v[70:71], v[74:75] op_sel:[1,0] op_sel_hi:[0,1]
	v_mov_b32_e32 v73, v70
	v_pk_add_f32 v[76:77], v[72:73], v[78:79] neg_lo:[0,1] neg_hi:[0,1]
	v_mov_b32_e32 v69, v74
	v_sub_f32_e32 v15, v72, v76
	v_pk_add_f32 v[68:69], v[68:69], v[76:77] neg_lo:[0,1] neg_hi:[0,1]
	v_sub_f32_e32 v15, v78, v15
	v_add_f32_e32 v15, v68, v15
	v_add_f32_e32 v15, v15, v69
	v_add_f32_e32 v15, v70, v15
	v_cndmask_b32_e32 v15, v65, v15, vcc
	v_cmp_lt_f32_e64 vcc, |v17|, s59
	s_nop 1
	v_cndmask_b32_e32 v15, v15, v17, vcc
	v_add_f32_e32 v15, v16, v15
.LBB438_157:                            ;   in Loop: Header=BB438_129 Depth=1
	s_or_b64 exec, exec, s[34:35]
	v_bfe_u32 v16, v15, 16, 1
	v_add3_u32 v16, v15, v16, s60
	v_cmp_o_f32_e32 vcc, v15, v15
	s_nop 1
	v_cndmask_b32_sdwa v15, v66, v16, vcc dst_sel:DWORD dst_unused:UNUSED_PAD src0_sel:DWORD src1_sel:WORD_1
.LBB438_158:                            ;   in Loop: Header=BB438_129 Depth=1
	s_or_b64 exec, exec, s[46:47]
	v_lshlrev_b32_e32 v15, 16, v15
	v_lshlrev_b32_e32 v16, 16, v62
	s_waitcnt lgkmcnt(0)
	v_max_f32_e32 v67, v16, v16
	v_max_f32_e32 v68, v15, v15
	v_min_f32_e32 v17, v68, v67
	v_cmp_u_f32_e32 vcc, v15, v15
	v_max_f32_e32 v67, v68, v67
	v_cmp_u_f32_e64 s[34:35], v16, v16
	v_cndmask_b32_e32 v17, v17, v15, vcc
	v_cndmask_b32_e32 v67, v67, v15, vcc
	v_cndmask_b32_e64 v17, v17, v16, s[34:35]
	v_cndmask_b32_e64 v16, v67, v16, s[34:35]
	v_cmp_neq_f32_e32 vcc, v17, v16
	v_cmp_class_f32_e64 s[34:35], v17, s3
	s_or_b64 s[46:47], vcc, s[34:35]
	s_and_saveexec_b64 s[34:35], s[46:47]
	s_cbranch_execz .LBB438_127
; %bb.159:                              ;   in Loop: Header=BB438_129 Depth=1
	v_sub_f32_e32 v15, v17, v16
	v_mul_f32_e32 v17, 0x3fb8aa3b, v15
	v_fma_f32 v67, v15, s48, -v17
	v_rndne_f32_e32 v68, v17
	v_fmac_f32_e32 v67, 0x32a5705f, v15
	v_sub_f32_e32 v17, v17, v68
	v_add_f32_e32 v17, v17, v67
	v_cvt_i32_f32_e32 v67, v68
	v_exp_f32_e32 v17, v17
	v_cmp_ngt_f32_e32 vcc, s49, v15
	v_ldexp_f32 v17, v17, v67
	s_nop 0
	v_cndmask_b32_e32 v17, 0, v17, vcc
	v_cmp_nlt_f32_e32 vcc, s50, v15
	s_nop 1
	v_cndmask_b32_e32 v17, v65, v17, vcc
	v_add_f32_e32 v15, 1.0, v17
	v_add_f32_e32 v67, -1.0, v15
	v_sub_f32_e32 v68, v67, v15
	v_add_f32_e32 v68, 1.0, v68
	v_sub_f32_e32 v67, v17, v67
	v_add_f32_e32 v67, v67, v68
	v_frexp_mant_f32_e32 v70, v15
	v_cvt_f64_f32_e32 v[68:69], v15
	v_frexp_exp_i32_f64_e32 v68, v[68:69]
	v_cmp_gt_f32_e32 vcc, s57, v70
	s_nop 1
	v_subbrev_co_u32_e32 v76, vcc, 0, v68, vcc
	v_sub_u32_e32 v68, 0, v76
	v_ldexp_f32 v15, v15, v68
	v_ldexp_f32 v67, v67, v68
	v_add_f32_e32 v68, -1.0, v15
	v_add_f32_e32 v69, 1.0, v68
	v_sub_f32_e32 v69, v15, v69
	v_add_f32_e32 v70, v67, v69
	v_add_f32_e32 v69, 1.0, v15
	v_add_f32_e32 v71, -1.0, v69
	v_sub_f32_e32 v15, v15, v71
	v_add_f32_e32 v15, v67, v15
	v_add_f32_e32 v67, v69, v15
	v_rcp_f32_e32 v77, v67
	v_sub_f32_e32 v69, v69, v67
	v_add_f32_e32 v15, v15, v69
	v_add_f32_e32 v69, v68, v70
	v_sub_f32_e32 v68, v68, v69
	v_mul_f32_e32 v79, v69, v77
	v_add_f32_e32 v78, v70, v68
	v_mul_f32_e32 v70, v67, v79
	v_fma_f32 v72, v79, v67, -v70
	v_fmac_f32_e32 v72, v79, v15
	v_add_f32_e32 v68, v70, v72
	v_sub_f32_e32 v71, v69, v68
	v_pk_add_f32 v[74:75], v[68:69], v[70:71] neg_lo:[0,1] neg_hi:[0,1]
	v_mov_b32_e32 v73, v68
	v_pk_add_f32 v[68:69], v[74:75], v[72:73] neg_lo:[0,1] neg_hi:[0,1]
	v_cmp_neq_f32_e32 vcc, s51, v17
	v_add_f32_e32 v69, v78, v69
	v_add_f32_e32 v68, v68, v69
	;; [unrolled: 1-line block ×3, first 2 shown]
	v_mul_f32_e32 v78, v77, v69
	v_mul_f32_e32 v70, v67, v78
	v_fma_f32 v72, v78, v67, -v70
	v_fmac_f32_e32 v72, v78, v15
	v_sub_f32_e32 v15, v71, v69
	v_add_f32_e32 v15, v68, v15
	v_add_f32_e32 v68, v70, v72
	v_sub_f32_e32 v71, v69, v68
	v_pk_add_f32 v[74:75], v[68:69], v[70:71] neg_lo:[0,1] neg_hi:[0,1]
	v_mov_b32_e32 v73, v68
	v_pk_add_f32 v[68:69], v[74:75], v[72:73] neg_lo:[0,1] neg_hi:[0,1]
	v_add_f32_e32 v67, v79, v78
	v_add_f32_e32 v15, v15, v69
	;; [unrolled: 1-line block ×4, first 2 shown]
	v_sub_f32_e32 v68, v67, v79
	v_mul_f32_e32 v15, v77, v15
	v_sub_f32_e32 v68, v78, v68
	v_add_f32_e32 v69, v68, v15
	v_add_f32_e32 v70, v67, v69
	v_cvt_f32_i32_e32 v68, v76
	v_mul_f32_e32 v72, v70, v70
	v_fmamk_f32 v15, v72, 0x3e9b6dac, v63
	v_sub_f32_e32 v67, v70, v67
	v_fmaak_f32 v15, v72, v15, 0x3f2aaada
	v_sub_f32_e32 v67, v69, v67
	v_mul_f32_e32 v69, v70, v72
	v_pk_mul_f32 v[72:73], v[68:69], v[14:15]
	v_ldexp_f32 v71, v70, 1
	v_fma_f32 v70, v68, s58, -v72
	v_fmac_f32_e32 v70, 0xb102e308, v68
	v_pk_add_f32 v[68:69], v[72:73], v[70:71]
	v_ldexp_f32 v67, v67, 1
	v_sub_f32_e32 v15, v69, v71
	v_sub_f32_e32 v15, v73, v15
	v_add_f32_e32 v75, v67, v15
	v_mov_b32_e32 v74, v72
	v_pk_add_f32 v[72:73], v[68:69], v[72:73] neg_lo:[0,1] neg_hi:[0,1]
	v_pk_add_f32 v[76:77], v[68:69], v[74:75]
	v_mov_b32_e32 v71, v68
	v_mov_b32_e32 v73, v77
	v_pk_add_f32 v[78:79], v[70:71], v[72:73] neg_lo:[0,1] neg_hi:[0,1]
	v_pk_add_f32 v[70:71], v[70:71], v[72:73]
	v_mov_b32_e32 v74, v75
	v_pk_add_f32 v[72:73], v[70:71], v[68:69] op_sel:[1,0] op_sel_hi:[0,1] neg_lo:[0,1] neg_hi:[0,1]
	v_pk_add_f32 v[80:81], v[76:77], v[72:73] op_sel_hi:[1,0] neg_lo:[0,1] neg_hi:[0,1]
	v_mov_b32_e32 v76, v77
	v_mov_b32_e32 v77, v71
	v_pk_mov_b32 v[72:73], v[68:69], v[72:73] op_sel:[1,0]
	v_mov_b32_e32 v75, v68
	v_pk_add_f32 v[72:73], v[76:77], v[72:73] neg_lo:[0,1] neg_hi:[0,1]
	v_mov_b32_e32 v80, v78
	v_pk_add_f32 v[68:69], v[74:75], v[72:73] neg_lo:[0,1] neg_hi:[0,1]
	v_mov_b32_e32 v79, v71
	v_pk_add_f32 v[72:73], v[80:81], v[68:69]
	s_nop 0
	v_pk_add_f32 v[74:75], v[72:73], v[72:73] op_sel:[0,1] op_sel_hi:[1,0]
	s_nop 0
	v_pk_add_f32 v[70:71], v[70:71], v[74:75] op_sel:[1,0] op_sel_hi:[0,1]
	v_mov_b32_e32 v73, v70
	v_pk_add_f32 v[76:77], v[72:73], v[78:79] neg_lo:[0,1] neg_hi:[0,1]
	v_mov_b32_e32 v69, v74
	v_sub_f32_e32 v15, v72, v76
	v_pk_add_f32 v[68:69], v[68:69], v[76:77] neg_lo:[0,1] neg_hi:[0,1]
	v_sub_f32_e32 v15, v78, v15
	v_add_f32_e32 v15, v68, v15
	v_add_f32_e32 v15, v15, v69
	;; [unrolled: 1-line block ×3, first 2 shown]
	v_cndmask_b32_e32 v15, v65, v15, vcc
	v_cmp_lt_f32_e64 vcc, |v17|, s59
	s_nop 1
	v_cndmask_b32_e32 v15, v15, v17, vcc
	v_add_f32_e32 v15, v16, v15
	s_branch .LBB438_127
.LBB438_160:
                                        ; implicit-def: $vgpr10
                                        ; implicit-def: $vgpr11
                                        ; implicit-def: $vgpr12
                                        ; implicit-def: $vgpr13
                                        ; implicit-def: $vgpr14
                                        ; implicit-def: $vgpr15
                                        ; implicit-def: $vgpr16
                                        ; implicit-def: $vgpr17
                                        ; implicit-def: $vgpr18
                                        ; implicit-def: $vgpr19
                                        ; implicit-def: $vgpr20
                                        ; implicit-def: $vgpr21
                                        ; implicit-def: $vgpr22
                                        ; implicit-def: $vgpr23
	s_load_dwordx8 s[44:51], s[0:1], 0x38
	s_cbranch_execnz .LBB438_200
	s_branch .LBB438_299
.LBB438_161:
	s_and_saveexec_b64 s[46:47], s[30:31]
	s_cbranch_execz .LBB438_165
; %bb.162:
	v_lshlrev_b32_e32 v11, 16, v62
	v_lshlrev_b32_e32 v10, 16, v48
	v_max_f32_e32 v13, v10, v10
	v_max_f32_e32 v14, v11, v11
	v_min_f32_e32 v12, v14, v13
	v_cmp_u_f32_e32 vcc, v11, v11
	v_max_f32_e32 v13, v14, v13
	v_cmp_u_f32_e64 s[34:35], v10, v10
	v_cndmask_b32_e32 v12, v12, v11, vcc
	v_cndmask_b32_e32 v13, v13, v11, vcc
	v_cndmask_b32_e64 v12, v12, v10, s[34:35]
	v_cndmask_b32_e64 v10, v13, v10, s[34:35]
	s_movk_i32 s3, 0x1f8
	v_cmp_neq_f32_e32 vcc, v12, v10
	v_cmp_class_f32_e64 s[34:35], v12, s3
	s_or_b64 s[48:49], vcc, s[34:35]
	s_and_saveexec_b64 s[34:35], s[48:49]
	s_cbranch_execz .LBB438_164
; %bb.163:
	v_sub_f32_e32 v11, v12, v10
	s_mov_b32 s3, 0x3fb8aa3b
	v_mul_f32_e32 v12, 0x3fb8aa3b, v11
	v_fma_f32 v13, v11, s3, -v12
	v_rndne_f32_e32 v14, v12
	v_fmamk_f32 v13, v11, 0x32a5705f, v13
	v_sub_f32_e32 v12, v12, v14
	v_add_f32_e32 v12, v12, v13
	v_exp_f32_e32 v12, v12
	v_cvt_i32_f32_e32 v13, v14
	s_mov_b32 s3, 0xc2ce8ed0
	v_cmp_ngt_f32_e32 vcc, s3, v11
	s_mov_b32 s3, 0x42b17218
	v_ldexp_f32 v12, v12, v13
	v_cndmask_b32_e32 v12, 0, v12, vcc
	v_mov_b32_e32 v56, 0x7f800000
	v_cmp_nlt_f32_e32 vcc, s3, v11
	s_mov_b32 s3, 0x3f2aaaab
	s_mov_b32 s48, 0x7f800000
	v_cndmask_b32_e32 v11, v56, v12, vcc
	v_add_f32_e32 v14, 1.0, v11
	v_add_f32_e32 v12, -1.0, v14
	v_sub_f32_e32 v13, v12, v14
	v_add_f32_e32 v13, 1.0, v13
	v_sub_f32_e32 v12, v11, v12
	v_add_f32_e32 v15, v12, v13
	v_frexp_mant_f32_e32 v16, v14
	v_cvt_f64_f32_e32 v[12:13], v14
	v_frexp_exp_i32_f64_e32 v12, v[12:13]
	v_cmp_gt_f32_e32 vcc, s3, v16
	s_mov_b32 s3, 0x3f317218
	s_nop 0
	v_subbrev_co_u32_e32 v50, vcc, 0, v12, vcc
	v_sub_u32_e32 v12, 0, v50
	v_ldexp_f32 v13, v14, v12
	v_add_f32_e32 v14, -1.0, v13
	v_add_f32_e32 v16, 1.0, v13
	v_ldexp_f32 v12, v15, v12
	v_add_f32_e32 v15, 1.0, v14
	v_add_f32_e32 v17, -1.0, v16
	v_sub_f32_e32 v15, v13, v15
	v_sub_f32_e32 v13, v13, v17
	v_add_f32_e32 v15, v12, v15
	v_add_f32_e32 v12, v12, v13
	;; [unrolled: 1-line block ×3, first 2 shown]
	v_rcp_f32_e32 v53, v51
	v_sub_f32_e32 v13, v16, v51
	v_add_f32_e32 v52, v12, v13
	v_add_f32_e32 v13, v14, v15
	v_mul_f32_e32 v55, v13, v53
	v_sub_f32_e32 v12, v14, v13
	v_mul_f32_e32 v14, v51, v55
	v_fma_f32 v16, v55, v51, -v14
	v_fmac_f32_e32 v16, v55, v52
	v_add_f32_e32 v54, v15, v12
	v_add_f32_e32 v12, v14, v16
	v_sub_f32_e32 v15, v13, v12
	v_pk_add_f32 v[48:49], v[12:13], v[14:15] neg_lo:[0,1] neg_hi:[0,1]
	v_mov_b32_e32 v17, v12
	v_pk_add_f32 v[12:13], v[48:49], v[16:17] neg_lo:[0,1] neg_hi:[0,1]
	v_cmp_neq_f32_e32 vcc, s48, v11
	v_add_f32_e32 v13, v54, v13
	v_add_f32_e32 v12, v12, v13
	;; [unrolled: 1-line block ×3, first 2 shown]
	v_mul_f32_e32 v54, v53, v13
	v_mul_f32_e32 v14, v51, v54
	v_fma_f32 v16, v54, v51, -v14
	v_fmac_f32_e32 v16, v54, v52
	v_sub_f32_e32 v15, v15, v13
	v_add_f32_e32 v51, v12, v15
	v_add_f32_e32 v12, v14, v16
	v_sub_f32_e32 v15, v13, v12
	v_pk_add_f32 v[48:49], v[12:13], v[14:15] neg_lo:[0,1] neg_hi:[0,1]
	v_mov_b32_e32 v17, v12
	v_pk_add_f32 v[12:13], v[48:49], v[16:17] neg_lo:[0,1] neg_hi:[0,1]
	v_cvt_f32_i32_e32 v14, v50
	v_add_f32_e32 v13, v51, v13
	v_add_f32_e32 v12, v12, v13
	;; [unrolled: 1-line block ×4, first 2 shown]
	v_sub_f32_e32 v13, v15, v55
	v_mul_f32_e32 v12, v53, v12
	v_sub_f32_e32 v13, v54, v13
	v_add_f32_e32 v12, v13, v12
	v_add_f32_e32 v16, v15, v12
	v_mul_f32_e32 v48, v16, v16
	v_mov_b32_e32 v13, 0x3ecc95a3
	v_sub_f32_e32 v15, v16, v15
	v_fmac_f32_e32 v13, 0x3e9b6dac, v48
	v_sub_f32_e32 v12, v12, v15
	v_fmaak_f32 v13, v48, v13, 0x3f2aaada
	v_ldexp_f32 v49, v12, 1
	v_mul_f32_e32 v15, v16, v48
	v_mov_b32_e32 v12, 0x3f317218
	v_pk_mul_f32 v[12:13], v[14:15], v[12:13]
	v_ldexp_f32 v17, v16, 1
	v_fma_f32 v15, v14, s3, -v12
	v_fmamk_f32 v16, v14, 0xb102e308, v15
	v_pk_add_f32 v[14:15], v[12:13], v[16:17]
	v_mov_b32_e32 v48, v12
	v_sub_f32_e32 v17, v15, v17
	v_sub_f32_e32 v17, v13, v17
	v_add_f32_e32 v49, v49, v17
	v_pk_add_f32 v[12:13], v[14:15], v[12:13] neg_lo:[0,1] neg_hi:[0,1]
	v_pk_add_f32 v[50:51], v[14:15], v[48:49]
	v_mov_b32_e32 v17, v14
	v_mov_b32_e32 v13, v51
	v_pk_add_f32 v[52:53], v[16:17], v[12:13] neg_lo:[0,1] neg_hi:[0,1]
	v_pk_add_f32 v[12:13], v[16:17], v[12:13]
	v_mov_b32_e32 v48, v49
	v_pk_add_f32 v[16:17], v[12:13], v[14:15] op_sel:[1,0] op_sel_hi:[0,1] neg_lo:[0,1] neg_hi:[0,1]
	v_pk_add_f32 v[54:55], v[50:51], v[16:17] op_sel_hi:[1,0] neg_lo:[0,1] neg_hi:[0,1]
	v_mov_b32_e32 v50, v51
	v_mov_b32_e32 v51, v13
	v_pk_mov_b32 v[16:17], v[14:15], v[16:17] op_sel:[1,0]
	v_mov_b32_e32 v49, v14
	v_pk_add_f32 v[16:17], v[50:51], v[16:17] neg_lo:[0,1] neg_hi:[0,1]
	v_mov_b32_e32 v54, v52
	v_pk_add_f32 v[14:15], v[48:49], v[16:17] neg_lo:[0,1] neg_hi:[0,1]
	v_mov_b32_e32 v53, v13
	v_pk_add_f32 v[16:17], v[54:55], v[14:15]
	s_mov_b32 s3, 0x33800000
	v_pk_add_f32 v[48:49], v[16:17], v[16:17] op_sel:[0,1] op_sel_hi:[1,0]
	s_nop 0
	v_pk_add_f32 v[12:13], v[12:13], v[48:49] op_sel:[1,0] op_sel_hi:[0,1]
	v_mov_b32_e32 v17, v12
	v_pk_add_f32 v[50:51], v[16:17], v[52:53] neg_lo:[0,1] neg_hi:[0,1]
	v_mov_b32_e32 v15, v48
	v_sub_f32_e32 v13, v16, v50
	v_pk_add_f32 v[14:15], v[14:15], v[50:51] neg_lo:[0,1] neg_hi:[0,1]
	v_sub_f32_e32 v13, v52, v13
	v_add_f32_e32 v13, v14, v13
	v_add_f32_e32 v13, v13, v15
	;; [unrolled: 1-line block ×3, first 2 shown]
	v_cndmask_b32_e32 v12, v56, v12, vcc
	v_cmp_lt_f32_e64 vcc, |v11|, s3
	s_nop 1
	v_cndmask_b32_e32 v11, v12, v11, vcc
	v_add_f32_e32 v11, v10, v11
.LBB438_164:
	s_or_b64 exec, exec, s[34:35]
	v_bfe_u32 v10, v11, 16, 1
	s_movk_i32 s3, 0x7fff
	v_add3_u32 v10, v11, v10, s3
	s_add_i32 s2, s2, 64
	s_mov_b32 s3, 0
	s_lshl_b64 s[2:3], s[2:3], 2
	s_mov_b32 s34, 0x20000
	s_add_u32 s2, s54, s2
	v_or_b32_sdwa v10, v10, s34 dst_sel:DWORD dst_unused:UNUSED_PAD src0_sel:WORD_1 src1_sel:DWORD
	v_mov_b32_e32 v13, 0x27fc0
	v_cmp_o_f32_e32 vcc, v11, v11
	s_addc_u32 s3, s55, s3
	v_mov_b32_e32 v12, 0
	v_cndmask_b32_e32 v10, v13, v10, vcc
	global_store_dword v12, v10, s[2:3] sc1
.LBB438_165:
	s_or_b64 exec, exec, s[46:47]
	v_cmp_eq_u32_e32 vcc, 0, v0
	s_and_b64 exec, exec, vcc
; %bb.166:
	v_mov_b32_e32 v10, 0
	ds_write_b16 v10, v62 offset:2
.LBB438_167:
	s_or_b64 exec, exec, s[44:45]
	v_mov_b32_e32 v10, 0
	s_waitcnt lgkmcnt(0)
	s_barrier
	ds_read_u16 v10, v10 offset:2
	v_cmp_ne_u32_e32 vcc, 0, v0
	s_and_saveexec_b64 s[2:3], vcc
	s_cbranch_execz .LBB438_171
; %bb.168:
	s_mov_b64 vcc, s[30:31]
	v_cndmask_b32_sdwa v12, v47, v46, vcc dst_sel:WORD_1 dst_unused:UNUSED_PAD src0_sel:DWORD src1_sel:DWORD
	s_nop 0
	v_max_f32_e32 v11, v12, v12
	v_min_f32_e32 v13, v11, v45
	v_cmp_u_f32_e32 vcc, v12, v12
	v_max_f32_e32 v11, v11, v45
	s_nop 0
	v_cndmask_b32_e32 v13, v13, v12, vcc
	v_cndmask_b32_e32 v11, v11, v12, vcc
	v_cndmask_b32_e64 v13, v13, v44, s[28:29]
	v_cndmask_b32_e64 v11, v11, v44, s[28:29]
	s_movk_i32 s28, 0x1f8
	v_cmp_neq_f32_e32 vcc, v13, v11
	v_cmp_class_f32_e64 s[28:29], v13, s28
	s_or_b64 s[30:31], vcc, s[28:29]
	s_and_saveexec_b64 s[28:29], s[30:31]
	s_cbranch_execz .LBB438_170
; %bb.169:
	v_sub_f32_e32 v12, v13, v11
	s_mov_b32 s30, 0x3fb8aa3b
	v_mul_f32_e32 v13, 0x3fb8aa3b, v12
	v_fma_f32 v14, v12, s30, -v13
	v_rndne_f32_e32 v15, v13
	v_fmamk_f32 v14, v12, 0x32a5705f, v14
	v_sub_f32_e32 v13, v13, v15
	v_add_f32_e32 v13, v13, v14
	v_exp_f32_e32 v13, v13
	v_cvt_i32_f32_e32 v14, v15
	s_mov_b32 s30, 0xc2ce8ed0
	v_cmp_ngt_f32_e32 vcc, s30, v12
	s_mov_b32 s30, 0x42b17218
	v_ldexp_f32 v13, v13, v14
	v_cndmask_b32_e32 v13, 0, v13, vcc
	v_mov_b32_e32 v52, 0x7f800000
	v_cmp_nlt_f32_e32 vcc, s30, v12
	s_mov_b32 s30, 0x3f2aaaab
	s_mov_b32 s31, 0x7f800000
	v_cndmask_b32_e32 v53, v52, v13, vcc
	v_add_f32_e32 v14, 1.0, v53
	v_add_f32_e32 v12, -1.0, v14
	v_sub_f32_e32 v13, v12, v14
	v_add_f32_e32 v13, 1.0, v13
	v_sub_f32_e32 v12, v53, v12
	v_add_f32_e32 v15, v12, v13
	v_frexp_mant_f32_e32 v16, v14
	v_cvt_f64_f32_e32 v[12:13], v14
	v_frexp_exp_i32_f64_e32 v12, v[12:13]
	v_cmp_gt_f32_e32 vcc, s30, v16
	s_mov_b32 s30, 0x3f317218
	s_nop 0
	v_subbrev_co_u32_e32 v46, vcc, 0, v12, vcc
	v_sub_u32_e32 v12, 0, v46
	v_ldexp_f32 v13, v14, v12
	v_add_f32_e32 v14, -1.0, v13
	v_add_f32_e32 v16, 1.0, v13
	v_ldexp_f32 v12, v15, v12
	v_add_f32_e32 v15, 1.0, v14
	v_add_f32_e32 v17, -1.0, v16
	v_sub_f32_e32 v15, v13, v15
	v_sub_f32_e32 v13, v13, v17
	v_add_f32_e32 v15, v12, v15
	v_add_f32_e32 v12, v12, v13
	;; [unrolled: 1-line block ×3, first 2 shown]
	v_rcp_f32_e32 v49, v47
	v_sub_f32_e32 v13, v16, v47
	v_add_f32_e32 v48, v12, v13
	v_add_f32_e32 v13, v14, v15
	v_mul_f32_e32 v51, v13, v49
	v_sub_f32_e32 v12, v14, v13
	v_mul_f32_e32 v14, v47, v51
	v_fma_f32 v16, v51, v47, -v14
	v_fmac_f32_e32 v16, v51, v48
	v_add_f32_e32 v50, v15, v12
	v_add_f32_e32 v12, v14, v16
	v_sub_f32_e32 v15, v13, v12
	v_pk_add_f32 v[44:45], v[12:13], v[14:15] neg_lo:[0,1] neg_hi:[0,1]
	v_mov_b32_e32 v17, v12
	v_pk_add_f32 v[12:13], v[44:45], v[16:17] neg_lo:[0,1] neg_hi:[0,1]
	v_cmp_neq_f32_e32 vcc, s31, v53
	v_add_f32_e32 v13, v50, v13
	v_add_f32_e32 v12, v12, v13
	;; [unrolled: 1-line block ×3, first 2 shown]
	v_mul_f32_e32 v50, v49, v13
	v_mul_f32_e32 v14, v47, v50
	v_fma_f32 v16, v50, v47, -v14
	v_fmac_f32_e32 v16, v50, v48
	v_sub_f32_e32 v15, v15, v13
	v_add_f32_e32 v47, v12, v15
	v_add_f32_e32 v12, v14, v16
	v_sub_f32_e32 v15, v13, v12
	v_pk_add_f32 v[44:45], v[12:13], v[14:15] neg_lo:[0,1] neg_hi:[0,1]
	v_mov_b32_e32 v17, v12
	v_pk_add_f32 v[12:13], v[44:45], v[16:17] neg_lo:[0,1] neg_hi:[0,1]
	v_cvt_f32_i32_e32 v14, v46
	v_add_f32_e32 v13, v47, v13
	v_add_f32_e32 v12, v12, v13
	v_add_f32_e32 v12, v15, v12
	v_add_f32_e32 v15, v51, v50
	v_sub_f32_e32 v13, v15, v51
	v_mul_f32_e32 v12, v49, v12
	v_sub_f32_e32 v13, v50, v13
	v_add_f32_e32 v12, v13, v12
	v_add_f32_e32 v16, v15, v12
	v_mul_f32_e32 v44, v16, v16
	v_mov_b32_e32 v13, 0x3ecc95a3
	v_sub_f32_e32 v15, v16, v15
	v_fmac_f32_e32 v13, 0x3e9b6dac, v44
	v_sub_f32_e32 v12, v12, v15
	v_fmaak_f32 v13, v44, v13, 0x3f2aaada
	v_ldexp_f32 v45, v12, 1
	v_mul_f32_e32 v15, v16, v44
	v_mov_b32_e32 v12, 0x3f317218
	v_pk_mul_f32 v[12:13], v[14:15], v[12:13]
	v_ldexp_f32 v17, v16, 1
	v_fma_f32 v15, v14, s30, -v12
	v_fmamk_f32 v16, v14, 0xb102e308, v15
	v_pk_add_f32 v[14:15], v[12:13], v[16:17]
	v_mov_b32_e32 v44, v12
	v_sub_f32_e32 v17, v15, v17
	v_sub_f32_e32 v17, v13, v17
	v_add_f32_e32 v45, v45, v17
	v_pk_add_f32 v[12:13], v[14:15], v[12:13] neg_lo:[0,1] neg_hi:[0,1]
	v_pk_add_f32 v[46:47], v[14:15], v[44:45]
	v_mov_b32_e32 v17, v14
	v_mov_b32_e32 v13, v47
	v_pk_add_f32 v[48:49], v[16:17], v[12:13] neg_lo:[0,1] neg_hi:[0,1]
	v_pk_add_f32 v[12:13], v[16:17], v[12:13]
	v_mov_b32_e32 v44, v45
	v_pk_add_f32 v[16:17], v[12:13], v[14:15] op_sel:[1,0] op_sel_hi:[0,1] neg_lo:[0,1] neg_hi:[0,1]
	v_pk_add_f32 v[50:51], v[46:47], v[16:17] op_sel_hi:[1,0] neg_lo:[0,1] neg_hi:[0,1]
	v_mov_b32_e32 v46, v47
	v_mov_b32_e32 v47, v13
	v_pk_mov_b32 v[16:17], v[14:15], v[16:17] op_sel:[1,0]
	v_mov_b32_e32 v45, v14
	v_pk_add_f32 v[16:17], v[46:47], v[16:17] neg_lo:[0,1] neg_hi:[0,1]
	v_mov_b32_e32 v50, v48
	v_pk_add_f32 v[14:15], v[44:45], v[16:17] neg_lo:[0,1] neg_hi:[0,1]
	v_mov_b32_e32 v49, v13
	v_pk_add_f32 v[16:17], v[50:51], v[14:15]
	s_mov_b32 s30, 0x33800000
	v_pk_add_f32 v[44:45], v[16:17], v[16:17] op_sel:[0,1] op_sel_hi:[1,0]
	s_nop 0
	v_pk_add_f32 v[12:13], v[12:13], v[44:45] op_sel:[1,0] op_sel_hi:[0,1]
	v_mov_b32_e32 v17, v12
	v_pk_add_f32 v[46:47], v[16:17], v[48:49] neg_lo:[0,1] neg_hi:[0,1]
	v_mov_b32_e32 v15, v44
	v_sub_f32_e32 v13, v16, v46
	v_pk_add_f32 v[14:15], v[14:15], v[46:47] neg_lo:[0,1] neg_hi:[0,1]
	v_sub_f32_e32 v13, v48, v13
	v_add_f32_e32 v13, v14, v13
	v_add_f32_e32 v13, v13, v15
	;; [unrolled: 1-line block ×3, first 2 shown]
	v_cndmask_b32_e32 v12, v52, v12, vcc
	v_cmp_lt_f32_e64 vcc, |v53|, s30
	s_nop 1
	v_cndmask_b32_e32 v12, v12, v53, vcc
	v_add_f32_e32 v12, v11, v12
.LBB438_170:
	s_or_b64 exec, exec, s[28:29]
	v_bfe_u32 v11, v12, 16, 1
	s_movk_i32 s28, 0x7fff
	v_add3_u32 v11, v12, v11, s28
	v_and_b32_e32 v11, 0xffff0000, v11
	v_mov_b32_e32 v13, 0x7fc00000
	v_cmp_o_f32_e32 vcc, v12, v12
	s_nop 1
	v_cndmask_b32_e32 v44, v13, v11, vcc
.LBB438_171:
	s_or_b64 exec, exec, s[2:3]
	s_waitcnt lgkmcnt(0)
	v_lshlrev_b32_e32 v11, 16, v10
	v_max_f32_e32 v10, v44, v44
	v_max_f32_e32 v13, v11, v11
	v_min_f32_e32 v12, v13, v10
	v_cmp_u_f32_e32 vcc, v11, v11
	v_max_f32_e32 v10, v13, v10
	v_cmp_u_f32_e64 s[2:3], v44, v44
	v_cndmask_b32_e32 v12, v12, v11, vcc
	v_cndmask_b32_e32 v10, v10, v11, vcc
	v_cndmask_b32_e64 v12, v12, v44, s[2:3]
	v_cndmask_b32_e64 v10, v10, v44, s[2:3]
	s_movk_i32 s28, 0x1f8
	v_cmp_neq_f32_e32 vcc, v12, v10
	v_cmp_class_f32_e64 s[2:3], v12, s28
	s_or_b64 s[30:31], vcc, s[2:3]
	s_and_saveexec_b64 s[2:3], s[30:31]
	s_cbranch_execz .LBB438_173
; %bb.172:
	v_sub_f32_e32 v11, v12, v10
	s_mov_b32 s29, 0x3fb8aa3b
	v_mul_f32_e32 v12, 0x3fb8aa3b, v11
	v_fma_f32 v13, v11, s29, -v12
	v_rndne_f32_e32 v14, v12
	v_fmamk_f32 v13, v11, 0x32a5705f, v13
	v_sub_f32_e32 v12, v12, v14
	v_add_f32_e32 v12, v12, v13
	v_exp_f32_e32 v12, v12
	v_cvt_i32_f32_e32 v13, v14
	s_mov_b32 s29, 0xc2ce8ed0
	v_cmp_ngt_f32_e32 vcc, s29, v11
	s_mov_b32 s29, 0x42b17218
	v_ldexp_f32 v12, v12, v13
	v_cndmask_b32_e32 v12, 0, v12, vcc
	v_mov_b32_e32 v52, 0x7f800000
	v_cmp_nlt_f32_e32 vcc, s29, v11
	s_mov_b32 s29, 0x3f2aaaab
	s_mov_b32 s30, 0x7f800000
	v_cndmask_b32_e32 v11, v52, v12, vcc
	v_add_f32_e32 v14, 1.0, v11
	v_add_f32_e32 v12, -1.0, v14
	v_sub_f32_e32 v13, v12, v14
	v_add_f32_e32 v13, 1.0, v13
	v_sub_f32_e32 v12, v11, v12
	v_add_f32_e32 v15, v12, v13
	v_frexp_mant_f32_e32 v16, v14
	v_cvt_f64_f32_e32 v[12:13], v14
	v_frexp_exp_i32_f64_e32 v12, v[12:13]
	v_cmp_gt_f32_e32 vcc, s29, v16
	s_mov_b32 s29, 0x3f317218
	s_nop 0
	v_subbrev_co_u32_e32 v46, vcc, 0, v12, vcc
	v_sub_u32_e32 v12, 0, v46
	v_ldexp_f32 v13, v14, v12
	v_add_f32_e32 v14, -1.0, v13
	v_add_f32_e32 v16, 1.0, v13
	v_ldexp_f32 v12, v15, v12
	v_add_f32_e32 v15, 1.0, v14
	v_add_f32_e32 v17, -1.0, v16
	v_sub_f32_e32 v15, v13, v15
	v_sub_f32_e32 v13, v13, v17
	v_add_f32_e32 v15, v12, v15
	v_add_f32_e32 v12, v12, v13
	;; [unrolled: 1-line block ×3, first 2 shown]
	v_rcp_f32_e32 v49, v47
	v_sub_f32_e32 v13, v16, v47
	v_add_f32_e32 v48, v12, v13
	v_add_f32_e32 v13, v14, v15
	v_mul_f32_e32 v51, v13, v49
	v_sub_f32_e32 v12, v14, v13
	v_mul_f32_e32 v14, v47, v51
	v_fma_f32 v16, v51, v47, -v14
	v_fmac_f32_e32 v16, v51, v48
	v_add_f32_e32 v50, v15, v12
	v_add_f32_e32 v12, v14, v16
	v_sub_f32_e32 v15, v13, v12
	v_pk_add_f32 v[44:45], v[12:13], v[14:15] neg_lo:[0,1] neg_hi:[0,1]
	v_mov_b32_e32 v17, v12
	v_pk_add_f32 v[12:13], v[44:45], v[16:17] neg_lo:[0,1] neg_hi:[0,1]
	v_cmp_neq_f32_e32 vcc, s30, v11
	v_add_f32_e32 v13, v50, v13
	v_add_f32_e32 v12, v12, v13
	;; [unrolled: 1-line block ×3, first 2 shown]
	v_mul_f32_e32 v50, v49, v13
	v_mul_f32_e32 v14, v47, v50
	v_fma_f32 v16, v50, v47, -v14
	v_fmac_f32_e32 v16, v50, v48
	v_sub_f32_e32 v15, v15, v13
	v_add_f32_e32 v47, v12, v15
	v_add_f32_e32 v12, v14, v16
	v_sub_f32_e32 v15, v13, v12
	v_pk_add_f32 v[44:45], v[12:13], v[14:15] neg_lo:[0,1] neg_hi:[0,1]
	v_mov_b32_e32 v17, v12
	v_pk_add_f32 v[12:13], v[44:45], v[16:17] neg_lo:[0,1] neg_hi:[0,1]
	v_cvt_f32_i32_e32 v14, v46
	v_add_f32_e32 v13, v47, v13
	v_add_f32_e32 v12, v12, v13
	;; [unrolled: 1-line block ×4, first 2 shown]
	v_sub_f32_e32 v13, v15, v51
	v_mul_f32_e32 v12, v49, v12
	v_sub_f32_e32 v13, v50, v13
	v_add_f32_e32 v12, v13, v12
	v_add_f32_e32 v16, v15, v12
	v_mul_f32_e32 v44, v16, v16
	v_mov_b32_e32 v13, 0x3ecc95a3
	v_sub_f32_e32 v15, v16, v15
	v_fmac_f32_e32 v13, 0x3e9b6dac, v44
	v_sub_f32_e32 v12, v12, v15
	v_fmaak_f32 v13, v44, v13, 0x3f2aaada
	v_ldexp_f32 v45, v12, 1
	v_mul_f32_e32 v15, v16, v44
	v_mov_b32_e32 v12, 0x3f317218
	v_pk_mul_f32 v[12:13], v[14:15], v[12:13]
	v_ldexp_f32 v17, v16, 1
	v_fma_f32 v15, v14, s29, -v12
	v_fmamk_f32 v16, v14, 0xb102e308, v15
	v_pk_add_f32 v[14:15], v[12:13], v[16:17]
	v_mov_b32_e32 v44, v12
	v_sub_f32_e32 v17, v15, v17
	v_sub_f32_e32 v17, v13, v17
	v_add_f32_e32 v45, v45, v17
	v_pk_add_f32 v[12:13], v[14:15], v[12:13] neg_lo:[0,1] neg_hi:[0,1]
	v_pk_add_f32 v[46:47], v[14:15], v[44:45]
	v_mov_b32_e32 v17, v14
	v_mov_b32_e32 v13, v47
	v_pk_add_f32 v[48:49], v[16:17], v[12:13] neg_lo:[0,1] neg_hi:[0,1]
	v_pk_add_f32 v[12:13], v[16:17], v[12:13]
	v_mov_b32_e32 v44, v45
	v_pk_add_f32 v[16:17], v[12:13], v[14:15] op_sel:[1,0] op_sel_hi:[0,1] neg_lo:[0,1] neg_hi:[0,1]
	v_pk_add_f32 v[50:51], v[46:47], v[16:17] op_sel_hi:[1,0] neg_lo:[0,1] neg_hi:[0,1]
	v_mov_b32_e32 v46, v47
	v_mov_b32_e32 v47, v13
	v_pk_mov_b32 v[16:17], v[14:15], v[16:17] op_sel:[1,0]
	v_mov_b32_e32 v45, v14
	v_pk_add_f32 v[16:17], v[46:47], v[16:17] neg_lo:[0,1] neg_hi:[0,1]
	v_mov_b32_e32 v50, v48
	v_pk_add_f32 v[14:15], v[44:45], v[16:17] neg_lo:[0,1] neg_hi:[0,1]
	v_mov_b32_e32 v49, v13
	v_pk_add_f32 v[16:17], v[50:51], v[14:15]
	s_mov_b32 s29, 0x33800000
	v_pk_add_f32 v[44:45], v[16:17], v[16:17] op_sel:[0,1] op_sel_hi:[1,0]
	s_nop 0
	v_pk_add_f32 v[12:13], v[12:13], v[44:45] op_sel:[1,0] op_sel_hi:[0,1]
	v_mov_b32_e32 v17, v12
	v_pk_add_f32 v[46:47], v[16:17], v[48:49] neg_lo:[0,1] neg_hi:[0,1]
	v_mov_b32_e32 v15, v44
	v_sub_f32_e32 v13, v16, v46
	v_pk_add_f32 v[14:15], v[14:15], v[46:47] neg_lo:[0,1] neg_hi:[0,1]
	v_sub_f32_e32 v13, v48, v13
	v_add_f32_e32 v13, v14, v13
	v_add_f32_e32 v13, v13, v15
	;; [unrolled: 1-line block ×3, first 2 shown]
	v_cndmask_b32_e32 v12, v52, v12, vcc
	v_cmp_lt_f32_e64 vcc, |v11|, s29
	s_nop 1
	v_cndmask_b32_e32 v11, v12, v11, vcc
	v_add_f32_e32 v11, v10, v11
.LBB438_173:
	s_or_b64 exec, exec, s[2:3]
	v_bfe_u32 v10, v11, 16, 1
	s_movk_i32 s29, 0x7fff
	v_add3_u32 v10, v11, v10, s29
	v_cmp_o_f32_e32 vcc, v11, v11
	v_mov_b32_e32 v11, 0x7fc0
	s_nop 0
	v_cndmask_b32_sdwa v10, v11, v10, vcc dst_sel:DWORD dst_unused:UNUSED_PAD src0_sel:DWORD src1_sel:WORD_1
	v_lshlrev_b32_e32 v13, 16, v10
	v_max_f32_e32 v12, v13, v13
	v_min_f32_e32 v14, v12, v19
	v_cmp_u_f32_e32 vcc, v13, v13
	v_max_f32_e32 v12, v12, v19
	s_nop 0
	v_cndmask_b32_e32 v14, v14, v13, vcc
	v_cndmask_b32_e32 v12, v12, v13, vcc
	v_cndmask_b32_e64 v14, v14, v18, s[36:37]
	v_cndmask_b32_e64 v12, v12, v18, s[36:37]
	v_cmp_neq_f32_e32 vcc, v14, v12
	v_cmp_class_f32_e64 s[2:3], v14, s28
	s_or_b64 s[30:31], vcc, s[2:3]
	s_and_saveexec_b64 s[2:3], s[30:31]
	s_cbranch_execz .LBB438_175
; %bb.174:
	v_sub_f32_e32 v13, v14, v12
	s_mov_b32 s28, 0x3fb8aa3b
	v_mul_f32_e32 v14, 0x3fb8aa3b, v13
	v_fma_f32 v15, v13, s28, -v14
	v_rndne_f32_e32 v16, v14
	v_fmamk_f32 v15, v13, 0x32a5705f, v15
	v_sub_f32_e32 v14, v14, v16
	v_add_f32_e32 v14, v14, v15
	v_exp_f32_e32 v14, v14
	v_cvt_i32_f32_e32 v15, v16
	s_mov_b32 s28, 0xc2ce8ed0
	v_cmp_ngt_f32_e32 vcc, s28, v13
	s_mov_b32 s28, 0x42b17218
	v_ldexp_f32 v14, v14, v15
	v_cndmask_b32_e32 v14, 0, v14, vcc
	v_mov_b32_e32 v52, 0x7f800000
	v_cmp_nlt_f32_e32 vcc, s28, v13
	s_mov_b32 s28, 0x3f2aaaab
	s_mov_b32 s30, 0x7f800000
	v_cndmask_b32_e32 v13, v52, v14, vcc
	v_add_f32_e32 v16, 1.0, v13
	v_add_f32_e32 v14, -1.0, v16
	v_sub_f32_e32 v15, v14, v16
	v_add_f32_e32 v15, 1.0, v15
	v_sub_f32_e32 v14, v13, v14
	v_add_f32_e32 v17, v14, v15
	v_frexp_mant_f32_e32 v18, v16
	v_cvt_f64_f32_e32 v[14:15], v16
	v_frexp_exp_i32_f64_e32 v14, v[14:15]
	v_cmp_gt_f32_e32 vcc, s28, v18
	s_mov_b32 s28, 0x3f317218
	s_nop 0
	v_subbrev_co_u32_e32 v46, vcc, 0, v14, vcc
	v_sub_u32_e32 v14, 0, v46
	v_ldexp_f32 v15, v16, v14
	v_add_f32_e32 v16, -1.0, v15
	v_add_f32_e32 v18, 1.0, v15
	v_ldexp_f32 v14, v17, v14
	v_add_f32_e32 v17, 1.0, v16
	v_add_f32_e32 v19, -1.0, v18
	v_sub_f32_e32 v17, v15, v17
	v_sub_f32_e32 v15, v15, v19
	v_add_f32_e32 v17, v14, v17
	v_add_f32_e32 v14, v14, v15
	;; [unrolled: 1-line block ×3, first 2 shown]
	v_rcp_f32_e32 v49, v47
	v_sub_f32_e32 v15, v18, v47
	v_add_f32_e32 v48, v14, v15
	v_add_f32_e32 v15, v16, v17
	v_mul_f32_e32 v51, v15, v49
	v_sub_f32_e32 v14, v16, v15
	v_mul_f32_e32 v16, v47, v51
	v_fma_f32 v18, v51, v47, -v16
	v_fmac_f32_e32 v18, v51, v48
	v_add_f32_e32 v50, v17, v14
	v_add_f32_e32 v14, v16, v18
	v_sub_f32_e32 v17, v15, v14
	v_pk_add_f32 v[44:45], v[14:15], v[16:17] neg_lo:[0,1] neg_hi:[0,1]
	v_mov_b32_e32 v19, v14
	v_pk_add_f32 v[14:15], v[44:45], v[18:19] neg_lo:[0,1] neg_hi:[0,1]
	v_cmp_neq_f32_e32 vcc, s30, v13
	v_add_f32_e32 v15, v50, v15
	v_add_f32_e32 v14, v14, v15
	;; [unrolled: 1-line block ×3, first 2 shown]
	v_mul_f32_e32 v50, v49, v15
	v_mul_f32_e32 v16, v47, v50
	v_fma_f32 v18, v50, v47, -v16
	v_fmac_f32_e32 v18, v50, v48
	v_sub_f32_e32 v17, v17, v15
	v_add_f32_e32 v47, v14, v17
	v_add_f32_e32 v14, v16, v18
	v_sub_f32_e32 v17, v15, v14
	v_pk_add_f32 v[44:45], v[14:15], v[16:17] neg_lo:[0,1] neg_hi:[0,1]
	v_mov_b32_e32 v19, v14
	v_pk_add_f32 v[14:15], v[44:45], v[18:19] neg_lo:[0,1] neg_hi:[0,1]
	v_cvt_f32_i32_e32 v16, v46
	v_add_f32_e32 v15, v47, v15
	v_add_f32_e32 v14, v14, v15
	;; [unrolled: 1-line block ×4, first 2 shown]
	v_sub_f32_e32 v15, v17, v51
	v_mul_f32_e32 v14, v49, v14
	v_sub_f32_e32 v15, v50, v15
	v_add_f32_e32 v14, v15, v14
	v_add_f32_e32 v18, v17, v14
	v_mul_f32_e32 v44, v18, v18
	v_mov_b32_e32 v15, 0x3ecc95a3
	v_sub_f32_e32 v17, v18, v17
	v_fmac_f32_e32 v15, 0x3e9b6dac, v44
	v_sub_f32_e32 v14, v14, v17
	v_fmaak_f32 v15, v44, v15, 0x3f2aaada
	v_ldexp_f32 v45, v14, 1
	v_mul_f32_e32 v17, v18, v44
	v_mov_b32_e32 v14, 0x3f317218
	v_pk_mul_f32 v[14:15], v[16:17], v[14:15]
	v_ldexp_f32 v19, v18, 1
	v_fma_f32 v17, v16, s28, -v14
	v_fmamk_f32 v18, v16, 0xb102e308, v17
	v_pk_add_f32 v[16:17], v[14:15], v[18:19]
	v_mov_b32_e32 v44, v14
	v_sub_f32_e32 v19, v17, v19
	v_sub_f32_e32 v19, v15, v19
	v_add_f32_e32 v45, v45, v19
	v_pk_add_f32 v[14:15], v[16:17], v[14:15] neg_lo:[0,1] neg_hi:[0,1]
	v_pk_add_f32 v[46:47], v[16:17], v[44:45]
	v_mov_b32_e32 v19, v16
	v_mov_b32_e32 v15, v47
	v_pk_add_f32 v[48:49], v[18:19], v[14:15] neg_lo:[0,1] neg_hi:[0,1]
	v_pk_add_f32 v[14:15], v[18:19], v[14:15]
	v_mov_b32_e32 v44, v45
	v_pk_add_f32 v[18:19], v[14:15], v[16:17] op_sel:[1,0] op_sel_hi:[0,1] neg_lo:[0,1] neg_hi:[0,1]
	v_pk_add_f32 v[50:51], v[46:47], v[18:19] op_sel_hi:[1,0] neg_lo:[0,1] neg_hi:[0,1]
	v_mov_b32_e32 v46, v47
	v_mov_b32_e32 v47, v15
	v_pk_mov_b32 v[18:19], v[16:17], v[18:19] op_sel:[1,0]
	v_mov_b32_e32 v45, v16
	v_pk_add_f32 v[18:19], v[46:47], v[18:19] neg_lo:[0,1] neg_hi:[0,1]
	v_mov_b32_e32 v50, v48
	v_pk_add_f32 v[16:17], v[44:45], v[18:19] neg_lo:[0,1] neg_hi:[0,1]
	v_mov_b32_e32 v49, v15
	v_pk_add_f32 v[18:19], v[50:51], v[16:17]
	s_mov_b32 s28, 0x33800000
	v_pk_add_f32 v[44:45], v[18:19], v[18:19] op_sel:[0,1] op_sel_hi:[1,0]
	s_nop 0
	v_pk_add_f32 v[14:15], v[14:15], v[44:45] op_sel:[1,0] op_sel_hi:[0,1]
	v_mov_b32_e32 v19, v14
	v_pk_add_f32 v[46:47], v[18:19], v[48:49] neg_lo:[0,1] neg_hi:[0,1]
	v_mov_b32_e32 v17, v44
	v_sub_f32_e32 v15, v18, v46
	v_pk_add_f32 v[16:17], v[16:17], v[46:47] neg_lo:[0,1] neg_hi:[0,1]
	v_sub_f32_e32 v15, v48, v15
	v_add_f32_e32 v15, v16, v15
	v_add_f32_e32 v15, v15, v17
	;; [unrolled: 1-line block ×3, first 2 shown]
	v_cndmask_b32_e32 v14, v52, v14, vcc
	v_cmp_lt_f32_e64 vcc, |v13|, s28
	s_nop 1
	v_cndmask_b32_e32 v13, v14, v13, vcc
	v_add_f32_e32 v13, v12, v13
.LBB438_175:
	s_or_b64 exec, exec, s[2:3]
	v_bfe_u32 v12, v13, 16, 1
	v_add3_u32 v12, v13, v12, s29
	v_cmp_o_f32_e32 vcc, v13, v13
	s_nop 1
	v_cndmask_b32_sdwa v11, v11, v12, vcc dst_sel:DWORD dst_unused:UNUSED_PAD src0_sel:DWORD src1_sel:WORD_1
	v_lshlrev_b32_e32 v13, 16, v11
	v_max_f32_e32 v12, v13, v13
	v_min_f32_e32 v14, v12, v22
	v_cmp_u_f32_e32 vcc, v13, v13
	v_max_f32_e32 v12, v12, v22
	s_nop 0
	v_cndmask_b32_e32 v14, v14, v13, vcc
	v_cndmask_b32_e32 v12, v12, v13, vcc
	v_cndmask_b32_e64 v14, v14, v20, s[4:5]
	v_cndmask_b32_e64 v12, v12, v20, s[4:5]
	s_movk_i32 s4, 0x1f8
	v_cmp_neq_f32_e32 vcc, v14, v12
	v_cmp_class_f32_e64 s[2:3], v14, s4
	s_or_b64 s[28:29], vcc, s[2:3]
	s_and_saveexec_b64 s[2:3], s[28:29]
	s_cbranch_execz .LBB438_177
; %bb.176:
	v_sub_f32_e32 v13, v14, v12
	s_mov_b32 s5, 0x3fb8aa3b
	v_mul_f32_e32 v14, 0x3fb8aa3b, v13
	v_fma_f32 v15, v13, s5, -v14
	v_rndne_f32_e32 v16, v14
	v_fmamk_f32 v15, v13, 0x32a5705f, v15
	v_sub_f32_e32 v14, v14, v16
	v_add_f32_e32 v14, v14, v15
	v_exp_f32_e32 v14, v14
	v_cvt_i32_f32_e32 v15, v16
	s_mov_b32 s5, 0xc2ce8ed0
	v_cmp_ngt_f32_e32 vcc, s5, v13
	s_mov_b32 s5, 0x42b17218
	v_ldexp_f32 v14, v14, v15
	v_cndmask_b32_e32 v14, 0, v14, vcc
	v_mov_b32_e32 v20, 0x7f800000
	v_cmp_nlt_f32_e32 vcc, s5, v13
	s_mov_b32 s5, 0x3f2aaaab
	s_mov_b32 s28, 0x7f800000
	v_cndmask_b32_e32 v13, v20, v14, vcc
	v_add_f32_e32 v16, 1.0, v13
	v_add_f32_e32 v14, -1.0, v16
	v_sub_f32_e32 v15, v14, v16
	v_add_f32_e32 v15, 1.0, v15
	v_sub_f32_e32 v14, v13, v14
	v_add_f32_e32 v17, v14, v15
	v_frexp_mant_f32_e32 v18, v16
	v_cvt_f64_f32_e32 v[14:15], v16
	v_frexp_exp_i32_f64_e32 v14, v[14:15]
	v_cmp_gt_f32_e32 vcc, s5, v18
	s_mov_b32 s5, 0x3f317218
	s_nop 0
	v_subbrev_co_u32_e32 v22, vcc, 0, v14, vcc
	v_sub_u32_e32 v14, 0, v22
	v_ldexp_f32 v15, v16, v14
	v_add_f32_e32 v16, -1.0, v15
	v_add_f32_e32 v18, 1.0, v15
	v_ldexp_f32 v14, v17, v14
	v_add_f32_e32 v17, 1.0, v16
	v_add_f32_e32 v19, -1.0, v18
	v_sub_f32_e32 v17, v15, v17
	v_sub_f32_e32 v15, v15, v19
	v_add_f32_e32 v17, v14, v17
	v_add_f32_e32 v14, v14, v15
	;; [unrolled: 1-line block ×3, first 2 shown]
	v_rcp_f32_e32 v48, v46
	v_sub_f32_e32 v15, v18, v46
	v_add_f32_e32 v47, v14, v15
	v_add_f32_e32 v15, v16, v17
	v_mul_f32_e32 v50, v15, v48
	v_sub_f32_e32 v14, v16, v15
	v_mul_f32_e32 v16, v46, v50
	v_fma_f32 v18, v50, v46, -v16
	v_fmac_f32_e32 v18, v50, v47
	v_add_f32_e32 v49, v17, v14
	v_add_f32_e32 v14, v16, v18
	v_sub_f32_e32 v17, v15, v14
	v_pk_add_f32 v[44:45], v[14:15], v[16:17] neg_lo:[0,1] neg_hi:[0,1]
	v_mov_b32_e32 v19, v14
	v_pk_add_f32 v[14:15], v[44:45], v[18:19] neg_lo:[0,1] neg_hi:[0,1]
	v_cmp_neq_f32_e32 vcc, s28, v13
	v_add_f32_e32 v15, v49, v15
	v_add_f32_e32 v14, v14, v15
	;; [unrolled: 1-line block ×3, first 2 shown]
	v_mul_f32_e32 v49, v48, v15
	v_mul_f32_e32 v16, v46, v49
	v_fma_f32 v18, v49, v46, -v16
	v_fmac_f32_e32 v18, v49, v47
	v_sub_f32_e32 v17, v17, v15
	v_add_f32_e32 v46, v14, v17
	v_add_f32_e32 v14, v16, v18
	v_sub_f32_e32 v17, v15, v14
	v_pk_add_f32 v[44:45], v[14:15], v[16:17] neg_lo:[0,1] neg_hi:[0,1]
	v_mov_b32_e32 v19, v14
	v_pk_add_f32 v[14:15], v[44:45], v[18:19] neg_lo:[0,1] neg_hi:[0,1]
	v_cvt_f32_i32_e32 v16, v22
	v_add_f32_e32 v15, v46, v15
	v_add_f32_e32 v14, v14, v15
	v_add_f32_e32 v14, v17, v14
	v_add_f32_e32 v17, v50, v49
	v_sub_f32_e32 v15, v17, v50
	v_mul_f32_e32 v14, v48, v14
	v_sub_f32_e32 v15, v49, v15
	v_add_f32_e32 v14, v15, v14
	v_add_f32_e32 v18, v17, v14
	v_mul_f32_e32 v44, v18, v18
	v_mov_b32_e32 v15, 0x3ecc95a3
	v_sub_f32_e32 v17, v18, v17
	v_fmac_f32_e32 v15, 0x3e9b6dac, v44
	v_sub_f32_e32 v14, v14, v17
	v_fmaak_f32 v15, v44, v15, 0x3f2aaada
	v_ldexp_f32 v22, v14, 1
	v_mul_f32_e32 v17, v18, v44
	v_mov_b32_e32 v14, 0x3f317218
	v_pk_mul_f32 v[14:15], v[16:17], v[14:15]
	v_ldexp_f32 v19, v18, 1
	v_fma_f32 v17, v16, s5, -v14
	v_fmamk_f32 v18, v16, 0xb102e308, v17
	v_pk_add_f32 v[16:17], v[14:15], v[18:19]
	v_mov_b32_e32 v44, v14
	v_sub_f32_e32 v19, v17, v19
	v_sub_f32_e32 v19, v15, v19
	v_add_f32_e32 v45, v22, v19
	v_pk_add_f32 v[14:15], v[16:17], v[14:15] neg_lo:[0,1] neg_hi:[0,1]
	v_pk_add_f32 v[46:47], v[16:17], v[44:45]
	v_mov_b32_e32 v19, v16
	v_mov_b32_e32 v15, v47
	v_pk_add_f32 v[48:49], v[18:19], v[14:15] neg_lo:[0,1] neg_hi:[0,1]
	v_pk_add_f32 v[14:15], v[18:19], v[14:15]
	v_mov_b32_e32 v44, v45
	v_pk_add_f32 v[18:19], v[14:15], v[16:17] op_sel:[1,0] op_sel_hi:[0,1] neg_lo:[0,1] neg_hi:[0,1]
	v_pk_add_f32 v[50:51], v[46:47], v[18:19] op_sel_hi:[1,0] neg_lo:[0,1] neg_hi:[0,1]
	v_mov_b32_e32 v46, v47
	v_mov_b32_e32 v47, v15
	v_pk_mov_b32 v[18:19], v[16:17], v[18:19] op_sel:[1,0]
	v_mov_b32_e32 v45, v16
	v_pk_add_f32 v[18:19], v[46:47], v[18:19] neg_lo:[0,1] neg_hi:[0,1]
	v_mov_b32_e32 v50, v48
	v_pk_add_f32 v[16:17], v[44:45], v[18:19] neg_lo:[0,1] neg_hi:[0,1]
	v_mov_b32_e32 v49, v15
	v_pk_add_f32 v[18:19], v[50:51], v[16:17]
	s_mov_b32 s5, 0x33800000
	v_pk_add_f32 v[44:45], v[18:19], v[18:19] op_sel:[0,1] op_sel_hi:[1,0]
	s_nop 0
	v_pk_add_f32 v[14:15], v[14:15], v[44:45] op_sel:[1,0] op_sel_hi:[0,1]
	v_mov_b32_e32 v19, v14
	v_pk_add_f32 v[46:47], v[18:19], v[48:49] neg_lo:[0,1] neg_hi:[0,1]
	v_mov_b32_e32 v17, v44
	v_sub_f32_e32 v15, v18, v46
	v_pk_add_f32 v[16:17], v[16:17], v[46:47] neg_lo:[0,1] neg_hi:[0,1]
	v_sub_f32_e32 v15, v48, v15
	v_add_f32_e32 v15, v16, v15
	v_add_f32_e32 v15, v15, v17
	;; [unrolled: 1-line block ×3, first 2 shown]
	v_cndmask_b32_e32 v14, v20, v14, vcc
	v_cmp_lt_f32_e64 vcc, |v13|, s5
	s_nop 1
	v_cndmask_b32_e32 v13, v14, v13, vcc
	v_add_f32_e32 v13, v12, v13
.LBB438_177:
	s_or_b64 exec, exec, s[2:3]
	v_bfe_u32 v12, v13, 16, 1
	s_movk_i32 s5, 0x7fff
	v_add3_u32 v12, v13, v12, s5
	v_cmp_o_f32_e32 vcc, v13, v13
	v_mov_b32_e32 v13, 0x7fc0
	s_nop 0
	v_cndmask_b32_sdwa v12, v13, v12, vcc dst_sel:DWORD dst_unused:UNUSED_PAD src0_sel:DWORD src1_sel:WORD_1
	v_lshlrev_b32_e32 v15, 16, v12
	v_max_f32_e32 v14, v15, v15
	v_min_f32_e32 v16, v14, v23
	v_cmp_u_f32_e32 vcc, v15, v15
	v_max_f32_e32 v14, v14, v23
	s_nop 0
	v_cndmask_b32_e32 v16, v16, v15, vcc
	v_cndmask_b32_e32 v14, v14, v15, vcc
	v_cndmask_b32_e64 v16, v16, v21, s[6:7]
	v_cndmask_b32_e64 v14, v14, v21, s[6:7]
	v_cmp_neq_f32_e32 vcc, v16, v14
	v_cmp_class_f32_e64 s[2:3], v16, s4
	s_or_b64 s[6:7], vcc, s[2:3]
	s_and_saveexec_b64 s[2:3], s[6:7]
	s_cbranch_execz .LBB438_179
; %bb.178:
	v_sub_f32_e32 v15, v16, v14
	s_mov_b32 s4, 0x3fb8aa3b
	v_mul_f32_e32 v16, 0x3fb8aa3b, v15
	v_fma_f32 v17, v15, s4, -v16
	v_rndne_f32_e32 v18, v16
	v_fmamk_f32 v17, v15, 0x32a5705f, v17
	v_sub_f32_e32 v16, v16, v18
	v_add_f32_e32 v16, v16, v17
	v_exp_f32_e32 v16, v16
	v_cvt_i32_f32_e32 v17, v18
	s_mov_b32 s4, 0xc2ce8ed0
	v_cmp_ngt_f32_e32 vcc, s4, v15
	s_mov_b32 s4, 0x42b17218
	v_ldexp_f32 v16, v16, v17
	v_cndmask_b32_e32 v16, 0, v16, vcc
	v_mov_b32_e32 v50, 0x7f800000
	v_cmp_nlt_f32_e32 vcc, s4, v15
	s_mov_b32 s4, 0x3f2aaaab
	s_mov_b32 s6, 0x7f800000
	v_cndmask_b32_e32 v15, v50, v16, vcc
	v_add_f32_e32 v18, 1.0, v15
	v_add_f32_e32 v16, -1.0, v18
	v_sub_f32_e32 v17, v16, v18
	v_add_f32_e32 v17, 1.0, v17
	v_sub_f32_e32 v16, v15, v16
	v_add_f32_e32 v19, v16, v17
	v_frexp_mant_f32_e32 v20, v18
	v_cvt_f64_f32_e32 v[16:17], v18
	v_frexp_exp_i32_f64_e32 v16, v[16:17]
	v_cmp_gt_f32_e32 vcc, s4, v20
	s_mov_b32 s4, 0x3f317218
	s_nop 0
	v_subbrev_co_u32_e32 v44, vcc, 0, v16, vcc
	v_sub_u32_e32 v16, 0, v44
	v_ldexp_f32 v17, v18, v16
	v_add_f32_e32 v18, -1.0, v17
	v_add_f32_e32 v20, 1.0, v17
	v_ldexp_f32 v16, v19, v16
	v_add_f32_e32 v19, 1.0, v18
	v_add_f32_e32 v21, -1.0, v20
	v_sub_f32_e32 v19, v17, v19
	v_sub_f32_e32 v17, v17, v21
	v_add_f32_e32 v19, v16, v19
	v_add_f32_e32 v16, v16, v17
	;; [unrolled: 1-line block ×3, first 2 shown]
	v_rcp_f32_e32 v47, v45
	v_sub_f32_e32 v17, v20, v45
	v_add_f32_e32 v46, v16, v17
	v_add_f32_e32 v17, v18, v19
	v_mul_f32_e32 v49, v17, v47
	v_sub_f32_e32 v16, v18, v17
	v_mul_f32_e32 v18, v45, v49
	v_fma_f32 v20, v49, v45, -v18
	v_fmac_f32_e32 v20, v49, v46
	v_add_f32_e32 v48, v19, v16
	v_add_f32_e32 v16, v18, v20
	v_sub_f32_e32 v19, v17, v16
	v_pk_add_f32 v[22:23], v[16:17], v[18:19] neg_lo:[0,1] neg_hi:[0,1]
	v_mov_b32_e32 v21, v16
	v_pk_add_f32 v[16:17], v[22:23], v[20:21] neg_lo:[0,1] neg_hi:[0,1]
	v_cmp_neq_f32_e32 vcc, s6, v15
	v_add_f32_e32 v17, v48, v17
	v_add_f32_e32 v16, v16, v17
	;; [unrolled: 1-line block ×3, first 2 shown]
	v_mul_f32_e32 v48, v47, v17
	v_mul_f32_e32 v18, v45, v48
	v_fma_f32 v20, v48, v45, -v18
	v_fmac_f32_e32 v20, v48, v46
	v_sub_f32_e32 v19, v19, v17
	v_add_f32_e32 v45, v16, v19
	v_add_f32_e32 v16, v18, v20
	v_sub_f32_e32 v19, v17, v16
	v_pk_add_f32 v[22:23], v[16:17], v[18:19] neg_lo:[0,1] neg_hi:[0,1]
	v_mov_b32_e32 v21, v16
	v_pk_add_f32 v[16:17], v[22:23], v[20:21] neg_lo:[0,1] neg_hi:[0,1]
	v_cvt_f32_i32_e32 v18, v44
	v_add_f32_e32 v17, v45, v17
	v_add_f32_e32 v16, v16, v17
	;; [unrolled: 1-line block ×4, first 2 shown]
	v_sub_f32_e32 v17, v19, v49
	v_mul_f32_e32 v16, v47, v16
	v_sub_f32_e32 v17, v48, v17
	v_add_f32_e32 v16, v17, v16
	v_add_f32_e32 v20, v19, v16
	v_mul_f32_e32 v22, v20, v20
	v_mov_b32_e32 v17, 0x3ecc95a3
	v_sub_f32_e32 v19, v20, v19
	v_fmac_f32_e32 v17, 0x3e9b6dac, v22
	v_sub_f32_e32 v16, v16, v19
	v_fmaak_f32 v17, v22, v17, 0x3f2aaada
	v_ldexp_f32 v23, v16, 1
	v_mul_f32_e32 v19, v20, v22
	v_mov_b32_e32 v16, 0x3f317218
	v_pk_mul_f32 v[16:17], v[18:19], v[16:17]
	v_ldexp_f32 v21, v20, 1
	v_fma_f32 v19, v18, s4, -v16
	v_fmamk_f32 v20, v18, 0xb102e308, v19
	v_pk_add_f32 v[18:19], v[16:17], v[20:21]
	v_mov_b32_e32 v22, v16
	v_sub_f32_e32 v21, v19, v21
	v_sub_f32_e32 v21, v17, v21
	v_add_f32_e32 v23, v23, v21
	v_pk_add_f32 v[16:17], v[18:19], v[16:17] neg_lo:[0,1] neg_hi:[0,1]
	v_pk_add_f32 v[44:45], v[18:19], v[22:23]
	v_mov_b32_e32 v21, v18
	v_mov_b32_e32 v17, v45
	v_pk_add_f32 v[46:47], v[20:21], v[16:17] neg_lo:[0,1] neg_hi:[0,1]
	v_pk_add_f32 v[16:17], v[20:21], v[16:17]
	v_mov_b32_e32 v22, v23
	v_pk_add_f32 v[20:21], v[16:17], v[18:19] op_sel:[1,0] op_sel_hi:[0,1] neg_lo:[0,1] neg_hi:[0,1]
	v_pk_add_f32 v[48:49], v[44:45], v[20:21] op_sel_hi:[1,0] neg_lo:[0,1] neg_hi:[0,1]
	v_mov_b32_e32 v44, v45
	v_mov_b32_e32 v45, v17
	v_pk_mov_b32 v[20:21], v[18:19], v[20:21] op_sel:[1,0]
	v_mov_b32_e32 v23, v18
	v_pk_add_f32 v[20:21], v[44:45], v[20:21] neg_lo:[0,1] neg_hi:[0,1]
	v_mov_b32_e32 v48, v46
	v_pk_add_f32 v[18:19], v[22:23], v[20:21] neg_lo:[0,1] neg_hi:[0,1]
	v_mov_b32_e32 v47, v17
	v_pk_add_f32 v[20:21], v[48:49], v[18:19]
	s_mov_b32 s4, 0x33800000
	v_pk_add_f32 v[22:23], v[20:21], v[20:21] op_sel:[0,1] op_sel_hi:[1,0]
	s_nop 0
	v_pk_add_f32 v[16:17], v[16:17], v[22:23] op_sel:[1,0] op_sel_hi:[0,1]
	v_mov_b32_e32 v21, v16
	v_pk_add_f32 v[44:45], v[20:21], v[46:47] neg_lo:[0,1] neg_hi:[0,1]
	v_mov_b32_e32 v19, v22
	v_sub_f32_e32 v17, v20, v44
	v_pk_add_f32 v[18:19], v[18:19], v[44:45] neg_lo:[0,1] neg_hi:[0,1]
	v_sub_f32_e32 v17, v46, v17
	v_add_f32_e32 v17, v18, v17
	v_add_f32_e32 v17, v17, v19
	v_add_f32_e32 v16, v16, v17
	v_cndmask_b32_e32 v16, v50, v16, vcc
	v_cmp_lt_f32_e64 vcc, |v15|, s4
	s_nop 1
	v_cndmask_b32_e32 v15, v16, v15, vcc
	v_add_f32_e32 v15, v14, v15
.LBB438_179:
	s_or_b64 exec, exec, s[2:3]
	v_bfe_u32 v14, v15, 16, 1
	v_add3_u32 v14, v15, v14, s5
	v_cmp_o_f32_e32 vcc, v15, v15
	s_movk_i32 s4, 0x1f8
	s_nop 0
	v_cndmask_b32_sdwa v13, v13, v14, vcc dst_sel:DWORD dst_unused:UNUSED_PAD src0_sel:DWORD src1_sel:WORD_1
	v_lshlrev_b32_e32 v15, 16, v13
	v_max_f32_e32 v14, v15, v15
	v_min_f32_e32 v16, v14, v26
	v_cmp_u_f32_e32 vcc, v15, v15
	v_max_f32_e32 v14, v14, v26
	s_nop 0
	v_cndmask_b32_e32 v16, v16, v15, vcc
	v_cndmask_b32_e32 v14, v14, v15, vcc
	v_cndmask_b32_e64 v16, v16, v24, s[8:9]
	v_cndmask_b32_e64 v14, v14, v24, s[8:9]
	v_cmp_neq_f32_e32 vcc, v16, v14
	v_cmp_class_f32_e64 s[2:3], v16, s4
	s_or_b64 s[6:7], vcc, s[2:3]
	s_and_saveexec_b64 s[2:3], s[6:7]
	s_cbranch_execz .LBB438_181
; %bb.180:
	v_sub_f32_e32 v15, v16, v14
	s_mov_b32 s5, 0x3fb8aa3b
	v_mul_f32_e32 v16, 0x3fb8aa3b, v15
	v_fma_f32 v17, v15, s5, -v16
	v_rndne_f32_e32 v18, v16
	v_fmamk_f32 v17, v15, 0x32a5705f, v17
	v_sub_f32_e32 v16, v16, v18
	v_add_f32_e32 v16, v16, v17
	v_exp_f32_e32 v16, v16
	v_cvt_i32_f32_e32 v17, v18
	s_mov_b32 s5, 0xc2ce8ed0
	v_cmp_ngt_f32_e32 vcc, s5, v15
	s_mov_b32 s5, 0x42b17218
	v_ldexp_f32 v16, v16, v17
	v_cndmask_b32_e32 v16, 0, v16, vcc
	v_mov_b32_e32 v24, 0x7f800000
	v_cmp_nlt_f32_e32 vcc, s5, v15
	s_mov_b32 s5, 0x3f2aaaab
	s_mov_b32 s6, 0x7f800000
	v_cndmask_b32_e32 v15, v24, v16, vcc
	v_add_f32_e32 v18, 1.0, v15
	v_add_f32_e32 v16, -1.0, v18
	v_sub_f32_e32 v17, v16, v18
	v_add_f32_e32 v17, 1.0, v17
	v_sub_f32_e32 v16, v15, v16
	v_add_f32_e32 v19, v16, v17
	v_frexp_mant_f32_e32 v20, v18
	v_cvt_f64_f32_e32 v[16:17], v18
	v_frexp_exp_i32_f64_e32 v16, v[16:17]
	v_cmp_gt_f32_e32 vcc, s5, v20
	s_mov_b32 s5, 0x3f317218
	s_nop 0
	v_subbrev_co_u32_e32 v26, vcc, 0, v16, vcc
	v_sub_u32_e32 v16, 0, v26
	v_ldexp_f32 v17, v18, v16
	v_add_f32_e32 v18, -1.0, v17
	v_add_f32_e32 v20, 1.0, v17
	v_ldexp_f32 v16, v19, v16
	v_add_f32_e32 v19, 1.0, v18
	v_add_f32_e32 v21, -1.0, v20
	v_sub_f32_e32 v19, v17, v19
	v_sub_f32_e32 v17, v17, v21
	v_add_f32_e32 v19, v16, v19
	v_add_f32_e32 v16, v16, v17
	v_add_f32_e32 v44, v20, v16
	v_rcp_f32_e32 v46, v44
	v_sub_f32_e32 v17, v20, v44
	v_add_f32_e32 v45, v16, v17
	v_add_f32_e32 v17, v18, v19
	v_mul_f32_e32 v48, v17, v46
	v_sub_f32_e32 v16, v18, v17
	v_mul_f32_e32 v18, v44, v48
	v_fma_f32 v20, v48, v44, -v18
	v_fmac_f32_e32 v20, v48, v45
	v_add_f32_e32 v47, v19, v16
	v_add_f32_e32 v16, v18, v20
	v_sub_f32_e32 v19, v17, v16
	v_pk_add_f32 v[22:23], v[16:17], v[18:19] neg_lo:[0,1] neg_hi:[0,1]
	v_mov_b32_e32 v21, v16
	v_pk_add_f32 v[16:17], v[22:23], v[20:21] neg_lo:[0,1] neg_hi:[0,1]
	v_cmp_neq_f32_e32 vcc, s6, v15
	v_add_f32_e32 v17, v47, v17
	v_add_f32_e32 v16, v16, v17
	;; [unrolled: 1-line block ×3, first 2 shown]
	v_mul_f32_e32 v47, v46, v17
	v_mul_f32_e32 v18, v44, v47
	v_fma_f32 v20, v47, v44, -v18
	v_fmac_f32_e32 v20, v47, v45
	v_sub_f32_e32 v19, v19, v17
	v_add_f32_e32 v44, v16, v19
	v_add_f32_e32 v16, v18, v20
	v_sub_f32_e32 v19, v17, v16
	v_pk_add_f32 v[22:23], v[16:17], v[18:19] neg_lo:[0,1] neg_hi:[0,1]
	v_mov_b32_e32 v21, v16
	v_pk_add_f32 v[16:17], v[22:23], v[20:21] neg_lo:[0,1] neg_hi:[0,1]
	v_cvt_f32_i32_e32 v18, v26
	v_add_f32_e32 v17, v44, v17
	v_add_f32_e32 v16, v16, v17
	;; [unrolled: 1-line block ×4, first 2 shown]
	v_sub_f32_e32 v17, v19, v48
	v_mul_f32_e32 v16, v46, v16
	v_sub_f32_e32 v17, v47, v17
	v_add_f32_e32 v16, v17, v16
	v_add_f32_e32 v20, v19, v16
	v_mul_f32_e32 v22, v20, v20
	v_mov_b32_e32 v17, 0x3ecc95a3
	v_sub_f32_e32 v19, v20, v19
	v_fmac_f32_e32 v17, 0x3e9b6dac, v22
	v_sub_f32_e32 v16, v16, v19
	v_fmaak_f32 v17, v22, v17, 0x3f2aaada
	v_ldexp_f32 v23, v16, 1
	v_mul_f32_e32 v19, v20, v22
	v_mov_b32_e32 v16, 0x3f317218
	v_pk_mul_f32 v[16:17], v[18:19], v[16:17]
	v_ldexp_f32 v21, v20, 1
	v_fma_f32 v19, v18, s5, -v16
	v_fmamk_f32 v20, v18, 0xb102e308, v19
	v_pk_add_f32 v[18:19], v[16:17], v[20:21]
	v_mov_b32_e32 v22, v16
	v_sub_f32_e32 v21, v19, v21
	v_sub_f32_e32 v21, v17, v21
	v_add_f32_e32 v23, v23, v21
	v_pk_add_f32 v[16:17], v[18:19], v[16:17] neg_lo:[0,1] neg_hi:[0,1]
	v_pk_add_f32 v[44:45], v[18:19], v[22:23]
	v_mov_b32_e32 v21, v18
	v_mov_b32_e32 v17, v45
	v_pk_add_f32 v[46:47], v[20:21], v[16:17] neg_lo:[0,1] neg_hi:[0,1]
	v_pk_add_f32 v[16:17], v[20:21], v[16:17]
	v_mov_b32_e32 v22, v23
	v_pk_add_f32 v[20:21], v[16:17], v[18:19] op_sel:[1,0] op_sel_hi:[0,1] neg_lo:[0,1] neg_hi:[0,1]
	v_pk_add_f32 v[48:49], v[44:45], v[20:21] op_sel_hi:[1,0] neg_lo:[0,1] neg_hi:[0,1]
	v_mov_b32_e32 v44, v45
	v_mov_b32_e32 v45, v17
	v_pk_mov_b32 v[20:21], v[18:19], v[20:21] op_sel:[1,0]
	v_mov_b32_e32 v23, v18
	v_pk_add_f32 v[20:21], v[44:45], v[20:21] neg_lo:[0,1] neg_hi:[0,1]
	v_mov_b32_e32 v48, v46
	v_pk_add_f32 v[18:19], v[22:23], v[20:21] neg_lo:[0,1] neg_hi:[0,1]
	v_mov_b32_e32 v47, v17
	v_pk_add_f32 v[20:21], v[48:49], v[18:19]
	s_mov_b32 s5, 0x33800000
	v_pk_add_f32 v[22:23], v[20:21], v[20:21] op_sel:[0,1] op_sel_hi:[1,0]
	s_nop 0
	v_pk_add_f32 v[16:17], v[16:17], v[22:23] op_sel:[1,0] op_sel_hi:[0,1]
	v_mov_b32_e32 v21, v16
	v_pk_add_f32 v[44:45], v[20:21], v[46:47] neg_lo:[0,1] neg_hi:[0,1]
	v_mov_b32_e32 v19, v22
	v_sub_f32_e32 v17, v20, v44
	v_pk_add_f32 v[18:19], v[18:19], v[44:45] neg_lo:[0,1] neg_hi:[0,1]
	v_sub_f32_e32 v17, v46, v17
	v_add_f32_e32 v17, v18, v17
	v_add_f32_e32 v17, v17, v19
	;; [unrolled: 1-line block ×3, first 2 shown]
	v_cndmask_b32_e32 v16, v24, v16, vcc
	v_cmp_lt_f32_e64 vcc, |v15|, s5
	s_nop 1
	v_cndmask_b32_e32 v15, v16, v15, vcc
	v_add_f32_e32 v15, v14, v15
.LBB438_181:
	s_or_b64 exec, exec, s[2:3]
	v_bfe_u32 v14, v15, 16, 1
	s_movk_i32 s5, 0x7fff
	v_add3_u32 v14, v15, v14, s5
	v_cmp_o_f32_e32 vcc, v15, v15
	v_mov_b32_e32 v15, 0x7fc0
	s_nop 0
	v_cndmask_b32_sdwa v14, v15, v14, vcc dst_sel:DWORD dst_unused:UNUSED_PAD src0_sel:DWORD src1_sel:WORD_1
	v_lshlrev_b32_e32 v17, 16, v14
	v_max_f32_e32 v16, v17, v17
	v_min_f32_e32 v18, v16, v27
	v_cmp_u_f32_e32 vcc, v17, v17
	v_max_f32_e32 v16, v16, v27
	s_nop 0
	v_cndmask_b32_e32 v18, v18, v17, vcc
	v_cndmask_b32_e32 v16, v16, v17, vcc
	v_cndmask_b32_e64 v18, v18, v25, s[10:11]
	v_cndmask_b32_e64 v16, v16, v25, s[10:11]
	v_cmp_neq_f32_e32 vcc, v18, v16
	v_cmp_class_f32_e64 s[2:3], v18, s4
	s_or_b64 s[6:7], vcc, s[2:3]
	s_and_saveexec_b64 s[2:3], s[6:7]
	s_cbranch_execz .LBB438_183
; %bb.182:
	v_sub_f32_e32 v17, v18, v16
	s_mov_b32 s4, 0x3fb8aa3b
	v_mul_f32_e32 v18, 0x3fb8aa3b, v17
	v_fma_f32 v19, v17, s4, -v18
	v_rndne_f32_e32 v20, v18
	v_fmamk_f32 v19, v17, 0x32a5705f, v19
	v_sub_f32_e32 v18, v18, v20
	v_add_f32_e32 v18, v18, v19
	v_exp_f32_e32 v18, v18
	v_cvt_i32_f32_e32 v19, v20
	s_mov_b32 s4, 0xc2ce8ed0
	v_cmp_ngt_f32_e32 vcc, s4, v17
	s_mov_b32 s4, 0x42b17218
	v_ldexp_f32 v18, v18, v19
	v_cndmask_b32_e32 v18, 0, v18, vcc
	v_mov_b32_e32 v48, 0x7f800000
	v_cmp_nlt_f32_e32 vcc, s4, v17
	s_mov_b32 s4, 0x3f2aaaab
	s_mov_b32 s6, 0x7f800000
	v_cndmask_b32_e32 v17, v48, v18, vcc
	v_add_f32_e32 v20, 1.0, v17
	v_add_f32_e32 v18, -1.0, v20
	v_sub_f32_e32 v19, v18, v20
	v_add_f32_e32 v19, 1.0, v19
	v_sub_f32_e32 v18, v17, v18
	v_add_f32_e32 v21, v18, v19
	v_frexp_mant_f32_e32 v22, v20
	v_cvt_f64_f32_e32 v[18:19], v20
	v_frexp_exp_i32_f64_e32 v18, v[18:19]
	v_cmp_gt_f32_e32 vcc, s4, v22
	s_mov_b32 s4, 0x3f317218
	s_nop 0
	v_subbrev_co_u32_e32 v26, vcc, 0, v18, vcc
	v_sub_u32_e32 v18, 0, v26
	v_ldexp_f32 v19, v20, v18
	v_add_f32_e32 v20, -1.0, v19
	v_add_f32_e32 v22, 1.0, v19
	v_ldexp_f32 v18, v21, v18
	v_add_f32_e32 v21, 1.0, v20
	v_add_f32_e32 v23, -1.0, v22
	v_sub_f32_e32 v21, v19, v21
	v_sub_f32_e32 v19, v19, v23
	v_add_f32_e32 v21, v18, v21
	v_add_f32_e32 v18, v18, v19
	v_add_f32_e32 v27, v22, v18
	v_rcp_f32_e32 v45, v27
	v_sub_f32_e32 v19, v22, v27
	v_add_f32_e32 v44, v18, v19
	v_add_f32_e32 v19, v20, v21
	v_mul_f32_e32 v47, v19, v45
	v_sub_f32_e32 v18, v20, v19
	v_mul_f32_e32 v20, v27, v47
	v_fma_f32 v22, v47, v27, -v20
	v_fmac_f32_e32 v22, v47, v44
	v_add_f32_e32 v46, v21, v18
	v_add_f32_e32 v18, v20, v22
	v_sub_f32_e32 v21, v19, v18
	v_pk_add_f32 v[24:25], v[18:19], v[20:21] neg_lo:[0,1] neg_hi:[0,1]
	v_mov_b32_e32 v23, v18
	v_pk_add_f32 v[18:19], v[24:25], v[22:23] neg_lo:[0,1] neg_hi:[0,1]
	v_cmp_neq_f32_e32 vcc, s6, v17
	v_add_f32_e32 v19, v46, v19
	v_add_f32_e32 v18, v18, v19
	;; [unrolled: 1-line block ×3, first 2 shown]
	v_mul_f32_e32 v46, v45, v19
	v_mul_f32_e32 v20, v27, v46
	v_fma_f32 v22, v46, v27, -v20
	v_fmac_f32_e32 v22, v46, v44
	v_sub_f32_e32 v21, v21, v19
	v_add_f32_e32 v27, v18, v21
	v_add_f32_e32 v18, v20, v22
	v_sub_f32_e32 v21, v19, v18
	v_pk_add_f32 v[24:25], v[18:19], v[20:21] neg_lo:[0,1] neg_hi:[0,1]
	v_mov_b32_e32 v23, v18
	v_pk_add_f32 v[18:19], v[24:25], v[22:23] neg_lo:[0,1] neg_hi:[0,1]
	v_cvt_f32_i32_e32 v20, v26
	v_add_f32_e32 v19, v27, v19
	v_add_f32_e32 v18, v18, v19
	;; [unrolled: 1-line block ×4, first 2 shown]
	v_sub_f32_e32 v19, v21, v47
	v_mul_f32_e32 v18, v45, v18
	v_sub_f32_e32 v19, v46, v19
	v_add_f32_e32 v18, v19, v18
	v_add_f32_e32 v22, v21, v18
	v_mul_f32_e32 v24, v22, v22
	v_mov_b32_e32 v19, 0x3ecc95a3
	v_sub_f32_e32 v21, v22, v21
	v_fmac_f32_e32 v19, 0x3e9b6dac, v24
	v_sub_f32_e32 v18, v18, v21
	v_fmaak_f32 v19, v24, v19, 0x3f2aaada
	v_ldexp_f32 v25, v18, 1
	v_mul_f32_e32 v21, v22, v24
	v_mov_b32_e32 v18, 0x3f317218
	v_pk_mul_f32 v[18:19], v[20:21], v[18:19]
	v_ldexp_f32 v23, v22, 1
	v_fma_f32 v21, v20, s4, -v18
	v_fmamk_f32 v22, v20, 0xb102e308, v21
	v_pk_add_f32 v[20:21], v[18:19], v[22:23]
	v_mov_b32_e32 v24, v18
	v_sub_f32_e32 v23, v21, v23
	v_sub_f32_e32 v23, v19, v23
	v_add_f32_e32 v25, v25, v23
	v_pk_add_f32 v[18:19], v[20:21], v[18:19] neg_lo:[0,1] neg_hi:[0,1]
	v_pk_add_f32 v[26:27], v[20:21], v[24:25]
	v_mov_b32_e32 v23, v20
	v_mov_b32_e32 v19, v27
	v_pk_add_f32 v[44:45], v[22:23], v[18:19] neg_lo:[0,1] neg_hi:[0,1]
	v_pk_add_f32 v[18:19], v[22:23], v[18:19]
	v_mov_b32_e32 v24, v25
	v_pk_add_f32 v[22:23], v[18:19], v[20:21] op_sel:[1,0] op_sel_hi:[0,1] neg_lo:[0,1] neg_hi:[0,1]
	v_pk_add_f32 v[46:47], v[26:27], v[22:23] op_sel_hi:[1,0] neg_lo:[0,1] neg_hi:[0,1]
	v_mov_b32_e32 v26, v27
	v_mov_b32_e32 v27, v19
	v_pk_mov_b32 v[22:23], v[20:21], v[22:23] op_sel:[1,0]
	v_mov_b32_e32 v25, v20
	v_pk_add_f32 v[22:23], v[26:27], v[22:23] neg_lo:[0,1] neg_hi:[0,1]
	v_mov_b32_e32 v46, v44
	v_pk_add_f32 v[20:21], v[24:25], v[22:23] neg_lo:[0,1] neg_hi:[0,1]
	v_mov_b32_e32 v45, v19
	v_pk_add_f32 v[22:23], v[46:47], v[20:21]
	s_mov_b32 s4, 0x33800000
	v_pk_add_f32 v[24:25], v[22:23], v[22:23] op_sel:[0,1] op_sel_hi:[1,0]
	s_nop 0
	v_pk_add_f32 v[18:19], v[18:19], v[24:25] op_sel:[1,0] op_sel_hi:[0,1]
	v_mov_b32_e32 v23, v18
	v_pk_add_f32 v[26:27], v[22:23], v[44:45] neg_lo:[0,1] neg_hi:[0,1]
	v_mov_b32_e32 v21, v24
	v_sub_f32_e32 v19, v22, v26
	v_pk_add_f32 v[20:21], v[20:21], v[26:27] neg_lo:[0,1] neg_hi:[0,1]
	v_sub_f32_e32 v19, v44, v19
	v_add_f32_e32 v19, v20, v19
	v_add_f32_e32 v19, v19, v21
	;; [unrolled: 1-line block ×3, first 2 shown]
	v_cndmask_b32_e32 v18, v48, v18, vcc
	v_cmp_lt_f32_e64 vcc, |v17|, s4
	s_nop 1
	v_cndmask_b32_e32 v17, v18, v17, vcc
	v_add_f32_e32 v17, v16, v17
.LBB438_183:
	s_or_b64 exec, exec, s[2:3]
	v_bfe_u32 v16, v17, 16, 1
	v_add3_u32 v16, v17, v16, s5
	v_cmp_o_f32_e32 vcc, v17, v17
	s_movk_i32 s4, 0x1f8
	s_nop 0
	v_cndmask_b32_sdwa v15, v15, v16, vcc dst_sel:DWORD dst_unused:UNUSED_PAD src0_sel:DWORD src1_sel:WORD_1
	v_lshlrev_b32_e32 v17, 16, v15
	v_max_f32_e32 v16, v17, v17
	v_min_f32_e32 v18, v16, v30
	v_cmp_u_f32_e32 vcc, v17, v17
	v_max_f32_e32 v16, v16, v30
	s_nop 0
	v_cndmask_b32_e32 v18, v18, v17, vcc
	v_cndmask_b32_e32 v16, v16, v17, vcc
	v_cndmask_b32_e64 v18, v18, v28, s[12:13]
	v_cndmask_b32_e64 v16, v16, v28, s[12:13]
	v_cmp_neq_f32_e32 vcc, v18, v16
	v_cmp_class_f32_e64 s[2:3], v18, s4
	s_or_b64 s[6:7], vcc, s[2:3]
	s_and_saveexec_b64 s[2:3], s[6:7]
	s_cbranch_execz .LBB438_185
; %bb.184:
	v_sub_f32_e32 v17, v18, v16
	s_mov_b32 s5, 0x3fb8aa3b
	v_mul_f32_e32 v18, 0x3fb8aa3b, v17
	v_fma_f32 v19, v17, s5, -v18
	v_rndne_f32_e32 v20, v18
	v_fmamk_f32 v19, v17, 0x32a5705f, v19
	v_sub_f32_e32 v18, v18, v20
	v_add_f32_e32 v18, v18, v19
	v_exp_f32_e32 v18, v18
	v_cvt_i32_f32_e32 v19, v20
	s_mov_b32 s5, 0xc2ce8ed0
	v_cmp_ngt_f32_e32 vcc, s5, v17
	s_mov_b32 s5, 0x42b17218
	v_ldexp_f32 v18, v18, v19
	v_cndmask_b32_e32 v18, 0, v18, vcc
	v_mov_b32_e32 v28, 0x7f800000
	v_cmp_nlt_f32_e32 vcc, s5, v17
	s_mov_b32 s5, 0x3f2aaaab
	s_mov_b32 s6, 0x7f800000
	v_cndmask_b32_e32 v17, v28, v18, vcc
	v_add_f32_e32 v20, 1.0, v17
	v_add_f32_e32 v18, -1.0, v20
	v_sub_f32_e32 v19, v18, v20
	v_add_f32_e32 v19, 1.0, v19
	v_sub_f32_e32 v18, v17, v18
	v_add_f32_e32 v21, v18, v19
	v_frexp_mant_f32_e32 v22, v20
	v_cvt_f64_f32_e32 v[18:19], v20
	v_frexp_exp_i32_f64_e32 v18, v[18:19]
	v_cmp_gt_f32_e32 vcc, s5, v22
	s_mov_b32 s5, 0x3f317218
	s_nop 0
	v_subbrev_co_u32_e32 v26, vcc, 0, v18, vcc
	v_sub_u32_e32 v18, 0, v26
	v_ldexp_f32 v19, v20, v18
	v_add_f32_e32 v20, -1.0, v19
	v_add_f32_e32 v22, 1.0, v19
	v_ldexp_f32 v18, v21, v18
	v_add_f32_e32 v21, 1.0, v20
	v_add_f32_e32 v23, -1.0, v22
	v_sub_f32_e32 v21, v19, v21
	v_sub_f32_e32 v19, v19, v23
	v_add_f32_e32 v21, v18, v21
	v_add_f32_e32 v18, v18, v19
	;; [unrolled: 1-line block ×3, first 2 shown]
	v_rcp_f32_e32 v44, v27
	v_sub_f32_e32 v19, v22, v27
	v_add_f32_e32 v30, v18, v19
	v_add_f32_e32 v19, v20, v21
	v_mul_f32_e32 v46, v19, v44
	v_sub_f32_e32 v18, v20, v19
	v_mul_f32_e32 v20, v27, v46
	v_fma_f32 v22, v46, v27, -v20
	v_fmac_f32_e32 v22, v46, v30
	v_add_f32_e32 v45, v21, v18
	v_add_f32_e32 v18, v20, v22
	v_sub_f32_e32 v21, v19, v18
	v_pk_add_f32 v[24:25], v[18:19], v[20:21] neg_lo:[0,1] neg_hi:[0,1]
	v_mov_b32_e32 v23, v18
	v_pk_add_f32 v[18:19], v[24:25], v[22:23] neg_lo:[0,1] neg_hi:[0,1]
	v_cmp_neq_f32_e32 vcc, s6, v17
	v_add_f32_e32 v19, v45, v19
	v_add_f32_e32 v18, v18, v19
	;; [unrolled: 1-line block ×3, first 2 shown]
	v_mul_f32_e32 v45, v44, v19
	v_mul_f32_e32 v20, v27, v45
	v_fma_f32 v22, v45, v27, -v20
	v_fmac_f32_e32 v22, v45, v30
	v_sub_f32_e32 v21, v21, v19
	v_add_f32_e32 v27, v18, v21
	v_add_f32_e32 v18, v20, v22
	v_sub_f32_e32 v21, v19, v18
	v_pk_add_f32 v[24:25], v[18:19], v[20:21] neg_lo:[0,1] neg_hi:[0,1]
	v_mov_b32_e32 v23, v18
	v_pk_add_f32 v[18:19], v[24:25], v[22:23] neg_lo:[0,1] neg_hi:[0,1]
	v_cvt_f32_i32_e32 v20, v26
	v_add_f32_e32 v19, v27, v19
	v_add_f32_e32 v18, v18, v19
	v_add_f32_e32 v18, v21, v18
	v_add_f32_e32 v21, v46, v45
	v_sub_f32_e32 v19, v21, v46
	v_mul_f32_e32 v18, v44, v18
	v_sub_f32_e32 v19, v45, v19
	v_add_f32_e32 v18, v19, v18
	v_add_f32_e32 v22, v21, v18
	v_mul_f32_e32 v24, v22, v22
	v_mov_b32_e32 v19, 0x3ecc95a3
	v_sub_f32_e32 v21, v22, v21
	v_fmac_f32_e32 v19, 0x3e9b6dac, v24
	v_sub_f32_e32 v18, v18, v21
	v_fmaak_f32 v19, v24, v19, 0x3f2aaada
	v_ldexp_f32 v25, v18, 1
	v_mul_f32_e32 v21, v22, v24
	v_mov_b32_e32 v18, 0x3f317218
	v_pk_mul_f32 v[18:19], v[20:21], v[18:19]
	v_ldexp_f32 v23, v22, 1
	v_fma_f32 v21, v20, s5, -v18
	v_fmamk_f32 v22, v20, 0xb102e308, v21
	v_pk_add_f32 v[20:21], v[18:19], v[22:23]
	v_mov_b32_e32 v24, v18
	v_sub_f32_e32 v23, v21, v23
	v_sub_f32_e32 v23, v19, v23
	v_add_f32_e32 v25, v25, v23
	v_pk_add_f32 v[18:19], v[20:21], v[18:19] neg_lo:[0,1] neg_hi:[0,1]
	v_pk_add_f32 v[26:27], v[20:21], v[24:25]
	v_mov_b32_e32 v23, v20
	v_mov_b32_e32 v19, v27
	v_pk_add_f32 v[44:45], v[22:23], v[18:19] neg_lo:[0,1] neg_hi:[0,1]
	v_pk_add_f32 v[18:19], v[22:23], v[18:19]
	v_mov_b32_e32 v24, v25
	v_pk_add_f32 v[22:23], v[18:19], v[20:21] op_sel:[1,0] op_sel_hi:[0,1] neg_lo:[0,1] neg_hi:[0,1]
	v_pk_add_f32 v[46:47], v[26:27], v[22:23] op_sel_hi:[1,0] neg_lo:[0,1] neg_hi:[0,1]
	v_mov_b32_e32 v26, v27
	v_mov_b32_e32 v27, v19
	v_pk_mov_b32 v[22:23], v[20:21], v[22:23] op_sel:[1,0]
	v_mov_b32_e32 v25, v20
	v_pk_add_f32 v[22:23], v[26:27], v[22:23] neg_lo:[0,1] neg_hi:[0,1]
	v_mov_b32_e32 v46, v44
	v_pk_add_f32 v[20:21], v[24:25], v[22:23] neg_lo:[0,1] neg_hi:[0,1]
	v_mov_b32_e32 v45, v19
	v_pk_add_f32 v[22:23], v[46:47], v[20:21]
	s_mov_b32 s5, 0x33800000
	v_pk_add_f32 v[24:25], v[22:23], v[22:23] op_sel:[0,1] op_sel_hi:[1,0]
	s_nop 0
	v_pk_add_f32 v[18:19], v[18:19], v[24:25] op_sel:[1,0] op_sel_hi:[0,1]
	v_mov_b32_e32 v23, v18
	v_pk_add_f32 v[26:27], v[22:23], v[44:45] neg_lo:[0,1] neg_hi:[0,1]
	v_mov_b32_e32 v21, v24
	v_sub_f32_e32 v19, v22, v26
	v_pk_add_f32 v[20:21], v[20:21], v[26:27] neg_lo:[0,1] neg_hi:[0,1]
	v_sub_f32_e32 v19, v44, v19
	v_add_f32_e32 v19, v20, v19
	v_add_f32_e32 v19, v19, v21
	;; [unrolled: 1-line block ×3, first 2 shown]
	v_cndmask_b32_e32 v18, v28, v18, vcc
	v_cmp_lt_f32_e64 vcc, |v17|, s5
	s_nop 1
	v_cndmask_b32_e32 v17, v18, v17, vcc
	v_add_f32_e32 v17, v16, v17
.LBB438_185:
	s_or_b64 exec, exec, s[2:3]
	v_bfe_u32 v16, v17, 16, 1
	s_movk_i32 s5, 0x7fff
	v_add3_u32 v16, v17, v16, s5
	v_cmp_o_f32_e32 vcc, v17, v17
	v_mov_b32_e32 v17, 0x7fc0
	s_nop 0
	v_cndmask_b32_sdwa v16, v17, v16, vcc dst_sel:DWORD dst_unused:UNUSED_PAD src0_sel:DWORD src1_sel:WORD_1
	v_lshlrev_b32_e32 v19, 16, v16
	v_max_f32_e32 v18, v19, v19
	v_min_f32_e32 v20, v18, v31
	v_cmp_u_f32_e32 vcc, v19, v19
	v_max_f32_e32 v18, v18, v31
	s_nop 0
	v_cndmask_b32_e32 v20, v20, v19, vcc
	v_cndmask_b32_e32 v18, v18, v19, vcc
	v_cndmask_b32_e64 v20, v20, v29, s[14:15]
	v_cndmask_b32_e64 v18, v18, v29, s[14:15]
	v_cmp_neq_f32_e32 vcc, v20, v18
	v_cmp_class_f32_e64 s[2:3], v20, s4
	s_or_b64 s[6:7], vcc, s[2:3]
	s_and_saveexec_b64 s[2:3], s[6:7]
	s_cbranch_execz .LBB438_187
; %bb.186:
	v_sub_f32_e32 v19, v20, v18
	s_mov_b32 s4, 0x3fb8aa3b
	v_mul_f32_e32 v20, 0x3fb8aa3b, v19
	v_fma_f32 v21, v19, s4, -v20
	v_rndne_f32_e32 v22, v20
	v_fmamk_f32 v21, v19, 0x32a5705f, v21
	v_sub_f32_e32 v20, v20, v22
	v_add_f32_e32 v20, v20, v21
	v_exp_f32_e32 v20, v20
	v_cvt_i32_f32_e32 v21, v22
	s_mov_b32 s4, 0xc2ce8ed0
	v_cmp_ngt_f32_e32 vcc, s4, v19
	s_mov_b32 s4, 0x42b17218
	v_ldexp_f32 v20, v20, v21
	v_cndmask_b32_e32 v20, 0, v20, vcc
	v_mov_b32_e32 v46, 0x7f800000
	v_cmp_nlt_f32_e32 vcc, s4, v19
	s_mov_b32 s4, 0x3f2aaaab
	s_mov_b32 s6, 0x7f800000
	v_cndmask_b32_e32 v19, v46, v20, vcc
	v_add_f32_e32 v22, 1.0, v19
	v_add_f32_e32 v20, -1.0, v22
	v_sub_f32_e32 v21, v20, v22
	v_add_f32_e32 v21, 1.0, v21
	v_sub_f32_e32 v20, v19, v20
	v_add_f32_e32 v23, v20, v21
	v_frexp_mant_f32_e32 v24, v22
	v_cvt_f64_f32_e32 v[20:21], v22
	v_frexp_exp_i32_f64_e32 v20, v[20:21]
	v_cmp_gt_f32_e32 vcc, s4, v24
	s_mov_b32 s4, 0x3f317218
	s_nop 0
	v_subbrev_co_u32_e32 v28, vcc, 0, v20, vcc
	v_sub_u32_e32 v20, 0, v28
	v_ldexp_f32 v21, v22, v20
	v_add_f32_e32 v22, -1.0, v21
	v_add_f32_e32 v24, 1.0, v21
	v_ldexp_f32 v20, v23, v20
	v_add_f32_e32 v23, 1.0, v22
	v_add_f32_e32 v25, -1.0, v24
	v_sub_f32_e32 v23, v21, v23
	v_sub_f32_e32 v21, v21, v25
	v_add_f32_e32 v23, v20, v23
	v_add_f32_e32 v20, v20, v21
	;; [unrolled: 1-line block ×3, first 2 shown]
	v_rcp_f32_e32 v31, v29
	v_sub_f32_e32 v21, v24, v29
	v_add_f32_e32 v30, v20, v21
	v_add_f32_e32 v21, v22, v23
	v_mul_f32_e32 v45, v21, v31
	v_sub_f32_e32 v20, v22, v21
	v_mul_f32_e32 v22, v29, v45
	v_fma_f32 v24, v45, v29, -v22
	v_fmac_f32_e32 v24, v45, v30
	v_add_f32_e32 v44, v23, v20
	v_add_f32_e32 v20, v22, v24
	v_sub_f32_e32 v23, v21, v20
	v_pk_add_f32 v[26:27], v[20:21], v[22:23] neg_lo:[0,1] neg_hi:[0,1]
	v_mov_b32_e32 v25, v20
	v_pk_add_f32 v[20:21], v[26:27], v[24:25] neg_lo:[0,1] neg_hi:[0,1]
	v_cmp_neq_f32_e32 vcc, s6, v19
	v_add_f32_e32 v21, v44, v21
	v_add_f32_e32 v20, v20, v21
	;; [unrolled: 1-line block ×3, first 2 shown]
	v_mul_f32_e32 v44, v31, v21
	v_mul_f32_e32 v22, v29, v44
	v_fma_f32 v24, v44, v29, -v22
	v_fmac_f32_e32 v24, v44, v30
	v_sub_f32_e32 v23, v23, v21
	v_add_f32_e32 v29, v20, v23
	v_add_f32_e32 v20, v22, v24
	v_sub_f32_e32 v23, v21, v20
	v_pk_add_f32 v[26:27], v[20:21], v[22:23] neg_lo:[0,1] neg_hi:[0,1]
	v_mov_b32_e32 v25, v20
	v_pk_add_f32 v[20:21], v[26:27], v[24:25] neg_lo:[0,1] neg_hi:[0,1]
	v_cvt_f32_i32_e32 v22, v28
	v_add_f32_e32 v21, v29, v21
	v_add_f32_e32 v20, v20, v21
	;; [unrolled: 1-line block ×4, first 2 shown]
	v_sub_f32_e32 v21, v23, v45
	v_mul_f32_e32 v20, v31, v20
	v_sub_f32_e32 v21, v44, v21
	v_add_f32_e32 v20, v21, v20
	v_add_f32_e32 v24, v23, v20
	v_mul_f32_e32 v26, v24, v24
	v_mov_b32_e32 v21, 0x3ecc95a3
	v_sub_f32_e32 v23, v24, v23
	v_fmac_f32_e32 v21, 0x3e9b6dac, v26
	v_sub_f32_e32 v20, v20, v23
	v_fmaak_f32 v21, v26, v21, 0x3f2aaada
	v_ldexp_f32 v27, v20, 1
	v_mul_f32_e32 v23, v24, v26
	v_mov_b32_e32 v20, 0x3f317218
	v_pk_mul_f32 v[20:21], v[22:23], v[20:21]
	v_ldexp_f32 v25, v24, 1
	v_fma_f32 v23, v22, s4, -v20
	v_fmamk_f32 v24, v22, 0xb102e308, v23
	v_pk_add_f32 v[22:23], v[20:21], v[24:25]
	v_mov_b32_e32 v26, v20
	v_sub_f32_e32 v25, v23, v25
	v_sub_f32_e32 v25, v21, v25
	v_add_f32_e32 v27, v27, v25
	v_pk_add_f32 v[20:21], v[22:23], v[20:21] neg_lo:[0,1] neg_hi:[0,1]
	v_pk_add_f32 v[28:29], v[22:23], v[26:27]
	v_mov_b32_e32 v25, v22
	v_mov_b32_e32 v21, v29
	v_pk_add_f32 v[30:31], v[24:25], v[20:21] neg_lo:[0,1] neg_hi:[0,1]
	v_pk_add_f32 v[20:21], v[24:25], v[20:21]
	v_mov_b32_e32 v26, v27
	v_pk_add_f32 v[24:25], v[20:21], v[22:23] op_sel:[1,0] op_sel_hi:[0,1] neg_lo:[0,1] neg_hi:[0,1]
	v_pk_add_f32 v[44:45], v[28:29], v[24:25] op_sel_hi:[1,0] neg_lo:[0,1] neg_hi:[0,1]
	v_mov_b32_e32 v28, v29
	v_mov_b32_e32 v29, v21
	v_pk_mov_b32 v[24:25], v[22:23], v[24:25] op_sel:[1,0]
	v_mov_b32_e32 v27, v22
	v_pk_add_f32 v[24:25], v[28:29], v[24:25] neg_lo:[0,1] neg_hi:[0,1]
	v_mov_b32_e32 v44, v30
	v_pk_add_f32 v[22:23], v[26:27], v[24:25] neg_lo:[0,1] neg_hi:[0,1]
	v_mov_b32_e32 v31, v21
	v_pk_add_f32 v[24:25], v[44:45], v[22:23]
	s_mov_b32 s4, 0x33800000
	v_pk_add_f32 v[26:27], v[24:25], v[24:25] op_sel:[0,1] op_sel_hi:[1,0]
	s_nop 0
	v_pk_add_f32 v[20:21], v[20:21], v[26:27] op_sel:[1,0] op_sel_hi:[0,1]
	v_mov_b32_e32 v25, v20
	v_pk_add_f32 v[28:29], v[24:25], v[30:31] neg_lo:[0,1] neg_hi:[0,1]
	v_mov_b32_e32 v23, v26
	v_sub_f32_e32 v21, v24, v28
	v_pk_add_f32 v[22:23], v[22:23], v[28:29] neg_lo:[0,1] neg_hi:[0,1]
	v_sub_f32_e32 v21, v30, v21
	v_add_f32_e32 v21, v22, v21
	v_add_f32_e32 v21, v21, v23
	;; [unrolled: 1-line block ×3, first 2 shown]
	v_cndmask_b32_e32 v20, v46, v20, vcc
	v_cmp_lt_f32_e64 vcc, |v19|, s4
	s_nop 1
	v_cndmask_b32_e32 v19, v20, v19, vcc
	v_add_f32_e32 v19, v18, v19
.LBB438_187:
	s_or_b64 exec, exec, s[2:3]
	v_bfe_u32 v18, v19, 16, 1
	v_add3_u32 v18, v19, v18, s5
	v_cmp_o_f32_e32 vcc, v19, v19
	s_movk_i32 s4, 0x1f8
	s_nop 0
	v_cndmask_b32_sdwa v17, v17, v18, vcc dst_sel:DWORD dst_unused:UNUSED_PAD src0_sel:DWORD src1_sel:WORD_1
	v_lshlrev_b32_e32 v19, 16, v17
	v_max_f32_e32 v18, v19, v19
	v_min_f32_e32 v20, v18, v34
	v_cmp_u_f32_e32 vcc, v19, v19
	v_max_f32_e32 v18, v18, v34
	s_nop 0
	v_cndmask_b32_e32 v20, v20, v19, vcc
	v_cndmask_b32_e32 v18, v18, v19, vcc
	v_cndmask_b32_e64 v20, v20, v32, s[16:17]
	v_cndmask_b32_e64 v18, v18, v32, s[16:17]
	v_cmp_neq_f32_e32 vcc, v20, v18
	v_cmp_class_f32_e64 s[2:3], v20, s4
	s_or_b64 s[6:7], vcc, s[2:3]
	s_and_saveexec_b64 s[2:3], s[6:7]
	s_cbranch_execz .LBB438_189
; %bb.188:
	v_sub_f32_e32 v19, v20, v18
	s_mov_b32 s5, 0x3fb8aa3b
	v_mul_f32_e32 v20, 0x3fb8aa3b, v19
	v_fma_f32 v21, v19, s5, -v20
	v_rndne_f32_e32 v22, v20
	v_fmamk_f32 v21, v19, 0x32a5705f, v21
	v_sub_f32_e32 v20, v20, v22
	v_add_f32_e32 v20, v20, v21
	v_exp_f32_e32 v20, v20
	v_cvt_i32_f32_e32 v21, v22
	s_mov_b32 s5, 0xc2ce8ed0
	v_cmp_ngt_f32_e32 vcc, s5, v19
	s_mov_b32 s5, 0x42b17218
	v_ldexp_f32 v20, v20, v21
	v_cndmask_b32_e32 v20, 0, v20, vcc
	v_mov_b32_e32 v32, 0x7f800000
	v_cmp_nlt_f32_e32 vcc, s5, v19
	s_mov_b32 s5, 0x3f2aaaab
	s_mov_b32 s6, 0x7f800000
	v_cndmask_b32_e32 v19, v32, v20, vcc
	v_add_f32_e32 v22, 1.0, v19
	v_add_f32_e32 v20, -1.0, v22
	v_sub_f32_e32 v21, v20, v22
	v_add_f32_e32 v21, 1.0, v21
	v_sub_f32_e32 v20, v19, v20
	v_add_f32_e32 v23, v20, v21
	v_frexp_mant_f32_e32 v24, v22
	v_cvt_f64_f32_e32 v[20:21], v22
	v_frexp_exp_i32_f64_e32 v20, v[20:21]
	v_cmp_gt_f32_e32 vcc, s5, v24
	s_mov_b32 s5, 0x3f317218
	s_nop 0
	v_subbrev_co_u32_e32 v28, vcc, 0, v20, vcc
	v_sub_u32_e32 v20, 0, v28
	v_ldexp_f32 v21, v22, v20
	v_add_f32_e32 v22, -1.0, v21
	v_add_f32_e32 v24, 1.0, v21
	v_ldexp_f32 v20, v23, v20
	v_add_f32_e32 v23, 1.0, v22
	v_add_f32_e32 v25, -1.0, v24
	v_sub_f32_e32 v23, v21, v23
	v_sub_f32_e32 v21, v21, v25
	v_add_f32_e32 v23, v20, v23
	v_add_f32_e32 v20, v20, v21
	;; [unrolled: 1-line block ×3, first 2 shown]
	v_rcp_f32_e32 v31, v29
	v_sub_f32_e32 v21, v24, v29
	v_add_f32_e32 v30, v20, v21
	v_add_f32_e32 v21, v22, v23
	v_mul_f32_e32 v44, v21, v31
	v_sub_f32_e32 v20, v22, v21
	v_mul_f32_e32 v22, v29, v44
	v_fma_f32 v24, v44, v29, -v22
	v_fmac_f32_e32 v24, v44, v30
	v_add_f32_e32 v34, v23, v20
	v_add_f32_e32 v20, v22, v24
	v_sub_f32_e32 v23, v21, v20
	v_pk_add_f32 v[26:27], v[20:21], v[22:23] neg_lo:[0,1] neg_hi:[0,1]
	v_mov_b32_e32 v25, v20
	v_pk_add_f32 v[20:21], v[26:27], v[24:25] neg_lo:[0,1] neg_hi:[0,1]
	v_cmp_neq_f32_e32 vcc, s6, v19
	v_add_f32_e32 v21, v34, v21
	v_add_f32_e32 v20, v20, v21
	;; [unrolled: 1-line block ×3, first 2 shown]
	v_mul_f32_e32 v34, v31, v21
	v_mul_f32_e32 v22, v29, v34
	v_fma_f32 v24, v34, v29, -v22
	v_fmac_f32_e32 v24, v34, v30
	v_sub_f32_e32 v23, v23, v21
	v_add_f32_e32 v29, v20, v23
	v_add_f32_e32 v20, v22, v24
	v_sub_f32_e32 v23, v21, v20
	v_pk_add_f32 v[26:27], v[20:21], v[22:23] neg_lo:[0,1] neg_hi:[0,1]
	v_mov_b32_e32 v25, v20
	v_pk_add_f32 v[20:21], v[26:27], v[24:25] neg_lo:[0,1] neg_hi:[0,1]
	v_cvt_f32_i32_e32 v22, v28
	v_add_f32_e32 v21, v29, v21
	v_add_f32_e32 v20, v20, v21
	;; [unrolled: 1-line block ×4, first 2 shown]
	v_sub_f32_e32 v21, v23, v44
	v_mul_f32_e32 v20, v31, v20
	v_sub_f32_e32 v21, v34, v21
	v_add_f32_e32 v20, v21, v20
	v_add_f32_e32 v24, v23, v20
	v_mul_f32_e32 v26, v24, v24
	v_mov_b32_e32 v21, 0x3ecc95a3
	v_sub_f32_e32 v23, v24, v23
	v_fmac_f32_e32 v21, 0x3e9b6dac, v26
	v_sub_f32_e32 v20, v20, v23
	v_fmaak_f32 v21, v26, v21, 0x3f2aaada
	v_ldexp_f32 v27, v20, 1
	v_mul_f32_e32 v23, v24, v26
	v_mov_b32_e32 v20, 0x3f317218
	v_pk_mul_f32 v[20:21], v[22:23], v[20:21]
	v_ldexp_f32 v25, v24, 1
	v_fma_f32 v23, v22, s5, -v20
	v_fmamk_f32 v24, v22, 0xb102e308, v23
	v_pk_add_f32 v[22:23], v[20:21], v[24:25]
	v_mov_b32_e32 v26, v20
	v_sub_f32_e32 v25, v23, v25
	v_sub_f32_e32 v25, v21, v25
	v_add_f32_e32 v27, v27, v25
	v_pk_add_f32 v[20:21], v[22:23], v[20:21] neg_lo:[0,1] neg_hi:[0,1]
	v_pk_add_f32 v[28:29], v[22:23], v[26:27]
	v_mov_b32_e32 v25, v22
	v_mov_b32_e32 v21, v29
	v_pk_add_f32 v[30:31], v[24:25], v[20:21] neg_lo:[0,1] neg_hi:[0,1]
	v_pk_add_f32 v[20:21], v[24:25], v[20:21]
	v_mov_b32_e32 v26, v27
	v_pk_add_f32 v[24:25], v[20:21], v[22:23] op_sel:[1,0] op_sel_hi:[0,1] neg_lo:[0,1] neg_hi:[0,1]
	v_pk_add_f32 v[44:45], v[28:29], v[24:25] op_sel_hi:[1,0] neg_lo:[0,1] neg_hi:[0,1]
	v_mov_b32_e32 v28, v29
	v_mov_b32_e32 v29, v21
	v_pk_mov_b32 v[24:25], v[22:23], v[24:25] op_sel:[1,0]
	v_mov_b32_e32 v27, v22
	v_pk_add_f32 v[24:25], v[28:29], v[24:25] neg_lo:[0,1] neg_hi:[0,1]
	v_mov_b32_e32 v44, v30
	v_pk_add_f32 v[22:23], v[26:27], v[24:25] neg_lo:[0,1] neg_hi:[0,1]
	v_mov_b32_e32 v31, v21
	v_pk_add_f32 v[24:25], v[44:45], v[22:23]
	s_mov_b32 s5, 0x33800000
	v_pk_add_f32 v[26:27], v[24:25], v[24:25] op_sel:[0,1] op_sel_hi:[1,0]
	s_nop 0
	v_pk_add_f32 v[20:21], v[20:21], v[26:27] op_sel:[1,0] op_sel_hi:[0,1]
	v_mov_b32_e32 v25, v20
	v_pk_add_f32 v[28:29], v[24:25], v[30:31] neg_lo:[0,1] neg_hi:[0,1]
	v_mov_b32_e32 v23, v26
	v_sub_f32_e32 v21, v24, v28
	v_pk_add_f32 v[22:23], v[22:23], v[28:29] neg_lo:[0,1] neg_hi:[0,1]
	v_sub_f32_e32 v21, v30, v21
	v_add_f32_e32 v21, v22, v21
	v_add_f32_e32 v21, v21, v23
	;; [unrolled: 1-line block ×3, first 2 shown]
	v_cndmask_b32_e32 v20, v32, v20, vcc
	v_cmp_lt_f32_e64 vcc, |v19|, s5
	s_nop 1
	v_cndmask_b32_e32 v19, v20, v19, vcc
	v_add_f32_e32 v19, v18, v19
.LBB438_189:
	s_or_b64 exec, exec, s[2:3]
	v_bfe_u32 v18, v19, 16, 1
	s_movk_i32 s5, 0x7fff
	v_add3_u32 v18, v19, v18, s5
	v_cmp_o_f32_e32 vcc, v19, v19
	v_mov_b32_e32 v19, 0x7fc0
	s_nop 0
	v_cndmask_b32_sdwa v18, v19, v18, vcc dst_sel:DWORD dst_unused:UNUSED_PAD src0_sel:DWORD src1_sel:WORD_1
	v_lshlrev_b32_e32 v21, 16, v18
	v_max_f32_e32 v20, v21, v21
	v_min_f32_e32 v22, v20, v35
	v_cmp_u_f32_e32 vcc, v21, v21
	v_max_f32_e32 v20, v20, v35
	s_nop 0
	v_cndmask_b32_e32 v22, v22, v21, vcc
	v_cndmask_b32_e32 v20, v20, v21, vcc
	v_cndmask_b32_e64 v22, v22, v33, s[18:19]
	v_cndmask_b32_e64 v20, v20, v33, s[18:19]
	v_cmp_neq_f32_e32 vcc, v22, v20
	v_cmp_class_f32_e64 s[2:3], v22, s4
	s_or_b64 s[6:7], vcc, s[2:3]
	s_and_saveexec_b64 s[2:3], s[6:7]
	s_cbranch_execz .LBB438_191
; %bb.190:
	v_sub_f32_e32 v21, v22, v20
	s_mov_b32 s4, 0x3fb8aa3b
	v_mul_f32_e32 v22, 0x3fb8aa3b, v21
	v_fma_f32 v23, v21, s4, -v22
	v_rndne_f32_e32 v24, v22
	v_fmamk_f32 v23, v21, 0x32a5705f, v23
	v_sub_f32_e32 v22, v22, v24
	v_add_f32_e32 v22, v22, v23
	v_exp_f32_e32 v22, v22
	v_cvt_i32_f32_e32 v23, v24
	s_mov_b32 s4, 0xc2ce8ed0
	v_cmp_ngt_f32_e32 vcc, s4, v21
	s_mov_b32 s4, 0x42b17218
	v_ldexp_f32 v22, v22, v23
	v_cndmask_b32_e32 v22, 0, v22, vcc
	v_mov_b32_e32 v44, 0x7f800000
	v_cmp_nlt_f32_e32 vcc, s4, v21
	s_mov_b32 s4, 0x3f2aaaab
	s_mov_b32 s6, 0x7f800000
	v_cndmask_b32_e32 v21, v44, v22, vcc
	v_add_f32_e32 v24, 1.0, v21
	v_add_f32_e32 v22, -1.0, v24
	v_sub_f32_e32 v23, v22, v24
	v_add_f32_e32 v23, 1.0, v23
	v_sub_f32_e32 v22, v21, v22
	v_add_f32_e32 v25, v22, v23
	v_frexp_mant_f32_e32 v26, v24
	v_cvt_f64_f32_e32 v[22:23], v24
	v_frexp_exp_i32_f64_e32 v22, v[22:23]
	v_cmp_gt_f32_e32 vcc, s4, v26
	s_mov_b32 s4, 0x3f317218
	s_nop 0
	v_subbrev_co_u32_e32 v30, vcc, 0, v22, vcc
	v_sub_u32_e32 v22, 0, v30
	v_ldexp_f32 v23, v24, v22
	v_add_f32_e32 v24, -1.0, v23
	v_add_f32_e32 v26, 1.0, v23
	v_ldexp_f32 v22, v25, v22
	v_add_f32_e32 v25, 1.0, v24
	v_add_f32_e32 v27, -1.0, v26
	v_sub_f32_e32 v25, v23, v25
	v_sub_f32_e32 v23, v23, v27
	v_add_f32_e32 v25, v22, v25
	v_add_f32_e32 v22, v22, v23
	v_add_f32_e32 v31, v26, v22
	v_rcp_f32_e32 v33, v31
	v_sub_f32_e32 v23, v26, v31
	v_add_f32_e32 v32, v22, v23
	v_add_f32_e32 v23, v24, v25
	v_mul_f32_e32 v35, v23, v33
	v_sub_f32_e32 v22, v24, v23
	v_mul_f32_e32 v24, v31, v35
	v_fma_f32 v26, v35, v31, -v24
	v_fmac_f32_e32 v26, v35, v32
	v_add_f32_e32 v34, v25, v22
	v_add_f32_e32 v22, v24, v26
	v_sub_f32_e32 v25, v23, v22
	v_pk_add_f32 v[28:29], v[22:23], v[24:25] neg_lo:[0,1] neg_hi:[0,1]
	v_mov_b32_e32 v27, v22
	v_pk_add_f32 v[22:23], v[28:29], v[26:27] neg_lo:[0,1] neg_hi:[0,1]
	v_cmp_neq_f32_e32 vcc, s6, v21
	v_add_f32_e32 v23, v34, v23
	v_add_f32_e32 v22, v22, v23
	;; [unrolled: 1-line block ×3, first 2 shown]
	v_mul_f32_e32 v34, v33, v23
	v_mul_f32_e32 v24, v31, v34
	v_fma_f32 v26, v34, v31, -v24
	v_fmac_f32_e32 v26, v34, v32
	v_sub_f32_e32 v25, v25, v23
	v_add_f32_e32 v31, v22, v25
	v_add_f32_e32 v22, v24, v26
	v_sub_f32_e32 v25, v23, v22
	v_pk_add_f32 v[28:29], v[22:23], v[24:25] neg_lo:[0,1] neg_hi:[0,1]
	v_mov_b32_e32 v27, v22
	v_pk_add_f32 v[22:23], v[28:29], v[26:27] neg_lo:[0,1] neg_hi:[0,1]
	v_cvt_f32_i32_e32 v24, v30
	v_add_f32_e32 v23, v31, v23
	v_add_f32_e32 v22, v22, v23
	;; [unrolled: 1-line block ×4, first 2 shown]
	v_sub_f32_e32 v23, v25, v35
	v_mul_f32_e32 v22, v33, v22
	v_sub_f32_e32 v23, v34, v23
	v_add_f32_e32 v22, v23, v22
	v_add_f32_e32 v26, v25, v22
	v_mul_f32_e32 v28, v26, v26
	v_mov_b32_e32 v23, 0x3ecc95a3
	v_sub_f32_e32 v25, v26, v25
	v_fmac_f32_e32 v23, 0x3e9b6dac, v28
	v_sub_f32_e32 v22, v22, v25
	v_fmaak_f32 v23, v28, v23, 0x3f2aaada
	v_ldexp_f32 v29, v22, 1
	v_mul_f32_e32 v25, v26, v28
	v_mov_b32_e32 v22, 0x3f317218
	v_pk_mul_f32 v[22:23], v[24:25], v[22:23]
	v_ldexp_f32 v27, v26, 1
	v_fma_f32 v25, v24, s4, -v22
	v_fmamk_f32 v26, v24, 0xb102e308, v25
	v_pk_add_f32 v[24:25], v[22:23], v[26:27]
	v_mov_b32_e32 v28, v22
	v_sub_f32_e32 v27, v25, v27
	v_sub_f32_e32 v27, v23, v27
	v_add_f32_e32 v29, v29, v27
	v_pk_add_f32 v[22:23], v[24:25], v[22:23] neg_lo:[0,1] neg_hi:[0,1]
	v_pk_add_f32 v[30:31], v[24:25], v[28:29]
	v_mov_b32_e32 v27, v24
	v_mov_b32_e32 v23, v31
	v_pk_add_f32 v[32:33], v[26:27], v[22:23] neg_lo:[0,1] neg_hi:[0,1]
	v_pk_add_f32 v[22:23], v[26:27], v[22:23]
	v_mov_b32_e32 v28, v29
	v_pk_add_f32 v[26:27], v[22:23], v[24:25] op_sel:[1,0] op_sel_hi:[0,1] neg_lo:[0,1] neg_hi:[0,1]
	v_pk_add_f32 v[34:35], v[30:31], v[26:27] op_sel_hi:[1,0] neg_lo:[0,1] neg_hi:[0,1]
	v_mov_b32_e32 v30, v31
	v_mov_b32_e32 v31, v23
	v_pk_mov_b32 v[26:27], v[24:25], v[26:27] op_sel:[1,0]
	v_mov_b32_e32 v29, v24
	v_pk_add_f32 v[26:27], v[30:31], v[26:27] neg_lo:[0,1] neg_hi:[0,1]
	v_mov_b32_e32 v34, v32
	v_pk_add_f32 v[24:25], v[28:29], v[26:27] neg_lo:[0,1] neg_hi:[0,1]
	v_mov_b32_e32 v33, v23
	v_pk_add_f32 v[26:27], v[34:35], v[24:25]
	s_mov_b32 s4, 0x33800000
	v_pk_add_f32 v[28:29], v[26:27], v[26:27] op_sel:[0,1] op_sel_hi:[1,0]
	s_nop 0
	v_pk_add_f32 v[22:23], v[22:23], v[28:29] op_sel:[1,0] op_sel_hi:[0,1]
	v_mov_b32_e32 v27, v22
	v_pk_add_f32 v[30:31], v[26:27], v[32:33] neg_lo:[0,1] neg_hi:[0,1]
	v_mov_b32_e32 v25, v28
	v_sub_f32_e32 v23, v26, v30
	v_pk_add_f32 v[24:25], v[24:25], v[30:31] neg_lo:[0,1] neg_hi:[0,1]
	v_sub_f32_e32 v23, v32, v23
	v_add_f32_e32 v23, v24, v23
	v_add_f32_e32 v23, v23, v25
	v_add_f32_e32 v22, v22, v23
	v_cndmask_b32_e32 v22, v44, v22, vcc
	v_cmp_lt_f32_e64 vcc, |v21|, s4
	s_nop 1
	v_cndmask_b32_e32 v21, v22, v21, vcc
	v_add_f32_e32 v21, v20, v21
.LBB438_191:
	s_or_b64 exec, exec, s[2:3]
	v_bfe_u32 v20, v21, 16, 1
	v_add3_u32 v20, v21, v20, s5
	v_cmp_o_f32_e32 vcc, v21, v21
	s_movk_i32 s4, 0x1f8
	s_nop 0
	v_cndmask_b32_sdwa v19, v19, v20, vcc dst_sel:DWORD dst_unused:UNUSED_PAD src0_sel:DWORD src1_sel:WORD_1
	v_lshlrev_b32_e32 v21, 16, v19
	v_max_f32_e32 v20, v21, v21
	v_min_f32_e32 v22, v20, v38
	v_cmp_u_f32_e32 vcc, v21, v21
	v_max_f32_e32 v20, v20, v38
	s_nop 0
	v_cndmask_b32_e32 v22, v22, v21, vcc
	v_cndmask_b32_e32 v20, v20, v21, vcc
	v_cndmask_b32_e64 v22, v22, v36, s[20:21]
	v_cndmask_b32_e64 v20, v20, v36, s[20:21]
	v_cmp_neq_f32_e32 vcc, v22, v20
	v_cmp_class_f32_e64 s[2:3], v22, s4
	s_or_b64 s[6:7], vcc, s[2:3]
	s_and_saveexec_b64 s[2:3], s[6:7]
	s_cbranch_execz .LBB438_193
; %bb.192:
	v_sub_f32_e32 v21, v22, v20
	s_mov_b32 s5, 0x3fb8aa3b
	v_mul_f32_e32 v22, 0x3fb8aa3b, v21
	v_fma_f32 v23, v21, s5, -v22
	v_rndne_f32_e32 v24, v22
	v_fmamk_f32 v23, v21, 0x32a5705f, v23
	v_sub_f32_e32 v22, v22, v24
	v_add_f32_e32 v22, v22, v23
	v_exp_f32_e32 v22, v22
	v_cvt_i32_f32_e32 v23, v24
	s_mov_b32 s5, 0xc2ce8ed0
	v_cmp_ngt_f32_e32 vcc, s5, v21
	s_mov_b32 s5, 0x42b17218
	v_ldexp_f32 v22, v22, v23
	v_cndmask_b32_e32 v22, 0, v22, vcc
	v_mov_b32_e32 v36, 0x7f800000
	v_cmp_nlt_f32_e32 vcc, s5, v21
	s_mov_b32 s5, 0x3f2aaaab
	s_mov_b32 s6, 0x7f800000
	v_cndmask_b32_e32 v21, v36, v22, vcc
	v_add_f32_e32 v24, 1.0, v21
	v_add_f32_e32 v22, -1.0, v24
	v_sub_f32_e32 v23, v22, v24
	v_add_f32_e32 v23, 1.0, v23
	v_sub_f32_e32 v22, v21, v22
	v_add_f32_e32 v25, v22, v23
	v_frexp_mant_f32_e32 v26, v24
	v_cvt_f64_f32_e32 v[22:23], v24
	v_frexp_exp_i32_f64_e32 v22, v[22:23]
	v_cmp_gt_f32_e32 vcc, s5, v26
	s_mov_b32 s5, 0x3f317218
	s_nop 0
	v_subbrev_co_u32_e32 v30, vcc, 0, v22, vcc
	v_sub_u32_e32 v22, 0, v30
	v_ldexp_f32 v23, v24, v22
	v_add_f32_e32 v24, -1.0, v23
	v_add_f32_e32 v26, 1.0, v23
	v_ldexp_f32 v22, v25, v22
	v_add_f32_e32 v25, 1.0, v24
	v_add_f32_e32 v27, -1.0, v26
	v_sub_f32_e32 v25, v23, v25
	v_sub_f32_e32 v23, v23, v27
	v_add_f32_e32 v25, v22, v25
	v_add_f32_e32 v22, v22, v23
	v_add_f32_e32 v31, v26, v22
	v_rcp_f32_e32 v33, v31
	v_sub_f32_e32 v23, v26, v31
	v_add_f32_e32 v32, v22, v23
	v_add_f32_e32 v23, v24, v25
	v_mul_f32_e32 v35, v23, v33
	v_sub_f32_e32 v22, v24, v23
	v_mul_f32_e32 v24, v31, v35
	v_fma_f32 v26, v35, v31, -v24
	v_fmac_f32_e32 v26, v35, v32
	v_add_f32_e32 v34, v25, v22
	v_add_f32_e32 v22, v24, v26
	v_sub_f32_e32 v25, v23, v22
	v_pk_add_f32 v[28:29], v[22:23], v[24:25] neg_lo:[0,1] neg_hi:[0,1]
	v_mov_b32_e32 v27, v22
	v_pk_add_f32 v[22:23], v[28:29], v[26:27] neg_lo:[0,1] neg_hi:[0,1]
	v_cmp_neq_f32_e32 vcc, s6, v21
	v_add_f32_e32 v23, v34, v23
	v_add_f32_e32 v22, v22, v23
	;; [unrolled: 1-line block ×3, first 2 shown]
	v_mul_f32_e32 v34, v33, v23
	v_mul_f32_e32 v24, v31, v34
	v_fma_f32 v26, v34, v31, -v24
	v_fmac_f32_e32 v26, v34, v32
	v_sub_f32_e32 v25, v25, v23
	v_add_f32_e32 v31, v22, v25
	v_add_f32_e32 v22, v24, v26
	v_sub_f32_e32 v25, v23, v22
	v_pk_add_f32 v[28:29], v[22:23], v[24:25] neg_lo:[0,1] neg_hi:[0,1]
	v_mov_b32_e32 v27, v22
	v_pk_add_f32 v[22:23], v[28:29], v[26:27] neg_lo:[0,1] neg_hi:[0,1]
	v_cvt_f32_i32_e32 v24, v30
	v_add_f32_e32 v23, v31, v23
	v_add_f32_e32 v22, v22, v23
	;; [unrolled: 1-line block ×4, first 2 shown]
	v_sub_f32_e32 v23, v25, v35
	v_mul_f32_e32 v22, v33, v22
	v_sub_f32_e32 v23, v34, v23
	v_add_f32_e32 v22, v23, v22
	v_add_f32_e32 v26, v25, v22
	v_mul_f32_e32 v28, v26, v26
	v_mov_b32_e32 v23, 0x3ecc95a3
	v_sub_f32_e32 v25, v26, v25
	v_fmac_f32_e32 v23, 0x3e9b6dac, v28
	v_sub_f32_e32 v22, v22, v25
	v_fmaak_f32 v23, v28, v23, 0x3f2aaada
	v_ldexp_f32 v29, v22, 1
	v_mul_f32_e32 v25, v26, v28
	v_mov_b32_e32 v22, 0x3f317218
	v_pk_mul_f32 v[22:23], v[24:25], v[22:23]
	v_ldexp_f32 v27, v26, 1
	v_fma_f32 v25, v24, s5, -v22
	v_fmamk_f32 v26, v24, 0xb102e308, v25
	v_pk_add_f32 v[24:25], v[22:23], v[26:27]
	v_mov_b32_e32 v28, v22
	v_sub_f32_e32 v27, v25, v27
	v_sub_f32_e32 v27, v23, v27
	v_add_f32_e32 v29, v29, v27
	v_pk_add_f32 v[22:23], v[24:25], v[22:23] neg_lo:[0,1] neg_hi:[0,1]
	v_pk_add_f32 v[30:31], v[24:25], v[28:29]
	v_mov_b32_e32 v27, v24
	v_mov_b32_e32 v23, v31
	v_pk_add_f32 v[32:33], v[26:27], v[22:23] neg_lo:[0,1] neg_hi:[0,1]
	v_pk_add_f32 v[22:23], v[26:27], v[22:23]
	v_mov_b32_e32 v28, v29
	v_pk_add_f32 v[26:27], v[22:23], v[24:25] op_sel:[1,0] op_sel_hi:[0,1] neg_lo:[0,1] neg_hi:[0,1]
	v_pk_add_f32 v[34:35], v[30:31], v[26:27] op_sel_hi:[1,0] neg_lo:[0,1] neg_hi:[0,1]
	v_mov_b32_e32 v30, v31
	v_mov_b32_e32 v31, v23
	v_pk_mov_b32 v[26:27], v[24:25], v[26:27] op_sel:[1,0]
	v_mov_b32_e32 v29, v24
	v_pk_add_f32 v[26:27], v[30:31], v[26:27] neg_lo:[0,1] neg_hi:[0,1]
	v_mov_b32_e32 v34, v32
	v_pk_add_f32 v[24:25], v[28:29], v[26:27] neg_lo:[0,1] neg_hi:[0,1]
	v_mov_b32_e32 v33, v23
	v_pk_add_f32 v[26:27], v[34:35], v[24:25]
	s_mov_b32 s5, 0x33800000
	v_pk_add_f32 v[28:29], v[26:27], v[26:27] op_sel:[0,1] op_sel_hi:[1,0]
	s_nop 0
	v_pk_add_f32 v[22:23], v[22:23], v[28:29] op_sel:[1,0] op_sel_hi:[0,1]
	v_mov_b32_e32 v27, v22
	v_pk_add_f32 v[30:31], v[26:27], v[32:33] neg_lo:[0,1] neg_hi:[0,1]
	v_mov_b32_e32 v25, v28
	v_sub_f32_e32 v23, v26, v30
	v_pk_add_f32 v[24:25], v[24:25], v[30:31] neg_lo:[0,1] neg_hi:[0,1]
	v_sub_f32_e32 v23, v32, v23
	v_add_f32_e32 v23, v24, v23
	v_add_f32_e32 v23, v23, v25
	;; [unrolled: 1-line block ×3, first 2 shown]
	v_cndmask_b32_e32 v22, v36, v22, vcc
	v_cmp_lt_f32_e64 vcc, |v21|, s5
	s_nop 1
	v_cndmask_b32_e32 v21, v22, v21, vcc
	v_add_f32_e32 v21, v20, v21
.LBB438_193:
	s_or_b64 exec, exec, s[2:3]
	v_bfe_u32 v20, v21, 16, 1
	s_movk_i32 s5, 0x7fff
	v_add3_u32 v20, v21, v20, s5
	v_cmp_o_f32_e32 vcc, v21, v21
	v_mov_b32_e32 v21, 0x7fc0
	s_nop 0
	v_cndmask_b32_sdwa v20, v21, v20, vcc dst_sel:DWORD dst_unused:UNUSED_PAD src0_sel:DWORD src1_sel:WORD_1
	v_lshlrev_b32_e32 v23, 16, v20
	v_max_f32_e32 v22, v23, v23
	v_min_f32_e32 v24, v22, v39
	v_cmp_u_f32_e32 vcc, v23, v23
	v_max_f32_e32 v22, v22, v39
	s_nop 0
	v_cndmask_b32_e32 v24, v24, v23, vcc
	v_cndmask_b32_e32 v22, v22, v23, vcc
	v_cndmask_b32_e64 v24, v24, v37, s[22:23]
	v_cndmask_b32_e64 v22, v22, v37, s[22:23]
	v_cmp_neq_f32_e32 vcc, v24, v22
	v_cmp_class_f32_e64 s[2:3], v24, s4
	s_or_b64 s[6:7], vcc, s[2:3]
	s_and_saveexec_b64 s[2:3], s[6:7]
	s_cbranch_execz .LBB438_195
; %bb.194:
	v_sub_f32_e32 v23, v24, v22
	s_mov_b32 s4, 0x3fb8aa3b
	v_mul_f32_e32 v24, 0x3fb8aa3b, v23
	v_fma_f32 v25, v23, s4, -v24
	v_rndne_f32_e32 v26, v24
	v_fmamk_f32 v25, v23, 0x32a5705f, v25
	v_sub_f32_e32 v24, v24, v26
	v_add_f32_e32 v24, v24, v25
	v_exp_f32_e32 v24, v24
	v_cvt_i32_f32_e32 v25, v26
	s_mov_b32 s4, 0xc2ce8ed0
	v_cmp_ngt_f32_e32 vcc, s4, v23
	s_mov_b32 s4, 0x42b17218
	v_ldexp_f32 v24, v24, v25
	v_cndmask_b32_e32 v24, 0, v24, vcc
	v_mov_b32_e32 v38, 0x7f800000
	v_cmp_nlt_f32_e32 vcc, s4, v23
	s_mov_b32 s4, 0x3f2aaaab
	s_mov_b32 s6, 0x7f800000
	v_cndmask_b32_e32 v23, v38, v24, vcc
	v_add_f32_e32 v26, 1.0, v23
	v_add_f32_e32 v24, -1.0, v26
	v_sub_f32_e32 v25, v24, v26
	v_add_f32_e32 v25, 1.0, v25
	v_sub_f32_e32 v24, v23, v24
	v_add_f32_e32 v27, v24, v25
	v_frexp_mant_f32_e32 v28, v26
	v_cvt_f64_f32_e32 v[24:25], v26
	v_frexp_exp_i32_f64_e32 v24, v[24:25]
	v_cmp_gt_f32_e32 vcc, s4, v28
	s_mov_b32 s4, 0x3f317218
	s_nop 0
	v_subbrev_co_u32_e32 v32, vcc, 0, v24, vcc
	v_sub_u32_e32 v24, 0, v32
	v_ldexp_f32 v25, v26, v24
	v_add_f32_e32 v26, -1.0, v25
	v_add_f32_e32 v28, 1.0, v25
	v_ldexp_f32 v24, v27, v24
	v_add_f32_e32 v27, 1.0, v26
	v_add_f32_e32 v29, -1.0, v28
	v_sub_f32_e32 v27, v25, v27
	v_sub_f32_e32 v25, v25, v29
	v_add_f32_e32 v27, v24, v27
	v_add_f32_e32 v24, v24, v25
	;; [unrolled: 1-line block ×3, first 2 shown]
	v_rcp_f32_e32 v35, v33
	v_sub_f32_e32 v25, v28, v33
	v_add_f32_e32 v34, v24, v25
	v_add_f32_e32 v25, v26, v27
	v_mul_f32_e32 v37, v25, v35
	v_sub_f32_e32 v24, v26, v25
	v_mul_f32_e32 v26, v33, v37
	v_fma_f32 v28, v37, v33, -v26
	v_fmac_f32_e32 v28, v37, v34
	v_add_f32_e32 v36, v27, v24
	v_add_f32_e32 v24, v26, v28
	v_sub_f32_e32 v27, v25, v24
	v_pk_add_f32 v[30:31], v[24:25], v[26:27] neg_lo:[0,1] neg_hi:[0,1]
	v_mov_b32_e32 v29, v24
	v_pk_add_f32 v[24:25], v[30:31], v[28:29] neg_lo:[0,1] neg_hi:[0,1]
	v_cmp_neq_f32_e32 vcc, s6, v23
	v_add_f32_e32 v25, v36, v25
	v_add_f32_e32 v24, v24, v25
	v_add_f32_e32 v25, v27, v24
	v_mul_f32_e32 v36, v35, v25
	v_mul_f32_e32 v26, v33, v36
	v_fma_f32 v28, v36, v33, -v26
	v_fmac_f32_e32 v28, v36, v34
	v_sub_f32_e32 v27, v27, v25
	v_add_f32_e32 v33, v24, v27
	v_add_f32_e32 v24, v26, v28
	v_sub_f32_e32 v27, v25, v24
	v_pk_add_f32 v[30:31], v[24:25], v[26:27] neg_lo:[0,1] neg_hi:[0,1]
	v_mov_b32_e32 v29, v24
	v_pk_add_f32 v[24:25], v[30:31], v[28:29] neg_lo:[0,1] neg_hi:[0,1]
	v_cvt_f32_i32_e32 v26, v32
	v_add_f32_e32 v25, v33, v25
	v_add_f32_e32 v24, v24, v25
	;; [unrolled: 1-line block ×4, first 2 shown]
	v_sub_f32_e32 v25, v27, v37
	v_mul_f32_e32 v24, v35, v24
	v_sub_f32_e32 v25, v36, v25
	v_add_f32_e32 v24, v25, v24
	v_add_f32_e32 v28, v27, v24
	v_mul_f32_e32 v30, v28, v28
	v_mov_b32_e32 v25, 0x3ecc95a3
	v_sub_f32_e32 v27, v28, v27
	v_fmac_f32_e32 v25, 0x3e9b6dac, v30
	v_sub_f32_e32 v24, v24, v27
	v_fmaak_f32 v25, v30, v25, 0x3f2aaada
	v_ldexp_f32 v31, v24, 1
	v_mul_f32_e32 v27, v28, v30
	v_mov_b32_e32 v24, 0x3f317218
	v_pk_mul_f32 v[24:25], v[26:27], v[24:25]
	v_ldexp_f32 v29, v28, 1
	v_fma_f32 v27, v26, s4, -v24
	v_fmamk_f32 v28, v26, 0xb102e308, v27
	v_pk_add_f32 v[26:27], v[24:25], v[28:29]
	v_mov_b32_e32 v30, v24
	v_sub_f32_e32 v29, v27, v29
	v_sub_f32_e32 v29, v25, v29
	v_add_f32_e32 v31, v31, v29
	v_pk_add_f32 v[24:25], v[26:27], v[24:25] neg_lo:[0,1] neg_hi:[0,1]
	v_pk_add_f32 v[32:33], v[26:27], v[30:31]
	v_mov_b32_e32 v29, v26
	v_mov_b32_e32 v25, v33
	v_pk_add_f32 v[34:35], v[28:29], v[24:25] neg_lo:[0,1] neg_hi:[0,1]
	v_pk_add_f32 v[24:25], v[28:29], v[24:25]
	v_mov_b32_e32 v30, v31
	v_pk_add_f32 v[28:29], v[24:25], v[26:27] op_sel:[1,0] op_sel_hi:[0,1] neg_lo:[0,1] neg_hi:[0,1]
	v_pk_add_f32 v[36:37], v[32:33], v[28:29] op_sel_hi:[1,0] neg_lo:[0,1] neg_hi:[0,1]
	v_mov_b32_e32 v32, v33
	v_mov_b32_e32 v33, v25
	v_pk_mov_b32 v[28:29], v[26:27], v[28:29] op_sel:[1,0]
	v_mov_b32_e32 v31, v26
	v_pk_add_f32 v[28:29], v[32:33], v[28:29] neg_lo:[0,1] neg_hi:[0,1]
	v_mov_b32_e32 v36, v34
	v_pk_add_f32 v[26:27], v[30:31], v[28:29] neg_lo:[0,1] neg_hi:[0,1]
	v_mov_b32_e32 v35, v25
	v_pk_add_f32 v[28:29], v[36:37], v[26:27]
	s_mov_b32 s4, 0x33800000
	v_pk_add_f32 v[30:31], v[28:29], v[28:29] op_sel:[0,1] op_sel_hi:[1,0]
	s_nop 0
	v_pk_add_f32 v[24:25], v[24:25], v[30:31] op_sel:[1,0] op_sel_hi:[0,1]
	v_mov_b32_e32 v29, v24
	v_pk_add_f32 v[32:33], v[28:29], v[34:35] neg_lo:[0,1] neg_hi:[0,1]
	v_mov_b32_e32 v27, v30
	v_sub_f32_e32 v25, v28, v32
	v_pk_add_f32 v[26:27], v[26:27], v[32:33] neg_lo:[0,1] neg_hi:[0,1]
	v_sub_f32_e32 v25, v34, v25
	v_add_f32_e32 v25, v26, v25
	v_add_f32_e32 v25, v25, v27
	;; [unrolled: 1-line block ×3, first 2 shown]
	v_cndmask_b32_e32 v24, v38, v24, vcc
	v_cmp_lt_f32_e64 vcc, |v23|, s4
	s_nop 1
	v_cndmask_b32_e32 v23, v24, v23, vcc
	v_add_f32_e32 v23, v22, v23
.LBB438_195:
	s_or_b64 exec, exec, s[2:3]
	v_bfe_u32 v22, v23, 16, 1
	v_add3_u32 v22, v23, v22, s5
	v_cmp_o_f32_e32 vcc, v23, v23
	s_movk_i32 s4, 0x1f8
	s_nop 0
	v_cndmask_b32_sdwa v21, v21, v22, vcc dst_sel:DWORD dst_unused:UNUSED_PAD src0_sel:DWORD src1_sel:WORD_1
	v_lshlrev_b32_e32 v23, 16, v21
	v_max_f32_e32 v22, v23, v23
	v_min_f32_e32 v24, v22, v42
	v_cmp_u_f32_e32 vcc, v23, v23
	v_max_f32_e32 v22, v22, v42
	s_nop 0
	v_cndmask_b32_e32 v24, v24, v23, vcc
	v_cndmask_b32_e32 v22, v22, v23, vcc
	v_cndmask_b32_e64 v24, v24, v40, s[24:25]
	v_cndmask_b32_e64 v22, v22, v40, s[24:25]
	v_cmp_neq_f32_e32 vcc, v24, v22
	v_cmp_class_f32_e64 s[2:3], v24, s4
	s_or_b64 s[6:7], vcc, s[2:3]
	s_and_saveexec_b64 s[2:3], s[6:7]
	s_cbranch_execz .LBB438_197
; %bb.196:
	v_sub_f32_e32 v23, v24, v22
	s_mov_b32 s5, 0x3fb8aa3b
	v_mul_f32_e32 v24, 0x3fb8aa3b, v23
	v_fma_f32 v25, v23, s5, -v24
	v_rndne_f32_e32 v26, v24
	v_fmamk_f32 v25, v23, 0x32a5705f, v25
	v_sub_f32_e32 v24, v24, v26
	v_add_f32_e32 v24, v24, v25
	v_exp_f32_e32 v24, v24
	v_cvt_i32_f32_e32 v25, v26
	s_mov_b32 s5, 0xc2ce8ed0
	v_cmp_ngt_f32_e32 vcc, s5, v23
	s_mov_b32 s5, 0x42b17218
	v_ldexp_f32 v24, v24, v25
	v_cndmask_b32_e32 v24, 0, v24, vcc
	v_mov_b32_e32 v38, 0x7f800000
	v_cmp_nlt_f32_e32 vcc, s5, v23
	s_mov_b32 s5, 0x3f2aaaab
	s_mov_b32 s6, 0x7f800000
	v_cndmask_b32_e32 v23, v38, v24, vcc
	v_add_f32_e32 v26, 1.0, v23
	v_add_f32_e32 v24, -1.0, v26
	v_sub_f32_e32 v25, v24, v26
	v_add_f32_e32 v25, 1.0, v25
	v_sub_f32_e32 v24, v23, v24
	v_add_f32_e32 v27, v24, v25
	v_frexp_mant_f32_e32 v28, v26
	v_cvt_f64_f32_e32 v[24:25], v26
	v_frexp_exp_i32_f64_e32 v24, v[24:25]
	v_cmp_gt_f32_e32 vcc, s5, v28
	s_mov_b32 s5, 0x3f317218
	s_nop 0
	v_subbrev_co_u32_e32 v32, vcc, 0, v24, vcc
	v_sub_u32_e32 v24, 0, v32
	v_ldexp_f32 v25, v26, v24
	v_add_f32_e32 v26, -1.0, v25
	v_add_f32_e32 v28, 1.0, v25
	v_ldexp_f32 v24, v27, v24
	v_add_f32_e32 v27, 1.0, v26
	v_add_f32_e32 v29, -1.0, v28
	v_sub_f32_e32 v27, v25, v27
	v_sub_f32_e32 v25, v25, v29
	v_add_f32_e32 v27, v24, v27
	v_add_f32_e32 v24, v24, v25
	;; [unrolled: 1-line block ×3, first 2 shown]
	v_rcp_f32_e32 v35, v33
	v_sub_f32_e32 v25, v28, v33
	v_add_f32_e32 v34, v24, v25
	v_add_f32_e32 v25, v26, v27
	v_mul_f32_e32 v37, v25, v35
	v_sub_f32_e32 v24, v26, v25
	v_mul_f32_e32 v26, v33, v37
	v_fma_f32 v28, v37, v33, -v26
	v_fmac_f32_e32 v28, v37, v34
	v_add_f32_e32 v36, v27, v24
	v_add_f32_e32 v24, v26, v28
	v_sub_f32_e32 v27, v25, v24
	v_pk_add_f32 v[30:31], v[24:25], v[26:27] neg_lo:[0,1] neg_hi:[0,1]
	v_mov_b32_e32 v29, v24
	v_pk_add_f32 v[24:25], v[30:31], v[28:29] neg_lo:[0,1] neg_hi:[0,1]
	v_cmp_neq_f32_e32 vcc, s6, v23
	v_add_f32_e32 v25, v36, v25
	v_add_f32_e32 v24, v24, v25
	;; [unrolled: 1-line block ×3, first 2 shown]
	v_mul_f32_e32 v36, v35, v25
	v_mul_f32_e32 v26, v33, v36
	v_fma_f32 v28, v36, v33, -v26
	v_fmac_f32_e32 v28, v36, v34
	v_sub_f32_e32 v27, v27, v25
	v_add_f32_e32 v33, v24, v27
	v_add_f32_e32 v24, v26, v28
	v_sub_f32_e32 v27, v25, v24
	v_pk_add_f32 v[30:31], v[24:25], v[26:27] neg_lo:[0,1] neg_hi:[0,1]
	v_mov_b32_e32 v29, v24
	v_pk_add_f32 v[24:25], v[30:31], v[28:29] neg_lo:[0,1] neg_hi:[0,1]
	v_cvt_f32_i32_e32 v26, v32
	v_add_f32_e32 v25, v33, v25
	v_add_f32_e32 v24, v24, v25
	;; [unrolled: 1-line block ×4, first 2 shown]
	v_sub_f32_e32 v25, v27, v37
	v_mul_f32_e32 v24, v35, v24
	v_sub_f32_e32 v25, v36, v25
	v_add_f32_e32 v24, v25, v24
	v_add_f32_e32 v28, v27, v24
	v_mul_f32_e32 v30, v28, v28
	v_mov_b32_e32 v25, 0x3ecc95a3
	v_sub_f32_e32 v27, v28, v27
	v_fmac_f32_e32 v25, 0x3e9b6dac, v30
	v_sub_f32_e32 v24, v24, v27
	v_fmaak_f32 v25, v30, v25, 0x3f2aaada
	v_ldexp_f32 v31, v24, 1
	v_mul_f32_e32 v27, v28, v30
	v_mov_b32_e32 v24, 0x3f317218
	v_pk_mul_f32 v[24:25], v[26:27], v[24:25]
	v_ldexp_f32 v29, v28, 1
	v_fma_f32 v27, v26, s5, -v24
	v_fmamk_f32 v28, v26, 0xb102e308, v27
	v_pk_add_f32 v[26:27], v[24:25], v[28:29]
	v_mov_b32_e32 v30, v24
	v_sub_f32_e32 v29, v27, v29
	v_sub_f32_e32 v29, v25, v29
	v_add_f32_e32 v31, v31, v29
	v_pk_add_f32 v[24:25], v[26:27], v[24:25] neg_lo:[0,1] neg_hi:[0,1]
	v_pk_add_f32 v[32:33], v[26:27], v[30:31]
	v_mov_b32_e32 v29, v26
	v_mov_b32_e32 v25, v33
	v_pk_add_f32 v[34:35], v[28:29], v[24:25] neg_lo:[0,1] neg_hi:[0,1]
	v_pk_add_f32 v[24:25], v[28:29], v[24:25]
	v_mov_b32_e32 v30, v31
	v_pk_add_f32 v[28:29], v[24:25], v[26:27] op_sel:[1,0] op_sel_hi:[0,1] neg_lo:[0,1] neg_hi:[0,1]
	v_pk_add_f32 v[36:37], v[32:33], v[28:29] op_sel_hi:[1,0] neg_lo:[0,1] neg_hi:[0,1]
	v_mov_b32_e32 v32, v33
	v_mov_b32_e32 v33, v25
	v_pk_mov_b32 v[28:29], v[26:27], v[28:29] op_sel:[1,0]
	v_mov_b32_e32 v31, v26
	v_pk_add_f32 v[28:29], v[32:33], v[28:29] neg_lo:[0,1] neg_hi:[0,1]
	v_mov_b32_e32 v36, v34
	v_pk_add_f32 v[26:27], v[30:31], v[28:29] neg_lo:[0,1] neg_hi:[0,1]
	v_mov_b32_e32 v35, v25
	v_pk_add_f32 v[28:29], v[36:37], v[26:27]
	s_mov_b32 s5, 0x33800000
	v_pk_add_f32 v[30:31], v[28:29], v[28:29] op_sel:[0,1] op_sel_hi:[1,0]
	s_nop 0
	v_pk_add_f32 v[24:25], v[24:25], v[30:31] op_sel:[1,0] op_sel_hi:[0,1]
	v_mov_b32_e32 v29, v24
	v_pk_add_f32 v[32:33], v[28:29], v[34:35] neg_lo:[0,1] neg_hi:[0,1]
	v_mov_b32_e32 v27, v30
	v_sub_f32_e32 v25, v28, v32
	v_pk_add_f32 v[26:27], v[26:27], v[32:33] neg_lo:[0,1] neg_hi:[0,1]
	v_sub_f32_e32 v25, v34, v25
	v_add_f32_e32 v25, v26, v25
	v_add_f32_e32 v25, v25, v27
	;; [unrolled: 1-line block ×3, first 2 shown]
	v_cndmask_b32_e32 v24, v38, v24, vcc
	v_cmp_lt_f32_e64 vcc, |v23|, s5
	s_nop 1
	v_cndmask_b32_e32 v23, v24, v23, vcc
	v_add_f32_e32 v23, v22, v23
.LBB438_197:
	s_or_b64 exec, exec, s[2:3]
	v_bfe_u32 v22, v23, 16, 1
	s_movk_i32 s5, 0x7fff
	v_add3_u32 v22, v23, v22, s5
	v_cmp_o_f32_e32 vcc, v23, v23
	v_mov_b32_e32 v23, 0x7fc0
	s_nop 0
	v_cndmask_b32_sdwa v22, v23, v22, vcc dst_sel:DWORD dst_unused:UNUSED_PAD src0_sel:DWORD src1_sel:WORD_1
	v_lshlrev_b32_e32 v25, 16, v22
	v_max_f32_e32 v24, v25, v25
	v_min_f32_e32 v26, v24, v43
	v_cmp_u_f32_e32 vcc, v25, v25
	v_max_f32_e32 v24, v24, v43
	s_nop 0
	v_cndmask_b32_e32 v26, v26, v25, vcc
	v_cndmask_b32_e32 v24, v24, v25, vcc
	v_cndmask_b32_e64 v26, v26, v41, s[26:27]
	v_cndmask_b32_e64 v24, v24, v41, s[26:27]
	v_cmp_neq_f32_e32 vcc, v26, v24
	v_cmp_class_f32_e64 s[2:3], v26, s4
	s_or_b64 s[6:7], vcc, s[2:3]
	s_and_saveexec_b64 s[2:3], s[6:7]
	s_cbranch_execz .LBB438_199
; %bb.198:
	v_sub_f32_e32 v25, v26, v24
	s_mov_b32 s4, 0x3fb8aa3b
	v_mul_f32_e32 v26, 0x3fb8aa3b, v25
	v_fma_f32 v27, v25, s4, -v26
	v_rndne_f32_e32 v28, v26
	v_fmamk_f32 v27, v25, 0x32a5705f, v27
	v_sub_f32_e32 v26, v26, v28
	v_add_f32_e32 v26, v26, v27
	v_exp_f32_e32 v26, v26
	v_cvt_i32_f32_e32 v27, v28
	s_mov_b32 s4, 0xc2ce8ed0
	v_cmp_ngt_f32_e32 vcc, s4, v25
	s_mov_b32 s4, 0x42b17218
	v_ldexp_f32 v26, v26, v27
	v_cndmask_b32_e32 v26, 0, v26, vcc
	v_mov_b32_e32 v40, 0x7f800000
	v_cmp_nlt_f32_e32 vcc, s4, v25
	s_mov_b32 s4, 0x3f2aaaab
	s_mov_b32 s6, 0x7f800000
	v_cndmask_b32_e32 v25, v40, v26, vcc
	v_add_f32_e32 v28, 1.0, v25
	v_add_f32_e32 v26, -1.0, v28
	v_sub_f32_e32 v27, v26, v28
	v_add_f32_e32 v27, 1.0, v27
	v_sub_f32_e32 v26, v25, v26
	v_add_f32_e32 v29, v26, v27
	v_frexp_mant_f32_e32 v30, v28
	v_cvt_f64_f32_e32 v[26:27], v28
	v_frexp_exp_i32_f64_e32 v26, v[26:27]
	v_cmp_gt_f32_e32 vcc, s4, v30
	s_mov_b32 s4, 0x3f317218
	s_nop 0
	v_subbrev_co_u32_e32 v34, vcc, 0, v26, vcc
	v_sub_u32_e32 v26, 0, v34
	v_ldexp_f32 v27, v28, v26
	v_add_f32_e32 v28, -1.0, v27
	v_add_f32_e32 v30, 1.0, v27
	v_ldexp_f32 v26, v29, v26
	v_add_f32_e32 v29, 1.0, v28
	v_add_f32_e32 v31, -1.0, v30
	v_sub_f32_e32 v29, v27, v29
	v_sub_f32_e32 v27, v27, v31
	v_add_f32_e32 v29, v26, v29
	v_add_f32_e32 v26, v26, v27
	;; [unrolled: 1-line block ×3, first 2 shown]
	v_rcp_f32_e32 v37, v35
	v_sub_f32_e32 v27, v30, v35
	v_add_f32_e32 v36, v26, v27
	v_add_f32_e32 v27, v28, v29
	v_mul_f32_e32 v39, v27, v37
	v_sub_f32_e32 v26, v28, v27
	v_mul_f32_e32 v28, v35, v39
	v_fma_f32 v30, v39, v35, -v28
	v_fmac_f32_e32 v30, v39, v36
	v_add_f32_e32 v38, v29, v26
	v_add_f32_e32 v26, v28, v30
	v_sub_f32_e32 v29, v27, v26
	v_pk_add_f32 v[32:33], v[26:27], v[28:29] neg_lo:[0,1] neg_hi:[0,1]
	v_mov_b32_e32 v31, v26
	v_pk_add_f32 v[26:27], v[32:33], v[30:31] neg_lo:[0,1] neg_hi:[0,1]
	v_cmp_neq_f32_e32 vcc, s6, v25
	v_add_f32_e32 v27, v38, v27
	v_add_f32_e32 v26, v26, v27
	;; [unrolled: 1-line block ×3, first 2 shown]
	v_mul_f32_e32 v38, v37, v27
	v_mul_f32_e32 v28, v35, v38
	v_fma_f32 v30, v38, v35, -v28
	v_fmac_f32_e32 v30, v38, v36
	v_sub_f32_e32 v29, v29, v27
	v_add_f32_e32 v35, v26, v29
	v_add_f32_e32 v26, v28, v30
	v_sub_f32_e32 v29, v27, v26
	v_pk_add_f32 v[32:33], v[26:27], v[28:29] neg_lo:[0,1] neg_hi:[0,1]
	v_mov_b32_e32 v31, v26
	v_pk_add_f32 v[26:27], v[32:33], v[30:31] neg_lo:[0,1] neg_hi:[0,1]
	v_cvt_f32_i32_e32 v28, v34
	v_add_f32_e32 v27, v35, v27
	v_add_f32_e32 v26, v26, v27
	;; [unrolled: 1-line block ×4, first 2 shown]
	v_sub_f32_e32 v27, v29, v39
	v_mul_f32_e32 v26, v37, v26
	v_sub_f32_e32 v27, v38, v27
	v_add_f32_e32 v26, v27, v26
	v_add_f32_e32 v30, v29, v26
	v_mul_f32_e32 v32, v30, v30
	v_mov_b32_e32 v27, 0x3ecc95a3
	v_sub_f32_e32 v29, v30, v29
	v_fmac_f32_e32 v27, 0x3e9b6dac, v32
	v_sub_f32_e32 v26, v26, v29
	v_fmaak_f32 v27, v32, v27, 0x3f2aaada
	v_ldexp_f32 v33, v26, 1
	v_mul_f32_e32 v29, v30, v32
	v_mov_b32_e32 v26, 0x3f317218
	v_pk_mul_f32 v[26:27], v[28:29], v[26:27]
	v_ldexp_f32 v31, v30, 1
	v_fma_f32 v29, v28, s4, -v26
	v_fmamk_f32 v30, v28, 0xb102e308, v29
	v_pk_add_f32 v[28:29], v[26:27], v[30:31]
	v_mov_b32_e32 v32, v26
	v_sub_f32_e32 v31, v29, v31
	v_sub_f32_e32 v31, v27, v31
	v_add_f32_e32 v33, v33, v31
	v_pk_add_f32 v[26:27], v[28:29], v[26:27] neg_lo:[0,1] neg_hi:[0,1]
	v_pk_add_f32 v[34:35], v[28:29], v[32:33]
	v_mov_b32_e32 v31, v28
	v_mov_b32_e32 v27, v35
	v_pk_add_f32 v[36:37], v[30:31], v[26:27] neg_lo:[0,1] neg_hi:[0,1]
	v_pk_add_f32 v[26:27], v[30:31], v[26:27]
	v_mov_b32_e32 v32, v33
	v_pk_add_f32 v[30:31], v[26:27], v[28:29] op_sel:[1,0] op_sel_hi:[0,1] neg_lo:[0,1] neg_hi:[0,1]
	v_pk_add_f32 v[38:39], v[34:35], v[30:31] op_sel_hi:[1,0] neg_lo:[0,1] neg_hi:[0,1]
	v_mov_b32_e32 v34, v35
	v_mov_b32_e32 v35, v27
	v_pk_mov_b32 v[30:31], v[28:29], v[30:31] op_sel:[1,0]
	v_mov_b32_e32 v33, v28
	v_pk_add_f32 v[30:31], v[34:35], v[30:31] neg_lo:[0,1] neg_hi:[0,1]
	v_mov_b32_e32 v38, v36
	v_pk_add_f32 v[28:29], v[32:33], v[30:31] neg_lo:[0,1] neg_hi:[0,1]
	v_mov_b32_e32 v37, v27
	v_pk_add_f32 v[30:31], v[38:39], v[28:29]
	s_mov_b32 s4, 0x33800000
	v_pk_add_f32 v[32:33], v[30:31], v[30:31] op_sel:[0,1] op_sel_hi:[1,0]
	s_nop 0
	v_pk_add_f32 v[26:27], v[26:27], v[32:33] op_sel:[1,0] op_sel_hi:[0,1]
	v_mov_b32_e32 v31, v26
	v_pk_add_f32 v[34:35], v[30:31], v[36:37] neg_lo:[0,1] neg_hi:[0,1]
	v_mov_b32_e32 v29, v32
	v_sub_f32_e32 v27, v30, v34
	v_pk_add_f32 v[28:29], v[28:29], v[34:35] neg_lo:[0,1] neg_hi:[0,1]
	v_sub_f32_e32 v27, v36, v27
	v_add_f32_e32 v27, v28, v27
	v_add_f32_e32 v27, v27, v29
	;; [unrolled: 1-line block ×3, first 2 shown]
	v_cndmask_b32_e32 v26, v40, v26, vcc
	v_cmp_lt_f32_e64 vcc, |v25|, s4
	s_nop 1
	v_cndmask_b32_e32 v25, v26, v25, vcc
	v_add_f32_e32 v25, v24, v25
.LBB438_199:
	s_or_b64 exec, exec, s[2:3]
	v_bfe_u32 v24, v25, 16, 1
	v_add3_u32 v24, v25, v24, s5
	v_cmp_o_f32_e32 vcc, v25, v25
	s_nop 1
	v_cndmask_b32_sdwa v23, v23, v24, vcc dst_sel:DWORD dst_unused:UNUSED_PAD src0_sel:DWORD src1_sel:WORD_1
	s_load_dwordx8 s[44:51], s[0:1], 0x38
	s_branch .LBB438_299
.LBB438_200:
	s_waitcnt lgkmcnt(0)
	s_cmp_lg_u64 s[48:49], 0
	s_cselect_b64 s[2:3], -1, 0
	v_cmp_eq_u32_e32 vcc, 0, v0
	v_cmp_ne_u32_e64 s[0:1], 0, v0
	s_and_b64 s[4:5], vcc, s[2:3]
	v_mov_b32_e32 v10, v8
	s_and_saveexec_b64 s[2:3], s[4:5]
	s_cbranch_execz .LBB438_204
; %bb.201:
	v_mov_b32_e32 v10, 0
	global_load_ushort v10, v10, s[44:45]
	v_lshlrev_b32_e32 v13, 16, v8
	v_max_f32_e32 v12, v13, v13
	s_movk_i32 s4, 0x1f8
	s_waitcnt vmcnt(0)
	v_lshlrev_b32_e32 v11, 16, v10
	v_max_f32_e32 v10, v11, v11
	v_min_f32_e32 v14, v10, v12
	v_max_f32_e32 v10, v10, v12
	v_cmp_u_f32_e32 vcc, v11, v11
	s_nop 1
	v_cndmask_b32_e32 v12, v14, v11, vcc
	v_cndmask_b32_e32 v10, v10, v11, vcc
	v_cmp_u_f32_e32 vcc, v13, v13
	s_nop 1
	v_cndmask_b32_e32 v12, v12, v13, vcc
	v_cndmask_b32_e32 v10, v10, v13, vcc
	v_cmp_neq_f32_e32 vcc, v12, v10
	v_cmp_class_f32_e64 s[4:5], v12, s4
	s_or_b64 s[6:7], vcc, s[4:5]
	s_and_saveexec_b64 s[4:5], s[6:7]
	s_cbranch_execz .LBB438_203
; %bb.202:
	v_sub_f32_e32 v11, v12, v10
	s_mov_b32 s6, 0x3fb8aa3b
	v_mul_f32_e32 v12, 0x3fb8aa3b, v11
	v_fma_f32 v13, v11, s6, -v12
	v_rndne_f32_e32 v14, v12
	v_fmamk_f32 v13, v11, 0x32a5705f, v13
	v_sub_f32_e32 v12, v12, v14
	v_add_f32_e32 v12, v12, v13
	v_exp_f32_e32 v12, v12
	v_cvt_i32_f32_e32 v13, v14
	s_mov_b32 s6, 0xc2ce8ed0
	v_cmp_ngt_f32_e32 vcc, s6, v11
	s_mov_b32 s6, 0x42b17218
	v_ldexp_f32 v12, v12, v13
	v_cndmask_b32_e32 v12, 0, v12, vcc
	v_mov_b32_e32 v26, 0x7f800000
	v_cmp_nlt_f32_e32 vcc, s6, v11
	s_mov_b32 s6, 0x3f2aaaab
	s_mov_b32 s7, 0x7f800000
	v_cndmask_b32_e32 v11, v26, v12, vcc
	v_add_f32_e32 v14, 1.0, v11
	v_add_f32_e32 v12, -1.0, v14
	v_sub_f32_e32 v13, v12, v14
	v_add_f32_e32 v13, 1.0, v13
	v_sub_f32_e32 v12, v11, v12
	v_add_f32_e32 v15, v12, v13
	v_frexp_mant_f32_e32 v16, v14
	v_cvt_f64_f32_e32 v[12:13], v14
	v_frexp_exp_i32_f64_e32 v12, v[12:13]
	v_cmp_gt_f32_e32 vcc, s6, v16
	s_mov_b32 s6, 0x3f317218
	s_nop 0
	v_subbrev_co_u32_e32 v20, vcc, 0, v12, vcc
	v_sub_u32_e32 v12, 0, v20
	v_ldexp_f32 v13, v14, v12
	v_add_f32_e32 v14, -1.0, v13
	v_add_f32_e32 v16, 1.0, v13
	v_ldexp_f32 v12, v15, v12
	v_add_f32_e32 v15, 1.0, v14
	v_add_f32_e32 v17, -1.0, v16
	v_sub_f32_e32 v15, v13, v15
	v_sub_f32_e32 v13, v13, v17
	v_add_f32_e32 v15, v12, v15
	v_add_f32_e32 v12, v12, v13
	v_add_f32_e32 v21, v16, v12
	v_rcp_f32_e32 v23, v21
	v_sub_f32_e32 v13, v16, v21
	v_add_f32_e32 v22, v12, v13
	v_add_f32_e32 v13, v14, v15
	v_mul_f32_e32 v25, v13, v23
	v_sub_f32_e32 v12, v14, v13
	v_mul_f32_e32 v14, v21, v25
	v_fma_f32 v16, v25, v21, -v14
	v_fmac_f32_e32 v16, v25, v22
	v_add_f32_e32 v24, v15, v12
	v_add_f32_e32 v12, v14, v16
	v_sub_f32_e32 v15, v13, v12
	v_pk_add_f32 v[18:19], v[12:13], v[14:15] neg_lo:[0,1] neg_hi:[0,1]
	v_mov_b32_e32 v17, v12
	v_pk_add_f32 v[12:13], v[18:19], v[16:17] neg_lo:[0,1] neg_hi:[0,1]
	v_cmp_neq_f32_e32 vcc, s7, v11
	v_add_f32_e32 v13, v24, v13
	v_add_f32_e32 v12, v12, v13
	v_add_f32_e32 v13, v15, v12
	v_mul_f32_e32 v24, v23, v13
	v_mul_f32_e32 v14, v21, v24
	v_fma_f32 v16, v24, v21, -v14
	v_fmac_f32_e32 v16, v24, v22
	v_sub_f32_e32 v15, v15, v13
	v_add_f32_e32 v21, v12, v15
	v_add_f32_e32 v12, v14, v16
	v_sub_f32_e32 v15, v13, v12
	v_pk_add_f32 v[18:19], v[12:13], v[14:15] neg_lo:[0,1] neg_hi:[0,1]
	v_mov_b32_e32 v17, v12
	v_pk_add_f32 v[12:13], v[18:19], v[16:17] neg_lo:[0,1] neg_hi:[0,1]
	v_cvt_f32_i32_e32 v14, v20
	v_add_f32_e32 v13, v21, v13
	v_add_f32_e32 v12, v12, v13
	;; [unrolled: 1-line block ×4, first 2 shown]
	v_sub_f32_e32 v13, v15, v25
	v_mul_f32_e32 v12, v23, v12
	v_sub_f32_e32 v13, v24, v13
	v_add_f32_e32 v12, v13, v12
	v_add_f32_e32 v16, v15, v12
	v_mul_f32_e32 v18, v16, v16
	v_mov_b32_e32 v13, 0x3ecc95a3
	v_sub_f32_e32 v15, v16, v15
	v_fmac_f32_e32 v13, 0x3e9b6dac, v18
	v_sub_f32_e32 v12, v12, v15
	v_fmaak_f32 v13, v18, v13, 0x3f2aaada
	v_ldexp_f32 v19, v12, 1
	v_mul_f32_e32 v15, v16, v18
	v_mov_b32_e32 v12, 0x3f317218
	v_pk_mul_f32 v[12:13], v[14:15], v[12:13]
	v_ldexp_f32 v17, v16, 1
	v_fma_f32 v15, v14, s6, -v12
	v_fmamk_f32 v16, v14, 0xb102e308, v15
	v_pk_add_f32 v[14:15], v[12:13], v[16:17]
	v_mov_b32_e32 v18, v12
	v_sub_f32_e32 v17, v15, v17
	v_sub_f32_e32 v17, v13, v17
	v_add_f32_e32 v19, v19, v17
	v_pk_add_f32 v[12:13], v[14:15], v[12:13] neg_lo:[0,1] neg_hi:[0,1]
	v_pk_add_f32 v[20:21], v[14:15], v[18:19]
	v_mov_b32_e32 v17, v14
	v_mov_b32_e32 v13, v21
	v_pk_add_f32 v[22:23], v[16:17], v[12:13] neg_lo:[0,1] neg_hi:[0,1]
	v_pk_add_f32 v[12:13], v[16:17], v[12:13]
	v_mov_b32_e32 v18, v19
	v_pk_add_f32 v[16:17], v[12:13], v[14:15] op_sel:[1,0] op_sel_hi:[0,1] neg_lo:[0,1] neg_hi:[0,1]
	v_pk_add_f32 v[24:25], v[20:21], v[16:17] op_sel_hi:[1,0] neg_lo:[0,1] neg_hi:[0,1]
	v_mov_b32_e32 v20, v21
	v_mov_b32_e32 v21, v13
	v_pk_mov_b32 v[16:17], v[14:15], v[16:17] op_sel:[1,0]
	v_mov_b32_e32 v19, v14
	v_pk_add_f32 v[16:17], v[20:21], v[16:17] neg_lo:[0,1] neg_hi:[0,1]
	v_mov_b32_e32 v24, v22
	v_pk_add_f32 v[14:15], v[18:19], v[16:17] neg_lo:[0,1] neg_hi:[0,1]
	v_mov_b32_e32 v23, v13
	v_pk_add_f32 v[16:17], v[24:25], v[14:15]
	s_mov_b32 s6, 0x33800000
	v_pk_add_f32 v[18:19], v[16:17], v[16:17] op_sel:[0,1] op_sel_hi:[1,0]
	s_nop 0
	v_pk_add_f32 v[12:13], v[12:13], v[18:19] op_sel:[1,0] op_sel_hi:[0,1]
	v_mov_b32_e32 v17, v12
	v_pk_add_f32 v[20:21], v[16:17], v[22:23] neg_lo:[0,1] neg_hi:[0,1]
	v_mov_b32_e32 v15, v18
	v_sub_f32_e32 v13, v16, v20
	v_pk_add_f32 v[14:15], v[14:15], v[20:21] neg_lo:[0,1] neg_hi:[0,1]
	v_sub_f32_e32 v13, v22, v13
	v_add_f32_e32 v13, v14, v13
	v_add_f32_e32 v13, v13, v15
	;; [unrolled: 1-line block ×3, first 2 shown]
	v_cndmask_b32_e32 v12, v26, v12, vcc
	v_cmp_lt_f32_e64 vcc, |v11|, s6
	s_nop 1
	v_cndmask_b32_e32 v11, v12, v11, vcc
	v_add_f32_e32 v11, v10, v11
.LBB438_203:
	s_or_b64 exec, exec, s[4:5]
	v_bfe_u32 v10, v11, 16, 1
	s_movk_i32 s4, 0x7fff
	v_add3_u32 v10, v11, v10, s4
	v_cmp_o_f32_e32 vcc, v11, v11
	v_mov_b32_e32 v11, 0x7fc0
	s_nop 0
	v_cndmask_b32_sdwa v10, v11, v10, vcc dst_sel:DWORD dst_unused:UNUSED_PAD src0_sel:DWORD src1_sel:WORD_1
.LBB438_204:
	s_or_b64 exec, exec, s[2:3]
	v_mov_b32_e32 v12, 16
	v_lshlrev_b32_e32 v30, 16, v10
	v_lshlrev_b32_sdwa v8, v12, v8 dst_sel:DWORD dst_unused:UNUSED_PAD src0_sel:DWORD src1_sel:WORD_1
	v_max_f32_e32 v11, v8, v8
	v_max_f32_e32 v32, v30, v30
	v_min_f32_e32 v31, v32, v11
	v_cmp_u_f32_e64 s[28:29], v30, v30
	v_cmp_u_f32_e64 s[2:3], v8, v8
	v_max_f32_e32 v33, v32, v11
	v_cndmask_b32_e64 v13, v31, v30, s[28:29]
	v_cndmask_b32_e64 v14, v13, v8, s[2:3]
	;; [unrolled: 1-line block ×4, first 2 shown]
	s_movk_i32 s6, 0x1f8
	v_cmp_neq_f32_e32 vcc, v14, v13
	v_cmp_class_f32_e64 s[4:5], v14, s6
	s_or_b64 s[8:9], vcc, s[4:5]
	v_mov_b32_e32 v15, v30
	s_and_saveexec_b64 s[4:5], s[8:9]
	s_cbranch_execz .LBB438_206
; %bb.205:
	v_sub_f32_e32 v14, v14, v13
	s_mov_b32 s7, 0x3fb8aa3b
	v_mul_f32_e32 v15, 0x3fb8aa3b, v14
	v_fma_f32 v16, v14, s7, -v15
	v_rndne_f32_e32 v17, v15
	v_fmamk_f32 v16, v14, 0x32a5705f, v16
	v_sub_f32_e32 v15, v15, v17
	v_add_f32_e32 v15, v15, v16
	v_exp_f32_e32 v15, v15
	v_cvt_i32_f32_e32 v16, v17
	s_mov_b32 s7, 0xc2ce8ed0
	v_cmp_ngt_f32_e32 vcc, s7, v14
	s_mov_b32 s7, 0x42b17218
	v_ldexp_f32 v15, v15, v16
	v_cndmask_b32_e32 v15, 0, v15, vcc
	v_mov_b32_e32 v28, 0x7f800000
	v_cmp_nlt_f32_e32 vcc, s7, v14
	s_mov_b32 s7, 0x3f2aaaab
	s_mov_b32 s8, 0x7f800000
	v_cndmask_b32_e32 v29, v28, v15, vcc
	v_add_f32_e32 v16, 1.0, v29
	v_add_f32_e32 v14, -1.0, v16
	v_sub_f32_e32 v15, v14, v16
	v_add_f32_e32 v15, 1.0, v15
	v_sub_f32_e32 v14, v29, v14
	v_add_f32_e32 v17, v14, v15
	v_frexp_mant_f32_e32 v18, v16
	v_cvt_f64_f32_e32 v[14:15], v16
	v_frexp_exp_i32_f64_e32 v14, v[14:15]
	v_cmp_gt_f32_e32 vcc, s7, v18
	s_mov_b32 s7, 0x3f317218
	s_nop 0
	v_subbrev_co_u32_e32 v22, vcc, 0, v14, vcc
	v_sub_u32_e32 v14, 0, v22
	v_ldexp_f32 v15, v16, v14
	v_add_f32_e32 v16, -1.0, v15
	v_add_f32_e32 v18, 1.0, v15
	v_ldexp_f32 v14, v17, v14
	v_add_f32_e32 v17, 1.0, v16
	v_add_f32_e32 v19, -1.0, v18
	v_sub_f32_e32 v17, v15, v17
	v_sub_f32_e32 v15, v15, v19
	v_add_f32_e32 v17, v14, v17
	v_add_f32_e32 v14, v14, v15
	;; [unrolled: 1-line block ×3, first 2 shown]
	v_rcp_f32_e32 v25, v23
	v_sub_f32_e32 v15, v18, v23
	v_add_f32_e32 v24, v14, v15
	v_add_f32_e32 v15, v16, v17
	v_mul_f32_e32 v27, v15, v25
	v_sub_f32_e32 v14, v16, v15
	v_mul_f32_e32 v16, v23, v27
	v_fma_f32 v18, v27, v23, -v16
	v_fmac_f32_e32 v18, v27, v24
	v_add_f32_e32 v26, v17, v14
	v_add_f32_e32 v14, v16, v18
	v_sub_f32_e32 v17, v15, v14
	v_pk_add_f32 v[20:21], v[14:15], v[16:17] neg_lo:[0,1] neg_hi:[0,1]
	v_mov_b32_e32 v19, v14
	v_pk_add_f32 v[14:15], v[20:21], v[18:19] neg_lo:[0,1] neg_hi:[0,1]
	v_cmp_neq_f32_e32 vcc, s8, v29
	v_add_f32_e32 v15, v26, v15
	v_add_f32_e32 v14, v14, v15
	;; [unrolled: 1-line block ×3, first 2 shown]
	v_mul_f32_e32 v26, v25, v15
	v_mul_f32_e32 v16, v23, v26
	v_fma_f32 v18, v26, v23, -v16
	v_fmac_f32_e32 v18, v26, v24
	v_sub_f32_e32 v17, v17, v15
	v_add_f32_e32 v23, v14, v17
	v_add_f32_e32 v14, v16, v18
	v_sub_f32_e32 v17, v15, v14
	v_pk_add_f32 v[20:21], v[14:15], v[16:17] neg_lo:[0,1] neg_hi:[0,1]
	v_mov_b32_e32 v19, v14
	v_pk_add_f32 v[14:15], v[20:21], v[18:19] neg_lo:[0,1] neg_hi:[0,1]
	v_cvt_f32_i32_e32 v16, v22
	v_add_f32_e32 v15, v23, v15
	v_add_f32_e32 v14, v14, v15
	;; [unrolled: 1-line block ×4, first 2 shown]
	v_sub_f32_e32 v15, v17, v27
	v_mul_f32_e32 v14, v25, v14
	v_sub_f32_e32 v15, v26, v15
	v_add_f32_e32 v14, v15, v14
	v_add_f32_e32 v18, v17, v14
	v_mul_f32_e32 v20, v18, v18
	v_mov_b32_e32 v15, 0x3ecc95a3
	v_sub_f32_e32 v17, v18, v17
	v_fmac_f32_e32 v15, 0x3e9b6dac, v20
	v_sub_f32_e32 v14, v14, v17
	v_fmaak_f32 v15, v20, v15, 0x3f2aaada
	v_ldexp_f32 v21, v14, 1
	v_mul_f32_e32 v17, v18, v20
	v_mov_b32_e32 v14, 0x3f317218
	v_pk_mul_f32 v[14:15], v[16:17], v[14:15]
	v_ldexp_f32 v19, v18, 1
	v_fma_f32 v17, v16, s7, -v14
	v_fmamk_f32 v18, v16, 0xb102e308, v17
	v_pk_add_f32 v[16:17], v[14:15], v[18:19]
	v_mov_b32_e32 v20, v14
	v_sub_f32_e32 v19, v17, v19
	v_sub_f32_e32 v19, v15, v19
	v_add_f32_e32 v21, v21, v19
	v_pk_add_f32 v[14:15], v[16:17], v[14:15] neg_lo:[0,1] neg_hi:[0,1]
	v_pk_add_f32 v[22:23], v[16:17], v[20:21]
	v_mov_b32_e32 v19, v16
	v_mov_b32_e32 v15, v23
	v_pk_add_f32 v[24:25], v[18:19], v[14:15] neg_lo:[0,1] neg_hi:[0,1]
	v_pk_add_f32 v[14:15], v[18:19], v[14:15]
	v_mov_b32_e32 v20, v21
	v_pk_add_f32 v[18:19], v[14:15], v[16:17] op_sel:[1,0] op_sel_hi:[0,1] neg_lo:[0,1] neg_hi:[0,1]
	v_pk_add_f32 v[26:27], v[22:23], v[18:19] op_sel_hi:[1,0] neg_lo:[0,1] neg_hi:[0,1]
	v_mov_b32_e32 v22, v23
	v_mov_b32_e32 v23, v15
	v_pk_mov_b32 v[18:19], v[16:17], v[18:19] op_sel:[1,0]
	v_mov_b32_e32 v21, v16
	v_pk_add_f32 v[18:19], v[22:23], v[18:19] neg_lo:[0,1] neg_hi:[0,1]
	v_mov_b32_e32 v26, v24
	v_pk_add_f32 v[16:17], v[20:21], v[18:19] neg_lo:[0,1] neg_hi:[0,1]
	v_mov_b32_e32 v25, v15
	v_pk_add_f32 v[18:19], v[26:27], v[16:17]
	s_mov_b32 s7, 0x33800000
	v_pk_add_f32 v[20:21], v[18:19], v[18:19] op_sel:[0,1] op_sel_hi:[1,0]
	s_nop 0
	v_pk_add_f32 v[14:15], v[14:15], v[20:21] op_sel:[1,0] op_sel_hi:[0,1]
	v_mov_b32_e32 v19, v14
	v_pk_add_f32 v[22:23], v[18:19], v[24:25] neg_lo:[0,1] neg_hi:[0,1]
	v_mov_b32_e32 v17, v20
	v_sub_f32_e32 v15, v18, v22
	v_pk_add_f32 v[16:17], v[16:17], v[22:23] neg_lo:[0,1] neg_hi:[0,1]
	v_sub_f32_e32 v15, v24, v15
	v_add_f32_e32 v15, v16, v15
	v_add_f32_e32 v15, v15, v17
	;; [unrolled: 1-line block ×3, first 2 shown]
	v_cndmask_b32_e32 v14, v28, v14, vcc
	v_cmp_lt_f32_e64 vcc, |v29|, s7
	s_nop 1
	v_cndmask_b32_e32 v14, v14, v29, vcc
	v_add_f32_e32 v15, v13, v14
.LBB438_206:
	s_or_b64 exec, exec, s[4:5]
	v_bfe_u32 v13, v15, 16, 1
	s_movk_i32 s8, 0x7fff
	v_add3_u32 v13, v15, v13, s8
	v_and_b32_e32 v13, 0xffff0000, v13
	v_mov_b32_e32 v14, 0x7fc00000
	v_cmp_o_f32_e32 vcc, v15, v15
	v_lshlrev_b32_sdwa v12, v12, v9 dst_sel:DWORD dst_unused:UNUSED_PAD src0_sel:DWORD src1_sel:WORD_0
	v_cmp_u_f32_e64 s[4:5], v12, v12
	v_cndmask_b32_e32 v16, v14, v13, vcc
	v_max_f32_e32 v15, v16, v16
	v_max_f32_e32 v13, v12, v12
	v_min_f32_e32 v17, v15, v13
	v_cmp_u_f32_e32 vcc, v16, v16
	v_max_f32_e32 v15, v15, v13
	s_nop 0
	v_cndmask_b32_e32 v17, v17, v16, vcc
	v_cndmask_b32_e32 v15, v15, v16, vcc
	v_cndmask_b32_e64 v17, v17, v12, s[4:5]
	v_cndmask_b32_e64 v15, v15, v12, s[4:5]
	v_cmp_neq_f32_e32 vcc, v17, v15
	v_cmp_class_f32_e64 s[6:7], v17, s6
	s_or_b64 s[10:11], vcc, s[6:7]
	s_and_saveexec_b64 s[6:7], s[10:11]
	s_cbranch_execz .LBB438_208
; %bb.207:
	v_sub_f32_e32 v16, v17, v15
	s_mov_b32 s9, 0x3fb8aa3b
	v_mul_f32_e32 v17, 0x3fb8aa3b, v16
	v_fma_f32 v18, v16, s9, -v17
	v_rndne_f32_e32 v19, v17
	v_fmamk_f32 v18, v16, 0x32a5705f, v18
	v_sub_f32_e32 v17, v17, v19
	v_add_f32_e32 v17, v17, v18
	v_exp_f32_e32 v17, v17
	v_cvt_i32_f32_e32 v18, v19
	s_mov_b32 s9, 0xc2ce8ed0
	v_cmp_ngt_f32_e32 vcc, s9, v16
	s_mov_b32 s9, 0x42b17218
	v_ldexp_f32 v17, v17, v18
	v_cndmask_b32_e32 v17, 0, v17, vcc
	v_mov_b32_e32 v34, 0x7f800000
	v_cmp_nlt_f32_e32 vcc, s9, v16
	s_mov_b32 s9, 0x3f2aaaab
	s_mov_b32 s10, 0x7f800000
	v_cndmask_b32_e32 v35, v34, v17, vcc
	v_add_f32_e32 v18, 1.0, v35
	v_add_f32_e32 v16, -1.0, v18
	v_sub_f32_e32 v17, v16, v18
	v_add_f32_e32 v17, 1.0, v17
	v_sub_f32_e32 v16, v35, v16
	v_add_f32_e32 v19, v16, v17
	v_frexp_mant_f32_e32 v20, v18
	v_cvt_f64_f32_e32 v[16:17], v18
	v_frexp_exp_i32_f64_e32 v16, v[16:17]
	v_cmp_gt_f32_e32 vcc, s9, v20
	s_mov_b32 s9, 0x3f317218
	s_nop 0
	v_subbrev_co_u32_e32 v24, vcc, 0, v16, vcc
	v_sub_u32_e32 v16, 0, v24
	v_ldexp_f32 v17, v18, v16
	v_add_f32_e32 v18, -1.0, v17
	v_add_f32_e32 v20, 1.0, v17
	v_ldexp_f32 v16, v19, v16
	v_add_f32_e32 v19, 1.0, v18
	v_add_f32_e32 v21, -1.0, v20
	v_sub_f32_e32 v19, v17, v19
	v_sub_f32_e32 v17, v17, v21
	v_add_f32_e32 v19, v16, v19
	v_add_f32_e32 v16, v16, v17
	;; [unrolled: 1-line block ×3, first 2 shown]
	v_rcp_f32_e32 v27, v25
	v_sub_f32_e32 v17, v20, v25
	v_add_f32_e32 v26, v16, v17
	v_add_f32_e32 v17, v18, v19
	v_mul_f32_e32 v29, v17, v27
	v_sub_f32_e32 v16, v18, v17
	v_mul_f32_e32 v18, v25, v29
	v_fma_f32 v20, v29, v25, -v18
	v_fmac_f32_e32 v20, v29, v26
	v_add_f32_e32 v28, v19, v16
	v_add_f32_e32 v16, v18, v20
	v_sub_f32_e32 v19, v17, v16
	v_pk_add_f32 v[22:23], v[16:17], v[18:19] neg_lo:[0,1] neg_hi:[0,1]
	v_mov_b32_e32 v21, v16
	v_pk_add_f32 v[16:17], v[22:23], v[20:21] neg_lo:[0,1] neg_hi:[0,1]
	v_cmp_neq_f32_e32 vcc, s10, v35
	v_add_f32_e32 v17, v28, v17
	v_add_f32_e32 v16, v16, v17
	;; [unrolled: 1-line block ×3, first 2 shown]
	v_mul_f32_e32 v28, v27, v17
	v_mul_f32_e32 v18, v25, v28
	v_fma_f32 v20, v28, v25, -v18
	v_fmac_f32_e32 v20, v28, v26
	v_sub_f32_e32 v19, v19, v17
	v_add_f32_e32 v25, v16, v19
	v_add_f32_e32 v16, v18, v20
	v_sub_f32_e32 v19, v17, v16
	v_pk_add_f32 v[22:23], v[16:17], v[18:19] neg_lo:[0,1] neg_hi:[0,1]
	v_mov_b32_e32 v21, v16
	v_pk_add_f32 v[16:17], v[22:23], v[20:21] neg_lo:[0,1] neg_hi:[0,1]
	v_cvt_f32_i32_e32 v18, v24
	v_add_f32_e32 v17, v25, v17
	v_add_f32_e32 v16, v16, v17
	;; [unrolled: 1-line block ×4, first 2 shown]
	v_sub_f32_e32 v17, v19, v29
	v_mul_f32_e32 v16, v27, v16
	v_sub_f32_e32 v17, v28, v17
	v_add_f32_e32 v16, v17, v16
	v_add_f32_e32 v20, v19, v16
	v_mul_f32_e32 v22, v20, v20
	v_mov_b32_e32 v17, 0x3ecc95a3
	v_sub_f32_e32 v19, v20, v19
	v_fmac_f32_e32 v17, 0x3e9b6dac, v22
	v_sub_f32_e32 v16, v16, v19
	v_fmaak_f32 v17, v22, v17, 0x3f2aaada
	v_ldexp_f32 v23, v16, 1
	v_mul_f32_e32 v19, v20, v22
	v_mov_b32_e32 v16, 0x3f317218
	v_pk_mul_f32 v[16:17], v[18:19], v[16:17]
	v_ldexp_f32 v21, v20, 1
	v_fma_f32 v19, v18, s9, -v16
	v_fmamk_f32 v20, v18, 0xb102e308, v19
	v_pk_add_f32 v[18:19], v[16:17], v[20:21]
	v_mov_b32_e32 v22, v16
	v_sub_f32_e32 v21, v19, v21
	v_sub_f32_e32 v21, v17, v21
	v_add_f32_e32 v23, v23, v21
	v_pk_add_f32 v[16:17], v[18:19], v[16:17] neg_lo:[0,1] neg_hi:[0,1]
	v_pk_add_f32 v[24:25], v[18:19], v[22:23]
	v_mov_b32_e32 v21, v18
	v_mov_b32_e32 v17, v25
	v_pk_add_f32 v[26:27], v[20:21], v[16:17] neg_lo:[0,1] neg_hi:[0,1]
	v_pk_add_f32 v[16:17], v[20:21], v[16:17]
	v_mov_b32_e32 v22, v23
	v_pk_add_f32 v[20:21], v[16:17], v[18:19] op_sel:[1,0] op_sel_hi:[0,1] neg_lo:[0,1] neg_hi:[0,1]
	v_pk_add_f32 v[28:29], v[24:25], v[20:21] op_sel_hi:[1,0] neg_lo:[0,1] neg_hi:[0,1]
	v_mov_b32_e32 v24, v25
	v_mov_b32_e32 v25, v17
	v_pk_mov_b32 v[20:21], v[18:19], v[20:21] op_sel:[1,0]
	v_mov_b32_e32 v23, v18
	v_pk_add_f32 v[20:21], v[24:25], v[20:21] neg_lo:[0,1] neg_hi:[0,1]
	v_mov_b32_e32 v28, v26
	v_pk_add_f32 v[18:19], v[22:23], v[20:21] neg_lo:[0,1] neg_hi:[0,1]
	v_mov_b32_e32 v27, v17
	v_pk_add_f32 v[20:21], v[28:29], v[18:19]
	s_mov_b32 s9, 0x33800000
	v_pk_add_f32 v[22:23], v[20:21], v[20:21] op_sel:[0,1] op_sel_hi:[1,0]
	s_nop 0
	v_pk_add_f32 v[16:17], v[16:17], v[22:23] op_sel:[1,0] op_sel_hi:[0,1]
	v_mov_b32_e32 v21, v16
	v_pk_add_f32 v[24:25], v[20:21], v[26:27] neg_lo:[0,1] neg_hi:[0,1]
	v_mov_b32_e32 v19, v22
	v_sub_f32_e32 v17, v20, v24
	v_pk_add_f32 v[18:19], v[18:19], v[24:25] neg_lo:[0,1] neg_hi:[0,1]
	v_sub_f32_e32 v17, v26, v17
	v_add_f32_e32 v17, v18, v17
	v_add_f32_e32 v17, v17, v19
	;; [unrolled: 1-line block ×3, first 2 shown]
	v_cndmask_b32_e32 v16, v34, v16, vcc
	v_cmp_lt_f32_e64 vcc, |v35|, s9
	s_nop 1
	v_cndmask_b32_e32 v16, v16, v35, vcc
	v_add_f32_e32 v16, v15, v16
.LBB438_208:
	s_or_b64 exec, exec, s[6:7]
	v_bfe_u32 v15, v16, 16, 1
	v_add3_u32 v15, v16, v15, s8
	v_and_b32_e32 v15, 0xffff0000, v15
	v_cmp_o_f32_e32 vcc, v16, v16
	s_movk_i32 s10, 0x1f8
	s_nop 0
	v_cndmask_b32_e32 v18, v14, v15, vcc
	v_mov_b32_e32 v14, 16
	v_lshlrev_b32_sdwa v9, v14, v9 dst_sel:DWORD dst_unused:UNUSED_PAD src0_sel:DWORD src1_sel:WORD_1
	v_max_f32_e32 v16, v18, v18
	v_max_f32_e32 v15, v9, v9
	v_min_f32_e32 v17, v16, v15
	v_cmp_u_f32_e32 vcc, v18, v18
	v_max_f32_e32 v16, v16, v15
	v_cmp_u_f32_e64 s[6:7], v9, v9
	v_cndmask_b32_e32 v17, v17, v18, vcc
	v_cndmask_b32_e32 v16, v16, v18, vcc
	v_cndmask_b32_e64 v17, v17, v9, s[6:7]
	v_cndmask_b32_e64 v16, v16, v9, s[6:7]
	v_cmp_neq_f32_e32 vcc, v17, v16
	v_cmp_class_f32_e64 s[8:9], v17, s10
	s_or_b64 s[12:13], vcc, s[8:9]
	s_and_saveexec_b64 s[8:9], s[12:13]
	s_cbranch_execz .LBB438_210
; %bb.209:
	v_sub_f32_e32 v17, v17, v16
	s_mov_b32 s11, 0x3fb8aa3b
	v_mul_f32_e32 v18, 0x3fb8aa3b, v17
	v_fma_f32 v19, v17, s11, -v18
	v_rndne_f32_e32 v20, v18
	v_fmamk_f32 v19, v17, 0x32a5705f, v19
	v_sub_f32_e32 v18, v18, v20
	v_add_f32_e32 v18, v18, v19
	v_exp_f32_e32 v18, v18
	v_cvt_i32_f32_e32 v19, v20
	s_mov_b32 s11, 0xc2ce8ed0
	v_cmp_ngt_f32_e32 vcc, s11, v17
	s_mov_b32 s11, 0x42b17218
	v_ldexp_f32 v18, v18, v19
	v_cndmask_b32_e32 v18, 0, v18, vcc
	v_mov_b32_e32 v36, 0x7f800000
	v_cmp_nlt_f32_e32 vcc, s11, v17
	s_mov_b32 s11, 0x3f2aaaab
	s_mov_b32 s12, 0x7f800000
	v_cndmask_b32_e32 v17, v36, v18, vcc
	v_add_f32_e32 v20, 1.0, v17
	v_add_f32_e32 v18, -1.0, v20
	v_sub_f32_e32 v19, v18, v20
	v_add_f32_e32 v19, 1.0, v19
	v_sub_f32_e32 v18, v17, v18
	v_add_f32_e32 v21, v18, v19
	v_frexp_mant_f32_e32 v22, v20
	v_cvt_f64_f32_e32 v[18:19], v20
	v_frexp_exp_i32_f64_e32 v18, v[18:19]
	v_cmp_gt_f32_e32 vcc, s11, v22
	s_mov_b32 s11, 0x3f317218
	s_nop 0
	v_subbrev_co_u32_e32 v26, vcc, 0, v18, vcc
	v_sub_u32_e32 v18, 0, v26
	v_ldexp_f32 v19, v20, v18
	v_add_f32_e32 v20, -1.0, v19
	v_add_f32_e32 v22, 1.0, v19
	v_ldexp_f32 v18, v21, v18
	v_add_f32_e32 v21, 1.0, v20
	v_add_f32_e32 v23, -1.0, v22
	v_sub_f32_e32 v21, v19, v21
	v_sub_f32_e32 v19, v19, v23
	v_add_f32_e32 v21, v18, v21
	v_add_f32_e32 v18, v18, v19
	;; [unrolled: 1-line block ×3, first 2 shown]
	v_rcp_f32_e32 v29, v27
	v_sub_f32_e32 v19, v22, v27
	v_add_f32_e32 v28, v18, v19
	v_add_f32_e32 v19, v20, v21
	v_mul_f32_e32 v35, v19, v29
	v_sub_f32_e32 v18, v20, v19
	v_mul_f32_e32 v20, v27, v35
	v_fma_f32 v22, v35, v27, -v20
	v_fmac_f32_e32 v22, v35, v28
	v_add_f32_e32 v34, v21, v18
	v_add_f32_e32 v18, v20, v22
	v_sub_f32_e32 v21, v19, v18
	v_pk_add_f32 v[24:25], v[18:19], v[20:21] neg_lo:[0,1] neg_hi:[0,1]
	v_mov_b32_e32 v23, v18
	v_pk_add_f32 v[18:19], v[24:25], v[22:23] neg_lo:[0,1] neg_hi:[0,1]
	v_cmp_neq_f32_e32 vcc, s12, v17
	v_add_f32_e32 v19, v34, v19
	v_add_f32_e32 v18, v18, v19
	;; [unrolled: 1-line block ×3, first 2 shown]
	v_mul_f32_e32 v34, v29, v19
	v_mul_f32_e32 v20, v27, v34
	v_fma_f32 v22, v34, v27, -v20
	v_fmac_f32_e32 v22, v34, v28
	v_sub_f32_e32 v21, v21, v19
	v_add_f32_e32 v27, v18, v21
	v_add_f32_e32 v18, v20, v22
	v_sub_f32_e32 v21, v19, v18
	v_pk_add_f32 v[24:25], v[18:19], v[20:21] neg_lo:[0,1] neg_hi:[0,1]
	v_mov_b32_e32 v23, v18
	v_pk_add_f32 v[18:19], v[24:25], v[22:23] neg_lo:[0,1] neg_hi:[0,1]
	v_cvt_f32_i32_e32 v20, v26
	v_add_f32_e32 v19, v27, v19
	v_add_f32_e32 v18, v18, v19
	;; [unrolled: 1-line block ×4, first 2 shown]
	v_sub_f32_e32 v19, v21, v35
	v_mul_f32_e32 v18, v29, v18
	v_sub_f32_e32 v19, v34, v19
	v_add_f32_e32 v18, v19, v18
	v_add_f32_e32 v22, v21, v18
	v_mul_f32_e32 v24, v22, v22
	v_mov_b32_e32 v19, 0x3ecc95a3
	v_sub_f32_e32 v21, v22, v21
	v_fmac_f32_e32 v19, 0x3e9b6dac, v24
	v_sub_f32_e32 v18, v18, v21
	v_fmaak_f32 v19, v24, v19, 0x3f2aaada
	v_ldexp_f32 v25, v18, 1
	v_mul_f32_e32 v21, v22, v24
	v_mov_b32_e32 v18, 0x3f317218
	v_pk_mul_f32 v[18:19], v[20:21], v[18:19]
	v_ldexp_f32 v23, v22, 1
	v_fma_f32 v21, v20, s11, -v18
	v_fmamk_f32 v22, v20, 0xb102e308, v21
	v_pk_add_f32 v[20:21], v[18:19], v[22:23]
	v_mov_b32_e32 v24, v18
	v_sub_f32_e32 v23, v21, v23
	v_sub_f32_e32 v23, v19, v23
	v_add_f32_e32 v25, v25, v23
	v_pk_add_f32 v[18:19], v[20:21], v[18:19] neg_lo:[0,1] neg_hi:[0,1]
	v_pk_add_f32 v[26:27], v[20:21], v[24:25]
	v_mov_b32_e32 v23, v20
	v_mov_b32_e32 v19, v27
	v_pk_add_f32 v[28:29], v[22:23], v[18:19] neg_lo:[0,1] neg_hi:[0,1]
	v_pk_add_f32 v[18:19], v[22:23], v[18:19]
	v_mov_b32_e32 v24, v25
	v_pk_add_f32 v[22:23], v[18:19], v[20:21] op_sel:[1,0] op_sel_hi:[0,1] neg_lo:[0,1] neg_hi:[0,1]
	v_pk_add_f32 v[34:35], v[26:27], v[22:23] op_sel_hi:[1,0] neg_lo:[0,1] neg_hi:[0,1]
	v_mov_b32_e32 v26, v27
	v_mov_b32_e32 v27, v19
	v_pk_mov_b32 v[22:23], v[20:21], v[22:23] op_sel:[1,0]
	v_mov_b32_e32 v25, v20
	v_pk_add_f32 v[22:23], v[26:27], v[22:23] neg_lo:[0,1] neg_hi:[0,1]
	v_mov_b32_e32 v34, v28
	v_pk_add_f32 v[20:21], v[24:25], v[22:23] neg_lo:[0,1] neg_hi:[0,1]
	v_mov_b32_e32 v29, v19
	v_pk_add_f32 v[22:23], v[34:35], v[20:21]
	s_mov_b32 s11, 0x33800000
	v_pk_add_f32 v[24:25], v[22:23], v[22:23] op_sel:[0,1] op_sel_hi:[1,0]
	s_nop 0
	v_pk_add_f32 v[18:19], v[18:19], v[24:25] op_sel:[1,0] op_sel_hi:[0,1]
	v_mov_b32_e32 v23, v18
	v_pk_add_f32 v[26:27], v[22:23], v[28:29] neg_lo:[0,1] neg_hi:[0,1]
	v_mov_b32_e32 v21, v24
	v_sub_f32_e32 v19, v22, v26
	v_pk_add_f32 v[20:21], v[20:21], v[26:27] neg_lo:[0,1] neg_hi:[0,1]
	v_sub_f32_e32 v19, v28, v19
	v_add_f32_e32 v19, v20, v19
	v_add_f32_e32 v19, v19, v21
	;; [unrolled: 1-line block ×3, first 2 shown]
	v_cndmask_b32_e32 v18, v36, v18, vcc
	v_cmp_lt_f32_e64 vcc, |v17|, s11
	s_nop 1
	v_cndmask_b32_e32 v17, v18, v17, vcc
	v_add_f32_e32 v18, v16, v17
.LBB438_210:
	s_or_b64 exec, exec, s[8:9]
	v_bfe_u32 v16, v18, 16, 1
	s_movk_i32 s12, 0x7fff
	v_add3_u32 v16, v18, v16, s12
	v_and_b32_e32 v16, 0xffff0000, v16
	v_mov_b32_e32 v17, 0x7fc00000
	v_cmp_o_f32_e32 vcc, v18, v18
	v_lshlrev_b32_sdwa v14, v14, v6 dst_sel:DWORD dst_unused:UNUSED_PAD src0_sel:DWORD src1_sel:WORD_0
	v_cmp_u_f32_e64 s[8:9], v14, v14
	v_cndmask_b32_e32 v19, v17, v16, vcc
	v_max_f32_e32 v18, v19, v19
	v_max_f32_e32 v16, v14, v14
	v_min_f32_e32 v20, v18, v16
	v_cmp_u_f32_e32 vcc, v19, v19
	v_max_f32_e32 v18, v18, v16
	s_nop 0
	v_cndmask_b32_e32 v20, v20, v19, vcc
	v_cndmask_b32_e32 v18, v18, v19, vcc
	v_cndmask_b32_e64 v20, v20, v14, s[8:9]
	v_cndmask_b32_e64 v18, v18, v14, s[8:9]
	v_cmp_neq_f32_e32 vcc, v20, v18
	v_cmp_class_f32_e64 s[10:11], v20, s10
	s_or_b64 s[14:15], vcc, s[10:11]
	s_and_saveexec_b64 s[10:11], s[14:15]
	s_cbranch_execz .LBB438_212
; %bb.211:
	v_sub_f32_e32 v19, v20, v18
	s_mov_b32 s13, 0x3fb8aa3b
	v_mul_f32_e32 v20, 0x3fb8aa3b, v19
	v_fma_f32 v21, v19, s13, -v20
	v_rndne_f32_e32 v22, v20
	v_fmamk_f32 v21, v19, 0x32a5705f, v21
	v_sub_f32_e32 v20, v20, v22
	v_add_f32_e32 v20, v20, v21
	v_exp_f32_e32 v20, v20
	v_cvt_i32_f32_e32 v21, v22
	s_mov_b32 s13, 0xc2ce8ed0
	v_cmp_ngt_f32_e32 vcc, s13, v19
	s_mov_b32 s13, 0x42b17218
	v_ldexp_f32 v20, v20, v21
	v_cndmask_b32_e32 v20, 0, v20, vcc
	v_mov_b32_e32 v38, 0x7f800000
	v_cmp_nlt_f32_e32 vcc, s13, v19
	s_mov_b32 s13, 0x3f2aaaab
	s_mov_b32 s14, 0x7f800000
	v_cndmask_b32_e32 v19, v38, v20, vcc
	v_add_f32_e32 v22, 1.0, v19
	v_add_f32_e32 v20, -1.0, v22
	v_sub_f32_e32 v21, v20, v22
	v_add_f32_e32 v21, 1.0, v21
	v_sub_f32_e32 v20, v19, v20
	v_add_f32_e32 v23, v20, v21
	v_frexp_mant_f32_e32 v24, v22
	v_cvt_f64_f32_e32 v[20:21], v22
	v_frexp_exp_i32_f64_e32 v20, v[20:21]
	v_cmp_gt_f32_e32 vcc, s13, v24
	s_mov_b32 s13, 0x3f317218
	s_nop 0
	v_subbrev_co_u32_e32 v28, vcc, 0, v20, vcc
	v_sub_u32_e32 v20, 0, v28
	v_ldexp_f32 v21, v22, v20
	v_add_f32_e32 v22, -1.0, v21
	v_add_f32_e32 v24, 1.0, v21
	v_ldexp_f32 v20, v23, v20
	v_add_f32_e32 v23, 1.0, v22
	v_add_f32_e32 v25, -1.0, v24
	v_sub_f32_e32 v23, v21, v23
	v_sub_f32_e32 v21, v21, v25
	v_add_f32_e32 v23, v20, v23
	v_add_f32_e32 v20, v20, v21
	;; [unrolled: 1-line block ×3, first 2 shown]
	v_rcp_f32_e32 v35, v29
	v_sub_f32_e32 v21, v24, v29
	v_add_f32_e32 v34, v20, v21
	v_add_f32_e32 v21, v22, v23
	v_mul_f32_e32 v37, v21, v35
	v_sub_f32_e32 v20, v22, v21
	v_mul_f32_e32 v22, v29, v37
	v_fma_f32 v24, v37, v29, -v22
	v_fmac_f32_e32 v24, v37, v34
	v_add_f32_e32 v36, v23, v20
	v_add_f32_e32 v20, v22, v24
	v_sub_f32_e32 v23, v21, v20
	v_pk_add_f32 v[26:27], v[20:21], v[22:23] neg_lo:[0,1] neg_hi:[0,1]
	v_mov_b32_e32 v25, v20
	v_pk_add_f32 v[20:21], v[26:27], v[24:25] neg_lo:[0,1] neg_hi:[0,1]
	v_cmp_neq_f32_e32 vcc, s14, v19
	v_add_f32_e32 v21, v36, v21
	v_add_f32_e32 v20, v20, v21
	;; [unrolled: 1-line block ×3, first 2 shown]
	v_mul_f32_e32 v36, v35, v21
	v_mul_f32_e32 v22, v29, v36
	v_fma_f32 v24, v36, v29, -v22
	v_fmac_f32_e32 v24, v36, v34
	v_sub_f32_e32 v23, v23, v21
	v_add_f32_e32 v29, v20, v23
	v_add_f32_e32 v20, v22, v24
	v_sub_f32_e32 v23, v21, v20
	v_pk_add_f32 v[26:27], v[20:21], v[22:23] neg_lo:[0,1] neg_hi:[0,1]
	v_mov_b32_e32 v25, v20
	v_pk_add_f32 v[20:21], v[26:27], v[24:25] neg_lo:[0,1] neg_hi:[0,1]
	v_cvt_f32_i32_e32 v22, v28
	v_add_f32_e32 v21, v29, v21
	v_add_f32_e32 v20, v20, v21
	;; [unrolled: 1-line block ×4, first 2 shown]
	v_sub_f32_e32 v21, v23, v37
	v_mul_f32_e32 v20, v35, v20
	v_sub_f32_e32 v21, v36, v21
	v_add_f32_e32 v20, v21, v20
	v_add_f32_e32 v24, v23, v20
	v_mul_f32_e32 v26, v24, v24
	v_mov_b32_e32 v21, 0x3ecc95a3
	v_sub_f32_e32 v23, v24, v23
	v_fmac_f32_e32 v21, 0x3e9b6dac, v26
	v_sub_f32_e32 v20, v20, v23
	v_fmaak_f32 v21, v26, v21, 0x3f2aaada
	v_ldexp_f32 v27, v20, 1
	v_mul_f32_e32 v23, v24, v26
	v_mov_b32_e32 v20, 0x3f317218
	v_pk_mul_f32 v[20:21], v[22:23], v[20:21]
	v_ldexp_f32 v25, v24, 1
	v_fma_f32 v23, v22, s13, -v20
	v_fmamk_f32 v24, v22, 0xb102e308, v23
	v_pk_add_f32 v[22:23], v[20:21], v[24:25]
	v_mov_b32_e32 v26, v20
	v_sub_f32_e32 v25, v23, v25
	v_sub_f32_e32 v25, v21, v25
	v_add_f32_e32 v27, v27, v25
	v_pk_add_f32 v[20:21], v[22:23], v[20:21] neg_lo:[0,1] neg_hi:[0,1]
	v_pk_add_f32 v[28:29], v[22:23], v[26:27]
	v_mov_b32_e32 v25, v22
	v_mov_b32_e32 v21, v29
	v_pk_add_f32 v[34:35], v[24:25], v[20:21] neg_lo:[0,1] neg_hi:[0,1]
	v_pk_add_f32 v[20:21], v[24:25], v[20:21]
	v_mov_b32_e32 v26, v27
	v_pk_add_f32 v[24:25], v[20:21], v[22:23] op_sel:[1,0] op_sel_hi:[0,1] neg_lo:[0,1] neg_hi:[0,1]
	v_pk_add_f32 v[36:37], v[28:29], v[24:25] op_sel_hi:[1,0] neg_lo:[0,1] neg_hi:[0,1]
	v_mov_b32_e32 v28, v29
	v_mov_b32_e32 v29, v21
	v_pk_mov_b32 v[24:25], v[22:23], v[24:25] op_sel:[1,0]
	v_mov_b32_e32 v27, v22
	v_pk_add_f32 v[24:25], v[28:29], v[24:25] neg_lo:[0,1] neg_hi:[0,1]
	v_mov_b32_e32 v36, v34
	v_pk_add_f32 v[22:23], v[26:27], v[24:25] neg_lo:[0,1] neg_hi:[0,1]
	v_mov_b32_e32 v35, v21
	v_pk_add_f32 v[24:25], v[36:37], v[22:23]
	s_mov_b32 s13, 0x33800000
	v_pk_add_f32 v[26:27], v[24:25], v[24:25] op_sel:[0,1] op_sel_hi:[1,0]
	s_nop 0
	v_pk_add_f32 v[20:21], v[20:21], v[26:27] op_sel:[1,0] op_sel_hi:[0,1]
	v_mov_b32_e32 v25, v20
	v_pk_add_f32 v[28:29], v[24:25], v[34:35] neg_lo:[0,1] neg_hi:[0,1]
	v_mov_b32_e32 v23, v26
	v_sub_f32_e32 v21, v24, v28
	v_pk_add_f32 v[22:23], v[22:23], v[28:29] neg_lo:[0,1] neg_hi:[0,1]
	v_sub_f32_e32 v21, v34, v21
	v_add_f32_e32 v21, v22, v21
	v_add_f32_e32 v21, v21, v23
	;; [unrolled: 1-line block ×3, first 2 shown]
	v_cndmask_b32_e32 v20, v38, v20, vcc
	v_cmp_lt_f32_e64 vcc, |v19|, s13
	s_nop 1
	v_cndmask_b32_e32 v19, v20, v19, vcc
	v_add_f32_e32 v19, v18, v19
.LBB438_212:
	s_or_b64 exec, exec, s[10:11]
	v_bfe_u32 v18, v19, 16, 1
	v_add3_u32 v18, v19, v18, s12
	v_and_b32_e32 v18, 0xffff0000, v18
	v_cmp_o_f32_e32 vcc, v19, v19
	s_movk_i32 s14, 0x1f8
	s_nop 0
	v_cndmask_b32_e32 v21, v17, v18, vcc
	v_mov_b32_e32 v17, 16
	v_lshlrev_b32_sdwa v6, v17, v6 dst_sel:DWORD dst_unused:UNUSED_PAD src0_sel:DWORD src1_sel:WORD_1
	v_max_f32_e32 v19, v21, v21
	v_max_f32_e32 v18, v6, v6
	v_min_f32_e32 v20, v19, v18
	v_cmp_u_f32_e32 vcc, v21, v21
	v_max_f32_e32 v19, v19, v18
	v_cmp_u_f32_e64 s[10:11], v6, v6
	v_cndmask_b32_e32 v20, v20, v21, vcc
	v_cndmask_b32_e32 v19, v19, v21, vcc
	v_cndmask_b32_e64 v20, v20, v6, s[10:11]
	v_cndmask_b32_e64 v19, v19, v6, s[10:11]
	v_cmp_neq_f32_e32 vcc, v20, v19
	v_cmp_class_f32_e64 s[12:13], v20, s14
	s_or_b64 s[16:17], vcc, s[12:13]
	s_and_saveexec_b64 s[12:13], s[16:17]
	s_cbranch_execz .LBB438_214
; %bb.213:
	v_sub_f32_e32 v20, v20, v19
	s_mov_b32 s15, 0x3fb8aa3b
	v_mul_f32_e32 v21, 0x3fb8aa3b, v20
	v_fma_f32 v22, v20, s15, -v21
	v_rndne_f32_e32 v23, v21
	v_fmamk_f32 v22, v20, 0x32a5705f, v22
	v_sub_f32_e32 v21, v21, v23
	v_add_f32_e32 v21, v21, v22
	v_exp_f32_e32 v21, v21
	v_cvt_i32_f32_e32 v22, v23
	s_mov_b32 s15, 0xc2ce8ed0
	v_cmp_ngt_f32_e32 vcc, s15, v20
	s_mov_b32 s15, 0x42b17218
	v_ldexp_f32 v21, v21, v22
	v_cndmask_b32_e32 v21, 0, v21, vcc
	v_mov_b32_e32 v38, 0x7f800000
	v_cmp_nlt_f32_e32 vcc, s15, v20
	s_mov_b32 s15, 0x3f2aaaab
	s_mov_b32 s16, 0x7f800000
	v_cndmask_b32_e32 v39, v38, v21, vcc
	v_add_f32_e32 v22, 1.0, v39
	v_add_f32_e32 v20, -1.0, v22
	v_sub_f32_e32 v21, v20, v22
	v_add_f32_e32 v21, 1.0, v21
	v_sub_f32_e32 v20, v39, v20
	v_add_f32_e32 v23, v20, v21
	v_frexp_mant_f32_e32 v24, v22
	v_cvt_f64_f32_e32 v[20:21], v22
	v_frexp_exp_i32_f64_e32 v20, v[20:21]
	v_cmp_gt_f32_e32 vcc, s15, v24
	s_mov_b32 s15, 0x3f317218
	s_nop 0
	v_subbrev_co_u32_e32 v28, vcc, 0, v20, vcc
	v_sub_u32_e32 v20, 0, v28
	v_ldexp_f32 v21, v22, v20
	v_add_f32_e32 v22, -1.0, v21
	v_add_f32_e32 v24, 1.0, v21
	v_ldexp_f32 v20, v23, v20
	v_add_f32_e32 v23, 1.0, v22
	v_add_f32_e32 v25, -1.0, v24
	v_sub_f32_e32 v23, v21, v23
	v_sub_f32_e32 v21, v21, v25
	v_add_f32_e32 v23, v20, v23
	v_add_f32_e32 v20, v20, v21
	;; [unrolled: 1-line block ×3, first 2 shown]
	v_rcp_f32_e32 v35, v29
	v_sub_f32_e32 v21, v24, v29
	v_add_f32_e32 v34, v20, v21
	v_add_f32_e32 v21, v22, v23
	v_mul_f32_e32 v37, v21, v35
	v_sub_f32_e32 v20, v22, v21
	v_mul_f32_e32 v22, v29, v37
	v_fma_f32 v24, v37, v29, -v22
	v_fmac_f32_e32 v24, v37, v34
	v_add_f32_e32 v36, v23, v20
	v_add_f32_e32 v20, v22, v24
	v_sub_f32_e32 v23, v21, v20
	v_pk_add_f32 v[26:27], v[20:21], v[22:23] neg_lo:[0,1] neg_hi:[0,1]
	v_mov_b32_e32 v25, v20
	v_pk_add_f32 v[20:21], v[26:27], v[24:25] neg_lo:[0,1] neg_hi:[0,1]
	v_cmp_neq_f32_e32 vcc, s16, v39
	v_add_f32_e32 v21, v36, v21
	v_add_f32_e32 v20, v20, v21
	;; [unrolled: 1-line block ×3, first 2 shown]
	v_mul_f32_e32 v36, v35, v21
	v_mul_f32_e32 v22, v29, v36
	v_fma_f32 v24, v36, v29, -v22
	v_fmac_f32_e32 v24, v36, v34
	v_sub_f32_e32 v23, v23, v21
	v_add_f32_e32 v29, v20, v23
	v_add_f32_e32 v20, v22, v24
	v_sub_f32_e32 v23, v21, v20
	v_pk_add_f32 v[26:27], v[20:21], v[22:23] neg_lo:[0,1] neg_hi:[0,1]
	v_mov_b32_e32 v25, v20
	v_pk_add_f32 v[20:21], v[26:27], v[24:25] neg_lo:[0,1] neg_hi:[0,1]
	v_cvt_f32_i32_e32 v22, v28
	v_add_f32_e32 v21, v29, v21
	v_add_f32_e32 v20, v20, v21
	;; [unrolled: 1-line block ×4, first 2 shown]
	v_sub_f32_e32 v21, v23, v37
	v_mul_f32_e32 v20, v35, v20
	v_sub_f32_e32 v21, v36, v21
	v_add_f32_e32 v20, v21, v20
	v_add_f32_e32 v24, v23, v20
	v_mul_f32_e32 v26, v24, v24
	v_mov_b32_e32 v21, 0x3ecc95a3
	v_sub_f32_e32 v23, v24, v23
	v_fmac_f32_e32 v21, 0x3e9b6dac, v26
	v_sub_f32_e32 v20, v20, v23
	v_fmaak_f32 v21, v26, v21, 0x3f2aaada
	v_ldexp_f32 v27, v20, 1
	v_mul_f32_e32 v23, v24, v26
	v_mov_b32_e32 v20, 0x3f317218
	v_pk_mul_f32 v[20:21], v[22:23], v[20:21]
	v_ldexp_f32 v25, v24, 1
	v_fma_f32 v23, v22, s15, -v20
	v_fmamk_f32 v24, v22, 0xb102e308, v23
	v_pk_add_f32 v[22:23], v[20:21], v[24:25]
	v_mov_b32_e32 v26, v20
	v_sub_f32_e32 v25, v23, v25
	v_sub_f32_e32 v25, v21, v25
	v_add_f32_e32 v27, v27, v25
	v_pk_add_f32 v[20:21], v[22:23], v[20:21] neg_lo:[0,1] neg_hi:[0,1]
	v_pk_add_f32 v[28:29], v[22:23], v[26:27]
	v_mov_b32_e32 v25, v22
	v_mov_b32_e32 v21, v29
	v_pk_add_f32 v[34:35], v[24:25], v[20:21] neg_lo:[0,1] neg_hi:[0,1]
	v_pk_add_f32 v[20:21], v[24:25], v[20:21]
	v_mov_b32_e32 v26, v27
	v_pk_add_f32 v[24:25], v[20:21], v[22:23] op_sel:[1,0] op_sel_hi:[0,1] neg_lo:[0,1] neg_hi:[0,1]
	v_pk_add_f32 v[36:37], v[28:29], v[24:25] op_sel_hi:[1,0] neg_lo:[0,1] neg_hi:[0,1]
	v_mov_b32_e32 v28, v29
	v_mov_b32_e32 v29, v21
	v_pk_mov_b32 v[24:25], v[22:23], v[24:25] op_sel:[1,0]
	v_mov_b32_e32 v27, v22
	v_pk_add_f32 v[24:25], v[28:29], v[24:25] neg_lo:[0,1] neg_hi:[0,1]
	v_mov_b32_e32 v36, v34
	v_pk_add_f32 v[22:23], v[26:27], v[24:25] neg_lo:[0,1] neg_hi:[0,1]
	v_mov_b32_e32 v35, v21
	v_pk_add_f32 v[24:25], v[36:37], v[22:23]
	s_mov_b32 s15, 0x33800000
	v_pk_add_f32 v[26:27], v[24:25], v[24:25] op_sel:[0,1] op_sel_hi:[1,0]
	s_nop 0
	v_pk_add_f32 v[20:21], v[20:21], v[26:27] op_sel:[1,0] op_sel_hi:[0,1]
	v_mov_b32_e32 v25, v20
	v_pk_add_f32 v[28:29], v[24:25], v[34:35] neg_lo:[0,1] neg_hi:[0,1]
	v_mov_b32_e32 v23, v26
	v_sub_f32_e32 v21, v24, v28
	v_pk_add_f32 v[22:23], v[22:23], v[28:29] neg_lo:[0,1] neg_hi:[0,1]
	v_sub_f32_e32 v21, v34, v21
	v_add_f32_e32 v21, v22, v21
	v_add_f32_e32 v21, v21, v23
	;; [unrolled: 1-line block ×3, first 2 shown]
	v_cndmask_b32_e32 v20, v38, v20, vcc
	v_cmp_lt_f32_e64 vcc, |v39|, s15
	s_nop 1
	v_cndmask_b32_e32 v20, v20, v39, vcc
	v_add_f32_e32 v21, v19, v20
.LBB438_214:
	s_or_b64 exec, exec, s[12:13]
	v_bfe_u32 v19, v21, 16, 1
	s_movk_i32 s16, 0x7fff
	v_add3_u32 v19, v21, v19, s16
	v_and_b32_e32 v19, 0xffff0000, v19
	v_mov_b32_e32 v20, 0x7fc00000
	v_cmp_o_f32_e32 vcc, v21, v21
	v_lshlrev_b32_sdwa v17, v17, v7 dst_sel:DWORD dst_unused:UNUSED_PAD src0_sel:DWORD src1_sel:WORD_0
	v_cmp_u_f32_e64 s[12:13], v17, v17
	v_cndmask_b32_e32 v22, v20, v19, vcc
	v_max_f32_e32 v21, v22, v22
	v_max_f32_e32 v19, v17, v17
	v_min_f32_e32 v23, v21, v19
	v_cmp_u_f32_e32 vcc, v22, v22
	v_max_f32_e32 v21, v21, v19
	s_nop 0
	v_cndmask_b32_e32 v23, v23, v22, vcc
	v_cndmask_b32_e32 v21, v21, v22, vcc
	v_cndmask_b32_e64 v23, v23, v17, s[12:13]
	v_cndmask_b32_e64 v21, v21, v17, s[12:13]
	v_cmp_neq_f32_e32 vcc, v23, v21
	v_cmp_class_f32_e64 s[14:15], v23, s14
	s_or_b64 s[18:19], vcc, s[14:15]
	s_and_saveexec_b64 s[14:15], s[18:19]
	s_cbranch_execz .LBB438_216
; %bb.215:
	v_sub_f32_e32 v22, v23, v21
	s_mov_b32 s17, 0x3fb8aa3b
	v_mul_f32_e32 v23, 0x3fb8aa3b, v22
	v_fma_f32 v24, v22, s17, -v23
	v_rndne_f32_e32 v25, v23
	v_fmamk_f32 v24, v22, 0x32a5705f, v24
	v_sub_f32_e32 v23, v23, v25
	v_add_f32_e32 v23, v23, v24
	v_exp_f32_e32 v23, v23
	v_cvt_i32_f32_e32 v24, v25
	s_mov_b32 s17, 0xc2ce8ed0
	v_cmp_ngt_f32_e32 vcc, s17, v22
	s_mov_b32 s17, 0x42b17218
	v_ldexp_f32 v23, v23, v24
	v_cndmask_b32_e32 v23, 0, v23, vcc
	v_mov_b32_e32 v40, 0x7f800000
	v_cmp_nlt_f32_e32 vcc, s17, v22
	s_mov_b32 s17, 0x3f2aaaab
	s_mov_b32 s18, 0x7f800000
	v_cndmask_b32_e32 v41, v40, v23, vcc
	v_add_f32_e32 v24, 1.0, v41
	v_add_f32_e32 v22, -1.0, v24
	v_sub_f32_e32 v23, v22, v24
	v_add_f32_e32 v23, 1.0, v23
	v_sub_f32_e32 v22, v41, v22
	v_add_f32_e32 v25, v22, v23
	v_frexp_mant_f32_e32 v26, v24
	v_cvt_f64_f32_e32 v[22:23], v24
	v_frexp_exp_i32_f64_e32 v22, v[22:23]
	v_cmp_gt_f32_e32 vcc, s17, v26
	s_mov_b32 s17, 0x3f317218
	s_nop 0
	v_subbrev_co_u32_e32 v34, vcc, 0, v22, vcc
	v_sub_u32_e32 v22, 0, v34
	v_ldexp_f32 v23, v24, v22
	v_add_f32_e32 v24, -1.0, v23
	v_add_f32_e32 v26, 1.0, v23
	v_ldexp_f32 v22, v25, v22
	v_add_f32_e32 v25, 1.0, v24
	v_add_f32_e32 v27, -1.0, v26
	v_sub_f32_e32 v25, v23, v25
	v_sub_f32_e32 v23, v23, v27
	v_add_f32_e32 v25, v22, v25
	v_add_f32_e32 v22, v22, v23
	;; [unrolled: 1-line block ×3, first 2 shown]
	v_rcp_f32_e32 v37, v35
	v_sub_f32_e32 v23, v26, v35
	v_add_f32_e32 v36, v22, v23
	v_add_f32_e32 v23, v24, v25
	v_mul_f32_e32 v39, v23, v37
	v_sub_f32_e32 v22, v24, v23
	v_mul_f32_e32 v24, v35, v39
	v_fma_f32 v26, v39, v35, -v24
	v_fmac_f32_e32 v26, v39, v36
	v_add_f32_e32 v38, v25, v22
	v_add_f32_e32 v22, v24, v26
	v_sub_f32_e32 v25, v23, v22
	v_pk_add_f32 v[28:29], v[22:23], v[24:25] neg_lo:[0,1] neg_hi:[0,1]
	v_mov_b32_e32 v27, v22
	v_pk_add_f32 v[22:23], v[28:29], v[26:27] neg_lo:[0,1] neg_hi:[0,1]
	v_cmp_neq_f32_e32 vcc, s18, v41
	v_add_f32_e32 v23, v38, v23
	v_add_f32_e32 v22, v22, v23
	;; [unrolled: 1-line block ×3, first 2 shown]
	v_mul_f32_e32 v38, v37, v23
	v_mul_f32_e32 v24, v35, v38
	v_fma_f32 v26, v38, v35, -v24
	v_fmac_f32_e32 v26, v38, v36
	v_sub_f32_e32 v25, v25, v23
	v_add_f32_e32 v35, v22, v25
	v_add_f32_e32 v22, v24, v26
	v_sub_f32_e32 v25, v23, v22
	v_pk_add_f32 v[28:29], v[22:23], v[24:25] neg_lo:[0,1] neg_hi:[0,1]
	v_mov_b32_e32 v27, v22
	v_pk_add_f32 v[22:23], v[28:29], v[26:27] neg_lo:[0,1] neg_hi:[0,1]
	v_cvt_f32_i32_e32 v24, v34
	v_add_f32_e32 v23, v35, v23
	v_add_f32_e32 v22, v22, v23
	;; [unrolled: 1-line block ×4, first 2 shown]
	v_sub_f32_e32 v23, v25, v39
	v_mul_f32_e32 v22, v37, v22
	v_sub_f32_e32 v23, v38, v23
	v_add_f32_e32 v22, v23, v22
	v_add_f32_e32 v26, v25, v22
	v_mul_f32_e32 v28, v26, v26
	v_mov_b32_e32 v23, 0x3ecc95a3
	v_sub_f32_e32 v25, v26, v25
	v_fmac_f32_e32 v23, 0x3e9b6dac, v28
	v_sub_f32_e32 v22, v22, v25
	v_fmaak_f32 v23, v28, v23, 0x3f2aaada
	v_ldexp_f32 v29, v22, 1
	v_mul_f32_e32 v25, v26, v28
	v_mov_b32_e32 v22, 0x3f317218
	v_pk_mul_f32 v[22:23], v[24:25], v[22:23]
	v_ldexp_f32 v27, v26, 1
	v_fma_f32 v25, v24, s17, -v22
	v_fmamk_f32 v26, v24, 0xb102e308, v25
	v_pk_add_f32 v[24:25], v[22:23], v[26:27]
	v_mov_b32_e32 v28, v22
	v_sub_f32_e32 v27, v25, v27
	v_sub_f32_e32 v27, v23, v27
	v_add_f32_e32 v29, v29, v27
	v_pk_add_f32 v[22:23], v[24:25], v[22:23] neg_lo:[0,1] neg_hi:[0,1]
	v_pk_add_f32 v[34:35], v[24:25], v[28:29]
	v_mov_b32_e32 v27, v24
	v_mov_b32_e32 v23, v35
	v_pk_add_f32 v[36:37], v[26:27], v[22:23] neg_lo:[0,1] neg_hi:[0,1]
	v_pk_add_f32 v[22:23], v[26:27], v[22:23]
	v_mov_b32_e32 v28, v29
	v_pk_add_f32 v[26:27], v[22:23], v[24:25] op_sel:[1,0] op_sel_hi:[0,1] neg_lo:[0,1] neg_hi:[0,1]
	v_pk_add_f32 v[38:39], v[34:35], v[26:27] op_sel_hi:[1,0] neg_lo:[0,1] neg_hi:[0,1]
	v_mov_b32_e32 v34, v35
	v_mov_b32_e32 v35, v23
	v_pk_mov_b32 v[26:27], v[24:25], v[26:27] op_sel:[1,0]
	v_mov_b32_e32 v29, v24
	v_pk_add_f32 v[26:27], v[34:35], v[26:27] neg_lo:[0,1] neg_hi:[0,1]
	v_mov_b32_e32 v38, v36
	v_pk_add_f32 v[24:25], v[28:29], v[26:27] neg_lo:[0,1] neg_hi:[0,1]
	v_mov_b32_e32 v37, v23
	v_pk_add_f32 v[26:27], v[38:39], v[24:25]
	s_mov_b32 s17, 0x33800000
	v_pk_add_f32 v[28:29], v[26:27], v[26:27] op_sel:[0,1] op_sel_hi:[1,0]
	s_nop 0
	v_pk_add_f32 v[22:23], v[22:23], v[28:29] op_sel:[1,0] op_sel_hi:[0,1]
	v_mov_b32_e32 v27, v22
	v_pk_add_f32 v[34:35], v[26:27], v[36:37] neg_lo:[0,1] neg_hi:[0,1]
	v_mov_b32_e32 v25, v28
	v_sub_f32_e32 v23, v26, v34
	v_pk_add_f32 v[24:25], v[24:25], v[34:35] neg_lo:[0,1] neg_hi:[0,1]
	v_sub_f32_e32 v23, v36, v23
	v_add_f32_e32 v23, v24, v23
	v_add_f32_e32 v23, v23, v25
	;; [unrolled: 1-line block ×3, first 2 shown]
	v_cndmask_b32_e32 v22, v40, v22, vcc
	v_cmp_lt_f32_e64 vcc, |v41|, s17
	s_nop 1
	v_cndmask_b32_e32 v22, v22, v41, vcc
	v_add_f32_e32 v22, v21, v22
.LBB438_216:
	s_or_b64 exec, exec, s[14:15]
	v_bfe_u32 v21, v22, 16, 1
	v_add3_u32 v21, v22, v21, s16
	v_and_b32_e32 v21, 0xffff0000, v21
	v_cmp_o_f32_e32 vcc, v22, v22
	s_movk_i32 s18, 0x1f8
	s_nop 0
	v_cndmask_b32_e32 v24, v20, v21, vcc
	v_mov_b32_e32 v20, 16
	v_lshlrev_b32_sdwa v7, v20, v7 dst_sel:DWORD dst_unused:UNUSED_PAD src0_sel:DWORD src1_sel:WORD_1
	v_max_f32_e32 v22, v24, v24
	v_max_f32_e32 v21, v7, v7
	v_min_f32_e32 v23, v22, v21
	v_cmp_u_f32_e32 vcc, v24, v24
	v_max_f32_e32 v22, v22, v21
	v_cmp_u_f32_e64 s[14:15], v7, v7
	v_cndmask_b32_e32 v23, v23, v24, vcc
	v_cndmask_b32_e32 v22, v22, v24, vcc
	v_cndmask_b32_e64 v23, v23, v7, s[14:15]
	v_cndmask_b32_e64 v22, v22, v7, s[14:15]
	v_cmp_neq_f32_e32 vcc, v23, v22
	v_cmp_class_f32_e64 s[16:17], v23, s18
	s_or_b64 s[20:21], vcc, s[16:17]
	s_and_saveexec_b64 s[16:17], s[20:21]
	s_cbranch_execz .LBB438_218
; %bb.217:
	v_sub_f32_e32 v23, v23, v22
	s_mov_b32 s19, 0x3fb8aa3b
	v_mul_f32_e32 v24, 0x3fb8aa3b, v23
	v_fma_f32 v25, v23, s19, -v24
	v_rndne_f32_e32 v26, v24
	v_fmamk_f32 v25, v23, 0x32a5705f, v25
	v_sub_f32_e32 v24, v24, v26
	v_add_f32_e32 v24, v24, v25
	v_exp_f32_e32 v24, v24
	v_cvt_i32_f32_e32 v25, v26
	s_mov_b32 s19, 0xc2ce8ed0
	v_cmp_ngt_f32_e32 vcc, s19, v23
	s_mov_b32 s19, 0x42b17218
	v_ldexp_f32 v24, v24, v25
	v_cndmask_b32_e32 v24, 0, v24, vcc
	v_mov_b32_e32 v42, 0x7f800000
	v_cmp_nlt_f32_e32 vcc, s19, v23
	s_mov_b32 s19, 0x3f2aaaab
	s_mov_b32 s20, 0x7f800000
	v_cndmask_b32_e32 v23, v42, v24, vcc
	v_add_f32_e32 v26, 1.0, v23
	v_add_f32_e32 v24, -1.0, v26
	v_sub_f32_e32 v25, v24, v26
	v_add_f32_e32 v25, 1.0, v25
	v_sub_f32_e32 v24, v23, v24
	v_add_f32_e32 v27, v24, v25
	v_frexp_mant_f32_e32 v28, v26
	v_cvt_f64_f32_e32 v[24:25], v26
	v_frexp_exp_i32_f64_e32 v24, v[24:25]
	v_cmp_gt_f32_e32 vcc, s19, v28
	s_mov_b32 s19, 0x3f317218
	s_nop 0
	v_subbrev_co_u32_e32 v36, vcc, 0, v24, vcc
	v_sub_u32_e32 v24, 0, v36
	v_ldexp_f32 v25, v26, v24
	v_add_f32_e32 v26, -1.0, v25
	v_add_f32_e32 v28, 1.0, v25
	v_ldexp_f32 v24, v27, v24
	v_add_f32_e32 v27, 1.0, v26
	v_add_f32_e32 v29, -1.0, v28
	v_sub_f32_e32 v27, v25, v27
	v_sub_f32_e32 v25, v25, v29
	v_add_f32_e32 v27, v24, v27
	v_add_f32_e32 v24, v24, v25
	;; [unrolled: 1-line block ×3, first 2 shown]
	v_rcp_f32_e32 v39, v37
	v_sub_f32_e32 v25, v28, v37
	v_add_f32_e32 v38, v24, v25
	v_add_f32_e32 v25, v26, v27
	v_mul_f32_e32 v41, v25, v39
	v_sub_f32_e32 v24, v26, v25
	v_mul_f32_e32 v26, v37, v41
	v_fma_f32 v28, v41, v37, -v26
	v_fmac_f32_e32 v28, v41, v38
	v_add_f32_e32 v40, v27, v24
	v_add_f32_e32 v24, v26, v28
	v_sub_f32_e32 v27, v25, v24
	v_pk_add_f32 v[34:35], v[24:25], v[26:27] neg_lo:[0,1] neg_hi:[0,1]
	v_mov_b32_e32 v29, v24
	v_pk_add_f32 v[24:25], v[34:35], v[28:29] neg_lo:[0,1] neg_hi:[0,1]
	v_cmp_neq_f32_e32 vcc, s20, v23
	v_add_f32_e32 v25, v40, v25
	v_add_f32_e32 v24, v24, v25
	;; [unrolled: 1-line block ×3, first 2 shown]
	v_mul_f32_e32 v40, v39, v25
	v_mul_f32_e32 v26, v37, v40
	v_fma_f32 v28, v40, v37, -v26
	v_fmac_f32_e32 v28, v40, v38
	v_sub_f32_e32 v27, v27, v25
	v_add_f32_e32 v37, v24, v27
	v_add_f32_e32 v24, v26, v28
	v_sub_f32_e32 v27, v25, v24
	v_pk_add_f32 v[34:35], v[24:25], v[26:27] neg_lo:[0,1] neg_hi:[0,1]
	v_mov_b32_e32 v29, v24
	v_pk_add_f32 v[24:25], v[34:35], v[28:29] neg_lo:[0,1] neg_hi:[0,1]
	v_cvt_f32_i32_e32 v26, v36
	v_add_f32_e32 v25, v37, v25
	v_add_f32_e32 v24, v24, v25
	;; [unrolled: 1-line block ×4, first 2 shown]
	v_sub_f32_e32 v25, v27, v41
	v_mul_f32_e32 v24, v39, v24
	v_sub_f32_e32 v25, v40, v25
	v_add_f32_e32 v24, v25, v24
	v_add_f32_e32 v28, v27, v24
	v_mul_f32_e32 v34, v28, v28
	v_mov_b32_e32 v25, 0x3ecc95a3
	v_sub_f32_e32 v27, v28, v27
	v_fmac_f32_e32 v25, 0x3e9b6dac, v34
	v_sub_f32_e32 v24, v24, v27
	v_fmaak_f32 v25, v34, v25, 0x3f2aaada
	v_ldexp_f32 v35, v24, 1
	v_mul_f32_e32 v27, v28, v34
	v_mov_b32_e32 v24, 0x3f317218
	v_pk_mul_f32 v[24:25], v[26:27], v[24:25]
	v_ldexp_f32 v29, v28, 1
	v_fma_f32 v27, v26, s19, -v24
	v_fmamk_f32 v28, v26, 0xb102e308, v27
	v_pk_add_f32 v[26:27], v[24:25], v[28:29]
	v_mov_b32_e32 v34, v24
	v_sub_f32_e32 v29, v27, v29
	v_sub_f32_e32 v29, v25, v29
	v_add_f32_e32 v35, v35, v29
	v_pk_add_f32 v[24:25], v[26:27], v[24:25] neg_lo:[0,1] neg_hi:[0,1]
	v_pk_add_f32 v[36:37], v[26:27], v[34:35]
	v_mov_b32_e32 v29, v26
	v_mov_b32_e32 v25, v37
	v_pk_add_f32 v[38:39], v[28:29], v[24:25] neg_lo:[0,1] neg_hi:[0,1]
	v_pk_add_f32 v[24:25], v[28:29], v[24:25]
	v_mov_b32_e32 v34, v35
	v_pk_add_f32 v[28:29], v[24:25], v[26:27] op_sel:[1,0] op_sel_hi:[0,1] neg_lo:[0,1] neg_hi:[0,1]
	v_pk_add_f32 v[40:41], v[36:37], v[28:29] op_sel_hi:[1,0] neg_lo:[0,1] neg_hi:[0,1]
	v_mov_b32_e32 v36, v37
	v_mov_b32_e32 v37, v25
	v_pk_mov_b32 v[28:29], v[26:27], v[28:29] op_sel:[1,0]
	v_mov_b32_e32 v35, v26
	v_pk_add_f32 v[28:29], v[36:37], v[28:29] neg_lo:[0,1] neg_hi:[0,1]
	v_mov_b32_e32 v40, v38
	v_pk_add_f32 v[26:27], v[34:35], v[28:29] neg_lo:[0,1] neg_hi:[0,1]
	v_mov_b32_e32 v39, v25
	v_pk_add_f32 v[28:29], v[40:41], v[26:27]
	s_mov_b32 s19, 0x33800000
	v_pk_add_f32 v[34:35], v[28:29], v[28:29] op_sel:[0,1] op_sel_hi:[1,0]
	s_nop 0
	v_pk_add_f32 v[24:25], v[24:25], v[34:35] op_sel:[1,0] op_sel_hi:[0,1]
	v_mov_b32_e32 v29, v24
	v_pk_add_f32 v[36:37], v[28:29], v[38:39] neg_lo:[0,1] neg_hi:[0,1]
	v_mov_b32_e32 v27, v34
	v_sub_f32_e32 v25, v28, v36
	v_pk_add_f32 v[26:27], v[26:27], v[36:37] neg_lo:[0,1] neg_hi:[0,1]
	v_sub_f32_e32 v25, v38, v25
	v_add_f32_e32 v25, v26, v25
	v_add_f32_e32 v25, v25, v27
	;; [unrolled: 1-line block ×3, first 2 shown]
	v_cndmask_b32_e32 v24, v42, v24, vcc
	v_cmp_lt_f32_e64 vcc, |v23|, s19
	s_nop 1
	v_cndmask_b32_e32 v23, v24, v23, vcc
	v_add_f32_e32 v24, v22, v23
.LBB438_218:
	s_or_b64 exec, exec, s[16:17]
	v_bfe_u32 v22, v24, 16, 1
	s_movk_i32 s20, 0x7fff
	v_add3_u32 v22, v24, v22, s20
	v_and_b32_e32 v22, 0xffff0000, v22
	v_mov_b32_e32 v23, 0x7fc00000
	v_cmp_o_f32_e32 vcc, v24, v24
	v_lshlrev_b32_sdwa v20, v20, v4 dst_sel:DWORD dst_unused:UNUSED_PAD src0_sel:DWORD src1_sel:WORD_0
	v_cmp_u_f32_e64 s[16:17], v20, v20
	v_cndmask_b32_e32 v25, v23, v22, vcc
	v_max_f32_e32 v24, v25, v25
	v_max_f32_e32 v22, v20, v20
	v_min_f32_e32 v26, v24, v22
	v_cmp_u_f32_e32 vcc, v25, v25
	v_max_f32_e32 v24, v24, v22
	s_nop 0
	v_cndmask_b32_e32 v26, v26, v25, vcc
	v_cndmask_b32_e32 v24, v24, v25, vcc
	v_cndmask_b32_e64 v26, v26, v20, s[16:17]
	v_cndmask_b32_e64 v24, v24, v20, s[16:17]
	v_cmp_neq_f32_e32 vcc, v26, v24
	v_cmp_class_f32_e64 s[18:19], v26, s18
	s_or_b64 s[22:23], vcc, s[18:19]
	s_and_saveexec_b64 s[18:19], s[22:23]
	s_cbranch_execz .LBB438_220
; %bb.219:
	v_sub_f32_e32 v25, v26, v24
	s_mov_b32 s21, 0x3fb8aa3b
	v_mul_f32_e32 v26, 0x3fb8aa3b, v25
	v_fma_f32 v27, v25, s21, -v26
	v_rndne_f32_e32 v28, v26
	v_fmamk_f32 v27, v25, 0x32a5705f, v27
	v_sub_f32_e32 v26, v26, v28
	v_add_f32_e32 v26, v26, v27
	v_exp_f32_e32 v26, v26
	v_cvt_i32_f32_e32 v27, v28
	s_mov_b32 s21, 0xc2ce8ed0
	v_cmp_ngt_f32_e32 vcc, s21, v25
	s_mov_b32 s21, 0x42b17218
	v_ldexp_f32 v26, v26, v27
	v_cndmask_b32_e32 v26, 0, v26, vcc
	v_mov_b32_e32 v44, 0x7f800000
	v_cmp_nlt_f32_e32 vcc, s21, v25
	s_mov_b32 s21, 0x3f2aaaab
	s_mov_b32 s22, 0x7f800000
	v_cndmask_b32_e32 v25, v44, v26, vcc
	v_add_f32_e32 v28, 1.0, v25
	v_add_f32_e32 v26, -1.0, v28
	v_sub_f32_e32 v27, v26, v28
	v_add_f32_e32 v27, 1.0, v27
	v_sub_f32_e32 v26, v25, v26
	v_add_f32_e32 v29, v26, v27
	v_frexp_mant_f32_e32 v34, v28
	v_cvt_f64_f32_e32 v[26:27], v28
	v_frexp_exp_i32_f64_e32 v26, v[26:27]
	v_cmp_gt_f32_e32 vcc, s21, v34
	s_mov_b32 s21, 0x3f317218
	s_nop 0
	v_subbrev_co_u32_e32 v38, vcc, 0, v26, vcc
	v_sub_u32_e32 v26, 0, v38
	v_ldexp_f32 v27, v28, v26
	v_add_f32_e32 v28, -1.0, v27
	v_add_f32_e32 v34, 1.0, v27
	v_ldexp_f32 v26, v29, v26
	v_add_f32_e32 v29, 1.0, v28
	v_add_f32_e32 v35, -1.0, v34
	v_sub_f32_e32 v29, v27, v29
	v_sub_f32_e32 v27, v27, v35
	v_add_f32_e32 v29, v26, v29
	v_add_f32_e32 v26, v26, v27
	v_add_f32_e32 v39, v34, v26
	v_rcp_f32_e32 v41, v39
	v_sub_f32_e32 v27, v34, v39
	v_add_f32_e32 v40, v26, v27
	v_add_f32_e32 v27, v28, v29
	v_mul_f32_e32 v43, v27, v41
	v_sub_f32_e32 v26, v28, v27
	v_mul_f32_e32 v28, v39, v43
	v_fma_f32 v34, v43, v39, -v28
	v_fmac_f32_e32 v34, v43, v40
	v_add_f32_e32 v42, v29, v26
	v_add_f32_e32 v26, v28, v34
	v_sub_f32_e32 v29, v27, v26
	v_pk_add_f32 v[36:37], v[26:27], v[28:29] neg_lo:[0,1] neg_hi:[0,1]
	v_mov_b32_e32 v35, v26
	v_pk_add_f32 v[26:27], v[36:37], v[34:35] neg_lo:[0,1] neg_hi:[0,1]
	v_cmp_neq_f32_e32 vcc, s22, v25
	v_add_f32_e32 v27, v42, v27
	v_add_f32_e32 v26, v26, v27
	;; [unrolled: 1-line block ×3, first 2 shown]
	v_mul_f32_e32 v42, v41, v27
	v_mul_f32_e32 v28, v39, v42
	v_fma_f32 v34, v42, v39, -v28
	v_fmac_f32_e32 v34, v42, v40
	v_sub_f32_e32 v29, v29, v27
	v_add_f32_e32 v39, v26, v29
	v_add_f32_e32 v26, v28, v34
	v_sub_f32_e32 v29, v27, v26
	v_pk_add_f32 v[36:37], v[26:27], v[28:29] neg_lo:[0,1] neg_hi:[0,1]
	v_mov_b32_e32 v35, v26
	v_pk_add_f32 v[26:27], v[36:37], v[34:35] neg_lo:[0,1] neg_hi:[0,1]
	v_cvt_f32_i32_e32 v28, v38
	v_add_f32_e32 v27, v39, v27
	v_add_f32_e32 v26, v26, v27
	;; [unrolled: 1-line block ×4, first 2 shown]
	v_sub_f32_e32 v27, v29, v43
	v_mul_f32_e32 v26, v41, v26
	v_sub_f32_e32 v27, v42, v27
	v_add_f32_e32 v26, v27, v26
	v_add_f32_e32 v34, v29, v26
	v_mul_f32_e32 v36, v34, v34
	v_mov_b32_e32 v27, 0x3ecc95a3
	v_sub_f32_e32 v29, v34, v29
	v_fmac_f32_e32 v27, 0x3e9b6dac, v36
	v_sub_f32_e32 v26, v26, v29
	v_fmaak_f32 v27, v36, v27, 0x3f2aaada
	v_ldexp_f32 v37, v26, 1
	v_mul_f32_e32 v29, v34, v36
	v_mov_b32_e32 v26, 0x3f317218
	v_pk_mul_f32 v[26:27], v[28:29], v[26:27]
	v_ldexp_f32 v35, v34, 1
	v_fma_f32 v29, v28, s21, -v26
	v_fmamk_f32 v34, v28, 0xb102e308, v29
	v_pk_add_f32 v[28:29], v[26:27], v[34:35]
	v_mov_b32_e32 v36, v26
	v_sub_f32_e32 v35, v29, v35
	v_sub_f32_e32 v35, v27, v35
	v_add_f32_e32 v37, v37, v35
	v_pk_add_f32 v[26:27], v[28:29], v[26:27] neg_lo:[0,1] neg_hi:[0,1]
	v_pk_add_f32 v[38:39], v[28:29], v[36:37]
	v_mov_b32_e32 v35, v28
	v_mov_b32_e32 v27, v39
	v_pk_add_f32 v[40:41], v[34:35], v[26:27] neg_lo:[0,1] neg_hi:[0,1]
	v_pk_add_f32 v[26:27], v[34:35], v[26:27]
	v_mov_b32_e32 v36, v37
	v_pk_add_f32 v[34:35], v[26:27], v[28:29] op_sel:[1,0] op_sel_hi:[0,1] neg_lo:[0,1] neg_hi:[0,1]
	v_pk_add_f32 v[42:43], v[38:39], v[34:35] op_sel_hi:[1,0] neg_lo:[0,1] neg_hi:[0,1]
	v_mov_b32_e32 v38, v39
	v_mov_b32_e32 v39, v27
	v_pk_mov_b32 v[34:35], v[28:29], v[34:35] op_sel:[1,0]
	v_mov_b32_e32 v37, v28
	v_pk_add_f32 v[34:35], v[38:39], v[34:35] neg_lo:[0,1] neg_hi:[0,1]
	v_mov_b32_e32 v42, v40
	v_pk_add_f32 v[28:29], v[36:37], v[34:35] neg_lo:[0,1] neg_hi:[0,1]
	v_mov_b32_e32 v41, v27
	v_pk_add_f32 v[34:35], v[42:43], v[28:29]
	s_mov_b32 s21, 0x33800000
	v_pk_add_f32 v[36:37], v[34:35], v[34:35] op_sel:[0,1] op_sel_hi:[1,0]
	s_nop 0
	v_pk_add_f32 v[26:27], v[26:27], v[36:37] op_sel:[1,0] op_sel_hi:[0,1]
	v_mov_b32_e32 v35, v26
	v_pk_add_f32 v[38:39], v[34:35], v[40:41] neg_lo:[0,1] neg_hi:[0,1]
	v_mov_b32_e32 v29, v36
	v_sub_f32_e32 v27, v34, v38
	v_pk_add_f32 v[28:29], v[28:29], v[38:39] neg_lo:[0,1] neg_hi:[0,1]
	v_sub_f32_e32 v27, v40, v27
	v_add_f32_e32 v27, v28, v27
	v_add_f32_e32 v27, v27, v29
	;; [unrolled: 1-line block ×3, first 2 shown]
	v_cndmask_b32_e32 v26, v44, v26, vcc
	v_cmp_lt_f32_e64 vcc, |v25|, s21
	s_nop 1
	v_cndmask_b32_e32 v25, v26, v25, vcc
	v_add_f32_e32 v25, v24, v25
.LBB438_220:
	s_or_b64 exec, exec, s[18:19]
	v_bfe_u32 v24, v25, 16, 1
	v_add3_u32 v24, v25, v24, s20
	v_and_b32_e32 v24, 0xffff0000, v24
	v_cmp_o_f32_e32 vcc, v25, v25
	s_movk_i32 s22, 0x1f8
	s_nop 0
	v_cndmask_b32_e32 v27, v23, v24, vcc
	v_mov_b32_e32 v23, 16
	v_lshlrev_b32_sdwa v4, v23, v4 dst_sel:DWORD dst_unused:UNUSED_PAD src0_sel:DWORD src1_sel:WORD_1
	v_max_f32_e32 v25, v27, v27
	v_max_f32_e32 v24, v4, v4
	v_min_f32_e32 v26, v25, v24
	v_cmp_u_f32_e32 vcc, v27, v27
	v_max_f32_e32 v25, v25, v24
	v_cmp_u_f32_e64 s[18:19], v4, v4
	v_cndmask_b32_e32 v26, v26, v27, vcc
	v_cndmask_b32_e32 v25, v25, v27, vcc
	v_cndmask_b32_e64 v26, v26, v4, s[18:19]
	v_cndmask_b32_e64 v25, v25, v4, s[18:19]
	v_cmp_neq_f32_e32 vcc, v26, v25
	v_cmp_class_f32_e64 s[20:21], v26, s22
	s_or_b64 s[24:25], vcc, s[20:21]
	s_and_saveexec_b64 s[20:21], s[24:25]
	s_cbranch_execz .LBB438_222
; %bb.221:
	v_sub_f32_e32 v26, v26, v25
	s_mov_b32 s23, 0x3fb8aa3b
	v_mul_f32_e32 v27, 0x3fb8aa3b, v26
	v_fma_f32 v28, v26, s23, -v27
	v_rndne_f32_e32 v29, v27
	v_fmamk_f32 v28, v26, 0x32a5705f, v28
	v_sub_f32_e32 v27, v27, v29
	v_add_f32_e32 v27, v27, v28
	v_exp_f32_e32 v27, v27
	v_cvt_i32_f32_e32 v28, v29
	s_mov_b32 s23, 0xc2ce8ed0
	v_cmp_ngt_f32_e32 vcc, s23, v26
	s_mov_b32 s23, 0x42b17218
	v_ldexp_f32 v27, v27, v28
	v_cndmask_b32_e32 v27, 0, v27, vcc
	v_mov_b32_e32 v44, 0x7f800000
	v_cmp_nlt_f32_e32 vcc, s23, v26
	s_mov_b32 s23, 0x3f2aaaab
	s_mov_b32 s24, 0x7f800000
	v_cndmask_b32_e32 v45, v44, v27, vcc
	v_add_f32_e32 v28, 1.0, v45
	v_add_f32_e32 v26, -1.0, v28
	v_sub_f32_e32 v27, v26, v28
	v_add_f32_e32 v27, 1.0, v27
	v_sub_f32_e32 v26, v45, v26
	v_add_f32_e32 v29, v26, v27
	v_frexp_mant_f32_e32 v34, v28
	v_cvt_f64_f32_e32 v[26:27], v28
	v_frexp_exp_i32_f64_e32 v26, v[26:27]
	v_cmp_gt_f32_e32 vcc, s23, v34
	s_mov_b32 s23, 0x3f317218
	s_nop 0
	v_subbrev_co_u32_e32 v38, vcc, 0, v26, vcc
	v_sub_u32_e32 v26, 0, v38
	v_ldexp_f32 v27, v28, v26
	v_add_f32_e32 v28, -1.0, v27
	v_add_f32_e32 v34, 1.0, v27
	v_ldexp_f32 v26, v29, v26
	v_add_f32_e32 v29, 1.0, v28
	v_add_f32_e32 v35, -1.0, v34
	v_sub_f32_e32 v29, v27, v29
	v_sub_f32_e32 v27, v27, v35
	v_add_f32_e32 v29, v26, v29
	v_add_f32_e32 v26, v26, v27
	;; [unrolled: 1-line block ×3, first 2 shown]
	v_rcp_f32_e32 v41, v39
	v_sub_f32_e32 v27, v34, v39
	v_add_f32_e32 v40, v26, v27
	v_add_f32_e32 v27, v28, v29
	v_mul_f32_e32 v43, v27, v41
	v_sub_f32_e32 v26, v28, v27
	v_mul_f32_e32 v28, v39, v43
	v_fma_f32 v34, v43, v39, -v28
	v_fmac_f32_e32 v34, v43, v40
	v_add_f32_e32 v42, v29, v26
	v_add_f32_e32 v26, v28, v34
	v_sub_f32_e32 v29, v27, v26
	v_pk_add_f32 v[36:37], v[26:27], v[28:29] neg_lo:[0,1] neg_hi:[0,1]
	v_mov_b32_e32 v35, v26
	v_pk_add_f32 v[26:27], v[36:37], v[34:35] neg_lo:[0,1] neg_hi:[0,1]
	v_cmp_neq_f32_e32 vcc, s24, v45
	v_add_f32_e32 v27, v42, v27
	v_add_f32_e32 v26, v26, v27
	;; [unrolled: 1-line block ×3, first 2 shown]
	v_mul_f32_e32 v42, v41, v27
	v_mul_f32_e32 v28, v39, v42
	v_fma_f32 v34, v42, v39, -v28
	v_fmac_f32_e32 v34, v42, v40
	v_sub_f32_e32 v29, v29, v27
	v_add_f32_e32 v39, v26, v29
	v_add_f32_e32 v26, v28, v34
	v_sub_f32_e32 v29, v27, v26
	v_pk_add_f32 v[36:37], v[26:27], v[28:29] neg_lo:[0,1] neg_hi:[0,1]
	v_mov_b32_e32 v35, v26
	v_pk_add_f32 v[26:27], v[36:37], v[34:35] neg_lo:[0,1] neg_hi:[0,1]
	v_cvt_f32_i32_e32 v28, v38
	v_add_f32_e32 v27, v39, v27
	v_add_f32_e32 v26, v26, v27
	;; [unrolled: 1-line block ×4, first 2 shown]
	v_sub_f32_e32 v27, v29, v43
	v_mul_f32_e32 v26, v41, v26
	v_sub_f32_e32 v27, v42, v27
	v_add_f32_e32 v26, v27, v26
	v_add_f32_e32 v34, v29, v26
	v_mul_f32_e32 v36, v34, v34
	v_mov_b32_e32 v27, 0x3ecc95a3
	v_sub_f32_e32 v29, v34, v29
	v_fmac_f32_e32 v27, 0x3e9b6dac, v36
	v_sub_f32_e32 v26, v26, v29
	v_fmaak_f32 v27, v36, v27, 0x3f2aaada
	v_ldexp_f32 v37, v26, 1
	v_mul_f32_e32 v29, v34, v36
	v_mov_b32_e32 v26, 0x3f317218
	v_pk_mul_f32 v[26:27], v[28:29], v[26:27]
	v_ldexp_f32 v35, v34, 1
	v_fma_f32 v29, v28, s23, -v26
	v_fmamk_f32 v34, v28, 0xb102e308, v29
	v_pk_add_f32 v[28:29], v[26:27], v[34:35]
	v_mov_b32_e32 v36, v26
	v_sub_f32_e32 v35, v29, v35
	v_sub_f32_e32 v35, v27, v35
	v_add_f32_e32 v37, v37, v35
	v_pk_add_f32 v[26:27], v[28:29], v[26:27] neg_lo:[0,1] neg_hi:[0,1]
	v_pk_add_f32 v[38:39], v[28:29], v[36:37]
	v_mov_b32_e32 v35, v28
	v_mov_b32_e32 v27, v39
	v_pk_add_f32 v[40:41], v[34:35], v[26:27] neg_lo:[0,1] neg_hi:[0,1]
	v_pk_add_f32 v[26:27], v[34:35], v[26:27]
	v_mov_b32_e32 v36, v37
	v_pk_add_f32 v[34:35], v[26:27], v[28:29] op_sel:[1,0] op_sel_hi:[0,1] neg_lo:[0,1] neg_hi:[0,1]
	v_pk_add_f32 v[42:43], v[38:39], v[34:35] op_sel_hi:[1,0] neg_lo:[0,1] neg_hi:[0,1]
	v_mov_b32_e32 v38, v39
	v_mov_b32_e32 v39, v27
	v_pk_mov_b32 v[34:35], v[28:29], v[34:35] op_sel:[1,0]
	v_mov_b32_e32 v37, v28
	v_pk_add_f32 v[34:35], v[38:39], v[34:35] neg_lo:[0,1] neg_hi:[0,1]
	v_mov_b32_e32 v42, v40
	v_pk_add_f32 v[28:29], v[36:37], v[34:35] neg_lo:[0,1] neg_hi:[0,1]
	v_mov_b32_e32 v41, v27
	v_pk_add_f32 v[34:35], v[42:43], v[28:29]
	s_mov_b32 s23, 0x33800000
	v_pk_add_f32 v[36:37], v[34:35], v[34:35] op_sel:[0,1] op_sel_hi:[1,0]
	s_nop 0
	v_pk_add_f32 v[26:27], v[26:27], v[36:37] op_sel:[1,0] op_sel_hi:[0,1]
	v_mov_b32_e32 v35, v26
	v_pk_add_f32 v[38:39], v[34:35], v[40:41] neg_lo:[0,1] neg_hi:[0,1]
	v_mov_b32_e32 v29, v36
	v_sub_f32_e32 v27, v34, v38
	v_pk_add_f32 v[28:29], v[28:29], v[38:39] neg_lo:[0,1] neg_hi:[0,1]
	v_sub_f32_e32 v27, v40, v27
	v_add_f32_e32 v27, v28, v27
	v_add_f32_e32 v27, v27, v29
	;; [unrolled: 1-line block ×3, first 2 shown]
	v_cndmask_b32_e32 v26, v44, v26, vcc
	v_cmp_lt_f32_e64 vcc, |v45|, s23
	s_nop 1
	v_cndmask_b32_e32 v26, v26, v45, vcc
	v_add_f32_e32 v27, v25, v26
.LBB438_222:
	s_or_b64 exec, exec, s[20:21]
	v_bfe_u32 v25, v27, 16, 1
	s_movk_i32 s24, 0x7fff
	v_add3_u32 v25, v27, v25, s24
	v_and_b32_e32 v25, 0xffff0000, v25
	v_mov_b32_e32 v26, 0x7fc00000
	v_cmp_o_f32_e32 vcc, v27, v27
	v_lshlrev_b32_sdwa v23, v23, v5 dst_sel:DWORD dst_unused:UNUSED_PAD src0_sel:DWORD src1_sel:WORD_0
	v_cmp_u_f32_e64 s[20:21], v23, v23
	v_cndmask_b32_e32 v28, v26, v25, vcc
	v_max_f32_e32 v27, v28, v28
	v_max_f32_e32 v25, v23, v23
	v_min_f32_e32 v29, v27, v25
	v_cmp_u_f32_e32 vcc, v28, v28
	v_max_f32_e32 v27, v27, v25
	s_nop 0
	v_cndmask_b32_e32 v29, v29, v28, vcc
	v_cndmask_b32_e32 v27, v27, v28, vcc
	v_cndmask_b32_e64 v29, v29, v23, s[20:21]
	v_cndmask_b32_e64 v27, v27, v23, s[20:21]
	v_cmp_neq_f32_e32 vcc, v29, v27
	v_cmp_class_f32_e64 s[22:23], v29, s22
	s_or_b64 s[26:27], vcc, s[22:23]
	s_and_saveexec_b64 s[22:23], s[26:27]
	s_cbranch_execz .LBB438_224
; %bb.223:
	v_sub_f32_e32 v28, v29, v27
	s_mov_b32 s25, 0x3fb8aa3b
	v_mul_f32_e32 v29, 0x3fb8aa3b, v28
	v_fma_f32 v34, v28, s25, -v29
	v_rndne_f32_e32 v35, v29
	v_fmamk_f32 v34, v28, 0x32a5705f, v34
	v_sub_f32_e32 v29, v29, v35
	v_add_f32_e32 v29, v29, v34
	v_exp_f32_e32 v29, v29
	v_cvt_i32_f32_e32 v34, v35
	s_mov_b32 s25, 0xc2ce8ed0
	v_cmp_ngt_f32_e32 vcc, s25, v28
	s_mov_b32 s25, 0x42b17218
	v_ldexp_f32 v29, v29, v34
	v_cndmask_b32_e32 v29, 0, v29, vcc
	v_mov_b32_e32 v46, 0x7f800000
	v_cmp_nlt_f32_e32 vcc, s25, v28
	s_mov_b32 s25, 0x3f2aaaab
	s_mov_b32 s26, 0x7f800000
	v_cndmask_b32_e32 v47, v46, v29, vcc
	v_add_f32_e32 v34, 1.0, v47
	v_add_f32_e32 v28, -1.0, v34
	v_sub_f32_e32 v29, v28, v34
	v_add_f32_e32 v29, 1.0, v29
	v_sub_f32_e32 v28, v47, v28
	v_add_f32_e32 v35, v28, v29
	v_frexp_mant_f32_e32 v36, v34
	v_cvt_f64_f32_e32 v[28:29], v34
	v_frexp_exp_i32_f64_e32 v28, v[28:29]
	v_cmp_gt_f32_e32 vcc, s25, v36
	s_mov_b32 s25, 0x3f317218
	s_nop 0
	v_subbrev_co_u32_e32 v40, vcc, 0, v28, vcc
	v_sub_u32_e32 v28, 0, v40
	v_ldexp_f32 v29, v34, v28
	v_add_f32_e32 v34, -1.0, v29
	v_add_f32_e32 v36, 1.0, v29
	v_ldexp_f32 v28, v35, v28
	v_add_f32_e32 v35, 1.0, v34
	v_add_f32_e32 v37, -1.0, v36
	v_sub_f32_e32 v35, v29, v35
	v_sub_f32_e32 v29, v29, v37
	v_add_f32_e32 v35, v28, v35
	v_add_f32_e32 v28, v28, v29
	;; [unrolled: 1-line block ×3, first 2 shown]
	v_rcp_f32_e32 v43, v41
	v_sub_f32_e32 v29, v36, v41
	v_add_f32_e32 v42, v28, v29
	v_add_f32_e32 v29, v34, v35
	v_mul_f32_e32 v45, v29, v43
	v_sub_f32_e32 v28, v34, v29
	v_mul_f32_e32 v34, v41, v45
	v_fma_f32 v36, v45, v41, -v34
	v_fmac_f32_e32 v36, v45, v42
	v_add_f32_e32 v44, v35, v28
	v_add_f32_e32 v28, v34, v36
	v_sub_f32_e32 v35, v29, v28
	v_pk_add_f32 v[38:39], v[28:29], v[34:35] neg_lo:[0,1] neg_hi:[0,1]
	v_mov_b32_e32 v37, v28
	v_pk_add_f32 v[28:29], v[38:39], v[36:37] neg_lo:[0,1] neg_hi:[0,1]
	v_cmp_neq_f32_e32 vcc, s26, v47
	v_add_f32_e32 v29, v44, v29
	v_add_f32_e32 v28, v28, v29
	;; [unrolled: 1-line block ×3, first 2 shown]
	v_mul_f32_e32 v44, v43, v29
	v_mul_f32_e32 v34, v41, v44
	v_fma_f32 v36, v44, v41, -v34
	v_fmac_f32_e32 v36, v44, v42
	v_sub_f32_e32 v35, v35, v29
	v_add_f32_e32 v41, v28, v35
	v_add_f32_e32 v28, v34, v36
	v_sub_f32_e32 v35, v29, v28
	v_pk_add_f32 v[38:39], v[28:29], v[34:35] neg_lo:[0,1] neg_hi:[0,1]
	v_mov_b32_e32 v37, v28
	v_pk_add_f32 v[28:29], v[38:39], v[36:37] neg_lo:[0,1] neg_hi:[0,1]
	v_cvt_f32_i32_e32 v34, v40
	v_add_f32_e32 v29, v41, v29
	v_add_f32_e32 v28, v28, v29
	v_add_f32_e32 v28, v35, v28
	v_add_f32_e32 v35, v45, v44
	v_sub_f32_e32 v29, v35, v45
	v_mul_f32_e32 v28, v43, v28
	v_sub_f32_e32 v29, v44, v29
	v_add_f32_e32 v28, v29, v28
	v_add_f32_e32 v36, v35, v28
	v_mul_f32_e32 v38, v36, v36
	v_mov_b32_e32 v29, 0x3ecc95a3
	v_sub_f32_e32 v35, v36, v35
	v_fmac_f32_e32 v29, 0x3e9b6dac, v38
	v_sub_f32_e32 v28, v28, v35
	v_fmaak_f32 v29, v38, v29, 0x3f2aaada
	v_ldexp_f32 v39, v28, 1
	v_mul_f32_e32 v35, v36, v38
	v_mov_b32_e32 v28, 0x3f317218
	v_pk_mul_f32 v[28:29], v[34:35], v[28:29]
	v_ldexp_f32 v37, v36, 1
	v_fma_f32 v35, v34, s25, -v28
	v_fmamk_f32 v36, v34, 0xb102e308, v35
	v_pk_add_f32 v[34:35], v[28:29], v[36:37]
	v_mov_b32_e32 v38, v28
	v_sub_f32_e32 v37, v35, v37
	v_sub_f32_e32 v37, v29, v37
	v_add_f32_e32 v39, v39, v37
	v_pk_add_f32 v[28:29], v[34:35], v[28:29] neg_lo:[0,1] neg_hi:[0,1]
	v_pk_add_f32 v[40:41], v[34:35], v[38:39]
	v_mov_b32_e32 v37, v34
	v_mov_b32_e32 v29, v41
	v_pk_add_f32 v[42:43], v[36:37], v[28:29] neg_lo:[0,1] neg_hi:[0,1]
	v_pk_add_f32 v[28:29], v[36:37], v[28:29]
	v_mov_b32_e32 v38, v39
	v_pk_add_f32 v[36:37], v[28:29], v[34:35] op_sel:[1,0] op_sel_hi:[0,1] neg_lo:[0,1] neg_hi:[0,1]
	v_pk_add_f32 v[44:45], v[40:41], v[36:37] op_sel_hi:[1,0] neg_lo:[0,1] neg_hi:[0,1]
	v_mov_b32_e32 v40, v41
	v_mov_b32_e32 v41, v29
	v_pk_mov_b32 v[36:37], v[34:35], v[36:37] op_sel:[1,0]
	v_mov_b32_e32 v39, v34
	v_pk_add_f32 v[36:37], v[40:41], v[36:37] neg_lo:[0,1] neg_hi:[0,1]
	v_mov_b32_e32 v44, v42
	v_pk_add_f32 v[34:35], v[38:39], v[36:37] neg_lo:[0,1] neg_hi:[0,1]
	v_mov_b32_e32 v43, v29
	v_pk_add_f32 v[36:37], v[44:45], v[34:35]
	s_mov_b32 s25, 0x33800000
	v_pk_add_f32 v[38:39], v[36:37], v[36:37] op_sel:[0,1] op_sel_hi:[1,0]
	s_nop 0
	v_pk_add_f32 v[28:29], v[28:29], v[38:39] op_sel:[1,0] op_sel_hi:[0,1]
	v_mov_b32_e32 v37, v28
	v_pk_add_f32 v[40:41], v[36:37], v[42:43] neg_lo:[0,1] neg_hi:[0,1]
	v_mov_b32_e32 v35, v38
	v_sub_f32_e32 v29, v36, v40
	v_pk_add_f32 v[34:35], v[34:35], v[40:41] neg_lo:[0,1] neg_hi:[0,1]
	v_sub_f32_e32 v29, v42, v29
	v_add_f32_e32 v29, v34, v29
	v_add_f32_e32 v29, v29, v35
	;; [unrolled: 1-line block ×3, first 2 shown]
	v_cndmask_b32_e32 v28, v46, v28, vcc
	v_cmp_lt_f32_e64 vcc, |v47|, s25
	s_nop 1
	v_cndmask_b32_e32 v28, v28, v47, vcc
	v_add_f32_e32 v28, v27, v28
.LBB438_224:
	s_or_b64 exec, exec, s[22:23]
	v_bfe_u32 v27, v28, 16, 1
	v_add3_u32 v27, v28, v27, s24
	v_and_b32_e32 v27, 0xffff0000, v27
	v_cmp_o_f32_e32 vcc, v28, v28
	s_movk_i32 s26, 0x1f8
	s_nop 0
	v_cndmask_b32_e32 v34, v26, v27, vcc
	v_mov_b32_e32 v26, 16
	v_lshlrev_b32_sdwa v5, v26, v5 dst_sel:DWORD dst_unused:UNUSED_PAD src0_sel:DWORD src1_sel:WORD_1
	v_max_f32_e32 v28, v34, v34
	v_max_f32_e32 v27, v5, v5
	v_min_f32_e32 v29, v28, v27
	v_cmp_u_f32_e32 vcc, v34, v34
	v_max_f32_e32 v28, v28, v27
	v_cmp_u_f32_e64 s[22:23], v5, v5
	v_cndmask_b32_e32 v29, v29, v34, vcc
	v_cndmask_b32_e32 v28, v28, v34, vcc
	v_cndmask_b32_e64 v29, v29, v5, s[22:23]
	v_cndmask_b32_e64 v28, v28, v5, s[22:23]
	v_cmp_neq_f32_e32 vcc, v29, v28
	v_cmp_class_f32_e64 s[24:25], v29, s26
	s_or_b64 s[30:31], vcc, s[24:25]
	s_and_saveexec_b64 s[24:25], s[30:31]
	s_cbranch_execz .LBB438_226
; %bb.225:
	v_sub_f32_e32 v29, v29, v28
	s_mov_b32 s27, 0x3fb8aa3b
	v_mul_f32_e32 v34, 0x3fb8aa3b, v29
	v_fma_f32 v35, v29, s27, -v34
	v_rndne_f32_e32 v36, v34
	v_fmamk_f32 v35, v29, 0x32a5705f, v35
	v_sub_f32_e32 v34, v34, v36
	v_add_f32_e32 v34, v34, v35
	v_exp_f32_e32 v34, v34
	v_cvt_i32_f32_e32 v35, v36
	s_mov_b32 s27, 0xc2ce8ed0
	v_cmp_ngt_f32_e32 vcc, s27, v29
	s_mov_b32 s27, 0x42b17218
	v_ldexp_f32 v34, v34, v35
	v_cndmask_b32_e32 v34, 0, v34, vcc
	v_mov_b32_e32 v48, 0x7f800000
	v_cmp_nlt_f32_e32 vcc, s27, v29
	s_mov_b32 s27, 0x3f2aaaab
	s_mov_b32 s30, 0x7f800000
	v_cndmask_b32_e32 v29, v48, v34, vcc
	v_add_f32_e32 v36, 1.0, v29
	v_add_f32_e32 v34, -1.0, v36
	v_sub_f32_e32 v35, v34, v36
	v_add_f32_e32 v35, 1.0, v35
	v_sub_f32_e32 v34, v29, v34
	v_add_f32_e32 v37, v34, v35
	v_frexp_mant_f32_e32 v38, v36
	v_cvt_f64_f32_e32 v[34:35], v36
	v_frexp_exp_i32_f64_e32 v34, v[34:35]
	v_cmp_gt_f32_e32 vcc, s27, v38
	s_mov_b32 s27, 0x3f317218
	s_nop 0
	v_subbrev_co_u32_e32 v42, vcc, 0, v34, vcc
	v_sub_u32_e32 v34, 0, v42
	v_ldexp_f32 v35, v36, v34
	v_add_f32_e32 v36, -1.0, v35
	v_add_f32_e32 v38, 1.0, v35
	v_ldexp_f32 v34, v37, v34
	v_add_f32_e32 v37, 1.0, v36
	v_add_f32_e32 v39, -1.0, v38
	v_sub_f32_e32 v37, v35, v37
	v_sub_f32_e32 v35, v35, v39
	v_add_f32_e32 v37, v34, v37
	v_add_f32_e32 v34, v34, v35
	;; [unrolled: 1-line block ×3, first 2 shown]
	v_rcp_f32_e32 v45, v43
	v_sub_f32_e32 v35, v38, v43
	v_add_f32_e32 v44, v34, v35
	v_add_f32_e32 v35, v36, v37
	v_mul_f32_e32 v47, v35, v45
	v_sub_f32_e32 v34, v36, v35
	v_mul_f32_e32 v36, v43, v47
	v_fma_f32 v38, v47, v43, -v36
	v_fmac_f32_e32 v38, v47, v44
	v_add_f32_e32 v46, v37, v34
	v_add_f32_e32 v34, v36, v38
	v_sub_f32_e32 v37, v35, v34
	v_pk_add_f32 v[40:41], v[34:35], v[36:37] neg_lo:[0,1] neg_hi:[0,1]
	v_mov_b32_e32 v39, v34
	v_pk_add_f32 v[34:35], v[40:41], v[38:39] neg_lo:[0,1] neg_hi:[0,1]
	v_cmp_neq_f32_e32 vcc, s30, v29
	v_add_f32_e32 v35, v46, v35
	v_add_f32_e32 v34, v34, v35
	;; [unrolled: 1-line block ×3, first 2 shown]
	v_mul_f32_e32 v46, v45, v35
	v_mul_f32_e32 v36, v43, v46
	v_fma_f32 v38, v46, v43, -v36
	v_fmac_f32_e32 v38, v46, v44
	v_sub_f32_e32 v37, v37, v35
	v_add_f32_e32 v43, v34, v37
	v_add_f32_e32 v34, v36, v38
	v_sub_f32_e32 v37, v35, v34
	v_pk_add_f32 v[40:41], v[34:35], v[36:37] neg_lo:[0,1] neg_hi:[0,1]
	v_mov_b32_e32 v39, v34
	v_pk_add_f32 v[34:35], v[40:41], v[38:39] neg_lo:[0,1] neg_hi:[0,1]
	v_cvt_f32_i32_e32 v36, v42
	v_add_f32_e32 v35, v43, v35
	v_add_f32_e32 v34, v34, v35
	;; [unrolled: 1-line block ×4, first 2 shown]
	v_sub_f32_e32 v35, v37, v47
	v_mul_f32_e32 v34, v45, v34
	v_sub_f32_e32 v35, v46, v35
	v_add_f32_e32 v34, v35, v34
	v_add_f32_e32 v38, v37, v34
	v_mul_f32_e32 v40, v38, v38
	v_mov_b32_e32 v35, 0x3ecc95a3
	v_sub_f32_e32 v37, v38, v37
	v_fmac_f32_e32 v35, 0x3e9b6dac, v40
	v_sub_f32_e32 v34, v34, v37
	v_fmaak_f32 v35, v40, v35, 0x3f2aaada
	v_ldexp_f32 v41, v34, 1
	v_mul_f32_e32 v37, v38, v40
	v_mov_b32_e32 v34, 0x3f317218
	v_pk_mul_f32 v[34:35], v[36:37], v[34:35]
	v_ldexp_f32 v39, v38, 1
	v_fma_f32 v37, v36, s27, -v34
	v_fmamk_f32 v38, v36, 0xb102e308, v37
	v_pk_add_f32 v[36:37], v[34:35], v[38:39]
	v_mov_b32_e32 v40, v34
	v_sub_f32_e32 v39, v37, v39
	v_sub_f32_e32 v39, v35, v39
	v_add_f32_e32 v41, v41, v39
	v_pk_add_f32 v[34:35], v[36:37], v[34:35] neg_lo:[0,1] neg_hi:[0,1]
	v_pk_add_f32 v[42:43], v[36:37], v[40:41]
	v_mov_b32_e32 v39, v36
	v_mov_b32_e32 v35, v43
	v_pk_add_f32 v[44:45], v[38:39], v[34:35] neg_lo:[0,1] neg_hi:[0,1]
	v_pk_add_f32 v[34:35], v[38:39], v[34:35]
	v_mov_b32_e32 v40, v41
	v_pk_add_f32 v[38:39], v[34:35], v[36:37] op_sel:[1,0] op_sel_hi:[0,1] neg_lo:[0,1] neg_hi:[0,1]
	v_pk_add_f32 v[46:47], v[42:43], v[38:39] op_sel_hi:[1,0] neg_lo:[0,1] neg_hi:[0,1]
	v_mov_b32_e32 v42, v43
	v_mov_b32_e32 v43, v35
	v_pk_mov_b32 v[38:39], v[36:37], v[38:39] op_sel:[1,0]
	v_mov_b32_e32 v41, v36
	v_pk_add_f32 v[38:39], v[42:43], v[38:39] neg_lo:[0,1] neg_hi:[0,1]
	v_mov_b32_e32 v46, v44
	v_pk_add_f32 v[36:37], v[40:41], v[38:39] neg_lo:[0,1] neg_hi:[0,1]
	v_mov_b32_e32 v45, v35
	v_pk_add_f32 v[38:39], v[46:47], v[36:37]
	s_mov_b32 s27, 0x33800000
	v_pk_add_f32 v[40:41], v[38:39], v[38:39] op_sel:[0,1] op_sel_hi:[1,0]
	s_nop 0
	v_pk_add_f32 v[34:35], v[34:35], v[40:41] op_sel:[1,0] op_sel_hi:[0,1]
	v_mov_b32_e32 v39, v34
	v_pk_add_f32 v[42:43], v[38:39], v[44:45] neg_lo:[0,1] neg_hi:[0,1]
	v_mov_b32_e32 v37, v40
	v_sub_f32_e32 v35, v38, v42
	v_pk_add_f32 v[36:37], v[36:37], v[42:43] neg_lo:[0,1] neg_hi:[0,1]
	v_sub_f32_e32 v35, v44, v35
	v_add_f32_e32 v35, v36, v35
	v_add_f32_e32 v35, v35, v37
	;; [unrolled: 1-line block ×3, first 2 shown]
	v_cndmask_b32_e32 v34, v48, v34, vcc
	v_cmp_lt_f32_e64 vcc, |v29|, s27
	s_nop 1
	v_cndmask_b32_e32 v29, v34, v29, vcc
	v_add_f32_e32 v34, v28, v29
.LBB438_226:
	s_or_b64 exec, exec, s[24:25]
	v_bfe_u32 v28, v34, 16, 1
	s_movk_i32 s30, 0x7fff
	v_add3_u32 v28, v34, v28, s30
	v_and_b32_e32 v28, 0xffff0000, v28
	v_mov_b32_e32 v29, 0x7fc00000
	v_cmp_o_f32_e32 vcc, v34, v34
	v_lshlrev_b32_sdwa v26, v26, v3 dst_sel:DWORD dst_unused:UNUSED_PAD src0_sel:DWORD src1_sel:WORD_0
	v_cmp_u_f32_e64 s[24:25], v26, v26
	v_cndmask_b32_e32 v35, v29, v28, vcc
	v_max_f32_e32 v34, v35, v35
	v_max_f32_e32 v28, v26, v26
	v_min_f32_e32 v36, v34, v28
	v_cmp_u_f32_e32 vcc, v35, v35
	v_max_f32_e32 v34, v34, v28
	s_nop 0
	v_cndmask_b32_e32 v36, v36, v35, vcc
	v_cndmask_b32_e32 v34, v34, v35, vcc
	v_cndmask_b32_e64 v36, v36, v26, s[24:25]
	v_cndmask_b32_e64 v34, v34, v26, s[24:25]
	v_cmp_neq_f32_e32 vcc, v36, v34
	v_cmp_class_f32_e64 s[26:27], v36, s26
	s_or_b64 s[34:35], vcc, s[26:27]
	s_and_saveexec_b64 s[26:27], s[34:35]
	s_cbranch_execz .LBB438_228
; %bb.227:
	v_sub_f32_e32 v35, v36, v34
	s_mov_b32 s31, 0x3fb8aa3b
	v_mul_f32_e32 v36, 0x3fb8aa3b, v35
	v_fma_f32 v37, v35, s31, -v36
	v_rndne_f32_e32 v38, v36
	v_fmamk_f32 v37, v35, 0x32a5705f, v37
	v_sub_f32_e32 v36, v36, v38
	v_add_f32_e32 v36, v36, v37
	v_exp_f32_e32 v36, v36
	v_cvt_i32_f32_e32 v37, v38
	s_mov_b32 s31, 0xc2ce8ed0
	v_cmp_ngt_f32_e32 vcc, s31, v35
	s_mov_b32 s31, 0x42b17218
	v_ldexp_f32 v36, v36, v37
	v_cndmask_b32_e32 v36, 0, v36, vcc
	v_mov_b32_e32 v50, 0x7f800000
	v_cmp_nlt_f32_e32 vcc, s31, v35
	s_mov_b32 s31, 0x3f2aaaab
	s_mov_b32 s34, 0x7f800000
	v_cndmask_b32_e32 v35, v50, v36, vcc
	v_add_f32_e32 v38, 1.0, v35
	v_add_f32_e32 v36, -1.0, v38
	v_sub_f32_e32 v37, v36, v38
	v_add_f32_e32 v37, 1.0, v37
	v_sub_f32_e32 v36, v35, v36
	v_add_f32_e32 v39, v36, v37
	v_frexp_mant_f32_e32 v40, v38
	v_cvt_f64_f32_e32 v[36:37], v38
	v_frexp_exp_i32_f64_e32 v36, v[36:37]
	v_cmp_gt_f32_e32 vcc, s31, v40
	s_mov_b32 s31, 0x3f317218
	s_nop 0
	v_subbrev_co_u32_e32 v44, vcc, 0, v36, vcc
	v_sub_u32_e32 v36, 0, v44
	v_ldexp_f32 v37, v38, v36
	v_add_f32_e32 v38, -1.0, v37
	v_add_f32_e32 v40, 1.0, v37
	v_ldexp_f32 v36, v39, v36
	v_add_f32_e32 v39, 1.0, v38
	v_add_f32_e32 v41, -1.0, v40
	v_sub_f32_e32 v39, v37, v39
	v_sub_f32_e32 v37, v37, v41
	v_add_f32_e32 v39, v36, v39
	v_add_f32_e32 v36, v36, v37
	;; [unrolled: 1-line block ×3, first 2 shown]
	v_rcp_f32_e32 v47, v45
	v_sub_f32_e32 v37, v40, v45
	v_add_f32_e32 v46, v36, v37
	v_add_f32_e32 v37, v38, v39
	v_mul_f32_e32 v49, v37, v47
	v_sub_f32_e32 v36, v38, v37
	v_mul_f32_e32 v38, v45, v49
	v_fma_f32 v40, v49, v45, -v38
	v_fmac_f32_e32 v40, v49, v46
	v_add_f32_e32 v48, v39, v36
	v_add_f32_e32 v36, v38, v40
	v_sub_f32_e32 v39, v37, v36
	v_pk_add_f32 v[42:43], v[36:37], v[38:39] neg_lo:[0,1] neg_hi:[0,1]
	v_mov_b32_e32 v41, v36
	v_pk_add_f32 v[36:37], v[42:43], v[40:41] neg_lo:[0,1] neg_hi:[0,1]
	v_cmp_neq_f32_e32 vcc, s34, v35
	v_add_f32_e32 v37, v48, v37
	v_add_f32_e32 v36, v36, v37
	v_add_f32_e32 v37, v39, v36
	v_mul_f32_e32 v48, v47, v37
	v_mul_f32_e32 v38, v45, v48
	v_fma_f32 v40, v48, v45, -v38
	v_fmac_f32_e32 v40, v48, v46
	v_sub_f32_e32 v39, v39, v37
	v_add_f32_e32 v45, v36, v39
	v_add_f32_e32 v36, v38, v40
	v_sub_f32_e32 v39, v37, v36
	v_pk_add_f32 v[42:43], v[36:37], v[38:39] neg_lo:[0,1] neg_hi:[0,1]
	v_mov_b32_e32 v41, v36
	v_pk_add_f32 v[36:37], v[42:43], v[40:41] neg_lo:[0,1] neg_hi:[0,1]
	v_cvt_f32_i32_e32 v38, v44
	v_add_f32_e32 v37, v45, v37
	v_add_f32_e32 v36, v36, v37
	;; [unrolled: 1-line block ×4, first 2 shown]
	v_sub_f32_e32 v37, v39, v49
	v_mul_f32_e32 v36, v47, v36
	v_sub_f32_e32 v37, v48, v37
	v_add_f32_e32 v36, v37, v36
	v_add_f32_e32 v40, v39, v36
	v_mul_f32_e32 v42, v40, v40
	v_mov_b32_e32 v37, 0x3ecc95a3
	v_sub_f32_e32 v39, v40, v39
	v_fmac_f32_e32 v37, 0x3e9b6dac, v42
	v_sub_f32_e32 v36, v36, v39
	v_fmaak_f32 v37, v42, v37, 0x3f2aaada
	v_ldexp_f32 v43, v36, 1
	v_mul_f32_e32 v39, v40, v42
	v_mov_b32_e32 v36, 0x3f317218
	v_pk_mul_f32 v[36:37], v[38:39], v[36:37]
	v_ldexp_f32 v41, v40, 1
	v_fma_f32 v39, v38, s31, -v36
	v_fmamk_f32 v40, v38, 0xb102e308, v39
	v_pk_add_f32 v[38:39], v[36:37], v[40:41]
	v_mov_b32_e32 v42, v36
	v_sub_f32_e32 v41, v39, v41
	v_sub_f32_e32 v41, v37, v41
	v_add_f32_e32 v43, v43, v41
	v_pk_add_f32 v[36:37], v[38:39], v[36:37] neg_lo:[0,1] neg_hi:[0,1]
	v_pk_add_f32 v[44:45], v[38:39], v[42:43]
	v_mov_b32_e32 v41, v38
	v_mov_b32_e32 v37, v45
	v_pk_add_f32 v[46:47], v[40:41], v[36:37] neg_lo:[0,1] neg_hi:[0,1]
	v_pk_add_f32 v[36:37], v[40:41], v[36:37]
	v_mov_b32_e32 v42, v43
	v_pk_add_f32 v[40:41], v[36:37], v[38:39] op_sel:[1,0] op_sel_hi:[0,1] neg_lo:[0,1] neg_hi:[0,1]
	v_pk_add_f32 v[48:49], v[44:45], v[40:41] op_sel_hi:[1,0] neg_lo:[0,1] neg_hi:[0,1]
	v_mov_b32_e32 v44, v45
	v_mov_b32_e32 v45, v37
	v_pk_mov_b32 v[40:41], v[38:39], v[40:41] op_sel:[1,0]
	v_mov_b32_e32 v43, v38
	v_pk_add_f32 v[40:41], v[44:45], v[40:41] neg_lo:[0,1] neg_hi:[0,1]
	v_mov_b32_e32 v48, v46
	v_pk_add_f32 v[38:39], v[42:43], v[40:41] neg_lo:[0,1] neg_hi:[0,1]
	v_mov_b32_e32 v47, v37
	v_pk_add_f32 v[40:41], v[48:49], v[38:39]
	s_mov_b32 s31, 0x33800000
	v_pk_add_f32 v[42:43], v[40:41], v[40:41] op_sel:[0,1] op_sel_hi:[1,0]
	s_nop 0
	v_pk_add_f32 v[36:37], v[36:37], v[42:43] op_sel:[1,0] op_sel_hi:[0,1]
	v_mov_b32_e32 v41, v36
	v_pk_add_f32 v[44:45], v[40:41], v[46:47] neg_lo:[0,1] neg_hi:[0,1]
	v_mov_b32_e32 v39, v42
	v_sub_f32_e32 v37, v40, v44
	v_pk_add_f32 v[38:39], v[38:39], v[44:45] neg_lo:[0,1] neg_hi:[0,1]
	v_sub_f32_e32 v37, v46, v37
	v_add_f32_e32 v37, v38, v37
	v_add_f32_e32 v37, v37, v39
	;; [unrolled: 1-line block ×3, first 2 shown]
	v_cndmask_b32_e32 v36, v50, v36, vcc
	v_cmp_lt_f32_e64 vcc, |v35|, s31
	s_nop 1
	v_cndmask_b32_e32 v35, v36, v35, vcc
	v_add_f32_e32 v35, v34, v35
.LBB438_228:
	s_or_b64 exec, exec, s[26:27]
	v_bfe_u32 v34, v35, 16, 1
	v_add3_u32 v34, v35, v34, s30
	v_and_b32_e32 v34, 0xffff0000, v34
	v_cmp_o_f32_e32 vcc, v35, v35
	s_movk_i32 s30, 0x1f8
	s_nop 0
	v_cndmask_b32_e32 v35, v29, v34, vcc
	v_mov_b32_e32 v29, 16
	v_lshlrev_b32_sdwa v3, v29, v3 dst_sel:DWORD dst_unused:UNUSED_PAD src0_sel:DWORD src1_sel:WORD_1
	v_max_f32_e32 v34, v35, v35
	v_max_f32_e32 v29, v3, v3
	v_min_f32_e32 v36, v34, v29
	v_cmp_u_f32_e32 vcc, v35, v35
	v_max_f32_e32 v34, v34, v29
	v_cmp_u_f32_e64 s[26:27], v3, v3
	v_cndmask_b32_e32 v36, v36, v35, vcc
	v_cndmask_b32_e32 v34, v34, v35, vcc
	v_cndmask_b32_e64 v36, v36, v3, s[26:27]
	v_cndmask_b32_e64 v34, v34, v3, s[26:27]
	v_cmp_neq_f32_e32 vcc, v36, v34
	v_cmp_class_f32_e64 s[30:31], v36, s30
	s_or_b64 s[34:35], vcc, s[30:31]
	s_and_saveexec_b64 s[30:31], s[34:35]
	s_cbranch_execz .LBB438_230
; %bb.229:
	v_sub_f32_e32 v35, v36, v34
	s_mov_b32 s34, 0x3fb8aa3b
	v_mul_f32_e32 v36, 0x3fb8aa3b, v35
	v_fma_f32 v37, v35, s34, -v36
	v_rndne_f32_e32 v38, v36
	v_fmamk_f32 v37, v35, 0x32a5705f, v37
	v_sub_f32_e32 v36, v36, v38
	v_add_f32_e32 v36, v36, v37
	v_exp_f32_e32 v36, v36
	v_cvt_i32_f32_e32 v37, v38
	s_mov_b32 s34, 0xc2ce8ed0
	v_cmp_ngt_f32_e32 vcc, s34, v35
	s_mov_b32 s34, 0x42b17218
	v_ldexp_f32 v36, v36, v37
	v_cndmask_b32_e32 v36, 0, v36, vcc
	v_mov_b32_e32 v50, 0x7f800000
	v_cmp_nlt_f32_e32 vcc, s34, v35
	s_mov_b32 s34, 0x3f2aaaab
	s_mov_b32 s35, 0x7f800000
	v_cndmask_b32_e32 v35, v50, v36, vcc
	v_add_f32_e32 v38, 1.0, v35
	v_add_f32_e32 v36, -1.0, v38
	v_sub_f32_e32 v37, v36, v38
	v_add_f32_e32 v37, 1.0, v37
	v_sub_f32_e32 v36, v35, v36
	v_add_f32_e32 v39, v36, v37
	v_frexp_mant_f32_e32 v40, v38
	v_cvt_f64_f32_e32 v[36:37], v38
	v_frexp_exp_i32_f64_e32 v36, v[36:37]
	v_cmp_gt_f32_e32 vcc, s34, v40
	s_mov_b32 s34, 0x3f317218
	s_nop 0
	v_subbrev_co_u32_e32 v44, vcc, 0, v36, vcc
	v_sub_u32_e32 v36, 0, v44
	v_ldexp_f32 v37, v38, v36
	v_add_f32_e32 v38, -1.0, v37
	v_add_f32_e32 v40, 1.0, v37
	v_ldexp_f32 v36, v39, v36
	v_add_f32_e32 v39, 1.0, v38
	v_add_f32_e32 v41, -1.0, v40
	v_sub_f32_e32 v39, v37, v39
	v_sub_f32_e32 v37, v37, v41
	v_add_f32_e32 v39, v36, v39
	v_add_f32_e32 v36, v36, v37
	;; [unrolled: 1-line block ×3, first 2 shown]
	v_rcp_f32_e32 v47, v45
	v_sub_f32_e32 v37, v40, v45
	v_add_f32_e32 v46, v36, v37
	v_add_f32_e32 v37, v38, v39
	v_mul_f32_e32 v49, v37, v47
	v_sub_f32_e32 v36, v38, v37
	v_mul_f32_e32 v38, v45, v49
	v_fma_f32 v40, v49, v45, -v38
	v_fmac_f32_e32 v40, v49, v46
	v_add_f32_e32 v48, v39, v36
	v_add_f32_e32 v36, v38, v40
	v_sub_f32_e32 v39, v37, v36
	v_pk_add_f32 v[42:43], v[36:37], v[38:39] neg_lo:[0,1] neg_hi:[0,1]
	v_mov_b32_e32 v41, v36
	v_pk_add_f32 v[36:37], v[42:43], v[40:41] neg_lo:[0,1] neg_hi:[0,1]
	v_cmp_neq_f32_e32 vcc, s35, v35
	v_add_f32_e32 v37, v48, v37
	v_add_f32_e32 v36, v36, v37
	v_add_f32_e32 v37, v39, v36
	v_mul_f32_e32 v48, v47, v37
	v_mul_f32_e32 v38, v45, v48
	v_fma_f32 v40, v48, v45, -v38
	v_fmac_f32_e32 v40, v48, v46
	v_sub_f32_e32 v39, v39, v37
	v_add_f32_e32 v45, v36, v39
	v_add_f32_e32 v36, v38, v40
	v_sub_f32_e32 v39, v37, v36
	v_pk_add_f32 v[42:43], v[36:37], v[38:39] neg_lo:[0,1] neg_hi:[0,1]
	v_mov_b32_e32 v41, v36
	v_pk_add_f32 v[36:37], v[42:43], v[40:41] neg_lo:[0,1] neg_hi:[0,1]
	v_cvt_f32_i32_e32 v38, v44
	v_add_f32_e32 v37, v45, v37
	v_add_f32_e32 v36, v36, v37
	;; [unrolled: 1-line block ×4, first 2 shown]
	v_sub_f32_e32 v37, v39, v49
	v_mul_f32_e32 v36, v47, v36
	v_sub_f32_e32 v37, v48, v37
	v_add_f32_e32 v36, v37, v36
	v_add_f32_e32 v40, v39, v36
	v_mul_f32_e32 v42, v40, v40
	v_mov_b32_e32 v37, 0x3ecc95a3
	v_sub_f32_e32 v39, v40, v39
	v_fmac_f32_e32 v37, 0x3e9b6dac, v42
	v_sub_f32_e32 v36, v36, v39
	v_fmaak_f32 v37, v42, v37, 0x3f2aaada
	v_ldexp_f32 v43, v36, 1
	v_mul_f32_e32 v39, v40, v42
	v_mov_b32_e32 v36, 0x3f317218
	v_pk_mul_f32 v[36:37], v[38:39], v[36:37]
	v_ldexp_f32 v41, v40, 1
	v_fma_f32 v39, v38, s34, -v36
	v_fmamk_f32 v40, v38, 0xb102e308, v39
	v_pk_add_f32 v[38:39], v[36:37], v[40:41]
	v_mov_b32_e32 v42, v36
	v_sub_f32_e32 v41, v39, v41
	v_sub_f32_e32 v41, v37, v41
	v_add_f32_e32 v43, v43, v41
	v_pk_add_f32 v[36:37], v[38:39], v[36:37] neg_lo:[0,1] neg_hi:[0,1]
	v_pk_add_f32 v[44:45], v[38:39], v[42:43]
	v_mov_b32_e32 v41, v38
	v_mov_b32_e32 v37, v45
	v_pk_add_f32 v[46:47], v[40:41], v[36:37] neg_lo:[0,1] neg_hi:[0,1]
	v_pk_add_f32 v[36:37], v[40:41], v[36:37]
	v_mov_b32_e32 v42, v43
	v_pk_add_f32 v[40:41], v[36:37], v[38:39] op_sel:[1,0] op_sel_hi:[0,1] neg_lo:[0,1] neg_hi:[0,1]
	v_pk_add_f32 v[48:49], v[44:45], v[40:41] op_sel_hi:[1,0] neg_lo:[0,1] neg_hi:[0,1]
	v_mov_b32_e32 v44, v45
	v_mov_b32_e32 v45, v37
	v_pk_mov_b32 v[40:41], v[38:39], v[40:41] op_sel:[1,0]
	v_mov_b32_e32 v43, v38
	v_pk_add_f32 v[40:41], v[44:45], v[40:41] neg_lo:[0,1] neg_hi:[0,1]
	v_mov_b32_e32 v48, v46
	v_pk_add_f32 v[38:39], v[42:43], v[40:41] neg_lo:[0,1] neg_hi:[0,1]
	v_mov_b32_e32 v47, v37
	v_pk_add_f32 v[40:41], v[48:49], v[38:39]
	s_mov_b32 s34, 0x33800000
	v_pk_add_f32 v[42:43], v[40:41], v[40:41] op_sel:[0,1] op_sel_hi:[1,0]
	s_nop 0
	v_pk_add_f32 v[36:37], v[36:37], v[42:43] op_sel:[1,0] op_sel_hi:[0,1]
	v_mov_b32_e32 v41, v36
	v_pk_add_f32 v[44:45], v[40:41], v[46:47] neg_lo:[0,1] neg_hi:[0,1]
	v_mov_b32_e32 v39, v42
	v_sub_f32_e32 v37, v40, v44
	v_pk_add_f32 v[38:39], v[38:39], v[44:45] neg_lo:[0,1] neg_hi:[0,1]
	v_sub_f32_e32 v37, v46, v37
	v_add_f32_e32 v37, v38, v37
	v_add_f32_e32 v37, v37, v39
	;; [unrolled: 1-line block ×3, first 2 shown]
	v_cndmask_b32_e32 v36, v50, v36, vcc
	v_cmp_lt_f32_e64 vcc, |v35|, s34
	s_nop 1
	v_cndmask_b32_e32 v35, v36, v35, vcc
	v_add_f32_e32 v35, v34, v35
.LBB438_230:
	s_or_b64 exec, exec, s[30:31]
	v_bfe_u32 v34, v35, 16, 1
	s_movk_i32 s30, 0x7fff
	v_add3_u32 v34, v35, v34, s30
	v_cmp_o_f32_e32 vcc, v35, v35
	v_mov_b32_e32 v35, 0x7fc0
	s_nop 0
	v_cndmask_b32_sdwa v36, v35, v34, vcc dst_sel:DWORD dst_unused:UNUSED_PAD src0_sel:DWORD src1_sel:WORD_1
	v_mbcnt_lo_u32_b32 v34, -1, 0
	v_mbcnt_hi_u32_b32 v34, -1, v34
	v_and_b32_e32 v35, 15, v34
	v_and_b32_e32 v37, 0xffff, v36
	v_cmp_ne_u32_e32 vcc, 0, v35
	s_nop 0
	v_mov_b32_dpp v38, v37 row_shr:1 row_mask:0xf bank_mask:0xf
	s_and_saveexec_b64 s[34:35], vcc
	s_cbranch_execz .LBB438_234
; %bb.231:
	v_lshlrev_b32_e32 v38, 16, v38
	v_lshlrev_b32_e32 v36, 16, v37
	v_max_f32_e32 v39, v36, v36
	v_max_f32_e32 v40, v38, v38
	v_min_f32_e32 v37, v40, v39
	v_cmp_u_f32_e32 vcc, v38, v38
	v_max_f32_e32 v39, v40, v39
	v_cmp_u_f32_e64 s[30:31], v36, v36
	v_cndmask_b32_e32 v37, v37, v38, vcc
	v_cndmask_b32_e32 v39, v39, v38, vcc
	v_cndmask_b32_e64 v37, v37, v36, s[30:31]
	v_cndmask_b32_e64 v36, v39, v36, s[30:31]
	s_movk_i32 s30, 0x1f8
	v_cmp_neq_f32_e32 vcc, v37, v36
	v_cmp_class_f32_e64 s[30:31], v37, s30
	s_or_b64 s[36:37], vcc, s[30:31]
	s_and_saveexec_b64 s[30:31], s[36:37]
	s_cbranch_execz .LBB438_233
; %bb.232:
	v_sub_f32_e32 v37, v37, v36
	s_mov_b32 s36, 0x3fb8aa3b
	v_mul_f32_e32 v38, 0x3fb8aa3b, v37
	v_fma_f32 v39, v37, s36, -v38
	v_rndne_f32_e32 v40, v38
	v_fmamk_f32 v39, v37, 0x32a5705f, v39
	v_sub_f32_e32 v38, v38, v40
	v_add_f32_e32 v38, v38, v39
	v_exp_f32_e32 v38, v38
	v_cvt_i32_f32_e32 v39, v40
	s_mov_b32 s36, 0xc2ce8ed0
	v_cmp_ngt_f32_e32 vcc, s36, v37
	s_mov_b32 s36, 0x42b17218
	v_ldexp_f32 v38, v38, v39
	v_cndmask_b32_e32 v38, 0, v38, vcc
	v_mov_b32_e32 v52, 0x7f800000
	v_cmp_nlt_f32_e32 vcc, s36, v37
	s_mov_b32 s36, 0x3f2aaaab
	s_mov_b32 s37, 0x7f800000
	v_cndmask_b32_e32 v37, v52, v38, vcc
	v_add_f32_e32 v40, 1.0, v37
	v_add_f32_e32 v38, -1.0, v40
	v_sub_f32_e32 v39, v38, v40
	v_add_f32_e32 v39, 1.0, v39
	v_sub_f32_e32 v38, v37, v38
	v_add_f32_e32 v41, v38, v39
	v_frexp_mant_f32_e32 v42, v40
	v_cvt_f64_f32_e32 v[38:39], v40
	v_frexp_exp_i32_f64_e32 v38, v[38:39]
	v_cmp_gt_f32_e32 vcc, s36, v42
	s_mov_b32 s36, 0x3f317218
	s_nop 0
	v_subbrev_co_u32_e32 v46, vcc, 0, v38, vcc
	v_sub_u32_e32 v38, 0, v46
	v_ldexp_f32 v39, v40, v38
	v_add_f32_e32 v40, -1.0, v39
	v_add_f32_e32 v42, 1.0, v39
	v_ldexp_f32 v38, v41, v38
	v_add_f32_e32 v41, 1.0, v40
	v_add_f32_e32 v43, -1.0, v42
	v_sub_f32_e32 v41, v39, v41
	v_sub_f32_e32 v39, v39, v43
	v_add_f32_e32 v41, v38, v41
	v_add_f32_e32 v38, v38, v39
	;; [unrolled: 1-line block ×3, first 2 shown]
	v_rcp_f32_e32 v49, v47
	v_sub_f32_e32 v39, v42, v47
	v_add_f32_e32 v48, v38, v39
	v_add_f32_e32 v39, v40, v41
	v_mul_f32_e32 v51, v39, v49
	v_sub_f32_e32 v38, v40, v39
	v_mul_f32_e32 v40, v47, v51
	v_fma_f32 v42, v51, v47, -v40
	v_fmac_f32_e32 v42, v51, v48
	v_add_f32_e32 v50, v41, v38
	v_add_f32_e32 v38, v40, v42
	v_sub_f32_e32 v41, v39, v38
	v_pk_add_f32 v[44:45], v[38:39], v[40:41] neg_lo:[0,1] neg_hi:[0,1]
	v_mov_b32_e32 v43, v38
	v_pk_add_f32 v[38:39], v[44:45], v[42:43] neg_lo:[0,1] neg_hi:[0,1]
	v_cmp_neq_f32_e32 vcc, s37, v37
	v_add_f32_e32 v39, v50, v39
	v_add_f32_e32 v38, v38, v39
	;; [unrolled: 1-line block ×3, first 2 shown]
	v_mul_f32_e32 v50, v49, v39
	v_mul_f32_e32 v40, v47, v50
	v_fma_f32 v42, v50, v47, -v40
	v_fmac_f32_e32 v42, v50, v48
	v_sub_f32_e32 v41, v41, v39
	v_add_f32_e32 v47, v38, v41
	v_add_f32_e32 v38, v40, v42
	v_sub_f32_e32 v41, v39, v38
	v_pk_add_f32 v[44:45], v[38:39], v[40:41] neg_lo:[0,1] neg_hi:[0,1]
	v_mov_b32_e32 v43, v38
	v_pk_add_f32 v[38:39], v[44:45], v[42:43] neg_lo:[0,1] neg_hi:[0,1]
	v_cvt_f32_i32_e32 v40, v46
	v_add_f32_e32 v39, v47, v39
	v_add_f32_e32 v38, v38, v39
	;; [unrolled: 1-line block ×4, first 2 shown]
	v_sub_f32_e32 v39, v41, v51
	v_mul_f32_e32 v38, v49, v38
	v_sub_f32_e32 v39, v50, v39
	v_add_f32_e32 v38, v39, v38
	v_add_f32_e32 v42, v41, v38
	v_mul_f32_e32 v44, v42, v42
	v_mov_b32_e32 v39, 0x3ecc95a3
	v_sub_f32_e32 v41, v42, v41
	v_fmac_f32_e32 v39, 0x3e9b6dac, v44
	v_sub_f32_e32 v38, v38, v41
	v_fmaak_f32 v39, v44, v39, 0x3f2aaada
	v_ldexp_f32 v45, v38, 1
	v_mul_f32_e32 v41, v42, v44
	v_mov_b32_e32 v38, 0x3f317218
	v_pk_mul_f32 v[38:39], v[40:41], v[38:39]
	v_ldexp_f32 v43, v42, 1
	v_fma_f32 v41, v40, s36, -v38
	v_fmamk_f32 v42, v40, 0xb102e308, v41
	v_pk_add_f32 v[40:41], v[38:39], v[42:43]
	v_mov_b32_e32 v44, v38
	v_sub_f32_e32 v43, v41, v43
	v_sub_f32_e32 v43, v39, v43
	v_add_f32_e32 v45, v45, v43
	v_pk_add_f32 v[38:39], v[40:41], v[38:39] neg_lo:[0,1] neg_hi:[0,1]
	v_pk_add_f32 v[46:47], v[40:41], v[44:45]
	v_mov_b32_e32 v43, v40
	v_mov_b32_e32 v39, v47
	v_pk_add_f32 v[48:49], v[42:43], v[38:39] neg_lo:[0,1] neg_hi:[0,1]
	v_pk_add_f32 v[38:39], v[42:43], v[38:39]
	v_mov_b32_e32 v44, v45
	v_pk_add_f32 v[42:43], v[38:39], v[40:41] op_sel:[1,0] op_sel_hi:[0,1] neg_lo:[0,1] neg_hi:[0,1]
	v_pk_add_f32 v[50:51], v[46:47], v[42:43] op_sel_hi:[1,0] neg_lo:[0,1] neg_hi:[0,1]
	v_mov_b32_e32 v46, v47
	v_mov_b32_e32 v47, v39
	v_pk_mov_b32 v[42:43], v[40:41], v[42:43] op_sel:[1,0]
	v_mov_b32_e32 v45, v40
	v_pk_add_f32 v[42:43], v[46:47], v[42:43] neg_lo:[0,1] neg_hi:[0,1]
	v_mov_b32_e32 v50, v48
	v_pk_add_f32 v[40:41], v[44:45], v[42:43] neg_lo:[0,1] neg_hi:[0,1]
	v_mov_b32_e32 v49, v39
	v_pk_add_f32 v[42:43], v[50:51], v[40:41]
	s_mov_b32 s36, 0x33800000
	v_pk_add_f32 v[44:45], v[42:43], v[42:43] op_sel:[0,1] op_sel_hi:[1,0]
	s_nop 0
	v_pk_add_f32 v[38:39], v[38:39], v[44:45] op_sel:[1,0] op_sel_hi:[0,1]
	v_mov_b32_e32 v43, v38
	v_pk_add_f32 v[46:47], v[42:43], v[48:49] neg_lo:[0,1] neg_hi:[0,1]
	v_mov_b32_e32 v41, v44
	v_sub_f32_e32 v39, v42, v46
	v_pk_add_f32 v[40:41], v[40:41], v[46:47] neg_lo:[0,1] neg_hi:[0,1]
	v_sub_f32_e32 v39, v48, v39
	v_add_f32_e32 v39, v40, v39
	v_add_f32_e32 v39, v39, v41
	;; [unrolled: 1-line block ×3, first 2 shown]
	v_cndmask_b32_e32 v38, v52, v38, vcc
	v_cmp_lt_f32_e64 vcc, |v37|, s36
	s_nop 1
	v_cndmask_b32_e32 v37, v38, v37, vcc
	v_add_f32_e32 v38, v36, v37
.LBB438_233:
	s_or_b64 exec, exec, s[30:31]
	v_bfe_u32 v36, v38, 16, 1
	s_movk_i32 s30, 0x7fff
	v_add3_u32 v36, v38, v36, s30
	v_cmp_o_f32_e32 vcc, v38, v38
	v_mov_b32_e32 v37, 0x7fc0
	s_nop 0
	v_cndmask_b32_sdwa v36, v37, v36, vcc dst_sel:DWORD dst_unused:UNUSED_PAD src0_sel:DWORD src1_sel:WORD_1
	v_and_b32_e32 v37, 0xffff, v36
.LBB438_234:
	s_or_b64 exec, exec, s[34:35]
	s_nop 0
	v_mov_b32_dpp v38, v37 row_shr:2 row_mask:0xf bank_mask:0xf
	v_cmp_lt_u32_e32 vcc, 1, v35
	s_and_saveexec_b64 s[34:35], vcc
	s_cbranch_execz .LBB438_238
; %bb.235:
	v_lshlrev_b32_e32 v38, 16, v38
	v_lshlrev_b32_e32 v36, 16, v37
	v_max_f32_e32 v39, v36, v36
	v_max_f32_e32 v40, v38, v38
	v_min_f32_e32 v37, v40, v39
	v_cmp_u_f32_e32 vcc, v38, v38
	v_max_f32_e32 v39, v40, v39
	v_cmp_u_f32_e64 s[30:31], v36, v36
	v_cndmask_b32_e32 v37, v37, v38, vcc
	v_cndmask_b32_e32 v39, v39, v38, vcc
	v_cndmask_b32_e64 v37, v37, v36, s[30:31]
	v_cndmask_b32_e64 v36, v39, v36, s[30:31]
	s_movk_i32 s30, 0x1f8
	v_cmp_neq_f32_e32 vcc, v37, v36
	v_cmp_class_f32_e64 s[30:31], v37, s30
	s_or_b64 s[36:37], vcc, s[30:31]
	s_and_saveexec_b64 s[30:31], s[36:37]
	s_cbranch_execz .LBB438_237
; %bb.236:
	v_sub_f32_e32 v37, v37, v36
	s_mov_b32 s36, 0x3fb8aa3b
	v_mul_f32_e32 v38, 0x3fb8aa3b, v37
	v_fma_f32 v39, v37, s36, -v38
	v_rndne_f32_e32 v40, v38
	v_fmamk_f32 v39, v37, 0x32a5705f, v39
	v_sub_f32_e32 v38, v38, v40
	v_add_f32_e32 v38, v38, v39
	v_exp_f32_e32 v38, v38
	v_cvt_i32_f32_e32 v39, v40
	s_mov_b32 s36, 0xc2ce8ed0
	v_cmp_ngt_f32_e32 vcc, s36, v37
	s_mov_b32 s36, 0x42b17218
	v_ldexp_f32 v38, v38, v39
	v_cndmask_b32_e32 v38, 0, v38, vcc
	v_mov_b32_e32 v52, 0x7f800000
	v_cmp_nlt_f32_e32 vcc, s36, v37
	s_mov_b32 s36, 0x3f2aaaab
	s_mov_b32 s37, 0x7f800000
	v_cndmask_b32_e32 v37, v52, v38, vcc
	v_add_f32_e32 v40, 1.0, v37
	v_add_f32_e32 v38, -1.0, v40
	v_sub_f32_e32 v39, v38, v40
	v_add_f32_e32 v39, 1.0, v39
	v_sub_f32_e32 v38, v37, v38
	v_add_f32_e32 v41, v38, v39
	v_frexp_mant_f32_e32 v42, v40
	v_cvt_f64_f32_e32 v[38:39], v40
	v_frexp_exp_i32_f64_e32 v38, v[38:39]
	v_cmp_gt_f32_e32 vcc, s36, v42
	s_mov_b32 s36, 0x3f317218
	s_nop 0
	v_subbrev_co_u32_e32 v46, vcc, 0, v38, vcc
	v_sub_u32_e32 v38, 0, v46
	v_ldexp_f32 v39, v40, v38
	v_add_f32_e32 v40, -1.0, v39
	v_add_f32_e32 v42, 1.0, v39
	v_ldexp_f32 v38, v41, v38
	v_add_f32_e32 v41, 1.0, v40
	v_add_f32_e32 v43, -1.0, v42
	v_sub_f32_e32 v41, v39, v41
	v_sub_f32_e32 v39, v39, v43
	v_add_f32_e32 v41, v38, v41
	v_add_f32_e32 v38, v38, v39
	;; [unrolled: 1-line block ×3, first 2 shown]
	v_rcp_f32_e32 v49, v47
	v_sub_f32_e32 v39, v42, v47
	v_add_f32_e32 v48, v38, v39
	v_add_f32_e32 v39, v40, v41
	v_mul_f32_e32 v51, v39, v49
	v_sub_f32_e32 v38, v40, v39
	v_mul_f32_e32 v40, v47, v51
	v_fma_f32 v42, v51, v47, -v40
	v_fmac_f32_e32 v42, v51, v48
	v_add_f32_e32 v50, v41, v38
	v_add_f32_e32 v38, v40, v42
	v_sub_f32_e32 v41, v39, v38
	v_pk_add_f32 v[44:45], v[38:39], v[40:41] neg_lo:[0,1] neg_hi:[0,1]
	v_mov_b32_e32 v43, v38
	v_pk_add_f32 v[38:39], v[44:45], v[42:43] neg_lo:[0,1] neg_hi:[0,1]
	v_cmp_neq_f32_e32 vcc, s37, v37
	v_add_f32_e32 v39, v50, v39
	v_add_f32_e32 v38, v38, v39
	;; [unrolled: 1-line block ×3, first 2 shown]
	v_mul_f32_e32 v50, v49, v39
	v_mul_f32_e32 v40, v47, v50
	v_fma_f32 v42, v50, v47, -v40
	v_fmac_f32_e32 v42, v50, v48
	v_sub_f32_e32 v41, v41, v39
	v_add_f32_e32 v47, v38, v41
	v_add_f32_e32 v38, v40, v42
	v_sub_f32_e32 v41, v39, v38
	v_pk_add_f32 v[44:45], v[38:39], v[40:41] neg_lo:[0,1] neg_hi:[0,1]
	v_mov_b32_e32 v43, v38
	v_pk_add_f32 v[38:39], v[44:45], v[42:43] neg_lo:[0,1] neg_hi:[0,1]
	v_cvt_f32_i32_e32 v40, v46
	v_add_f32_e32 v39, v47, v39
	v_add_f32_e32 v38, v38, v39
	;; [unrolled: 1-line block ×4, first 2 shown]
	v_sub_f32_e32 v39, v41, v51
	v_mul_f32_e32 v38, v49, v38
	v_sub_f32_e32 v39, v50, v39
	v_add_f32_e32 v38, v39, v38
	v_add_f32_e32 v42, v41, v38
	v_mul_f32_e32 v44, v42, v42
	v_mov_b32_e32 v39, 0x3ecc95a3
	v_sub_f32_e32 v41, v42, v41
	v_fmac_f32_e32 v39, 0x3e9b6dac, v44
	v_sub_f32_e32 v38, v38, v41
	v_fmaak_f32 v39, v44, v39, 0x3f2aaada
	v_ldexp_f32 v45, v38, 1
	v_mul_f32_e32 v41, v42, v44
	v_mov_b32_e32 v38, 0x3f317218
	v_pk_mul_f32 v[38:39], v[40:41], v[38:39]
	v_ldexp_f32 v43, v42, 1
	v_fma_f32 v41, v40, s36, -v38
	v_fmamk_f32 v42, v40, 0xb102e308, v41
	v_pk_add_f32 v[40:41], v[38:39], v[42:43]
	v_mov_b32_e32 v44, v38
	v_sub_f32_e32 v43, v41, v43
	v_sub_f32_e32 v43, v39, v43
	v_add_f32_e32 v45, v45, v43
	v_pk_add_f32 v[38:39], v[40:41], v[38:39] neg_lo:[0,1] neg_hi:[0,1]
	v_pk_add_f32 v[46:47], v[40:41], v[44:45]
	v_mov_b32_e32 v43, v40
	v_mov_b32_e32 v39, v47
	v_pk_add_f32 v[48:49], v[42:43], v[38:39] neg_lo:[0,1] neg_hi:[0,1]
	v_pk_add_f32 v[38:39], v[42:43], v[38:39]
	v_mov_b32_e32 v44, v45
	v_pk_add_f32 v[42:43], v[38:39], v[40:41] op_sel:[1,0] op_sel_hi:[0,1] neg_lo:[0,1] neg_hi:[0,1]
	v_pk_add_f32 v[50:51], v[46:47], v[42:43] op_sel_hi:[1,0] neg_lo:[0,1] neg_hi:[0,1]
	v_mov_b32_e32 v46, v47
	v_mov_b32_e32 v47, v39
	v_pk_mov_b32 v[42:43], v[40:41], v[42:43] op_sel:[1,0]
	v_mov_b32_e32 v45, v40
	v_pk_add_f32 v[42:43], v[46:47], v[42:43] neg_lo:[0,1] neg_hi:[0,1]
	v_mov_b32_e32 v50, v48
	v_pk_add_f32 v[40:41], v[44:45], v[42:43] neg_lo:[0,1] neg_hi:[0,1]
	v_mov_b32_e32 v49, v39
	v_pk_add_f32 v[42:43], v[50:51], v[40:41]
	s_mov_b32 s36, 0x33800000
	v_pk_add_f32 v[44:45], v[42:43], v[42:43] op_sel:[0,1] op_sel_hi:[1,0]
	s_nop 0
	v_pk_add_f32 v[38:39], v[38:39], v[44:45] op_sel:[1,0] op_sel_hi:[0,1]
	v_mov_b32_e32 v43, v38
	v_pk_add_f32 v[46:47], v[42:43], v[48:49] neg_lo:[0,1] neg_hi:[0,1]
	v_mov_b32_e32 v41, v44
	v_sub_f32_e32 v39, v42, v46
	v_pk_add_f32 v[40:41], v[40:41], v[46:47] neg_lo:[0,1] neg_hi:[0,1]
	v_sub_f32_e32 v39, v48, v39
	v_add_f32_e32 v39, v40, v39
	v_add_f32_e32 v39, v39, v41
	v_add_f32_e32 v38, v38, v39
	v_cndmask_b32_e32 v38, v52, v38, vcc
	v_cmp_lt_f32_e64 vcc, |v37|, s36
	s_nop 1
	v_cndmask_b32_e32 v37, v38, v37, vcc
	v_add_f32_e32 v38, v36, v37
.LBB438_237:
	s_or_b64 exec, exec, s[30:31]
	v_bfe_u32 v36, v38, 16, 1
	s_movk_i32 s30, 0x7fff
	v_add3_u32 v36, v38, v36, s30
	v_cmp_o_f32_e32 vcc, v38, v38
	v_mov_b32_e32 v37, 0x7fc0
	s_nop 0
	v_cndmask_b32_sdwa v36, v37, v36, vcc dst_sel:DWORD dst_unused:UNUSED_PAD src0_sel:DWORD src1_sel:WORD_1
	v_and_b32_e32 v37, 0xffff, v36
.LBB438_238:
	s_or_b64 exec, exec, s[34:35]
	s_nop 0
	v_mov_b32_dpp v38, v37 row_shr:4 row_mask:0xf bank_mask:0xf
	v_cmp_lt_u32_e32 vcc, 3, v35
	s_and_saveexec_b64 s[34:35], vcc
	s_cbranch_execz .LBB438_242
; %bb.239:
	v_lshlrev_b32_e32 v38, 16, v38
	v_lshlrev_b32_e32 v36, 16, v37
	v_max_f32_e32 v39, v36, v36
	v_max_f32_e32 v40, v38, v38
	v_min_f32_e32 v37, v40, v39
	v_cmp_u_f32_e32 vcc, v38, v38
	v_max_f32_e32 v39, v40, v39
	v_cmp_u_f32_e64 s[30:31], v36, v36
	v_cndmask_b32_e32 v37, v37, v38, vcc
	v_cndmask_b32_e32 v39, v39, v38, vcc
	v_cndmask_b32_e64 v37, v37, v36, s[30:31]
	v_cndmask_b32_e64 v36, v39, v36, s[30:31]
	s_movk_i32 s30, 0x1f8
	v_cmp_neq_f32_e32 vcc, v37, v36
	v_cmp_class_f32_e64 s[30:31], v37, s30
	s_or_b64 s[36:37], vcc, s[30:31]
	s_and_saveexec_b64 s[30:31], s[36:37]
	s_cbranch_execz .LBB438_241
; %bb.240:
	v_sub_f32_e32 v37, v37, v36
	s_mov_b32 s36, 0x3fb8aa3b
	v_mul_f32_e32 v38, 0x3fb8aa3b, v37
	v_fma_f32 v39, v37, s36, -v38
	v_rndne_f32_e32 v40, v38
	v_fmamk_f32 v39, v37, 0x32a5705f, v39
	v_sub_f32_e32 v38, v38, v40
	v_add_f32_e32 v38, v38, v39
	v_exp_f32_e32 v38, v38
	v_cvt_i32_f32_e32 v39, v40
	s_mov_b32 s36, 0xc2ce8ed0
	v_cmp_ngt_f32_e32 vcc, s36, v37
	s_mov_b32 s36, 0x42b17218
	v_ldexp_f32 v38, v38, v39
	v_cndmask_b32_e32 v38, 0, v38, vcc
	v_mov_b32_e32 v52, 0x7f800000
	v_cmp_nlt_f32_e32 vcc, s36, v37
	s_mov_b32 s36, 0x3f2aaaab
	s_mov_b32 s37, 0x7f800000
	v_cndmask_b32_e32 v37, v52, v38, vcc
	v_add_f32_e32 v40, 1.0, v37
	v_add_f32_e32 v38, -1.0, v40
	v_sub_f32_e32 v39, v38, v40
	v_add_f32_e32 v39, 1.0, v39
	v_sub_f32_e32 v38, v37, v38
	v_add_f32_e32 v41, v38, v39
	v_frexp_mant_f32_e32 v42, v40
	v_cvt_f64_f32_e32 v[38:39], v40
	v_frexp_exp_i32_f64_e32 v38, v[38:39]
	v_cmp_gt_f32_e32 vcc, s36, v42
	s_mov_b32 s36, 0x3f317218
	s_nop 0
	v_subbrev_co_u32_e32 v46, vcc, 0, v38, vcc
	v_sub_u32_e32 v38, 0, v46
	v_ldexp_f32 v39, v40, v38
	v_add_f32_e32 v40, -1.0, v39
	v_add_f32_e32 v42, 1.0, v39
	v_ldexp_f32 v38, v41, v38
	v_add_f32_e32 v41, 1.0, v40
	v_add_f32_e32 v43, -1.0, v42
	v_sub_f32_e32 v41, v39, v41
	v_sub_f32_e32 v39, v39, v43
	v_add_f32_e32 v41, v38, v41
	v_add_f32_e32 v38, v38, v39
	;; [unrolled: 1-line block ×3, first 2 shown]
	v_rcp_f32_e32 v49, v47
	v_sub_f32_e32 v39, v42, v47
	v_add_f32_e32 v48, v38, v39
	v_add_f32_e32 v39, v40, v41
	v_mul_f32_e32 v51, v39, v49
	v_sub_f32_e32 v38, v40, v39
	v_mul_f32_e32 v40, v47, v51
	v_fma_f32 v42, v51, v47, -v40
	v_fmac_f32_e32 v42, v51, v48
	v_add_f32_e32 v50, v41, v38
	v_add_f32_e32 v38, v40, v42
	v_sub_f32_e32 v41, v39, v38
	v_pk_add_f32 v[44:45], v[38:39], v[40:41] neg_lo:[0,1] neg_hi:[0,1]
	v_mov_b32_e32 v43, v38
	v_pk_add_f32 v[38:39], v[44:45], v[42:43] neg_lo:[0,1] neg_hi:[0,1]
	v_cmp_neq_f32_e32 vcc, s37, v37
	v_add_f32_e32 v39, v50, v39
	v_add_f32_e32 v38, v38, v39
	;; [unrolled: 1-line block ×3, first 2 shown]
	v_mul_f32_e32 v50, v49, v39
	v_mul_f32_e32 v40, v47, v50
	v_fma_f32 v42, v50, v47, -v40
	v_fmac_f32_e32 v42, v50, v48
	v_sub_f32_e32 v41, v41, v39
	v_add_f32_e32 v47, v38, v41
	v_add_f32_e32 v38, v40, v42
	v_sub_f32_e32 v41, v39, v38
	v_pk_add_f32 v[44:45], v[38:39], v[40:41] neg_lo:[0,1] neg_hi:[0,1]
	v_mov_b32_e32 v43, v38
	v_pk_add_f32 v[38:39], v[44:45], v[42:43] neg_lo:[0,1] neg_hi:[0,1]
	v_cvt_f32_i32_e32 v40, v46
	v_add_f32_e32 v39, v47, v39
	v_add_f32_e32 v38, v38, v39
	v_add_f32_e32 v38, v41, v38
	v_add_f32_e32 v41, v51, v50
	v_sub_f32_e32 v39, v41, v51
	v_mul_f32_e32 v38, v49, v38
	v_sub_f32_e32 v39, v50, v39
	v_add_f32_e32 v38, v39, v38
	v_add_f32_e32 v42, v41, v38
	v_mul_f32_e32 v44, v42, v42
	v_mov_b32_e32 v39, 0x3ecc95a3
	v_sub_f32_e32 v41, v42, v41
	v_fmac_f32_e32 v39, 0x3e9b6dac, v44
	v_sub_f32_e32 v38, v38, v41
	v_fmaak_f32 v39, v44, v39, 0x3f2aaada
	v_ldexp_f32 v45, v38, 1
	v_mul_f32_e32 v41, v42, v44
	v_mov_b32_e32 v38, 0x3f317218
	v_pk_mul_f32 v[38:39], v[40:41], v[38:39]
	v_ldexp_f32 v43, v42, 1
	v_fma_f32 v41, v40, s36, -v38
	v_fmamk_f32 v42, v40, 0xb102e308, v41
	v_pk_add_f32 v[40:41], v[38:39], v[42:43]
	v_mov_b32_e32 v44, v38
	v_sub_f32_e32 v43, v41, v43
	v_sub_f32_e32 v43, v39, v43
	v_add_f32_e32 v45, v45, v43
	v_pk_add_f32 v[38:39], v[40:41], v[38:39] neg_lo:[0,1] neg_hi:[0,1]
	v_pk_add_f32 v[46:47], v[40:41], v[44:45]
	v_mov_b32_e32 v43, v40
	v_mov_b32_e32 v39, v47
	v_pk_add_f32 v[48:49], v[42:43], v[38:39] neg_lo:[0,1] neg_hi:[0,1]
	v_pk_add_f32 v[38:39], v[42:43], v[38:39]
	v_mov_b32_e32 v44, v45
	v_pk_add_f32 v[42:43], v[38:39], v[40:41] op_sel:[1,0] op_sel_hi:[0,1] neg_lo:[0,1] neg_hi:[0,1]
	v_pk_add_f32 v[50:51], v[46:47], v[42:43] op_sel_hi:[1,0] neg_lo:[0,1] neg_hi:[0,1]
	v_mov_b32_e32 v46, v47
	v_mov_b32_e32 v47, v39
	v_pk_mov_b32 v[42:43], v[40:41], v[42:43] op_sel:[1,0]
	v_mov_b32_e32 v45, v40
	v_pk_add_f32 v[42:43], v[46:47], v[42:43] neg_lo:[0,1] neg_hi:[0,1]
	v_mov_b32_e32 v50, v48
	v_pk_add_f32 v[40:41], v[44:45], v[42:43] neg_lo:[0,1] neg_hi:[0,1]
	v_mov_b32_e32 v49, v39
	v_pk_add_f32 v[42:43], v[50:51], v[40:41]
	s_mov_b32 s36, 0x33800000
	v_pk_add_f32 v[44:45], v[42:43], v[42:43] op_sel:[0,1] op_sel_hi:[1,0]
	s_nop 0
	v_pk_add_f32 v[38:39], v[38:39], v[44:45] op_sel:[1,0] op_sel_hi:[0,1]
	v_mov_b32_e32 v43, v38
	v_pk_add_f32 v[46:47], v[42:43], v[48:49] neg_lo:[0,1] neg_hi:[0,1]
	v_mov_b32_e32 v41, v44
	v_sub_f32_e32 v39, v42, v46
	v_pk_add_f32 v[40:41], v[40:41], v[46:47] neg_lo:[0,1] neg_hi:[0,1]
	v_sub_f32_e32 v39, v48, v39
	v_add_f32_e32 v39, v40, v39
	v_add_f32_e32 v39, v39, v41
	;; [unrolled: 1-line block ×3, first 2 shown]
	v_cndmask_b32_e32 v38, v52, v38, vcc
	v_cmp_lt_f32_e64 vcc, |v37|, s36
	s_nop 1
	v_cndmask_b32_e32 v37, v38, v37, vcc
	v_add_f32_e32 v38, v36, v37
.LBB438_241:
	s_or_b64 exec, exec, s[30:31]
	v_bfe_u32 v36, v38, 16, 1
	s_movk_i32 s30, 0x7fff
	v_add3_u32 v36, v38, v36, s30
	v_cmp_o_f32_e32 vcc, v38, v38
	v_mov_b32_e32 v37, 0x7fc0
	s_nop 0
	v_cndmask_b32_sdwa v36, v37, v36, vcc dst_sel:DWORD dst_unused:UNUSED_PAD src0_sel:DWORD src1_sel:WORD_1
	v_and_b32_e32 v37, 0xffff, v36
.LBB438_242:
	s_or_b64 exec, exec, s[34:35]
	s_nop 0
	v_mov_b32_dpp v38, v37 row_shr:8 row_mask:0xf bank_mask:0xf
	v_cmp_lt_u32_e32 vcc, 7, v35
	s_and_saveexec_b64 s[34:35], vcc
	s_cbranch_execz .LBB438_246
; %bb.243:
	v_lshlrev_b32_e32 v36, 16, v38
	v_lshlrev_b32_e32 v35, 16, v37
	v_max_f32_e32 v38, v35, v35
	v_max_f32_e32 v39, v36, v36
	v_min_f32_e32 v37, v39, v38
	v_cmp_u_f32_e32 vcc, v36, v36
	v_max_f32_e32 v38, v39, v38
	v_cmp_u_f32_e64 s[30:31], v35, v35
	v_cndmask_b32_e32 v37, v37, v36, vcc
	v_cndmask_b32_e32 v38, v38, v36, vcc
	v_cndmask_b32_e64 v37, v37, v35, s[30:31]
	v_cndmask_b32_e64 v35, v38, v35, s[30:31]
	s_movk_i32 s30, 0x1f8
	v_cmp_neq_f32_e32 vcc, v37, v35
	v_cmp_class_f32_e64 s[30:31], v37, s30
	s_or_b64 s[36:37], vcc, s[30:31]
	s_and_saveexec_b64 s[30:31], s[36:37]
	s_cbranch_execz .LBB438_245
; %bb.244:
	v_sub_f32_e32 v36, v37, v35
	s_mov_b32 s36, 0x3fb8aa3b
	v_mul_f32_e32 v37, 0x3fb8aa3b, v36
	v_fma_f32 v38, v36, s36, -v37
	v_rndne_f32_e32 v39, v37
	v_fmamk_f32 v38, v36, 0x32a5705f, v38
	v_sub_f32_e32 v37, v37, v39
	v_add_f32_e32 v37, v37, v38
	v_exp_f32_e32 v37, v37
	v_cvt_i32_f32_e32 v38, v39
	s_mov_b32 s36, 0xc2ce8ed0
	v_cmp_ngt_f32_e32 vcc, s36, v36
	s_mov_b32 s36, 0x42b17218
	v_ldexp_f32 v37, v37, v38
	v_cndmask_b32_e32 v37, 0, v37, vcc
	v_mov_b32_e32 v50, 0x7f800000
	v_cmp_nlt_f32_e32 vcc, s36, v36
	s_mov_b32 s36, 0x3f2aaaab
	s_mov_b32 s37, 0x7f800000
	v_cndmask_b32_e32 v51, v50, v37, vcc
	v_add_f32_e32 v38, 1.0, v51
	v_add_f32_e32 v36, -1.0, v38
	v_sub_f32_e32 v37, v36, v38
	v_add_f32_e32 v37, 1.0, v37
	v_sub_f32_e32 v36, v51, v36
	v_add_f32_e32 v39, v36, v37
	v_frexp_mant_f32_e32 v40, v38
	v_cvt_f64_f32_e32 v[36:37], v38
	v_frexp_exp_i32_f64_e32 v36, v[36:37]
	v_cmp_gt_f32_e32 vcc, s36, v40
	s_mov_b32 s36, 0x3f317218
	s_nop 0
	v_subbrev_co_u32_e32 v44, vcc, 0, v36, vcc
	v_sub_u32_e32 v36, 0, v44
	v_ldexp_f32 v37, v38, v36
	v_add_f32_e32 v38, -1.0, v37
	v_add_f32_e32 v40, 1.0, v37
	v_ldexp_f32 v36, v39, v36
	v_add_f32_e32 v39, 1.0, v38
	v_add_f32_e32 v41, -1.0, v40
	v_sub_f32_e32 v39, v37, v39
	v_sub_f32_e32 v37, v37, v41
	v_add_f32_e32 v39, v36, v39
	v_add_f32_e32 v36, v36, v37
	;; [unrolled: 1-line block ×3, first 2 shown]
	v_rcp_f32_e32 v47, v45
	v_sub_f32_e32 v37, v40, v45
	v_add_f32_e32 v46, v36, v37
	v_add_f32_e32 v37, v38, v39
	v_mul_f32_e32 v49, v37, v47
	v_sub_f32_e32 v36, v38, v37
	v_mul_f32_e32 v38, v45, v49
	v_fma_f32 v40, v49, v45, -v38
	v_fmac_f32_e32 v40, v49, v46
	v_add_f32_e32 v48, v39, v36
	v_add_f32_e32 v36, v38, v40
	v_sub_f32_e32 v39, v37, v36
	v_pk_add_f32 v[42:43], v[36:37], v[38:39] neg_lo:[0,1] neg_hi:[0,1]
	v_mov_b32_e32 v41, v36
	v_pk_add_f32 v[36:37], v[42:43], v[40:41] neg_lo:[0,1] neg_hi:[0,1]
	v_cmp_neq_f32_e32 vcc, s37, v51
	v_add_f32_e32 v37, v48, v37
	v_add_f32_e32 v36, v36, v37
	v_add_f32_e32 v37, v39, v36
	v_mul_f32_e32 v48, v47, v37
	v_mul_f32_e32 v38, v45, v48
	v_fma_f32 v40, v48, v45, -v38
	v_fmac_f32_e32 v40, v48, v46
	v_sub_f32_e32 v39, v39, v37
	v_add_f32_e32 v45, v36, v39
	v_add_f32_e32 v36, v38, v40
	v_sub_f32_e32 v39, v37, v36
	v_pk_add_f32 v[42:43], v[36:37], v[38:39] neg_lo:[0,1] neg_hi:[0,1]
	v_mov_b32_e32 v41, v36
	v_pk_add_f32 v[36:37], v[42:43], v[40:41] neg_lo:[0,1] neg_hi:[0,1]
	v_cvt_f32_i32_e32 v38, v44
	v_add_f32_e32 v37, v45, v37
	v_add_f32_e32 v36, v36, v37
	;; [unrolled: 1-line block ×4, first 2 shown]
	v_sub_f32_e32 v37, v39, v49
	v_mul_f32_e32 v36, v47, v36
	v_sub_f32_e32 v37, v48, v37
	v_add_f32_e32 v36, v37, v36
	v_add_f32_e32 v40, v39, v36
	v_mul_f32_e32 v42, v40, v40
	v_mov_b32_e32 v37, 0x3ecc95a3
	v_sub_f32_e32 v39, v40, v39
	v_fmac_f32_e32 v37, 0x3e9b6dac, v42
	v_sub_f32_e32 v36, v36, v39
	v_fmaak_f32 v37, v42, v37, 0x3f2aaada
	v_ldexp_f32 v43, v36, 1
	v_mul_f32_e32 v39, v40, v42
	v_mov_b32_e32 v36, 0x3f317218
	v_pk_mul_f32 v[36:37], v[38:39], v[36:37]
	v_ldexp_f32 v41, v40, 1
	v_fma_f32 v39, v38, s36, -v36
	v_fmamk_f32 v40, v38, 0xb102e308, v39
	v_pk_add_f32 v[38:39], v[36:37], v[40:41]
	v_mov_b32_e32 v42, v36
	v_sub_f32_e32 v41, v39, v41
	v_sub_f32_e32 v41, v37, v41
	v_add_f32_e32 v43, v43, v41
	v_pk_add_f32 v[36:37], v[38:39], v[36:37] neg_lo:[0,1] neg_hi:[0,1]
	v_pk_add_f32 v[44:45], v[38:39], v[42:43]
	v_mov_b32_e32 v41, v38
	v_mov_b32_e32 v37, v45
	v_pk_add_f32 v[46:47], v[40:41], v[36:37] neg_lo:[0,1] neg_hi:[0,1]
	v_pk_add_f32 v[36:37], v[40:41], v[36:37]
	v_mov_b32_e32 v42, v43
	v_pk_add_f32 v[40:41], v[36:37], v[38:39] op_sel:[1,0] op_sel_hi:[0,1] neg_lo:[0,1] neg_hi:[0,1]
	v_pk_add_f32 v[48:49], v[44:45], v[40:41] op_sel_hi:[1,0] neg_lo:[0,1] neg_hi:[0,1]
	v_mov_b32_e32 v44, v45
	v_mov_b32_e32 v45, v37
	v_pk_mov_b32 v[40:41], v[38:39], v[40:41] op_sel:[1,0]
	v_mov_b32_e32 v43, v38
	v_pk_add_f32 v[40:41], v[44:45], v[40:41] neg_lo:[0,1] neg_hi:[0,1]
	v_mov_b32_e32 v48, v46
	v_pk_add_f32 v[38:39], v[42:43], v[40:41] neg_lo:[0,1] neg_hi:[0,1]
	v_mov_b32_e32 v47, v37
	v_pk_add_f32 v[40:41], v[48:49], v[38:39]
	s_mov_b32 s36, 0x33800000
	v_pk_add_f32 v[42:43], v[40:41], v[40:41] op_sel:[0,1] op_sel_hi:[1,0]
	s_nop 0
	v_pk_add_f32 v[36:37], v[36:37], v[42:43] op_sel:[1,0] op_sel_hi:[0,1]
	v_mov_b32_e32 v41, v36
	v_pk_add_f32 v[44:45], v[40:41], v[46:47] neg_lo:[0,1] neg_hi:[0,1]
	v_mov_b32_e32 v39, v42
	v_sub_f32_e32 v37, v40, v44
	v_pk_add_f32 v[38:39], v[38:39], v[44:45] neg_lo:[0,1] neg_hi:[0,1]
	v_sub_f32_e32 v37, v46, v37
	v_add_f32_e32 v37, v38, v37
	v_add_f32_e32 v37, v37, v39
	;; [unrolled: 1-line block ×3, first 2 shown]
	v_cndmask_b32_e32 v36, v50, v36, vcc
	v_cmp_lt_f32_e64 vcc, |v51|, s36
	s_nop 1
	v_cndmask_b32_e32 v36, v36, v51, vcc
	v_add_f32_e32 v36, v35, v36
.LBB438_245:
	s_or_b64 exec, exec, s[30:31]
	v_bfe_u32 v35, v36, 16, 1
	s_movk_i32 s30, 0x7fff
	v_add3_u32 v35, v36, v35, s30
	v_cmp_o_f32_e32 vcc, v36, v36
	v_mov_b32_e32 v36, 0x7fc0
	s_nop 0
	v_cndmask_b32_sdwa v36, v36, v35, vcc dst_sel:DWORD dst_unused:UNUSED_PAD src0_sel:DWORD src1_sel:WORD_1
	v_and_b32_e32 v37, 0xffff, v36
.LBB438_246:
	s_or_b64 exec, exec, s[34:35]
	v_and_b32_e32 v38, 16, v34
	v_mov_b32_dpp v35, v37 row_bcast:15 row_mask:0xf bank_mask:0xf
	v_cmp_ne_u32_e32 vcc, 0, v38
	s_and_saveexec_b64 s[34:35], vcc
	s_cbranch_execz .LBB438_250
; %bb.247:
	v_lshlrev_b32_e32 v36, 16, v35
	v_lshlrev_b32_e32 v35, 16, v37
	v_max_f32_e32 v38, v35, v35
	v_max_f32_e32 v39, v36, v36
	v_min_f32_e32 v37, v39, v38
	v_cmp_u_f32_e32 vcc, v36, v36
	v_max_f32_e32 v38, v39, v38
	v_cmp_u_f32_e64 s[30:31], v35, v35
	v_cndmask_b32_e32 v37, v37, v36, vcc
	v_cndmask_b32_e32 v38, v38, v36, vcc
	v_cndmask_b32_e64 v37, v37, v35, s[30:31]
	v_cndmask_b32_e64 v35, v38, v35, s[30:31]
	s_movk_i32 s30, 0x1f8
	v_cmp_neq_f32_e32 vcc, v37, v35
	v_cmp_class_f32_e64 s[30:31], v37, s30
	s_or_b64 s[36:37], vcc, s[30:31]
	s_and_saveexec_b64 s[30:31], s[36:37]
	s_cbranch_execz .LBB438_249
; %bb.248:
	v_sub_f32_e32 v36, v37, v35
	s_mov_b32 s36, 0x3fb8aa3b
	v_mul_f32_e32 v37, 0x3fb8aa3b, v36
	v_fma_f32 v38, v36, s36, -v37
	v_rndne_f32_e32 v39, v37
	v_fmamk_f32 v38, v36, 0x32a5705f, v38
	v_sub_f32_e32 v37, v37, v39
	v_add_f32_e32 v37, v37, v38
	v_exp_f32_e32 v37, v37
	v_cvt_i32_f32_e32 v38, v39
	s_mov_b32 s36, 0xc2ce8ed0
	v_cmp_ngt_f32_e32 vcc, s36, v36
	s_mov_b32 s36, 0x42b17218
	v_ldexp_f32 v37, v37, v38
	v_cndmask_b32_e32 v37, 0, v37, vcc
	v_mov_b32_e32 v50, 0x7f800000
	v_cmp_nlt_f32_e32 vcc, s36, v36
	s_mov_b32 s36, 0x3f2aaaab
	s_mov_b32 s37, 0x7f800000
	v_cndmask_b32_e32 v51, v50, v37, vcc
	v_add_f32_e32 v38, 1.0, v51
	v_add_f32_e32 v36, -1.0, v38
	v_sub_f32_e32 v37, v36, v38
	v_add_f32_e32 v37, 1.0, v37
	v_sub_f32_e32 v36, v51, v36
	v_add_f32_e32 v39, v36, v37
	v_frexp_mant_f32_e32 v40, v38
	v_cvt_f64_f32_e32 v[36:37], v38
	v_frexp_exp_i32_f64_e32 v36, v[36:37]
	v_cmp_gt_f32_e32 vcc, s36, v40
	s_mov_b32 s36, 0x3f317218
	s_nop 0
	v_subbrev_co_u32_e32 v44, vcc, 0, v36, vcc
	v_sub_u32_e32 v36, 0, v44
	v_ldexp_f32 v37, v38, v36
	v_add_f32_e32 v38, -1.0, v37
	v_add_f32_e32 v40, 1.0, v37
	v_ldexp_f32 v36, v39, v36
	v_add_f32_e32 v39, 1.0, v38
	v_add_f32_e32 v41, -1.0, v40
	v_sub_f32_e32 v39, v37, v39
	v_sub_f32_e32 v37, v37, v41
	v_add_f32_e32 v39, v36, v39
	v_add_f32_e32 v36, v36, v37
	v_add_f32_e32 v45, v40, v36
	v_rcp_f32_e32 v47, v45
	v_sub_f32_e32 v37, v40, v45
	v_add_f32_e32 v46, v36, v37
	v_add_f32_e32 v37, v38, v39
	v_mul_f32_e32 v49, v37, v47
	v_sub_f32_e32 v36, v38, v37
	v_mul_f32_e32 v38, v45, v49
	v_fma_f32 v40, v49, v45, -v38
	v_fmac_f32_e32 v40, v49, v46
	v_add_f32_e32 v48, v39, v36
	v_add_f32_e32 v36, v38, v40
	v_sub_f32_e32 v39, v37, v36
	v_pk_add_f32 v[42:43], v[36:37], v[38:39] neg_lo:[0,1] neg_hi:[0,1]
	v_mov_b32_e32 v41, v36
	v_pk_add_f32 v[36:37], v[42:43], v[40:41] neg_lo:[0,1] neg_hi:[0,1]
	v_cmp_neq_f32_e32 vcc, s37, v51
	v_add_f32_e32 v37, v48, v37
	v_add_f32_e32 v36, v36, v37
	;; [unrolled: 1-line block ×3, first 2 shown]
	v_mul_f32_e32 v48, v47, v37
	v_mul_f32_e32 v38, v45, v48
	v_fma_f32 v40, v48, v45, -v38
	v_fmac_f32_e32 v40, v48, v46
	v_sub_f32_e32 v39, v39, v37
	v_add_f32_e32 v45, v36, v39
	v_add_f32_e32 v36, v38, v40
	v_sub_f32_e32 v39, v37, v36
	v_pk_add_f32 v[42:43], v[36:37], v[38:39] neg_lo:[0,1] neg_hi:[0,1]
	v_mov_b32_e32 v41, v36
	v_pk_add_f32 v[36:37], v[42:43], v[40:41] neg_lo:[0,1] neg_hi:[0,1]
	v_cvt_f32_i32_e32 v38, v44
	v_add_f32_e32 v37, v45, v37
	v_add_f32_e32 v36, v36, v37
	;; [unrolled: 1-line block ×4, first 2 shown]
	v_sub_f32_e32 v37, v39, v49
	v_mul_f32_e32 v36, v47, v36
	v_sub_f32_e32 v37, v48, v37
	v_add_f32_e32 v36, v37, v36
	v_add_f32_e32 v40, v39, v36
	v_mul_f32_e32 v42, v40, v40
	v_mov_b32_e32 v37, 0x3ecc95a3
	v_sub_f32_e32 v39, v40, v39
	v_fmac_f32_e32 v37, 0x3e9b6dac, v42
	v_sub_f32_e32 v36, v36, v39
	v_fmaak_f32 v37, v42, v37, 0x3f2aaada
	v_ldexp_f32 v43, v36, 1
	v_mul_f32_e32 v39, v40, v42
	v_mov_b32_e32 v36, 0x3f317218
	v_pk_mul_f32 v[36:37], v[38:39], v[36:37]
	v_ldexp_f32 v41, v40, 1
	v_fma_f32 v39, v38, s36, -v36
	v_fmamk_f32 v40, v38, 0xb102e308, v39
	v_pk_add_f32 v[38:39], v[36:37], v[40:41]
	v_mov_b32_e32 v42, v36
	v_sub_f32_e32 v41, v39, v41
	v_sub_f32_e32 v41, v37, v41
	v_add_f32_e32 v43, v43, v41
	v_pk_add_f32 v[36:37], v[38:39], v[36:37] neg_lo:[0,1] neg_hi:[0,1]
	v_pk_add_f32 v[44:45], v[38:39], v[42:43]
	v_mov_b32_e32 v41, v38
	v_mov_b32_e32 v37, v45
	v_pk_add_f32 v[46:47], v[40:41], v[36:37] neg_lo:[0,1] neg_hi:[0,1]
	v_pk_add_f32 v[36:37], v[40:41], v[36:37]
	v_mov_b32_e32 v42, v43
	v_pk_add_f32 v[40:41], v[36:37], v[38:39] op_sel:[1,0] op_sel_hi:[0,1] neg_lo:[0,1] neg_hi:[0,1]
	v_pk_add_f32 v[48:49], v[44:45], v[40:41] op_sel_hi:[1,0] neg_lo:[0,1] neg_hi:[0,1]
	v_mov_b32_e32 v44, v45
	v_mov_b32_e32 v45, v37
	v_pk_mov_b32 v[40:41], v[38:39], v[40:41] op_sel:[1,0]
	v_mov_b32_e32 v43, v38
	v_pk_add_f32 v[40:41], v[44:45], v[40:41] neg_lo:[0,1] neg_hi:[0,1]
	v_mov_b32_e32 v48, v46
	v_pk_add_f32 v[38:39], v[42:43], v[40:41] neg_lo:[0,1] neg_hi:[0,1]
	v_mov_b32_e32 v47, v37
	v_pk_add_f32 v[40:41], v[48:49], v[38:39]
	s_mov_b32 s36, 0x33800000
	v_pk_add_f32 v[42:43], v[40:41], v[40:41] op_sel:[0,1] op_sel_hi:[1,0]
	s_nop 0
	v_pk_add_f32 v[36:37], v[36:37], v[42:43] op_sel:[1,0] op_sel_hi:[0,1]
	v_mov_b32_e32 v41, v36
	v_pk_add_f32 v[44:45], v[40:41], v[46:47] neg_lo:[0,1] neg_hi:[0,1]
	v_mov_b32_e32 v39, v42
	v_sub_f32_e32 v37, v40, v44
	v_pk_add_f32 v[38:39], v[38:39], v[44:45] neg_lo:[0,1] neg_hi:[0,1]
	v_sub_f32_e32 v37, v46, v37
	v_add_f32_e32 v37, v38, v37
	v_add_f32_e32 v37, v37, v39
	;; [unrolled: 1-line block ×3, first 2 shown]
	v_cndmask_b32_e32 v36, v50, v36, vcc
	v_cmp_lt_f32_e64 vcc, |v51|, s36
	s_nop 1
	v_cndmask_b32_e32 v36, v36, v51, vcc
	v_add_f32_e32 v36, v35, v36
.LBB438_249:
	s_or_b64 exec, exec, s[30:31]
	v_bfe_u32 v35, v36, 16, 1
	s_movk_i32 s30, 0x7fff
	v_add3_u32 v35, v36, v35, s30
	v_cmp_o_f32_e32 vcc, v36, v36
	v_mov_b32_e32 v36, 0x7fc0
	s_nop 0
	v_cndmask_b32_sdwa v36, v36, v35, vcc dst_sel:DWORD dst_unused:UNUSED_PAD src0_sel:DWORD src1_sel:WORD_1
	v_and_b32_e32 v37, 0xffff, v36
.LBB438_250:
	s_or_b64 exec, exec, s[34:35]
	s_nop 0
	v_mov_b32_dpp v35, v37 row_bcast:31 row_mask:0xf bank_mask:0xf
	v_cmp_lt_u32_e32 vcc, 31, v34
	s_and_saveexec_b64 s[34:35], vcc
	s_cbranch_execz .LBB438_254
; %bb.251:
	v_lshlrev_b32_e32 v36, 16, v35
	v_lshlrev_b32_e32 v35, 16, v37
	v_max_f32_e32 v38, v35, v35
	v_max_f32_e32 v39, v36, v36
	v_min_f32_e32 v37, v39, v38
	v_cmp_u_f32_e32 vcc, v36, v36
	v_max_f32_e32 v38, v39, v38
	v_cmp_u_f32_e64 s[30:31], v35, v35
	v_cndmask_b32_e32 v37, v37, v36, vcc
	v_cndmask_b32_e32 v38, v38, v36, vcc
	v_cndmask_b32_e64 v37, v37, v35, s[30:31]
	v_cndmask_b32_e64 v35, v38, v35, s[30:31]
	s_movk_i32 s30, 0x1f8
	v_cmp_neq_f32_e32 vcc, v37, v35
	v_cmp_class_f32_e64 s[30:31], v37, s30
	s_or_b64 s[36:37], vcc, s[30:31]
	s_and_saveexec_b64 s[30:31], s[36:37]
	s_cbranch_execz .LBB438_253
; %bb.252:
	v_sub_f32_e32 v36, v37, v35
	s_mov_b32 s36, 0x3fb8aa3b
	v_mul_f32_e32 v37, 0x3fb8aa3b, v36
	v_fma_f32 v38, v36, s36, -v37
	v_rndne_f32_e32 v39, v37
	v_fmamk_f32 v38, v36, 0x32a5705f, v38
	v_sub_f32_e32 v37, v37, v39
	v_add_f32_e32 v37, v37, v38
	v_exp_f32_e32 v37, v37
	v_cvt_i32_f32_e32 v38, v39
	s_mov_b32 s36, 0xc2ce8ed0
	v_cmp_ngt_f32_e32 vcc, s36, v36
	s_mov_b32 s36, 0x42b17218
	v_ldexp_f32 v37, v37, v38
	v_cndmask_b32_e32 v37, 0, v37, vcc
	v_mov_b32_e32 v50, 0x7f800000
	v_cmp_nlt_f32_e32 vcc, s36, v36
	s_mov_b32 s36, 0x3f2aaaab
	s_mov_b32 s37, 0x7f800000
	v_cndmask_b32_e32 v51, v50, v37, vcc
	v_add_f32_e32 v38, 1.0, v51
	v_add_f32_e32 v36, -1.0, v38
	v_sub_f32_e32 v37, v36, v38
	v_add_f32_e32 v37, 1.0, v37
	v_sub_f32_e32 v36, v51, v36
	v_add_f32_e32 v39, v36, v37
	v_frexp_mant_f32_e32 v40, v38
	v_cvt_f64_f32_e32 v[36:37], v38
	v_frexp_exp_i32_f64_e32 v36, v[36:37]
	v_cmp_gt_f32_e32 vcc, s36, v40
	s_mov_b32 s36, 0x3f317218
	s_nop 0
	v_subbrev_co_u32_e32 v44, vcc, 0, v36, vcc
	v_sub_u32_e32 v36, 0, v44
	v_ldexp_f32 v37, v38, v36
	v_add_f32_e32 v38, -1.0, v37
	v_add_f32_e32 v40, 1.0, v37
	v_ldexp_f32 v36, v39, v36
	v_add_f32_e32 v39, 1.0, v38
	v_add_f32_e32 v41, -1.0, v40
	v_sub_f32_e32 v39, v37, v39
	v_sub_f32_e32 v37, v37, v41
	v_add_f32_e32 v39, v36, v39
	v_add_f32_e32 v36, v36, v37
	;; [unrolled: 1-line block ×3, first 2 shown]
	v_rcp_f32_e32 v47, v45
	v_sub_f32_e32 v37, v40, v45
	v_add_f32_e32 v46, v36, v37
	v_add_f32_e32 v37, v38, v39
	v_mul_f32_e32 v49, v37, v47
	v_sub_f32_e32 v36, v38, v37
	v_mul_f32_e32 v38, v45, v49
	v_fma_f32 v40, v49, v45, -v38
	v_fmac_f32_e32 v40, v49, v46
	v_add_f32_e32 v48, v39, v36
	v_add_f32_e32 v36, v38, v40
	v_sub_f32_e32 v39, v37, v36
	v_pk_add_f32 v[42:43], v[36:37], v[38:39] neg_lo:[0,1] neg_hi:[0,1]
	v_mov_b32_e32 v41, v36
	v_pk_add_f32 v[36:37], v[42:43], v[40:41] neg_lo:[0,1] neg_hi:[0,1]
	v_cmp_neq_f32_e32 vcc, s37, v51
	v_add_f32_e32 v37, v48, v37
	v_add_f32_e32 v36, v36, v37
	;; [unrolled: 1-line block ×3, first 2 shown]
	v_mul_f32_e32 v48, v47, v37
	v_mul_f32_e32 v38, v45, v48
	v_fma_f32 v40, v48, v45, -v38
	v_fmac_f32_e32 v40, v48, v46
	v_sub_f32_e32 v39, v39, v37
	v_add_f32_e32 v45, v36, v39
	v_add_f32_e32 v36, v38, v40
	v_sub_f32_e32 v39, v37, v36
	v_pk_add_f32 v[42:43], v[36:37], v[38:39] neg_lo:[0,1] neg_hi:[0,1]
	v_mov_b32_e32 v41, v36
	v_pk_add_f32 v[36:37], v[42:43], v[40:41] neg_lo:[0,1] neg_hi:[0,1]
	v_cvt_f32_i32_e32 v38, v44
	v_add_f32_e32 v37, v45, v37
	v_add_f32_e32 v36, v36, v37
	;; [unrolled: 1-line block ×4, first 2 shown]
	v_sub_f32_e32 v37, v39, v49
	v_mul_f32_e32 v36, v47, v36
	v_sub_f32_e32 v37, v48, v37
	v_add_f32_e32 v36, v37, v36
	v_add_f32_e32 v40, v39, v36
	v_mul_f32_e32 v42, v40, v40
	v_mov_b32_e32 v37, 0x3ecc95a3
	v_sub_f32_e32 v39, v40, v39
	v_fmac_f32_e32 v37, 0x3e9b6dac, v42
	v_sub_f32_e32 v36, v36, v39
	v_fmaak_f32 v37, v42, v37, 0x3f2aaada
	v_ldexp_f32 v43, v36, 1
	v_mul_f32_e32 v39, v40, v42
	v_mov_b32_e32 v36, 0x3f317218
	v_pk_mul_f32 v[36:37], v[38:39], v[36:37]
	v_ldexp_f32 v41, v40, 1
	v_fma_f32 v39, v38, s36, -v36
	v_fmamk_f32 v40, v38, 0xb102e308, v39
	v_pk_add_f32 v[38:39], v[36:37], v[40:41]
	v_mov_b32_e32 v42, v36
	v_sub_f32_e32 v41, v39, v41
	v_sub_f32_e32 v41, v37, v41
	v_add_f32_e32 v43, v43, v41
	v_pk_add_f32 v[36:37], v[38:39], v[36:37] neg_lo:[0,1] neg_hi:[0,1]
	v_pk_add_f32 v[44:45], v[38:39], v[42:43]
	v_mov_b32_e32 v41, v38
	v_mov_b32_e32 v37, v45
	v_pk_add_f32 v[46:47], v[40:41], v[36:37] neg_lo:[0,1] neg_hi:[0,1]
	v_pk_add_f32 v[36:37], v[40:41], v[36:37]
	v_mov_b32_e32 v42, v43
	v_pk_add_f32 v[40:41], v[36:37], v[38:39] op_sel:[1,0] op_sel_hi:[0,1] neg_lo:[0,1] neg_hi:[0,1]
	v_pk_add_f32 v[48:49], v[44:45], v[40:41] op_sel_hi:[1,0] neg_lo:[0,1] neg_hi:[0,1]
	v_mov_b32_e32 v44, v45
	v_mov_b32_e32 v45, v37
	v_pk_mov_b32 v[40:41], v[38:39], v[40:41] op_sel:[1,0]
	v_mov_b32_e32 v43, v38
	v_pk_add_f32 v[40:41], v[44:45], v[40:41] neg_lo:[0,1] neg_hi:[0,1]
	v_mov_b32_e32 v48, v46
	v_pk_add_f32 v[38:39], v[42:43], v[40:41] neg_lo:[0,1] neg_hi:[0,1]
	v_mov_b32_e32 v47, v37
	v_pk_add_f32 v[40:41], v[48:49], v[38:39]
	s_mov_b32 s36, 0x33800000
	v_pk_add_f32 v[42:43], v[40:41], v[40:41] op_sel:[0,1] op_sel_hi:[1,0]
	s_nop 0
	v_pk_add_f32 v[36:37], v[36:37], v[42:43] op_sel:[1,0] op_sel_hi:[0,1]
	v_mov_b32_e32 v41, v36
	v_pk_add_f32 v[44:45], v[40:41], v[46:47] neg_lo:[0,1] neg_hi:[0,1]
	v_mov_b32_e32 v39, v42
	v_sub_f32_e32 v37, v40, v44
	v_pk_add_f32 v[38:39], v[38:39], v[44:45] neg_lo:[0,1] neg_hi:[0,1]
	v_sub_f32_e32 v37, v46, v37
	v_add_f32_e32 v37, v38, v37
	v_add_f32_e32 v37, v37, v39
	;; [unrolled: 1-line block ×3, first 2 shown]
	v_cndmask_b32_e32 v36, v50, v36, vcc
	v_cmp_lt_f32_e64 vcc, |v51|, s36
	s_nop 1
	v_cndmask_b32_e32 v36, v36, v51, vcc
	v_add_f32_e32 v36, v35, v36
.LBB438_253:
	s_or_b64 exec, exec, s[30:31]
	v_bfe_u32 v35, v36, 16, 1
	s_movk_i32 s30, 0x7fff
	v_add3_u32 v35, v36, v35, s30
	v_cmp_o_f32_e32 vcc, v36, v36
	v_mov_b32_e32 v36, 0x7fc0
	s_nop 0
	v_cndmask_b32_sdwa v36, v36, v35, vcc dst_sel:DWORD dst_unused:UNUSED_PAD src0_sel:DWORD src1_sel:WORD_1
.LBB438_254:
	s_or_b64 exec, exec, s[34:35]
	v_or_b32_e32 v37, 63, v0
	v_lshrrev_b32_e32 v35, 6, v0
	v_cmp_eq_u32_e32 vcc, v0, v37
	s_and_saveexec_b64 s[30:31], vcc
; %bb.255:
	v_lshlrev_b32_e32 v37, 1, v35
	ds_write_b16 v37, v36
; %bb.256:
	s_or_b64 exec, exec, s[30:31]
	v_cmp_gt_u32_e32 vcc, 2, v0
	s_waitcnt lgkmcnt(0)
	s_barrier
	s_and_saveexec_b64 s[34:35], vcc
	s_cbranch_execz .LBB438_262
; %bb.257:
	ds_read_u16 v37, v2
	v_and_b32_e32 v40, 1, v34
	v_cmp_eq_u32_e32 vcc, 1, v40
	s_waitcnt lgkmcnt(0)
	v_and_b32_e32 v39, 0xffff, v37
	s_nop 1
	v_mov_b32_dpp v38, v39 row_shr:1 row_mask:0xf bank_mask:0xf
	s_and_saveexec_b64 s[36:37], vcc
	s_cbranch_execz .LBB438_261
; %bb.258:
	v_lshlrev_b32_e32 v38, 16, v38
	v_lshlrev_b32_e32 v37, 16, v39
	v_max_f32_e32 v40, v37, v37
	v_max_f32_e32 v41, v38, v38
	v_min_f32_e32 v39, v41, v40
	v_cmp_u_f32_e32 vcc, v38, v38
	v_max_f32_e32 v40, v41, v40
	v_cmp_u_f32_e64 s[30:31], v37, v37
	v_cndmask_b32_e32 v39, v39, v38, vcc
	v_cndmask_b32_e32 v40, v40, v38, vcc
	v_cndmask_b32_e64 v39, v39, v37, s[30:31]
	v_cndmask_b32_e64 v37, v40, v37, s[30:31]
	s_movk_i32 s30, 0x1f8
	v_cmp_neq_f32_e32 vcc, v39, v37
	v_cmp_class_f32_e64 s[30:31], v39, s30
	s_or_b64 s[44:45], vcc, s[30:31]
	s_and_saveexec_b64 s[30:31], s[44:45]
	s_cbranch_execz .LBB438_260
; %bb.259:
	v_sub_f32_e32 v38, v39, v37
	s_mov_b32 s44, 0x3fb8aa3b
	v_mul_f32_e32 v39, 0x3fb8aa3b, v38
	v_fma_f32 v40, v38, s44, -v39
	v_rndne_f32_e32 v41, v39
	v_fmamk_f32 v40, v38, 0x32a5705f, v40
	v_sub_f32_e32 v39, v39, v41
	v_add_f32_e32 v39, v39, v40
	v_exp_f32_e32 v39, v39
	v_cvt_i32_f32_e32 v40, v41
	s_mov_b32 s44, 0xc2ce8ed0
	v_cmp_ngt_f32_e32 vcc, s44, v38
	s_mov_b32 s44, 0x42b17218
	v_ldexp_f32 v39, v39, v40
	v_cndmask_b32_e32 v39, 0, v39, vcc
	v_mov_b32_e32 v52, 0x7f800000
	v_cmp_nlt_f32_e32 vcc, s44, v38
	s_mov_b32 s44, 0x3f2aaaab
	s_mov_b32 s45, 0x7f800000
	v_cndmask_b32_e32 v53, v52, v39, vcc
	v_add_f32_e32 v40, 1.0, v53
	v_add_f32_e32 v38, -1.0, v40
	v_sub_f32_e32 v39, v38, v40
	v_add_f32_e32 v39, 1.0, v39
	v_sub_f32_e32 v38, v53, v38
	v_add_f32_e32 v41, v38, v39
	v_frexp_mant_f32_e32 v42, v40
	v_cvt_f64_f32_e32 v[38:39], v40
	v_frexp_exp_i32_f64_e32 v38, v[38:39]
	v_cmp_gt_f32_e32 vcc, s44, v42
	s_mov_b32 s44, 0x3f317218
	s_nop 0
	v_subbrev_co_u32_e32 v46, vcc, 0, v38, vcc
	v_sub_u32_e32 v38, 0, v46
	v_ldexp_f32 v39, v40, v38
	v_add_f32_e32 v40, -1.0, v39
	v_add_f32_e32 v42, 1.0, v39
	v_ldexp_f32 v38, v41, v38
	v_add_f32_e32 v41, 1.0, v40
	v_add_f32_e32 v43, -1.0, v42
	v_sub_f32_e32 v41, v39, v41
	v_sub_f32_e32 v39, v39, v43
	v_add_f32_e32 v41, v38, v41
	v_add_f32_e32 v38, v38, v39
	;; [unrolled: 1-line block ×3, first 2 shown]
	v_rcp_f32_e32 v49, v47
	v_sub_f32_e32 v39, v42, v47
	v_add_f32_e32 v48, v38, v39
	v_add_f32_e32 v39, v40, v41
	v_mul_f32_e32 v51, v39, v49
	v_sub_f32_e32 v38, v40, v39
	v_mul_f32_e32 v40, v47, v51
	v_fma_f32 v42, v51, v47, -v40
	v_fmac_f32_e32 v42, v51, v48
	v_add_f32_e32 v50, v41, v38
	v_add_f32_e32 v38, v40, v42
	v_sub_f32_e32 v41, v39, v38
	v_pk_add_f32 v[44:45], v[38:39], v[40:41] neg_lo:[0,1] neg_hi:[0,1]
	v_mov_b32_e32 v43, v38
	v_pk_add_f32 v[38:39], v[44:45], v[42:43] neg_lo:[0,1] neg_hi:[0,1]
	v_cmp_neq_f32_e32 vcc, s45, v53
	v_add_f32_e32 v39, v50, v39
	v_add_f32_e32 v38, v38, v39
	;; [unrolled: 1-line block ×3, first 2 shown]
	v_mul_f32_e32 v50, v49, v39
	v_mul_f32_e32 v40, v47, v50
	v_fma_f32 v42, v50, v47, -v40
	v_fmac_f32_e32 v42, v50, v48
	v_sub_f32_e32 v41, v41, v39
	v_add_f32_e32 v47, v38, v41
	v_add_f32_e32 v38, v40, v42
	v_sub_f32_e32 v41, v39, v38
	v_pk_add_f32 v[44:45], v[38:39], v[40:41] neg_lo:[0,1] neg_hi:[0,1]
	v_mov_b32_e32 v43, v38
	v_pk_add_f32 v[38:39], v[44:45], v[42:43] neg_lo:[0,1] neg_hi:[0,1]
	v_cvt_f32_i32_e32 v40, v46
	v_add_f32_e32 v39, v47, v39
	v_add_f32_e32 v38, v38, v39
	;; [unrolled: 1-line block ×4, first 2 shown]
	v_sub_f32_e32 v39, v41, v51
	v_mul_f32_e32 v38, v49, v38
	v_sub_f32_e32 v39, v50, v39
	v_add_f32_e32 v38, v39, v38
	v_add_f32_e32 v42, v41, v38
	v_mul_f32_e32 v44, v42, v42
	v_mov_b32_e32 v39, 0x3ecc95a3
	v_sub_f32_e32 v41, v42, v41
	v_fmac_f32_e32 v39, 0x3e9b6dac, v44
	v_sub_f32_e32 v38, v38, v41
	v_fmaak_f32 v39, v44, v39, 0x3f2aaada
	v_ldexp_f32 v45, v38, 1
	v_mul_f32_e32 v41, v42, v44
	v_mov_b32_e32 v38, 0x3f317218
	v_pk_mul_f32 v[38:39], v[40:41], v[38:39]
	v_ldexp_f32 v43, v42, 1
	v_fma_f32 v41, v40, s44, -v38
	v_fmamk_f32 v42, v40, 0xb102e308, v41
	v_pk_add_f32 v[40:41], v[38:39], v[42:43]
	v_mov_b32_e32 v44, v38
	v_sub_f32_e32 v43, v41, v43
	v_sub_f32_e32 v43, v39, v43
	v_add_f32_e32 v45, v45, v43
	v_pk_add_f32 v[38:39], v[40:41], v[38:39] neg_lo:[0,1] neg_hi:[0,1]
	v_pk_add_f32 v[46:47], v[40:41], v[44:45]
	v_mov_b32_e32 v43, v40
	v_mov_b32_e32 v39, v47
	v_pk_add_f32 v[48:49], v[42:43], v[38:39] neg_lo:[0,1] neg_hi:[0,1]
	v_pk_add_f32 v[38:39], v[42:43], v[38:39]
	v_mov_b32_e32 v44, v45
	v_pk_add_f32 v[42:43], v[38:39], v[40:41] op_sel:[1,0] op_sel_hi:[0,1] neg_lo:[0,1] neg_hi:[0,1]
	v_pk_add_f32 v[50:51], v[46:47], v[42:43] op_sel_hi:[1,0] neg_lo:[0,1] neg_hi:[0,1]
	v_mov_b32_e32 v46, v47
	v_mov_b32_e32 v47, v39
	v_pk_mov_b32 v[42:43], v[40:41], v[42:43] op_sel:[1,0]
	v_mov_b32_e32 v45, v40
	v_pk_add_f32 v[42:43], v[46:47], v[42:43] neg_lo:[0,1] neg_hi:[0,1]
	v_mov_b32_e32 v50, v48
	v_pk_add_f32 v[40:41], v[44:45], v[42:43] neg_lo:[0,1] neg_hi:[0,1]
	v_mov_b32_e32 v49, v39
	v_pk_add_f32 v[42:43], v[50:51], v[40:41]
	s_mov_b32 s44, 0x33800000
	v_pk_add_f32 v[44:45], v[42:43], v[42:43] op_sel:[0,1] op_sel_hi:[1,0]
	s_nop 0
	v_pk_add_f32 v[38:39], v[38:39], v[44:45] op_sel:[1,0] op_sel_hi:[0,1]
	v_mov_b32_e32 v43, v38
	v_pk_add_f32 v[46:47], v[42:43], v[48:49] neg_lo:[0,1] neg_hi:[0,1]
	v_mov_b32_e32 v41, v44
	v_sub_f32_e32 v39, v42, v46
	v_pk_add_f32 v[40:41], v[40:41], v[46:47] neg_lo:[0,1] neg_hi:[0,1]
	v_sub_f32_e32 v39, v48, v39
	v_add_f32_e32 v39, v40, v39
	v_add_f32_e32 v39, v39, v41
	v_add_f32_e32 v38, v38, v39
	v_cndmask_b32_e32 v38, v52, v38, vcc
	v_cmp_lt_f32_e64 vcc, |v53|, s44
	s_nop 1
	v_cndmask_b32_e32 v38, v38, v53, vcc
	v_add_f32_e32 v38, v37, v38
.LBB438_260:
	s_or_b64 exec, exec, s[30:31]
	v_bfe_u32 v37, v38, 16, 1
	s_movk_i32 s30, 0x7fff
	v_add3_u32 v37, v38, v37, s30
	v_cmp_o_f32_e32 vcc, v38, v38
	v_mov_b32_e32 v38, 0x7fc0
	s_nop 0
	v_cndmask_b32_sdwa v37, v38, v37, vcc dst_sel:DWORD dst_unused:UNUSED_PAD src0_sel:DWORD src1_sel:WORD_1
.LBB438_261:
	s_or_b64 exec, exec, s[36:37]
	ds_write_b16 v2, v37
.LBB438_262:
	s_or_b64 exec, exec, s[34:35]
	v_cmp_lt_u32_e32 vcc, 63, v0
	s_waitcnt lgkmcnt(0)
	s_barrier
                                        ; implicit-def: $vgpr37
	s_and_saveexec_b64 s[34:35], vcc
	s_cbranch_execz .LBB438_266
; %bb.263:
	v_lshl_add_u32 v35, v35, 1, -2
	ds_read_u16 v37, v35
	v_lshlrev_b32_e32 v35, 16, v36
	v_max_f32_e32 v39, v35, v35
	v_cmp_u_f32_e64 s[30:31], v35, v35
	s_waitcnt lgkmcnt(0)
	v_lshlrev_b32_e32 v36, 16, v37
	v_max_f32_e32 v40, v36, v36
	v_min_f32_e32 v38, v40, v39
	v_cmp_u_f32_e32 vcc, v36, v36
	v_max_f32_e32 v39, v40, v39
	s_nop 0
	v_cndmask_b32_e32 v38, v38, v36, vcc
	v_cndmask_b32_e32 v39, v39, v36, vcc
	v_cndmask_b32_e64 v38, v38, v35, s[30:31]
	v_cndmask_b32_e64 v35, v39, v35, s[30:31]
	s_movk_i32 s30, 0x1f8
	v_cmp_neq_f32_e32 vcc, v38, v35
	v_cmp_class_f32_e64 s[30:31], v38, s30
	s_or_b64 s[36:37], vcc, s[30:31]
	s_and_saveexec_b64 s[30:31], s[36:37]
	s_cbranch_execz .LBB438_265
; %bb.264:
	v_sub_f32_e32 v36, v38, v35
	s_mov_b32 s36, 0x3fb8aa3b
	v_mul_f32_e32 v38, 0x3fb8aa3b, v36
	v_fma_f32 v39, v36, s36, -v38
	v_rndne_f32_e32 v40, v38
	v_fmamk_f32 v39, v36, 0x32a5705f, v39
	v_sub_f32_e32 v38, v38, v40
	v_add_f32_e32 v38, v38, v39
	v_exp_f32_e32 v38, v38
	v_cvt_i32_f32_e32 v39, v40
	s_mov_b32 s36, 0xc2ce8ed0
	v_cmp_ngt_f32_e32 vcc, s36, v36
	s_mov_b32 s36, 0x42b17218
	v_ldexp_f32 v38, v38, v39
	v_cndmask_b32_e32 v38, 0, v38, vcc
	v_mov_b32_e32 v52, 0x7f800000
	v_cmp_nlt_f32_e32 vcc, s36, v36
	s_mov_b32 s36, 0x3f2aaaab
	s_mov_b32 s37, 0x7f800000
	v_cndmask_b32_e32 v36, v52, v38, vcc
	v_add_f32_e32 v40, 1.0, v36
	v_add_f32_e32 v38, -1.0, v40
	v_sub_f32_e32 v39, v38, v40
	v_add_f32_e32 v39, 1.0, v39
	v_sub_f32_e32 v38, v36, v38
	v_add_f32_e32 v41, v38, v39
	v_frexp_mant_f32_e32 v42, v40
	v_cvt_f64_f32_e32 v[38:39], v40
	v_frexp_exp_i32_f64_e32 v38, v[38:39]
	v_cmp_gt_f32_e32 vcc, s36, v42
	s_mov_b32 s36, 0x3f317218
	s_nop 0
	v_subbrev_co_u32_e32 v46, vcc, 0, v38, vcc
	v_sub_u32_e32 v38, 0, v46
	v_ldexp_f32 v39, v40, v38
	v_add_f32_e32 v40, -1.0, v39
	v_add_f32_e32 v42, 1.0, v39
	v_ldexp_f32 v38, v41, v38
	v_add_f32_e32 v41, 1.0, v40
	v_add_f32_e32 v43, -1.0, v42
	v_sub_f32_e32 v41, v39, v41
	v_sub_f32_e32 v39, v39, v43
	v_add_f32_e32 v41, v38, v41
	v_add_f32_e32 v38, v38, v39
	;; [unrolled: 1-line block ×3, first 2 shown]
	v_rcp_f32_e32 v49, v47
	v_sub_f32_e32 v39, v42, v47
	v_add_f32_e32 v48, v38, v39
	v_add_f32_e32 v39, v40, v41
	v_mul_f32_e32 v51, v39, v49
	v_sub_f32_e32 v38, v40, v39
	v_mul_f32_e32 v40, v47, v51
	v_fma_f32 v42, v51, v47, -v40
	v_fmac_f32_e32 v42, v51, v48
	v_add_f32_e32 v50, v41, v38
	v_add_f32_e32 v38, v40, v42
	v_sub_f32_e32 v41, v39, v38
	v_pk_add_f32 v[44:45], v[38:39], v[40:41] neg_lo:[0,1] neg_hi:[0,1]
	v_mov_b32_e32 v43, v38
	v_pk_add_f32 v[38:39], v[44:45], v[42:43] neg_lo:[0,1] neg_hi:[0,1]
	v_cmp_neq_f32_e32 vcc, s37, v36
	v_add_f32_e32 v39, v50, v39
	v_add_f32_e32 v38, v38, v39
	;; [unrolled: 1-line block ×3, first 2 shown]
	v_mul_f32_e32 v50, v49, v39
	v_mul_f32_e32 v40, v47, v50
	v_fma_f32 v42, v50, v47, -v40
	v_fmac_f32_e32 v42, v50, v48
	v_sub_f32_e32 v41, v41, v39
	v_add_f32_e32 v47, v38, v41
	v_add_f32_e32 v38, v40, v42
	v_sub_f32_e32 v41, v39, v38
	v_pk_add_f32 v[44:45], v[38:39], v[40:41] neg_lo:[0,1] neg_hi:[0,1]
	v_mov_b32_e32 v43, v38
	v_pk_add_f32 v[38:39], v[44:45], v[42:43] neg_lo:[0,1] neg_hi:[0,1]
	v_cvt_f32_i32_e32 v40, v46
	v_add_f32_e32 v39, v47, v39
	v_add_f32_e32 v38, v38, v39
	;; [unrolled: 1-line block ×4, first 2 shown]
	v_sub_f32_e32 v39, v41, v51
	v_mul_f32_e32 v38, v49, v38
	v_sub_f32_e32 v39, v50, v39
	v_add_f32_e32 v38, v39, v38
	v_add_f32_e32 v42, v41, v38
	v_mul_f32_e32 v44, v42, v42
	v_mov_b32_e32 v39, 0x3ecc95a3
	v_sub_f32_e32 v41, v42, v41
	v_fmac_f32_e32 v39, 0x3e9b6dac, v44
	v_sub_f32_e32 v38, v38, v41
	v_fmaak_f32 v39, v44, v39, 0x3f2aaada
	v_ldexp_f32 v45, v38, 1
	v_mul_f32_e32 v41, v42, v44
	v_mov_b32_e32 v38, 0x3f317218
	v_pk_mul_f32 v[38:39], v[40:41], v[38:39]
	v_ldexp_f32 v43, v42, 1
	v_fma_f32 v41, v40, s36, -v38
	v_fmamk_f32 v42, v40, 0xb102e308, v41
	v_pk_add_f32 v[40:41], v[38:39], v[42:43]
	v_mov_b32_e32 v44, v38
	v_sub_f32_e32 v43, v41, v43
	v_sub_f32_e32 v43, v39, v43
	v_add_f32_e32 v45, v45, v43
	v_pk_add_f32 v[38:39], v[40:41], v[38:39] neg_lo:[0,1] neg_hi:[0,1]
	v_pk_add_f32 v[46:47], v[40:41], v[44:45]
	v_mov_b32_e32 v43, v40
	v_mov_b32_e32 v39, v47
	v_pk_add_f32 v[48:49], v[42:43], v[38:39] neg_lo:[0,1] neg_hi:[0,1]
	v_pk_add_f32 v[38:39], v[42:43], v[38:39]
	v_mov_b32_e32 v44, v45
	v_pk_add_f32 v[42:43], v[38:39], v[40:41] op_sel:[1,0] op_sel_hi:[0,1] neg_lo:[0,1] neg_hi:[0,1]
	v_pk_add_f32 v[50:51], v[46:47], v[42:43] op_sel_hi:[1,0] neg_lo:[0,1] neg_hi:[0,1]
	v_mov_b32_e32 v46, v47
	v_mov_b32_e32 v47, v39
	v_pk_mov_b32 v[42:43], v[40:41], v[42:43] op_sel:[1,0]
	v_mov_b32_e32 v45, v40
	v_pk_add_f32 v[42:43], v[46:47], v[42:43] neg_lo:[0,1] neg_hi:[0,1]
	v_mov_b32_e32 v50, v48
	v_pk_add_f32 v[40:41], v[44:45], v[42:43] neg_lo:[0,1] neg_hi:[0,1]
	v_mov_b32_e32 v49, v39
	v_pk_add_f32 v[42:43], v[50:51], v[40:41]
	s_mov_b32 s36, 0x33800000
	v_pk_add_f32 v[44:45], v[42:43], v[42:43] op_sel:[0,1] op_sel_hi:[1,0]
	s_nop 0
	v_pk_add_f32 v[38:39], v[38:39], v[44:45] op_sel:[1,0] op_sel_hi:[0,1]
	v_mov_b32_e32 v43, v38
	v_pk_add_f32 v[46:47], v[42:43], v[48:49] neg_lo:[0,1] neg_hi:[0,1]
	v_mov_b32_e32 v41, v44
	v_sub_f32_e32 v39, v42, v46
	v_pk_add_f32 v[40:41], v[40:41], v[46:47] neg_lo:[0,1] neg_hi:[0,1]
	v_sub_f32_e32 v39, v48, v39
	v_add_f32_e32 v39, v40, v39
	v_add_f32_e32 v39, v39, v41
	;; [unrolled: 1-line block ×3, first 2 shown]
	v_cndmask_b32_e32 v38, v52, v38, vcc
	v_cmp_lt_f32_e64 vcc, |v36|, s36
	s_nop 1
	v_cndmask_b32_e32 v36, v38, v36, vcc
	v_add_f32_e32 v36, v35, v36
.LBB438_265:
	s_or_b64 exec, exec, s[30:31]
	v_bfe_u32 v35, v36, 16, 1
	s_movk_i32 s30, 0x7fff
	v_add3_u32 v35, v36, v35, s30
	v_cmp_o_f32_e32 vcc, v36, v36
	v_mov_b32_e32 v36, 0x7fc0
	s_nop 0
	v_cndmask_b32_sdwa v36, v36, v35, vcc dst_sel:DWORD dst_unused:UNUSED_PAD src0_sel:DWORD src1_sel:WORD_1
.LBB438_266:
	s_or_b64 exec, exec, s[34:35]
	v_add_u32_e32 v35, -1, v34
	v_and_b32_e32 v38, 64, v34
	v_cmp_lt_i32_e32 vcc, v35, v38
	v_and_b32_e32 v36, 0xffff, v36
	s_nop 0
	v_cndmask_b32_e32 v35, v35, v34, vcc
	v_lshlrev_b32_e32 v35, 2, v35
	ds_bpermute_b32 v35, v35, v36
	s_and_saveexec_b64 s[30:31], s[0:1]
	s_cbranch_execz .LBB438_270
; %bb.267:
	v_cmp_eq_u32_e32 vcc, 0, v34
	s_movk_i32 s0, 0x1f8
	s_waitcnt lgkmcnt(0)
	v_cndmask_b32_sdwa v31, v35, v37, vcc dst_sel:WORD_1 dst_unused:UNUSED_PAD src0_sel:DWORD src1_sel:DWORD
	s_nop 0
	v_max_f32_e32 v10, v31, v31
	v_min_f32_e32 v33, v10, v32
	v_cmp_u_f32_e32 vcc, v31, v31
	v_max_f32_e32 v10, v10, v32
	s_nop 0
	v_cndmask_b32_e32 v33, v33, v31, vcc
	v_cndmask_b32_e32 v10, v10, v31, vcc
	v_cndmask_b32_e64 v33, v33, v30, s[28:29]
	v_cndmask_b32_e64 v10, v10, v30, s[28:29]
	v_cmp_neq_f32_e32 vcc, v33, v10
	v_cmp_class_f32_e64 s[0:1], v33, s0
	s_or_b64 s[28:29], vcc, s[0:1]
	s_and_saveexec_b64 s[0:1], s[28:29]
	s_cbranch_execz .LBB438_269
; %bb.268:
	v_sub_f32_e32 v30, v33, v10
	s_mov_b32 s28, 0x3fb8aa3b
	v_mul_f32_e32 v31, 0x3fb8aa3b, v30
	v_fma_f32 v32, v30, s28, -v31
	v_rndne_f32_e32 v33, v31
	v_fmamk_f32 v32, v30, 0x32a5705f, v32
	v_sub_f32_e32 v31, v31, v33
	v_add_f32_e32 v31, v31, v32
	v_exp_f32_e32 v31, v31
	v_cvt_i32_f32_e32 v32, v33
	s_mov_b32 s28, 0xc2ce8ed0
	v_cmp_ngt_f32_e32 vcc, s28, v30
	s_mov_b32 s28, 0x42b17218
	v_ldexp_f32 v31, v31, v32
	v_cndmask_b32_e32 v31, 0, v31, vcc
	v_mov_b32_e32 v44, 0x7f800000
	v_cmp_nlt_f32_e32 vcc, s28, v30
	s_mov_b32 s28, 0x3f2aaaab
	s_mov_b32 s29, 0x7f800000
	v_cndmask_b32_e32 v45, v44, v31, vcc
	v_add_f32_e32 v32, 1.0, v45
	v_add_f32_e32 v30, -1.0, v32
	v_sub_f32_e32 v31, v30, v32
	v_add_f32_e32 v31, 1.0, v31
	v_sub_f32_e32 v30, v45, v30
	v_add_f32_e32 v33, v30, v31
	v_frexp_mant_f32_e32 v34, v32
	v_cvt_f64_f32_e32 v[30:31], v32
	v_frexp_exp_i32_f64_e32 v30, v[30:31]
	v_cmp_gt_f32_e32 vcc, s28, v34
	s_mov_b32 s28, 0x3f317218
	s_nop 0
	v_subbrev_co_u32_e32 v38, vcc, 0, v30, vcc
	v_sub_u32_e32 v30, 0, v38
	v_ldexp_f32 v31, v32, v30
	v_add_f32_e32 v32, -1.0, v31
	v_add_f32_e32 v34, 1.0, v31
	v_ldexp_f32 v30, v33, v30
	v_add_f32_e32 v33, 1.0, v32
	v_add_f32_e32 v35, -1.0, v34
	v_sub_f32_e32 v33, v31, v33
	v_sub_f32_e32 v31, v31, v35
	v_add_f32_e32 v33, v30, v33
	v_add_f32_e32 v30, v30, v31
	;; [unrolled: 1-line block ×3, first 2 shown]
	v_rcp_f32_e32 v41, v39
	v_sub_f32_e32 v31, v34, v39
	v_add_f32_e32 v40, v30, v31
	v_add_f32_e32 v31, v32, v33
	v_mul_f32_e32 v43, v31, v41
	v_sub_f32_e32 v30, v32, v31
	v_mul_f32_e32 v32, v39, v43
	v_fma_f32 v34, v43, v39, -v32
	v_fmac_f32_e32 v34, v43, v40
	v_add_f32_e32 v42, v33, v30
	v_add_f32_e32 v30, v32, v34
	v_sub_f32_e32 v33, v31, v30
	v_pk_add_f32 v[36:37], v[30:31], v[32:33] neg_lo:[0,1] neg_hi:[0,1]
	v_mov_b32_e32 v35, v30
	v_pk_add_f32 v[30:31], v[36:37], v[34:35] neg_lo:[0,1] neg_hi:[0,1]
	v_cmp_neq_f32_e32 vcc, s29, v45
	v_add_f32_e32 v31, v42, v31
	v_add_f32_e32 v30, v30, v31
	;; [unrolled: 1-line block ×3, first 2 shown]
	v_mul_f32_e32 v42, v41, v31
	v_mul_f32_e32 v32, v39, v42
	v_fma_f32 v34, v42, v39, -v32
	v_fmac_f32_e32 v34, v42, v40
	v_sub_f32_e32 v33, v33, v31
	v_add_f32_e32 v39, v30, v33
	v_add_f32_e32 v30, v32, v34
	v_sub_f32_e32 v33, v31, v30
	v_pk_add_f32 v[36:37], v[30:31], v[32:33] neg_lo:[0,1] neg_hi:[0,1]
	v_mov_b32_e32 v35, v30
	v_pk_add_f32 v[30:31], v[36:37], v[34:35] neg_lo:[0,1] neg_hi:[0,1]
	v_cvt_f32_i32_e32 v32, v38
	v_add_f32_e32 v31, v39, v31
	v_add_f32_e32 v30, v30, v31
	;; [unrolled: 1-line block ×4, first 2 shown]
	v_sub_f32_e32 v31, v33, v43
	v_mul_f32_e32 v30, v41, v30
	v_sub_f32_e32 v31, v42, v31
	v_add_f32_e32 v30, v31, v30
	v_add_f32_e32 v34, v33, v30
	v_mul_f32_e32 v36, v34, v34
	v_mov_b32_e32 v31, 0x3ecc95a3
	v_sub_f32_e32 v33, v34, v33
	v_fmac_f32_e32 v31, 0x3e9b6dac, v36
	v_sub_f32_e32 v30, v30, v33
	v_fmaak_f32 v31, v36, v31, 0x3f2aaada
	v_ldexp_f32 v37, v30, 1
	v_mul_f32_e32 v33, v34, v36
	v_mov_b32_e32 v30, 0x3f317218
	v_pk_mul_f32 v[30:31], v[32:33], v[30:31]
	v_ldexp_f32 v35, v34, 1
	v_fma_f32 v33, v32, s28, -v30
	v_fmamk_f32 v34, v32, 0xb102e308, v33
	v_pk_add_f32 v[32:33], v[30:31], v[34:35]
	v_mov_b32_e32 v36, v30
	v_sub_f32_e32 v35, v33, v35
	v_sub_f32_e32 v35, v31, v35
	v_add_f32_e32 v37, v37, v35
	v_pk_add_f32 v[30:31], v[32:33], v[30:31] neg_lo:[0,1] neg_hi:[0,1]
	v_pk_add_f32 v[38:39], v[32:33], v[36:37]
	v_mov_b32_e32 v35, v32
	v_mov_b32_e32 v31, v39
	v_pk_add_f32 v[40:41], v[34:35], v[30:31] neg_lo:[0,1] neg_hi:[0,1]
	v_pk_add_f32 v[30:31], v[34:35], v[30:31]
	v_mov_b32_e32 v36, v37
	v_pk_add_f32 v[34:35], v[30:31], v[32:33] op_sel:[1,0] op_sel_hi:[0,1] neg_lo:[0,1] neg_hi:[0,1]
	v_pk_add_f32 v[42:43], v[38:39], v[34:35] op_sel_hi:[1,0] neg_lo:[0,1] neg_hi:[0,1]
	v_mov_b32_e32 v38, v39
	v_mov_b32_e32 v39, v31
	v_pk_mov_b32 v[34:35], v[32:33], v[34:35] op_sel:[1,0]
	v_mov_b32_e32 v37, v32
	v_pk_add_f32 v[34:35], v[38:39], v[34:35] neg_lo:[0,1] neg_hi:[0,1]
	v_mov_b32_e32 v42, v40
	v_pk_add_f32 v[32:33], v[36:37], v[34:35] neg_lo:[0,1] neg_hi:[0,1]
	v_mov_b32_e32 v41, v31
	v_pk_add_f32 v[34:35], v[42:43], v[32:33]
	s_mov_b32 s28, 0x33800000
	v_pk_add_f32 v[36:37], v[34:35], v[34:35] op_sel:[0,1] op_sel_hi:[1,0]
	s_nop 0
	v_pk_add_f32 v[30:31], v[30:31], v[36:37] op_sel:[1,0] op_sel_hi:[0,1]
	v_mov_b32_e32 v35, v30
	v_pk_add_f32 v[38:39], v[34:35], v[40:41] neg_lo:[0,1] neg_hi:[0,1]
	v_mov_b32_e32 v33, v36
	v_sub_f32_e32 v31, v34, v38
	v_pk_add_f32 v[32:33], v[32:33], v[38:39] neg_lo:[0,1] neg_hi:[0,1]
	v_sub_f32_e32 v31, v40, v31
	v_add_f32_e32 v31, v32, v31
	v_add_f32_e32 v31, v31, v33
	;; [unrolled: 1-line block ×3, first 2 shown]
	v_cndmask_b32_e32 v30, v44, v30, vcc
	v_cmp_lt_f32_e64 vcc, |v45|, s28
	s_nop 1
	v_cndmask_b32_e32 v30, v30, v45, vcc
	v_add_f32_e32 v31, v10, v30
.LBB438_269:
	s_or_b64 exec, exec, s[0:1]
	v_bfe_u32 v10, v31, 16, 1
	s_movk_i32 s0, 0x7fff
	v_add3_u32 v10, v31, v10, s0
	v_cmp_o_f32_e32 vcc, v31, v31
	v_mov_b32_e32 v30, 0x7fc0
	;;#ASMSTART
	;;#ASMEND
	s_nop 0
	v_cndmask_b32_sdwa v10, v30, v10, vcc dst_sel:DWORD dst_unused:UNUSED_PAD src0_sel:DWORD src1_sel:WORD_1
	v_lshlrev_b32_e32 v30, 16, v10
	v_max_f32_e32 v32, v30, v30
	v_min_f32_e32 v31, v32, v11
	v_max_f32_e32 v33, v32, v11
.LBB438_270:
	s_or_b64 exec, exec, s[30:31]
	v_cmp_u_f32_e32 vcc, v30, v30
	s_nop 1
	v_cndmask_b32_e32 v11, v31, v30, vcc
	v_cndmask_b32_e32 v31, v33, v30, vcc
	v_cndmask_b32_e64 v11, v11, v8, s[2:3]
	v_cndmask_b32_e64 v8, v31, v8, s[2:3]
	s_movk_i32 s2, 0x1f8
	v_cmp_neq_f32_e32 vcc, v11, v8
	v_cmp_class_f32_e64 s[0:1], v11, s2
	s_or_b64 s[28:29], vcc, s[0:1]
	s_and_saveexec_b64 s[0:1], s[28:29]
	s_cbranch_execz .LBB438_272
; %bb.271:
	v_sub_f32_e32 v11, v11, v8
	s_mov_b32 s3, 0x3fb8aa3b
	v_mul_f32_e32 v30, 0x3fb8aa3b, v11
	v_fma_f32 v31, v11, s3, -v30
	v_rndne_f32_e32 v32, v30
	v_fmamk_f32 v31, v11, 0x32a5705f, v31
	v_sub_f32_e32 v30, v30, v32
	v_add_f32_e32 v30, v30, v31
	v_exp_f32_e32 v30, v30
	v_cvt_i32_f32_e32 v31, v32
	s_mov_b32 s3, 0xc2ce8ed0
	v_cmp_ngt_f32_e32 vcc, s3, v11
	s_mov_b32 s3, 0x42b17218
	v_ldexp_f32 v30, v30, v31
	v_cndmask_b32_e32 v30, 0, v30, vcc
	v_mov_b32_e32 v44, 0x7f800000
	v_cmp_nlt_f32_e32 vcc, s3, v11
	s_mov_b32 s3, 0x3f2aaaab
	s_mov_b32 s28, 0x7f800000
	v_cndmask_b32_e32 v11, v44, v30, vcc
	v_add_f32_e32 v32, 1.0, v11
	v_add_f32_e32 v30, -1.0, v32
	v_sub_f32_e32 v31, v30, v32
	v_add_f32_e32 v31, 1.0, v31
	v_sub_f32_e32 v30, v11, v30
	v_add_f32_e32 v33, v30, v31
	v_frexp_mant_f32_e32 v34, v32
	v_cvt_f64_f32_e32 v[30:31], v32
	v_frexp_exp_i32_f64_e32 v30, v[30:31]
	v_cmp_gt_f32_e32 vcc, s3, v34
	s_mov_b32 s3, 0x3f317218
	s_nop 0
	v_subbrev_co_u32_e32 v38, vcc, 0, v30, vcc
	v_sub_u32_e32 v30, 0, v38
	v_ldexp_f32 v31, v32, v30
	v_add_f32_e32 v32, -1.0, v31
	v_add_f32_e32 v34, 1.0, v31
	v_ldexp_f32 v30, v33, v30
	v_add_f32_e32 v33, 1.0, v32
	s_waitcnt lgkmcnt(0)
	v_add_f32_e32 v35, -1.0, v34
	v_sub_f32_e32 v33, v31, v33
	v_sub_f32_e32 v31, v31, v35
	v_add_f32_e32 v33, v30, v33
	v_add_f32_e32 v30, v30, v31
	;; [unrolled: 1-line block ×3, first 2 shown]
	v_rcp_f32_e32 v41, v39
	v_sub_f32_e32 v31, v34, v39
	v_add_f32_e32 v40, v30, v31
	v_add_f32_e32 v31, v32, v33
	v_mul_f32_e32 v43, v31, v41
	v_sub_f32_e32 v30, v32, v31
	v_mul_f32_e32 v32, v39, v43
	v_fma_f32 v34, v43, v39, -v32
	v_fmac_f32_e32 v34, v43, v40
	v_add_f32_e32 v42, v33, v30
	v_add_f32_e32 v30, v32, v34
	v_sub_f32_e32 v33, v31, v30
	v_pk_add_f32 v[36:37], v[30:31], v[32:33] neg_lo:[0,1] neg_hi:[0,1]
	v_mov_b32_e32 v35, v30
	v_pk_add_f32 v[30:31], v[36:37], v[34:35] neg_lo:[0,1] neg_hi:[0,1]
	v_cmp_neq_f32_e32 vcc, s28, v11
	v_add_f32_e32 v31, v42, v31
	v_add_f32_e32 v30, v30, v31
	;; [unrolled: 1-line block ×3, first 2 shown]
	v_mul_f32_e32 v42, v41, v31
	v_mul_f32_e32 v32, v39, v42
	v_fma_f32 v34, v42, v39, -v32
	v_fmac_f32_e32 v34, v42, v40
	v_sub_f32_e32 v33, v33, v31
	v_add_f32_e32 v39, v30, v33
	v_add_f32_e32 v30, v32, v34
	v_sub_f32_e32 v33, v31, v30
	v_pk_add_f32 v[36:37], v[30:31], v[32:33] neg_lo:[0,1] neg_hi:[0,1]
	v_mov_b32_e32 v35, v30
	v_pk_add_f32 v[30:31], v[36:37], v[34:35] neg_lo:[0,1] neg_hi:[0,1]
	v_cvt_f32_i32_e32 v32, v38
	v_add_f32_e32 v31, v39, v31
	v_add_f32_e32 v30, v30, v31
	;; [unrolled: 1-line block ×4, first 2 shown]
	v_sub_f32_e32 v31, v33, v43
	v_mul_f32_e32 v30, v41, v30
	v_sub_f32_e32 v31, v42, v31
	v_add_f32_e32 v30, v31, v30
	v_add_f32_e32 v34, v33, v30
	v_mul_f32_e32 v36, v34, v34
	v_mov_b32_e32 v31, 0x3ecc95a3
	v_sub_f32_e32 v33, v34, v33
	v_fmac_f32_e32 v31, 0x3e9b6dac, v36
	v_sub_f32_e32 v30, v30, v33
	v_fmaak_f32 v31, v36, v31, 0x3f2aaada
	v_ldexp_f32 v37, v30, 1
	v_mul_f32_e32 v33, v34, v36
	v_mov_b32_e32 v30, 0x3f317218
	v_pk_mul_f32 v[30:31], v[32:33], v[30:31]
	v_ldexp_f32 v35, v34, 1
	v_fma_f32 v33, v32, s3, -v30
	v_fmamk_f32 v34, v32, 0xb102e308, v33
	v_pk_add_f32 v[32:33], v[30:31], v[34:35]
	v_mov_b32_e32 v36, v30
	v_sub_f32_e32 v35, v33, v35
	v_sub_f32_e32 v35, v31, v35
	v_add_f32_e32 v37, v37, v35
	v_pk_add_f32 v[30:31], v[32:33], v[30:31] neg_lo:[0,1] neg_hi:[0,1]
	v_pk_add_f32 v[38:39], v[32:33], v[36:37]
	v_mov_b32_e32 v35, v32
	v_mov_b32_e32 v31, v39
	v_pk_add_f32 v[40:41], v[34:35], v[30:31] neg_lo:[0,1] neg_hi:[0,1]
	v_pk_add_f32 v[30:31], v[34:35], v[30:31]
	v_mov_b32_e32 v36, v37
	v_pk_add_f32 v[34:35], v[30:31], v[32:33] op_sel:[1,0] op_sel_hi:[0,1] neg_lo:[0,1] neg_hi:[0,1]
	v_pk_add_f32 v[42:43], v[38:39], v[34:35] op_sel_hi:[1,0] neg_lo:[0,1] neg_hi:[0,1]
	v_mov_b32_e32 v38, v39
	v_mov_b32_e32 v39, v31
	v_pk_mov_b32 v[34:35], v[32:33], v[34:35] op_sel:[1,0]
	v_mov_b32_e32 v37, v32
	v_pk_add_f32 v[34:35], v[38:39], v[34:35] neg_lo:[0,1] neg_hi:[0,1]
	v_mov_b32_e32 v42, v40
	v_pk_add_f32 v[32:33], v[36:37], v[34:35] neg_lo:[0,1] neg_hi:[0,1]
	v_mov_b32_e32 v41, v31
	v_pk_add_f32 v[34:35], v[42:43], v[32:33]
	s_mov_b32 s3, 0x33800000
	v_pk_add_f32 v[36:37], v[34:35], v[34:35] op_sel:[0,1] op_sel_hi:[1,0]
	s_nop 0
	v_pk_add_f32 v[30:31], v[30:31], v[36:37] op_sel:[1,0] op_sel_hi:[0,1]
	v_mov_b32_e32 v35, v30
	v_pk_add_f32 v[38:39], v[34:35], v[40:41] neg_lo:[0,1] neg_hi:[0,1]
	v_mov_b32_e32 v33, v36
	v_sub_f32_e32 v31, v34, v38
	v_pk_add_f32 v[32:33], v[32:33], v[38:39] neg_lo:[0,1] neg_hi:[0,1]
	v_sub_f32_e32 v31, v40, v31
	v_add_f32_e32 v31, v32, v31
	v_add_f32_e32 v31, v31, v33
	;; [unrolled: 1-line block ×3, first 2 shown]
	v_cndmask_b32_e32 v30, v44, v30, vcc
	v_cmp_lt_f32_e64 vcc, |v11|, s3
	s_nop 1
	v_cndmask_b32_e32 v11, v30, v11, vcc
	v_add_f32_e32 v30, v8, v11
.LBB438_272:
	s_or_b64 exec, exec, s[0:1]
	v_bfe_u32 v8, v30, 16, 1
	s_movk_i32 s3, 0x7fff
	v_add3_u32 v11, v30, v8, s3
	v_cmp_o_f32_e32 vcc, v30, v30
	v_mov_b32_e32 v8, 0x7fc0
	s_nop 0
	v_cndmask_b32_sdwa v11, v8, v11, vcc dst_sel:DWORD dst_unused:UNUSED_PAD src0_sel:DWORD src1_sel:WORD_1
	v_lshlrev_b32_e32 v30, 16, v11
	v_max_f32_e32 v32, v30, v30
	v_min_f32_e32 v31, v32, v13
	v_cmp_u_f32_e32 vcc, v30, v30
	v_max_f32_e32 v13, v32, v13
	s_nop 0
	v_cndmask_b32_e32 v31, v31, v30, vcc
	v_cndmask_b32_e32 v13, v13, v30, vcc
	v_cndmask_b32_e64 v31, v31, v12, s[4:5]
	v_cndmask_b32_e64 v12, v13, v12, s[4:5]
	v_cmp_neq_f32_e32 vcc, v31, v12
	v_cmp_class_f32_e64 s[0:1], v31, s2
	s_or_b64 s[4:5], vcc, s[0:1]
	s_and_saveexec_b64 s[0:1], s[4:5]
	s_cbranch_execz .LBB438_274
; %bb.273:
	v_sub_f32_e32 v13, v31, v12
	s_mov_b32 s2, 0x3fb8aa3b
	v_mul_f32_e32 v30, 0x3fb8aa3b, v13
	v_fma_f32 v31, v13, s2, -v30
	v_rndne_f32_e32 v32, v30
	v_fmamk_f32 v31, v13, 0x32a5705f, v31
	v_sub_f32_e32 v30, v30, v32
	v_add_f32_e32 v30, v30, v31
	v_exp_f32_e32 v30, v30
	v_cvt_i32_f32_e32 v31, v32
	s_mov_b32 s2, 0xc2ce8ed0
	v_cmp_ngt_f32_e32 vcc, s2, v13
	s_mov_b32 s2, 0x42b17218
	v_ldexp_f32 v30, v30, v31
	v_cndmask_b32_e32 v30, 0, v30, vcc
	v_mov_b32_e32 v44, 0x7f800000
	v_cmp_nlt_f32_e32 vcc, s2, v13
	s_mov_b32 s2, 0x3f2aaaab
	s_mov_b32 s4, 0x7f800000
	v_cndmask_b32_e32 v13, v44, v30, vcc
	v_add_f32_e32 v32, 1.0, v13
	v_add_f32_e32 v30, -1.0, v32
	v_sub_f32_e32 v31, v30, v32
	v_add_f32_e32 v31, 1.0, v31
	v_sub_f32_e32 v30, v13, v30
	v_add_f32_e32 v33, v30, v31
	v_frexp_mant_f32_e32 v34, v32
	v_cvt_f64_f32_e32 v[30:31], v32
	v_frexp_exp_i32_f64_e32 v30, v[30:31]
	v_cmp_gt_f32_e32 vcc, s2, v34
	s_mov_b32 s2, 0x3f317218
	s_nop 0
	v_subbrev_co_u32_e32 v38, vcc, 0, v30, vcc
	v_sub_u32_e32 v30, 0, v38
	v_ldexp_f32 v31, v32, v30
	v_add_f32_e32 v32, -1.0, v31
	v_add_f32_e32 v34, 1.0, v31
	v_ldexp_f32 v30, v33, v30
	v_add_f32_e32 v33, 1.0, v32
	s_waitcnt lgkmcnt(0)
	v_add_f32_e32 v35, -1.0, v34
	v_sub_f32_e32 v33, v31, v33
	v_sub_f32_e32 v31, v31, v35
	v_add_f32_e32 v33, v30, v33
	v_add_f32_e32 v30, v30, v31
	;; [unrolled: 1-line block ×3, first 2 shown]
	v_rcp_f32_e32 v41, v39
	v_sub_f32_e32 v31, v34, v39
	v_add_f32_e32 v40, v30, v31
	v_add_f32_e32 v31, v32, v33
	v_mul_f32_e32 v43, v31, v41
	v_sub_f32_e32 v30, v32, v31
	v_mul_f32_e32 v32, v39, v43
	v_fma_f32 v34, v43, v39, -v32
	v_fmac_f32_e32 v34, v43, v40
	v_add_f32_e32 v42, v33, v30
	v_add_f32_e32 v30, v32, v34
	v_sub_f32_e32 v33, v31, v30
	v_pk_add_f32 v[36:37], v[30:31], v[32:33] neg_lo:[0,1] neg_hi:[0,1]
	v_mov_b32_e32 v35, v30
	v_pk_add_f32 v[30:31], v[36:37], v[34:35] neg_lo:[0,1] neg_hi:[0,1]
	v_cmp_neq_f32_e32 vcc, s4, v13
	v_add_f32_e32 v31, v42, v31
	v_add_f32_e32 v30, v30, v31
	;; [unrolled: 1-line block ×3, first 2 shown]
	v_mul_f32_e32 v42, v41, v31
	v_mul_f32_e32 v32, v39, v42
	v_fma_f32 v34, v42, v39, -v32
	v_fmac_f32_e32 v34, v42, v40
	v_sub_f32_e32 v33, v33, v31
	v_add_f32_e32 v39, v30, v33
	v_add_f32_e32 v30, v32, v34
	v_sub_f32_e32 v33, v31, v30
	v_pk_add_f32 v[36:37], v[30:31], v[32:33] neg_lo:[0,1] neg_hi:[0,1]
	v_mov_b32_e32 v35, v30
	v_pk_add_f32 v[30:31], v[36:37], v[34:35] neg_lo:[0,1] neg_hi:[0,1]
	v_cvt_f32_i32_e32 v32, v38
	v_add_f32_e32 v31, v39, v31
	v_add_f32_e32 v30, v30, v31
	;; [unrolled: 1-line block ×4, first 2 shown]
	v_sub_f32_e32 v31, v33, v43
	v_mul_f32_e32 v30, v41, v30
	v_sub_f32_e32 v31, v42, v31
	v_add_f32_e32 v30, v31, v30
	v_add_f32_e32 v34, v33, v30
	v_mul_f32_e32 v36, v34, v34
	v_mov_b32_e32 v31, 0x3ecc95a3
	v_sub_f32_e32 v33, v34, v33
	v_fmac_f32_e32 v31, 0x3e9b6dac, v36
	v_sub_f32_e32 v30, v30, v33
	v_fmaak_f32 v31, v36, v31, 0x3f2aaada
	v_ldexp_f32 v37, v30, 1
	v_mul_f32_e32 v33, v34, v36
	v_mov_b32_e32 v30, 0x3f317218
	v_pk_mul_f32 v[30:31], v[32:33], v[30:31]
	v_ldexp_f32 v35, v34, 1
	v_fma_f32 v33, v32, s2, -v30
	v_fmamk_f32 v34, v32, 0xb102e308, v33
	v_pk_add_f32 v[32:33], v[30:31], v[34:35]
	v_mov_b32_e32 v36, v30
	v_sub_f32_e32 v35, v33, v35
	v_sub_f32_e32 v35, v31, v35
	v_add_f32_e32 v37, v37, v35
	v_pk_add_f32 v[30:31], v[32:33], v[30:31] neg_lo:[0,1] neg_hi:[0,1]
	v_pk_add_f32 v[38:39], v[32:33], v[36:37]
	v_mov_b32_e32 v35, v32
	v_mov_b32_e32 v31, v39
	v_pk_add_f32 v[40:41], v[34:35], v[30:31] neg_lo:[0,1] neg_hi:[0,1]
	v_pk_add_f32 v[30:31], v[34:35], v[30:31]
	v_mov_b32_e32 v36, v37
	v_pk_add_f32 v[34:35], v[30:31], v[32:33] op_sel:[1,0] op_sel_hi:[0,1] neg_lo:[0,1] neg_hi:[0,1]
	v_pk_add_f32 v[42:43], v[38:39], v[34:35] op_sel_hi:[1,0] neg_lo:[0,1] neg_hi:[0,1]
	v_mov_b32_e32 v38, v39
	v_mov_b32_e32 v39, v31
	v_pk_mov_b32 v[34:35], v[32:33], v[34:35] op_sel:[1,0]
	v_mov_b32_e32 v37, v32
	v_pk_add_f32 v[34:35], v[38:39], v[34:35] neg_lo:[0,1] neg_hi:[0,1]
	v_mov_b32_e32 v42, v40
	v_pk_add_f32 v[32:33], v[36:37], v[34:35] neg_lo:[0,1] neg_hi:[0,1]
	v_mov_b32_e32 v41, v31
	v_pk_add_f32 v[34:35], v[42:43], v[32:33]
	s_mov_b32 s2, 0x33800000
	v_pk_add_f32 v[36:37], v[34:35], v[34:35] op_sel:[0,1] op_sel_hi:[1,0]
	s_nop 0
	v_pk_add_f32 v[30:31], v[30:31], v[36:37] op_sel:[1,0] op_sel_hi:[0,1]
	v_mov_b32_e32 v35, v30
	v_pk_add_f32 v[38:39], v[34:35], v[40:41] neg_lo:[0,1] neg_hi:[0,1]
	v_mov_b32_e32 v33, v36
	v_sub_f32_e32 v31, v34, v38
	v_pk_add_f32 v[32:33], v[32:33], v[38:39] neg_lo:[0,1] neg_hi:[0,1]
	v_sub_f32_e32 v31, v40, v31
	v_add_f32_e32 v31, v32, v31
	v_add_f32_e32 v31, v31, v33
	;; [unrolled: 1-line block ×3, first 2 shown]
	v_cndmask_b32_e32 v30, v44, v30, vcc
	v_cmp_lt_f32_e64 vcc, |v13|, s2
	s_nop 1
	v_cndmask_b32_e32 v13, v30, v13, vcc
	v_add_f32_e32 v30, v12, v13
.LBB438_274:
	s_or_b64 exec, exec, s[0:1]
	v_bfe_u32 v12, v30, 16, 1
	v_add3_u32 v12, v30, v12, s3
	v_cmp_o_f32_e32 vcc, v30, v30
	s_movk_i32 s2, 0x1f8
	s_nop 0
	v_cndmask_b32_sdwa v12, v8, v12, vcc dst_sel:DWORD dst_unused:UNUSED_PAD src0_sel:DWORD src1_sel:WORD_1
	v_lshlrev_b32_e32 v13, 16, v12
	v_max_f32_e32 v8, v13, v13
	v_min_f32_e32 v30, v8, v15
	v_cmp_u_f32_e32 vcc, v13, v13
	v_max_f32_e32 v8, v8, v15
	s_nop 0
	v_cndmask_b32_e32 v30, v30, v13, vcc
	v_cndmask_b32_e32 v8, v8, v13, vcc
	v_cndmask_b32_e64 v30, v30, v9, s[6:7]
	v_cndmask_b32_e64 v8, v8, v9, s[6:7]
	v_cmp_neq_f32_e32 vcc, v30, v8
	v_cmp_class_f32_e64 s[0:1], v30, s2
	s_or_b64 s[4:5], vcc, s[0:1]
	s_and_saveexec_b64 s[0:1], s[4:5]
	s_cbranch_execz .LBB438_276
; %bb.275:
	v_sub_f32_e32 v9, v30, v8
	s_mov_b32 s3, 0x3fb8aa3b
	v_mul_f32_e32 v13, 0x3fb8aa3b, v9
	v_fma_f32 v15, v9, s3, -v13
	v_rndne_f32_e32 v30, v13
	v_fmamk_f32 v15, v9, 0x32a5705f, v15
	v_sub_f32_e32 v13, v13, v30
	v_add_f32_e32 v13, v13, v15
	v_exp_f32_e32 v13, v13
	v_cvt_i32_f32_e32 v15, v30
	s_mov_b32 s3, 0xc2ce8ed0
	v_cmp_ngt_f32_e32 vcc, s3, v9
	s_mov_b32 s3, 0x42b17218
	v_ldexp_f32 v13, v13, v15
	v_cndmask_b32_e32 v13, 0, v13, vcc
	v_mov_b32_e32 v15, 0x7f800000
	v_cmp_nlt_f32_e32 vcc, s3, v9
	s_mov_b32 s3, 0x3f2aaaab
	s_mov_b32 s4, 0x7f800000
	v_cndmask_b32_e32 v9, v15, v13, vcc
	v_add_f32_e32 v13, 1.0, v9
	v_add_f32_e32 v30, -1.0, v13
	v_sub_f32_e32 v31, v30, v13
	v_add_f32_e32 v31, 1.0, v31
	v_sub_f32_e32 v30, v9, v30
	v_add_f32_e32 v32, v30, v31
	v_frexp_mant_f32_e32 v33, v13
	v_cvt_f64_f32_e32 v[30:31], v13
	v_frexp_exp_i32_f64_e32 v30, v[30:31]
	v_cmp_gt_f32_e32 vcc, s3, v33
	s_mov_b32 s3, 0x3f317218
	s_nop 0
	v_subbrev_co_u32_e32 v38, vcc, 0, v30, vcc
	v_sub_u32_e32 v30, 0, v38
	v_ldexp_f32 v13, v13, v30
	v_ldexp_f32 v30, v32, v30
	v_add_f32_e32 v32, -1.0, v13
	v_add_f32_e32 v31, 1.0, v32
	v_sub_f32_e32 v31, v13, v31
	v_add_f32_e32 v33, v30, v31
	v_add_f32_e32 v31, 1.0, v13
	v_add_f32_e32 v34, -1.0, v31
	v_sub_f32_e32 v13, v13, v34
	v_add_f32_e32 v13, v30, v13
	v_add_f32_e32 v39, v31, v13
	v_rcp_f32_e32 v40, v39
	v_sub_f32_e32 v30, v31, v39
	v_add_f32_e32 v31, v32, v33
	v_add_f32_e32 v13, v13, v30
	v_mul_f32_e32 v42, v31, v40
	v_sub_f32_e32 v30, v32, v31
	v_mul_f32_e32 v32, v39, v42
	v_fma_f32 v34, v42, v39, -v32
	v_fmac_f32_e32 v34, v42, v13
	v_add_f32_e32 v41, v33, v30
	v_add_f32_e32 v30, v32, v34
	v_sub_f32_e32 v33, v31, v30
	v_pk_add_f32 v[36:37], v[30:31], v[32:33] neg_lo:[0,1] neg_hi:[0,1]
	s_waitcnt lgkmcnt(0)
	v_mov_b32_e32 v35, v30
	v_pk_add_f32 v[30:31], v[36:37], v[34:35] neg_lo:[0,1] neg_hi:[0,1]
	v_cmp_neq_f32_e32 vcc, s4, v9
	v_add_f32_e32 v31, v41, v31
	v_add_f32_e32 v30, v30, v31
	;; [unrolled: 1-line block ×3, first 2 shown]
	v_mul_f32_e32 v41, v40, v31
	v_mul_f32_e32 v32, v39, v41
	v_fma_f32 v34, v41, v39, -v32
	v_fmac_f32_e32 v34, v41, v13
	v_sub_f32_e32 v13, v33, v31
	v_add_f32_e32 v13, v30, v13
	v_add_f32_e32 v30, v32, v34
	v_sub_f32_e32 v33, v31, v30
	v_pk_add_f32 v[36:37], v[30:31], v[32:33] neg_lo:[0,1] neg_hi:[0,1]
	v_mov_b32_e32 v35, v30
	v_pk_add_f32 v[30:31], v[36:37], v[34:35] neg_lo:[0,1] neg_hi:[0,1]
	v_cvt_f32_i32_e32 v32, v38
	v_add_f32_e32 v13, v13, v31
	v_add_f32_e32 v13, v30, v13
	v_add_f32_e32 v30, v42, v41
	v_add_f32_e32 v13, v33, v13
	v_sub_f32_e32 v31, v30, v42
	v_mul_f32_e32 v13, v40, v13
	v_sub_f32_e32 v31, v41, v31
	v_add_f32_e32 v13, v31, v13
	v_add_f32_e32 v33, v30, v13
	v_mul_f32_e32 v34, v33, v33
	v_mov_b32_e32 v31, 0x3ecc95a3
	v_fmac_f32_e32 v31, 0x3e9b6dac, v34
	v_sub_f32_e32 v30, v33, v30
	v_fmaak_f32 v31, v34, v31, 0x3f2aaada
	v_sub_f32_e32 v13, v13, v30
	v_ldexp_f32 v35, v33, 1
	v_mul_f32_e32 v33, v33, v34
	v_mov_b32_e32 v30, 0x3f317218
	v_pk_mul_f32 v[30:31], v[32:33], v[30:31]
	v_ldexp_f32 v13, v13, 1
	v_fma_f32 v33, v32, s3, -v30
	v_fmamk_f32 v34, v32, 0xb102e308, v33
	v_pk_add_f32 v[32:33], v[30:31], v[34:35]
	v_mov_b32_e32 v36, v30
	v_sub_f32_e32 v35, v33, v35
	v_sub_f32_e32 v35, v31, v35
	v_add_f32_e32 v37, v13, v35
	v_pk_add_f32 v[30:31], v[32:33], v[30:31] neg_lo:[0,1] neg_hi:[0,1]
	v_pk_add_f32 v[38:39], v[32:33], v[36:37]
	v_mov_b32_e32 v35, v32
	v_mov_b32_e32 v31, v39
	v_pk_add_f32 v[40:41], v[34:35], v[30:31] neg_lo:[0,1] neg_hi:[0,1]
	v_pk_add_f32 v[30:31], v[34:35], v[30:31]
	v_mov_b32_e32 v36, v37
	v_pk_add_f32 v[34:35], v[30:31], v[32:33] op_sel:[1,0] op_sel_hi:[0,1] neg_lo:[0,1] neg_hi:[0,1]
	v_pk_add_f32 v[42:43], v[38:39], v[34:35] op_sel_hi:[1,0] neg_lo:[0,1] neg_hi:[0,1]
	v_mov_b32_e32 v38, v39
	v_mov_b32_e32 v39, v31
	v_pk_mov_b32 v[34:35], v[32:33], v[34:35] op_sel:[1,0]
	v_mov_b32_e32 v37, v32
	v_pk_add_f32 v[34:35], v[38:39], v[34:35] neg_lo:[0,1] neg_hi:[0,1]
	v_mov_b32_e32 v42, v40
	v_pk_add_f32 v[32:33], v[36:37], v[34:35] neg_lo:[0,1] neg_hi:[0,1]
	v_mov_b32_e32 v41, v31
	v_pk_add_f32 v[34:35], v[42:43], v[32:33]
	s_mov_b32 s3, 0x33800000
	v_pk_add_f32 v[36:37], v[34:35], v[34:35] op_sel:[0,1] op_sel_hi:[1,0]
	s_nop 0
	v_pk_add_f32 v[30:31], v[30:31], v[36:37] op_sel:[1,0] op_sel_hi:[0,1]
	v_mov_b32_e32 v35, v30
	v_pk_add_f32 v[38:39], v[34:35], v[40:41] neg_lo:[0,1] neg_hi:[0,1]
	v_mov_b32_e32 v33, v36
	v_sub_f32_e32 v13, v34, v38
	v_pk_add_f32 v[32:33], v[32:33], v[38:39] neg_lo:[0,1] neg_hi:[0,1]
	v_sub_f32_e32 v13, v40, v13
	v_add_f32_e32 v13, v32, v13
	v_add_f32_e32 v13, v13, v33
	;; [unrolled: 1-line block ×3, first 2 shown]
	v_cndmask_b32_e32 v13, v15, v13, vcc
	v_cmp_lt_f32_e64 vcc, |v9|, s3
	s_nop 1
	v_cndmask_b32_e32 v9, v13, v9, vcc
	v_add_f32_e32 v13, v8, v9
.LBB438_276:
	s_or_b64 exec, exec, s[0:1]
	v_bfe_u32 v8, v13, 16, 1
	s_movk_i32 s3, 0x7fff
	v_add3_u32 v9, v13, v8, s3
	v_cmp_o_f32_e32 vcc, v13, v13
	v_mov_b32_e32 v8, 0x7fc0
	s_nop 0
	v_cndmask_b32_sdwa v13, v8, v9, vcc dst_sel:DWORD dst_unused:UNUSED_PAD src0_sel:DWORD src1_sel:WORD_1
	v_lshlrev_b32_e32 v15, 16, v13
	v_max_f32_e32 v9, v15, v15
	v_min_f32_e32 v30, v9, v16
	v_cmp_u_f32_e32 vcc, v15, v15
	v_max_f32_e32 v9, v9, v16
	s_nop 0
	v_cndmask_b32_e32 v30, v30, v15, vcc
	v_cndmask_b32_e32 v9, v9, v15, vcc
	v_cndmask_b32_e64 v30, v30, v14, s[8:9]
	v_cndmask_b32_e64 v9, v9, v14, s[8:9]
	v_cmp_neq_f32_e32 vcc, v30, v9
	v_cmp_class_f32_e64 s[0:1], v30, s2
	s_or_b64 s[4:5], vcc, s[0:1]
	s_and_saveexec_b64 s[0:1], s[4:5]
	s_cbranch_execz .LBB438_278
; %bb.277:
	v_sub_f32_e32 v14, v30, v9
	s_mov_b32 s2, 0x3fb8aa3b
	v_mul_f32_e32 v15, 0x3fb8aa3b, v14
	v_fma_f32 v16, v14, s2, -v15
	v_rndne_f32_e32 v30, v15
	v_fmamk_f32 v16, v14, 0x32a5705f, v16
	v_sub_f32_e32 v15, v15, v30
	v_add_f32_e32 v15, v15, v16
	v_exp_f32_e32 v15, v15
	v_cvt_i32_f32_e32 v16, v30
	s_mov_b32 s2, 0xc2ce8ed0
	v_cmp_ngt_f32_e32 vcc, s2, v14
	s_mov_b32 s2, 0x42b17218
	v_ldexp_f32 v15, v15, v16
	v_cndmask_b32_e32 v15, 0, v15, vcc
	v_mov_b32_e32 v16, 0x7f800000
	v_cmp_nlt_f32_e32 vcc, s2, v14
	s_mov_b32 s2, 0x3f2aaaab
	s_mov_b32 s4, 0x7f800000
	v_cndmask_b32_e32 v42, v16, v15, vcc
	v_add_f32_e32 v30, 1.0, v42
	v_add_f32_e32 v14, -1.0, v30
	v_sub_f32_e32 v15, v14, v30
	v_add_f32_e32 v15, 1.0, v15
	v_sub_f32_e32 v14, v42, v14
	v_add_f32_e32 v31, v14, v15
	v_frexp_mant_f32_e32 v32, v30
	v_cvt_f64_f32_e32 v[14:15], v30
	v_frexp_exp_i32_f64_e32 v14, v[14:15]
	v_cmp_gt_f32_e32 vcc, s2, v32
	s_mov_b32 s2, 0x3f317218
	s_nop 0
	v_subbrev_co_u32_e32 v36, vcc, 0, v14, vcc
	v_sub_u32_e32 v14, 0, v36
	v_ldexp_f32 v15, v30, v14
	v_add_f32_e32 v30, -1.0, v15
	v_add_f32_e32 v32, 1.0, v15
	v_ldexp_f32 v14, v31, v14
	v_add_f32_e32 v31, 1.0, v30
	v_add_f32_e32 v33, -1.0, v32
	v_sub_f32_e32 v31, v15, v31
	v_sub_f32_e32 v15, v15, v33
	v_add_f32_e32 v31, v14, v31
	v_add_f32_e32 v14, v14, v15
	;; [unrolled: 1-line block ×3, first 2 shown]
	v_rcp_f32_e32 v39, v37
	v_sub_f32_e32 v15, v32, v37
	v_add_f32_e32 v38, v14, v15
	v_add_f32_e32 v15, v30, v31
	v_mul_f32_e32 v41, v15, v39
	v_sub_f32_e32 v14, v30, v15
	v_mul_f32_e32 v30, v37, v41
	v_fma_f32 v32, v41, v37, -v30
	v_fmac_f32_e32 v32, v41, v38
	v_add_f32_e32 v40, v31, v14
	v_add_f32_e32 v14, v30, v32
	v_sub_f32_e32 v31, v15, v14
	s_waitcnt lgkmcnt(0)
	v_pk_add_f32 v[34:35], v[14:15], v[30:31] neg_lo:[0,1] neg_hi:[0,1]
	v_mov_b32_e32 v33, v14
	v_pk_add_f32 v[14:15], v[34:35], v[32:33] neg_lo:[0,1] neg_hi:[0,1]
	v_cmp_neq_f32_e32 vcc, s4, v42
	v_add_f32_e32 v15, v40, v15
	v_add_f32_e32 v14, v14, v15
	;; [unrolled: 1-line block ×3, first 2 shown]
	v_mul_f32_e32 v40, v39, v15
	v_mul_f32_e32 v30, v37, v40
	v_fma_f32 v32, v40, v37, -v30
	v_fmac_f32_e32 v32, v40, v38
	v_sub_f32_e32 v31, v31, v15
	v_add_f32_e32 v37, v14, v31
	v_add_f32_e32 v14, v30, v32
	v_sub_f32_e32 v31, v15, v14
	v_pk_add_f32 v[34:35], v[14:15], v[30:31] neg_lo:[0,1] neg_hi:[0,1]
	v_mov_b32_e32 v33, v14
	v_pk_add_f32 v[14:15], v[34:35], v[32:33] neg_lo:[0,1] neg_hi:[0,1]
	v_cvt_f32_i32_e32 v30, v36
	v_add_f32_e32 v15, v37, v15
	v_add_f32_e32 v14, v14, v15
	;; [unrolled: 1-line block ×4, first 2 shown]
	v_sub_f32_e32 v15, v31, v41
	v_mul_f32_e32 v14, v39, v14
	v_sub_f32_e32 v15, v40, v15
	v_add_f32_e32 v14, v15, v14
	v_add_f32_e32 v32, v31, v14
	v_mul_f32_e32 v34, v32, v32
	v_mov_b32_e32 v15, 0x3ecc95a3
	v_sub_f32_e32 v31, v32, v31
	v_fmac_f32_e32 v15, 0x3e9b6dac, v34
	v_sub_f32_e32 v14, v14, v31
	v_fmaak_f32 v15, v34, v15, 0x3f2aaada
	v_ldexp_f32 v35, v14, 1
	v_mul_f32_e32 v31, v32, v34
	v_mov_b32_e32 v14, 0x3f317218
	v_pk_mul_f32 v[14:15], v[30:31], v[14:15]
	v_ldexp_f32 v33, v32, 1
	v_fma_f32 v31, v30, s2, -v14
	v_fmamk_f32 v32, v30, 0xb102e308, v31
	v_pk_add_f32 v[30:31], v[14:15], v[32:33]
	v_mov_b32_e32 v34, v14
	v_sub_f32_e32 v33, v31, v33
	v_sub_f32_e32 v33, v15, v33
	v_add_f32_e32 v35, v35, v33
	v_pk_add_f32 v[14:15], v[30:31], v[14:15] neg_lo:[0,1] neg_hi:[0,1]
	v_pk_add_f32 v[36:37], v[30:31], v[34:35]
	v_mov_b32_e32 v33, v30
	v_mov_b32_e32 v15, v37
	v_pk_add_f32 v[38:39], v[32:33], v[14:15] neg_lo:[0,1] neg_hi:[0,1]
	v_pk_add_f32 v[14:15], v[32:33], v[14:15]
	v_mov_b32_e32 v34, v35
	v_pk_add_f32 v[32:33], v[14:15], v[30:31] op_sel:[1,0] op_sel_hi:[0,1] neg_lo:[0,1] neg_hi:[0,1]
	v_pk_add_f32 v[40:41], v[36:37], v[32:33] op_sel_hi:[1,0] neg_lo:[0,1] neg_hi:[0,1]
	v_mov_b32_e32 v36, v37
	v_mov_b32_e32 v37, v15
	v_pk_mov_b32 v[32:33], v[30:31], v[32:33] op_sel:[1,0]
	v_mov_b32_e32 v35, v30
	v_pk_add_f32 v[32:33], v[36:37], v[32:33] neg_lo:[0,1] neg_hi:[0,1]
	v_mov_b32_e32 v40, v38
	v_pk_add_f32 v[30:31], v[34:35], v[32:33] neg_lo:[0,1] neg_hi:[0,1]
	v_mov_b32_e32 v39, v15
	v_pk_add_f32 v[32:33], v[40:41], v[30:31]
	s_mov_b32 s2, 0x33800000
	v_pk_add_f32 v[34:35], v[32:33], v[32:33] op_sel:[0,1] op_sel_hi:[1,0]
	s_nop 0
	v_pk_add_f32 v[14:15], v[14:15], v[34:35] op_sel:[1,0] op_sel_hi:[0,1]
	v_mov_b32_e32 v33, v14
	v_pk_add_f32 v[36:37], v[32:33], v[38:39] neg_lo:[0,1] neg_hi:[0,1]
	v_mov_b32_e32 v31, v34
	v_sub_f32_e32 v15, v32, v36
	v_pk_add_f32 v[30:31], v[30:31], v[36:37] neg_lo:[0,1] neg_hi:[0,1]
	v_sub_f32_e32 v15, v38, v15
	v_add_f32_e32 v15, v30, v15
	v_add_f32_e32 v15, v15, v31
	;; [unrolled: 1-line block ×3, first 2 shown]
	v_cndmask_b32_e32 v14, v16, v14, vcc
	v_cmp_lt_f32_e64 vcc, |v42|, s2
	s_nop 1
	v_cndmask_b32_e32 v14, v14, v42, vcc
	v_add_f32_e32 v15, v9, v14
.LBB438_278:
	s_or_b64 exec, exec, s[0:1]
	v_bfe_u32 v9, v15, 16, 1
	v_add3_u32 v9, v15, v9, s3
	v_cmp_o_f32_e32 vcc, v15, v15
	s_movk_i32 s2, 0x1f8
	s_nop 0
	v_cndmask_b32_sdwa v14, v8, v9, vcc dst_sel:DWORD dst_unused:UNUSED_PAD src0_sel:DWORD src1_sel:WORD_1
	v_lshlrev_b32_e32 v8, 16, v14
	v_max_f32_e32 v15, v8, v8
	v_min_f32_e32 v9, v15, v18
	v_cmp_u_f32_e32 vcc, v8, v8
	v_max_f32_e32 v15, v15, v18
	s_nop 0
	v_cndmask_b32_e32 v9, v9, v8, vcc
	v_cndmask_b32_e32 v15, v15, v8, vcc
	v_cndmask_b32_e64 v9, v9, v6, s[10:11]
	v_cndmask_b32_e64 v6, v15, v6, s[10:11]
	v_cmp_neq_f32_e32 vcc, v9, v6
	v_cmp_class_f32_e64 s[0:1], v9, s2
	s_or_b64 s[4:5], vcc, s[0:1]
	s_and_saveexec_b64 s[0:1], s[4:5]
	s_cbranch_execz .LBB438_280
; %bb.279:
	v_sub_f32_e32 v8, v9, v6
	s_mov_b32 s3, 0x3fb8aa3b
	v_mul_f32_e32 v9, 0x3fb8aa3b, v8
	v_fma_f32 v15, v8, s3, -v9
	v_rndne_f32_e32 v16, v9
	v_fmamk_f32 v15, v8, 0x32a5705f, v15
	v_sub_f32_e32 v9, v9, v16
	v_add_f32_e32 v9, v9, v15
	v_exp_f32_e32 v9, v9
	v_cvt_i32_f32_e32 v15, v16
	s_mov_b32 s3, 0xc2ce8ed0
	v_cmp_ngt_f32_e32 vcc, s3, v8
	s_mov_b32 s3, 0x42b17218
	v_ldexp_f32 v9, v9, v15
	v_cndmask_b32_e32 v9, 0, v9, vcc
	v_mov_b32_e32 v15, 0x7f800000
	v_cmp_nlt_f32_e32 vcc, s3, v8
	s_mov_b32 s3, 0x3f2aaaab
	s_mov_b32 s4, 0x7f800000
	v_cndmask_b32_e32 v16, v15, v9, vcc
	v_add_f32_e32 v18, 1.0, v16
	v_add_f32_e32 v8, -1.0, v18
	v_sub_f32_e32 v9, v8, v18
	v_add_f32_e32 v9, 1.0, v9
	v_sub_f32_e32 v8, v16, v8
	v_add_f32_e32 v30, v8, v9
	v_frexp_mant_f32_e32 v31, v18
	v_cvt_f64_f32_e32 v[8:9], v18
	v_frexp_exp_i32_f64_e32 v8, v[8:9]
	v_cmp_gt_f32_e32 vcc, s3, v31
	s_mov_b32 s3, 0x3f317218
	s_nop 0
	v_subbrev_co_u32_e32 v36, vcc, 0, v8, vcc
	v_sub_u32_e32 v8, 0, v36
	v_ldexp_f32 v9, v18, v8
	v_add_f32_e32 v18, -1.0, v9
	v_add_f32_e32 v31, 1.0, v9
	v_ldexp_f32 v8, v30, v8
	v_add_f32_e32 v30, 1.0, v18
	v_add_f32_e32 v32, -1.0, v31
	v_sub_f32_e32 v30, v9, v30
	v_sub_f32_e32 v9, v9, v32
	v_add_f32_e32 v30, v8, v30
	v_add_f32_e32 v8, v8, v9
	;; [unrolled: 1-line block ×3, first 2 shown]
	v_rcp_f32_e32 v39, v37
	v_sub_f32_e32 v9, v31, v37
	v_add_f32_e32 v38, v8, v9
	v_add_f32_e32 v9, v18, v30
	v_sub_f32_e32 v8, v18, v9
	v_mul_f32_e32 v40, v9, v39
	v_add_f32_e32 v18, v30, v8
	v_mul_f32_e32 v30, v37, v40
	v_fma_f32 v32, v40, v37, -v30
	v_fmac_f32_e32 v32, v40, v38
	v_add_f32_e32 v8, v30, v32
	v_sub_f32_e32 v31, v9, v8
	s_waitcnt lgkmcnt(0)
	v_pk_add_f32 v[34:35], v[8:9], v[30:31] neg_lo:[0,1] neg_hi:[0,1]
	v_mov_b32_e32 v33, v8
	v_pk_add_f32 v[8:9], v[34:35], v[32:33] neg_lo:[0,1] neg_hi:[0,1]
	v_cmp_neq_f32_e32 vcc, s4, v16
	v_add_f32_e32 v9, v18, v9
	v_add_f32_e32 v8, v8, v9
	;; [unrolled: 1-line block ×3, first 2 shown]
	v_mul_f32_e32 v18, v39, v9
	v_mul_f32_e32 v30, v37, v18
	v_fma_f32 v32, v18, v37, -v30
	v_fmac_f32_e32 v32, v18, v38
	v_sub_f32_e32 v31, v31, v9
	v_add_f32_e32 v37, v8, v31
	v_add_f32_e32 v8, v30, v32
	v_sub_f32_e32 v31, v9, v8
	v_pk_add_f32 v[34:35], v[8:9], v[30:31] neg_lo:[0,1] neg_hi:[0,1]
	v_mov_b32_e32 v33, v8
	v_pk_add_f32 v[8:9], v[34:35], v[32:33] neg_lo:[0,1] neg_hi:[0,1]
	v_cvt_f32_i32_e32 v30, v36
	v_add_f32_e32 v9, v37, v9
	v_add_f32_e32 v8, v8, v9
	;; [unrolled: 1-line block ×4, first 2 shown]
	v_sub_f32_e32 v9, v31, v40
	v_mul_f32_e32 v8, v39, v8
	v_sub_f32_e32 v9, v18, v9
	v_add_f32_e32 v8, v9, v8
	v_add_f32_e32 v18, v31, v8
	v_mul_f32_e32 v32, v18, v18
	v_mov_b32_e32 v9, 0x3ecc95a3
	v_sub_f32_e32 v31, v18, v31
	v_fmac_f32_e32 v9, 0x3e9b6dac, v32
	v_sub_f32_e32 v8, v8, v31
	v_fmaak_f32 v9, v32, v9, 0x3f2aaada
	v_ldexp_f32 v34, v8, 1
	v_mul_f32_e32 v31, v18, v32
	v_mov_b32_e32 v8, 0x3f317218
	v_pk_mul_f32 v[8:9], v[30:31], v[8:9]
	v_ldexp_f32 v33, v18, 1
	v_fma_f32 v18, v30, s3, -v8
	v_fmamk_f32 v32, v30, 0xb102e308, v18
	v_pk_add_f32 v[30:31], v[8:9], v[32:33]
	s_mov_b32 s3, 0x33800000
	v_sub_f32_e32 v18, v31, v33
	v_sub_f32_e32 v18, v9, v18
	v_add_f32_e32 v35, v34, v18
	v_mov_b32_e32 v34, v8
	v_pk_add_f32 v[8:9], v[30:31], v[8:9] neg_lo:[0,1] neg_hi:[0,1]
	v_pk_add_f32 v[36:37], v[30:31], v[34:35]
	v_mov_b32_e32 v33, v30
	v_mov_b32_e32 v9, v37
	v_pk_add_f32 v[38:39], v[32:33], v[8:9] neg_lo:[0,1] neg_hi:[0,1]
	v_pk_add_f32 v[8:9], v[32:33], v[8:9]
	v_mov_b32_e32 v34, v35
	v_pk_add_f32 v[32:33], v[8:9], v[30:31] op_sel:[1,0] op_sel_hi:[0,1] neg_lo:[0,1] neg_hi:[0,1]
	v_pk_add_f32 v[40:41], v[36:37], v[32:33] op_sel_hi:[1,0] neg_lo:[0,1] neg_hi:[0,1]
	v_mov_b32_e32 v36, v37
	v_mov_b32_e32 v37, v9
	v_pk_mov_b32 v[32:33], v[30:31], v[32:33] op_sel:[1,0]
	v_mov_b32_e32 v35, v30
	v_pk_add_f32 v[32:33], v[36:37], v[32:33] neg_lo:[0,1] neg_hi:[0,1]
	v_mov_b32_e32 v40, v38
	v_pk_add_f32 v[30:31], v[34:35], v[32:33] neg_lo:[0,1] neg_hi:[0,1]
	v_mov_b32_e32 v39, v9
	v_pk_add_f32 v[32:33], v[40:41], v[30:31]
	s_nop 0
	v_pk_add_f32 v[34:35], v[32:33], v[32:33] op_sel:[0,1] op_sel_hi:[1,0]
	s_nop 0
	v_pk_add_f32 v[8:9], v[8:9], v[34:35] op_sel:[1,0] op_sel_hi:[0,1]
	v_mov_b32_e32 v33, v8
	v_pk_add_f32 v[36:37], v[32:33], v[38:39] neg_lo:[0,1] neg_hi:[0,1]
	v_mov_b32_e32 v31, v34
	v_sub_f32_e32 v9, v32, v36
	v_pk_add_f32 v[30:31], v[30:31], v[36:37] neg_lo:[0,1] neg_hi:[0,1]
	v_sub_f32_e32 v9, v38, v9
	v_add_f32_e32 v9, v30, v9
	v_add_f32_e32 v9, v9, v31
	;; [unrolled: 1-line block ×3, first 2 shown]
	v_cndmask_b32_e32 v8, v15, v8, vcc
	v_cmp_lt_f32_e64 vcc, |v16|, s3
	s_nop 1
	v_cndmask_b32_e32 v8, v8, v16, vcc
	v_add_f32_e32 v8, v6, v8
.LBB438_280:
	s_or_b64 exec, exec, s[0:1]
	v_bfe_u32 v6, v8, 16, 1
	s_movk_i32 s3, 0x7fff
	v_add3_u32 v9, v8, v6, s3
	v_cmp_o_f32_e32 vcc, v8, v8
	v_mov_b32_e32 v6, 0x7fc0
	s_nop 0
	v_cndmask_b32_sdwa v15, v6, v9, vcc dst_sel:DWORD dst_unused:UNUSED_PAD src0_sel:DWORD src1_sel:WORD_1
	v_lshlrev_b32_e32 v9, 16, v15
	v_max_f32_e32 v8, v9, v9
	v_min_f32_e32 v16, v8, v19
	v_cmp_u_f32_e32 vcc, v9, v9
	v_max_f32_e32 v8, v8, v19
	s_nop 0
	v_cndmask_b32_e32 v16, v16, v9, vcc
	v_cndmask_b32_e32 v8, v8, v9, vcc
	v_cndmask_b32_e64 v16, v16, v17, s[12:13]
	v_cndmask_b32_e64 v8, v8, v17, s[12:13]
	v_cmp_neq_f32_e32 vcc, v16, v8
	v_cmp_class_f32_e64 s[0:1], v16, s2
	s_or_b64 s[4:5], vcc, s[0:1]
	s_and_saveexec_b64 s[0:1], s[4:5]
	s_cbranch_execz .LBB438_282
; %bb.281:
	v_sub_f32_e32 v9, v16, v8
	s_mov_b32 s2, 0x3fb8aa3b
	v_mul_f32_e32 v16, 0x3fb8aa3b, v9
	v_fma_f32 v17, v9, s2, -v16
	v_rndne_f32_e32 v18, v16
	v_fmamk_f32 v17, v9, 0x32a5705f, v17
	v_sub_f32_e32 v16, v16, v18
	v_add_f32_e32 v16, v16, v17
	v_exp_f32_e32 v16, v16
	v_cvt_i32_f32_e32 v17, v18
	s_mov_b32 s2, 0xc2ce8ed0
	v_cmp_ngt_f32_e32 vcc, s2, v9
	s_mov_b32 s2, 0x42b17218
	v_ldexp_f32 v16, v16, v17
	v_cndmask_b32_e32 v16, 0, v16, vcc
	v_mov_b32_e32 v40, 0x7f800000
	v_cmp_nlt_f32_e32 vcc, s2, v9
	s_mov_b32 s2, 0x3f2aaaab
	s_mov_b32 s4, 0x7f800000
	v_cndmask_b32_e32 v9, v40, v16, vcc
	v_add_f32_e32 v18, 1.0, v9
	v_add_f32_e32 v16, -1.0, v18
	v_sub_f32_e32 v17, v16, v18
	v_add_f32_e32 v17, 1.0, v17
	v_sub_f32_e32 v16, v9, v16
	v_add_f32_e32 v19, v16, v17
	v_frexp_mant_f32_e32 v30, v18
	v_cvt_f64_f32_e32 v[16:17], v18
	v_frexp_exp_i32_f64_e32 v16, v[16:17]
	v_cmp_gt_f32_e32 vcc, s2, v30
	s_mov_b32 s2, 0x3f317218
	s_nop 0
	v_subbrev_co_u32_e32 v34, vcc, 0, v16, vcc
	v_sub_u32_e32 v16, 0, v34
	v_ldexp_f32 v17, v18, v16
	v_add_f32_e32 v18, -1.0, v17
	v_add_f32_e32 v30, 1.0, v17
	v_ldexp_f32 v16, v19, v16
	v_add_f32_e32 v19, 1.0, v18
	v_add_f32_e32 v31, -1.0, v30
	v_sub_f32_e32 v19, v17, v19
	v_sub_f32_e32 v17, v17, v31
	v_add_f32_e32 v19, v16, v19
	v_add_f32_e32 v16, v16, v17
	s_waitcnt lgkmcnt(0)
	v_add_f32_e32 v35, v30, v16
	v_rcp_f32_e32 v37, v35
	v_sub_f32_e32 v17, v30, v35
	v_add_f32_e32 v36, v16, v17
	v_add_f32_e32 v17, v18, v19
	v_mul_f32_e32 v39, v17, v37
	v_sub_f32_e32 v16, v18, v17
	v_mul_f32_e32 v18, v35, v39
	v_fma_f32 v30, v39, v35, -v18
	v_fmac_f32_e32 v30, v39, v36
	v_add_f32_e32 v38, v19, v16
	v_add_f32_e32 v16, v18, v30
	v_sub_f32_e32 v19, v17, v16
	v_pk_add_f32 v[32:33], v[16:17], v[18:19] neg_lo:[0,1] neg_hi:[0,1]
	v_mov_b32_e32 v31, v16
	v_pk_add_f32 v[16:17], v[32:33], v[30:31] neg_lo:[0,1] neg_hi:[0,1]
	v_cmp_neq_f32_e32 vcc, s4, v9
	v_add_f32_e32 v17, v38, v17
	v_add_f32_e32 v16, v16, v17
	;; [unrolled: 1-line block ×3, first 2 shown]
	v_mul_f32_e32 v38, v37, v17
	v_mul_f32_e32 v18, v35, v38
	v_fma_f32 v30, v38, v35, -v18
	v_fmac_f32_e32 v30, v38, v36
	v_sub_f32_e32 v19, v19, v17
	v_add_f32_e32 v35, v16, v19
	v_add_f32_e32 v16, v18, v30
	v_sub_f32_e32 v19, v17, v16
	v_pk_add_f32 v[32:33], v[16:17], v[18:19] neg_lo:[0,1] neg_hi:[0,1]
	v_mov_b32_e32 v31, v16
	v_pk_add_f32 v[16:17], v[32:33], v[30:31] neg_lo:[0,1] neg_hi:[0,1]
	v_cvt_f32_i32_e32 v18, v34
	v_add_f32_e32 v17, v35, v17
	v_add_f32_e32 v16, v16, v17
	;; [unrolled: 1-line block ×4, first 2 shown]
	v_sub_f32_e32 v17, v19, v39
	v_mul_f32_e32 v16, v37, v16
	v_sub_f32_e32 v17, v38, v17
	v_add_f32_e32 v16, v17, v16
	v_add_f32_e32 v30, v19, v16
	v_mul_f32_e32 v32, v30, v30
	v_mov_b32_e32 v17, 0x3ecc95a3
	v_sub_f32_e32 v19, v30, v19
	v_fmac_f32_e32 v17, 0x3e9b6dac, v32
	v_sub_f32_e32 v16, v16, v19
	v_fmaak_f32 v17, v32, v17, 0x3f2aaada
	v_ldexp_f32 v33, v16, 1
	v_mul_f32_e32 v19, v30, v32
	v_mov_b32_e32 v16, 0x3f317218
	v_pk_mul_f32 v[16:17], v[18:19], v[16:17]
	v_ldexp_f32 v31, v30, 1
	v_fma_f32 v19, v18, s2, -v16
	v_fmamk_f32 v30, v18, 0xb102e308, v19
	v_pk_add_f32 v[18:19], v[16:17], v[30:31]
	v_mov_b32_e32 v32, v16
	v_sub_f32_e32 v31, v19, v31
	v_sub_f32_e32 v31, v17, v31
	v_add_f32_e32 v33, v33, v31
	v_pk_add_f32 v[16:17], v[18:19], v[16:17] neg_lo:[0,1] neg_hi:[0,1]
	v_pk_add_f32 v[34:35], v[18:19], v[32:33]
	v_mov_b32_e32 v31, v18
	v_mov_b32_e32 v17, v35
	v_pk_add_f32 v[36:37], v[30:31], v[16:17] neg_lo:[0,1] neg_hi:[0,1]
	v_pk_add_f32 v[16:17], v[30:31], v[16:17]
	v_mov_b32_e32 v32, v33
	v_pk_add_f32 v[30:31], v[16:17], v[18:19] op_sel:[1,0] op_sel_hi:[0,1] neg_lo:[0,1] neg_hi:[0,1]
	v_pk_add_f32 v[38:39], v[34:35], v[30:31] op_sel_hi:[1,0] neg_lo:[0,1] neg_hi:[0,1]
	v_mov_b32_e32 v34, v35
	v_mov_b32_e32 v35, v17
	v_pk_mov_b32 v[30:31], v[18:19], v[30:31] op_sel:[1,0]
	v_mov_b32_e32 v33, v18
	v_pk_add_f32 v[30:31], v[34:35], v[30:31] neg_lo:[0,1] neg_hi:[0,1]
	v_mov_b32_e32 v38, v36
	v_pk_add_f32 v[18:19], v[32:33], v[30:31] neg_lo:[0,1] neg_hi:[0,1]
	v_mov_b32_e32 v37, v17
	v_pk_add_f32 v[30:31], v[38:39], v[18:19]
	s_mov_b32 s2, 0x33800000
	v_pk_add_f32 v[32:33], v[30:31], v[30:31] op_sel:[0,1] op_sel_hi:[1,0]
	s_nop 0
	v_pk_add_f32 v[16:17], v[16:17], v[32:33] op_sel:[1,0] op_sel_hi:[0,1]
	v_mov_b32_e32 v31, v16
	v_pk_add_f32 v[34:35], v[30:31], v[36:37] neg_lo:[0,1] neg_hi:[0,1]
	v_mov_b32_e32 v19, v32
	v_sub_f32_e32 v17, v30, v34
	v_pk_add_f32 v[18:19], v[18:19], v[34:35] neg_lo:[0,1] neg_hi:[0,1]
	v_sub_f32_e32 v17, v36, v17
	v_add_f32_e32 v17, v18, v17
	v_add_f32_e32 v17, v17, v19
	;; [unrolled: 1-line block ×3, first 2 shown]
	v_cndmask_b32_e32 v16, v40, v16, vcc
	v_cmp_lt_f32_e64 vcc, |v9|, s2
	s_nop 1
	v_cndmask_b32_e32 v9, v16, v9, vcc
	v_add_f32_e32 v9, v8, v9
.LBB438_282:
	s_or_b64 exec, exec, s[0:1]
	v_bfe_u32 v8, v9, 16, 1
	v_add3_u32 v8, v9, v8, s3
	v_cmp_o_f32_e32 vcc, v9, v9
	s_movk_i32 s2, 0x1f8
	s_nop 0
	v_cndmask_b32_sdwa v16, v6, v8, vcc dst_sel:DWORD dst_unused:UNUSED_PAD src0_sel:DWORD src1_sel:WORD_1
	v_lshlrev_b32_e32 v8, 16, v16
	v_max_f32_e32 v6, v8, v8
	v_min_f32_e32 v9, v6, v21
	v_cmp_u_f32_e32 vcc, v8, v8
	v_max_f32_e32 v6, v6, v21
	s_nop 0
	v_cndmask_b32_e32 v9, v9, v8, vcc
	v_cndmask_b32_e32 v6, v6, v8, vcc
	v_cndmask_b32_e64 v9, v9, v7, s[14:15]
	v_cndmask_b32_e64 v6, v6, v7, s[14:15]
	v_cmp_neq_f32_e32 vcc, v9, v6
	v_cmp_class_f32_e64 s[0:1], v9, s2
	s_or_b64 s[4:5], vcc, s[0:1]
	s_and_saveexec_b64 s[0:1], s[4:5]
	s_cbranch_execz .LBB438_284
; %bb.283:
	v_sub_f32_e32 v7, v9, v6
	s_mov_b32 s3, 0x3fb8aa3b
	v_mul_f32_e32 v8, 0x3fb8aa3b, v7
	v_fma_f32 v9, v7, s3, -v8
	v_rndne_f32_e32 v17, v8
	v_fmamk_f32 v9, v7, 0x32a5705f, v9
	v_sub_f32_e32 v8, v8, v17
	v_add_f32_e32 v8, v8, v9
	v_exp_f32_e32 v8, v8
	v_cvt_i32_f32_e32 v9, v17
	s_mov_b32 s3, 0xc2ce8ed0
	v_cmp_ngt_f32_e32 vcc, s3, v7
	s_mov_b32 s3, 0x42b17218
	v_ldexp_f32 v8, v8, v9
	v_cndmask_b32_e32 v8, 0, v8, vcc
	v_mov_b32_e32 v17, 0x7f800000
	v_cmp_nlt_f32_e32 vcc, s3, v7
	s_mov_b32 s3, 0x3f2aaaab
	s_mov_b32 s4, 0x7f800000
	v_cndmask_b32_e32 v7, v17, v8, vcc
	v_add_f32_e32 v18, 1.0, v7
	v_add_f32_e32 v8, -1.0, v18
	v_sub_f32_e32 v9, v8, v18
	v_add_f32_e32 v9, 1.0, v9
	v_sub_f32_e32 v8, v7, v8
	v_add_f32_e32 v19, v8, v9
	v_frexp_mant_f32_e32 v21, v18
	v_cvt_f64_f32_e32 v[8:9], v18
	v_frexp_exp_i32_f64_e32 v8, v[8:9]
	v_cmp_gt_f32_e32 vcc, s3, v21
	s_mov_b32 s3, 0x3f317218
	s_nop 0
	v_subbrev_co_u32_e32 v21, vcc, 0, v8, vcc
	v_sub_u32_e32 v8, 0, v21
	v_ldexp_f32 v9, v18, v8
	v_add_f32_e32 v18, -1.0, v9
	v_add_f32_e32 v30, 1.0, v9
	v_ldexp_f32 v8, v19, v8
	v_add_f32_e32 v19, 1.0, v18
	v_add_f32_e32 v31, -1.0, v30
	v_sub_f32_e32 v19, v9, v19
	v_sub_f32_e32 v9, v9, v31
	v_add_f32_e32 v19, v8, v19
	v_add_f32_e32 v8, v8, v9
	;; [unrolled: 1-line block ×3, first 2 shown]
	v_rcp_f32_e32 v36, v34
	v_sub_f32_e32 v9, v30, v34
	s_waitcnt lgkmcnt(0)
	v_add_f32_e32 v35, v8, v9
	v_add_f32_e32 v9, v18, v19
	v_mul_f32_e32 v38, v9, v36
	v_sub_f32_e32 v8, v18, v9
	v_mul_f32_e32 v18, v34, v38
	v_fma_f32 v30, v38, v34, -v18
	v_fmac_f32_e32 v30, v38, v35
	v_add_f32_e32 v37, v19, v8
	v_add_f32_e32 v8, v18, v30
	v_sub_f32_e32 v19, v9, v8
	v_pk_add_f32 v[32:33], v[8:9], v[18:19] neg_lo:[0,1] neg_hi:[0,1]
	v_mov_b32_e32 v31, v8
	v_pk_add_f32 v[8:9], v[32:33], v[30:31] neg_lo:[0,1] neg_hi:[0,1]
	v_cmp_neq_f32_e32 vcc, s4, v7
	v_add_f32_e32 v9, v37, v9
	v_add_f32_e32 v8, v8, v9
	;; [unrolled: 1-line block ×3, first 2 shown]
	v_mul_f32_e32 v37, v36, v9
	v_mul_f32_e32 v18, v34, v37
	v_fma_f32 v30, v37, v34, -v18
	v_fmac_f32_e32 v30, v37, v35
	v_sub_f32_e32 v19, v19, v9
	v_add_f32_e32 v34, v8, v19
	v_add_f32_e32 v8, v18, v30
	v_sub_f32_e32 v19, v9, v8
	v_pk_add_f32 v[32:33], v[8:9], v[18:19] neg_lo:[0,1] neg_hi:[0,1]
	v_mov_b32_e32 v31, v8
	v_pk_add_f32 v[8:9], v[32:33], v[30:31] neg_lo:[0,1] neg_hi:[0,1]
	v_cvt_f32_i32_e32 v18, v21
	v_add_f32_e32 v9, v34, v9
	v_add_f32_e32 v8, v8, v9
	;; [unrolled: 1-line block ×4, first 2 shown]
	v_sub_f32_e32 v9, v19, v38
	v_mul_f32_e32 v8, v36, v8
	v_sub_f32_e32 v9, v37, v9
	v_add_f32_e32 v8, v9, v8
	v_add_f32_e32 v30, v19, v8
	v_mul_f32_e32 v32, v30, v30
	v_mov_b32_e32 v9, 0x3ecc95a3
	v_sub_f32_e32 v19, v30, v19
	v_fmac_f32_e32 v9, 0x3e9b6dac, v32
	v_sub_f32_e32 v8, v8, v19
	v_fmaak_f32 v9, v32, v9, 0x3f2aaada
	v_ldexp_f32 v21, v8, 1
	v_mul_f32_e32 v19, v30, v32
	v_mov_b32_e32 v8, 0x3f317218
	v_pk_mul_f32 v[8:9], v[18:19], v[8:9]
	v_ldexp_f32 v31, v30, 1
	v_fma_f32 v19, v18, s3, -v8
	v_fmamk_f32 v30, v18, 0xb102e308, v19
	v_pk_add_f32 v[18:19], v[8:9], v[30:31]
	v_mov_b32_e32 v32, v8
	v_sub_f32_e32 v31, v19, v31
	v_sub_f32_e32 v31, v9, v31
	v_add_f32_e32 v33, v21, v31
	v_pk_add_f32 v[8:9], v[18:19], v[8:9] neg_lo:[0,1] neg_hi:[0,1]
	v_pk_add_f32 v[34:35], v[18:19], v[32:33]
	v_mov_b32_e32 v31, v18
	v_mov_b32_e32 v9, v35
	v_pk_add_f32 v[36:37], v[30:31], v[8:9] neg_lo:[0,1] neg_hi:[0,1]
	v_pk_add_f32 v[8:9], v[30:31], v[8:9]
	v_mov_b32_e32 v32, v33
	v_pk_add_f32 v[30:31], v[8:9], v[18:19] op_sel:[1,0] op_sel_hi:[0,1] neg_lo:[0,1] neg_hi:[0,1]
	v_pk_add_f32 v[38:39], v[34:35], v[30:31] op_sel_hi:[1,0] neg_lo:[0,1] neg_hi:[0,1]
	v_mov_b32_e32 v34, v35
	v_mov_b32_e32 v35, v9
	v_pk_mov_b32 v[30:31], v[18:19], v[30:31] op_sel:[1,0]
	v_mov_b32_e32 v33, v18
	v_pk_add_f32 v[30:31], v[34:35], v[30:31] neg_lo:[0,1] neg_hi:[0,1]
	v_mov_b32_e32 v38, v36
	v_pk_add_f32 v[18:19], v[32:33], v[30:31] neg_lo:[0,1] neg_hi:[0,1]
	v_mov_b32_e32 v37, v9
	v_pk_add_f32 v[30:31], v[38:39], v[18:19]
	s_mov_b32 s3, 0x33800000
	v_pk_add_f32 v[32:33], v[30:31], v[30:31] op_sel:[0,1] op_sel_hi:[1,0]
	s_nop 0
	v_pk_add_f32 v[8:9], v[8:9], v[32:33] op_sel:[1,0] op_sel_hi:[0,1]
	v_mov_b32_e32 v31, v8
	v_pk_add_f32 v[34:35], v[30:31], v[36:37] neg_lo:[0,1] neg_hi:[0,1]
	v_mov_b32_e32 v19, v32
	v_sub_f32_e32 v9, v30, v34
	v_pk_add_f32 v[18:19], v[18:19], v[34:35] neg_lo:[0,1] neg_hi:[0,1]
	v_sub_f32_e32 v9, v36, v9
	v_add_f32_e32 v9, v18, v9
	v_add_f32_e32 v9, v9, v19
	;; [unrolled: 1-line block ×3, first 2 shown]
	v_cndmask_b32_e32 v8, v17, v8, vcc
	v_cmp_lt_f32_e64 vcc, |v7|, s3
	s_nop 1
	v_cndmask_b32_e32 v7, v8, v7, vcc
	v_add_f32_e32 v8, v6, v7
.LBB438_284:
	s_or_b64 exec, exec, s[0:1]
	v_bfe_u32 v6, v8, 16, 1
	s_movk_i32 s3, 0x7fff
	v_add3_u32 v7, v8, v6, s3
	v_cmp_o_f32_e32 vcc, v8, v8
	v_mov_b32_e32 v6, 0x7fc0
	s_nop 0
	v_cndmask_b32_sdwa v17, v6, v7, vcc dst_sel:DWORD dst_unused:UNUSED_PAD src0_sel:DWORD src1_sel:WORD_1
	v_lshlrev_b32_e32 v8, 16, v17
	v_max_f32_e32 v7, v8, v8
	v_min_f32_e32 v9, v7, v22
	v_cmp_u_f32_e32 vcc, v8, v8
	v_max_f32_e32 v7, v7, v22
	s_nop 0
	v_cndmask_b32_e32 v9, v9, v8, vcc
	v_cndmask_b32_e32 v7, v7, v8, vcc
	v_cndmask_b32_e64 v9, v9, v20, s[16:17]
	v_cndmask_b32_e64 v7, v7, v20, s[16:17]
	v_cmp_neq_f32_e32 vcc, v9, v7
	v_cmp_class_f32_e64 s[0:1], v9, s2
	s_or_b64 s[4:5], vcc, s[0:1]
	s_and_saveexec_b64 s[0:1], s[4:5]
	s_cbranch_execz .LBB438_286
; %bb.285:
	v_sub_f32_e32 v8, v9, v7
	s_mov_b32 s2, 0x3fb8aa3b
	v_mul_f32_e32 v9, 0x3fb8aa3b, v8
	v_fma_f32 v18, v8, s2, -v9
	v_rndne_f32_e32 v19, v9
	v_fmamk_f32 v18, v8, 0x32a5705f, v18
	v_sub_f32_e32 v9, v9, v19
	v_add_f32_e32 v9, v9, v18
	v_exp_f32_e32 v9, v9
	v_cvt_i32_f32_e32 v18, v19
	s_mov_b32 s2, 0xc2ce8ed0
	v_cmp_ngt_f32_e32 vcc, s2, v8
	s_mov_b32 s2, 0x42b17218
	v_ldexp_f32 v9, v9, v18
	v_cndmask_b32_e32 v9, 0, v9, vcc
	v_mov_b32_e32 v22, 0x7f800000
	v_cmp_nlt_f32_e32 vcc, s2, v8
	s_mov_b32 s2, 0x3f2aaaab
	s_mov_b32 s4, 0x7f800000
	v_cndmask_b32_e32 v38, v22, v9, vcc
	v_add_f32_e32 v18, 1.0, v38
	v_add_f32_e32 v8, -1.0, v18
	v_sub_f32_e32 v9, v8, v18
	v_add_f32_e32 v9, 1.0, v9
	v_sub_f32_e32 v8, v38, v8
	v_add_f32_e32 v19, v8, v9
	v_frexp_mant_f32_e32 v20, v18
	v_cvt_f64_f32_e32 v[8:9], v18
	v_frexp_exp_i32_f64_e32 v8, v[8:9]
	v_cmp_gt_f32_e32 vcc, s2, v20
	s_mov_b32 s2, 0x3f317218
	s_nop 0
	v_subbrev_co_u32_e32 v32, vcc, 0, v8, vcc
	v_sub_u32_e32 v8, 0, v32
	v_ldexp_f32 v9, v18, v8
	v_add_f32_e32 v18, -1.0, v9
	v_add_f32_e32 v20, 1.0, v9
	v_ldexp_f32 v8, v19, v8
	v_add_f32_e32 v19, 1.0, v18
	v_add_f32_e32 v21, -1.0, v20
	v_sub_f32_e32 v19, v9, v19
	v_sub_f32_e32 v9, v9, v21
	v_add_f32_e32 v19, v8, v19
	v_add_f32_e32 v8, v8, v9
	;; [unrolled: 1-line block ×3, first 2 shown]
	s_waitcnt lgkmcnt(0)
	v_rcp_f32_e32 v35, v33
	v_sub_f32_e32 v9, v20, v33
	v_add_f32_e32 v34, v8, v9
	v_add_f32_e32 v9, v18, v19
	v_mul_f32_e32 v37, v9, v35
	v_sub_f32_e32 v8, v18, v9
	v_mul_f32_e32 v18, v33, v37
	v_fma_f32 v20, v37, v33, -v18
	v_fmac_f32_e32 v20, v37, v34
	v_add_f32_e32 v36, v19, v8
	v_add_f32_e32 v8, v18, v20
	v_sub_f32_e32 v19, v9, v8
	v_pk_add_f32 v[30:31], v[8:9], v[18:19] neg_lo:[0,1] neg_hi:[0,1]
	v_mov_b32_e32 v21, v8
	v_pk_add_f32 v[8:9], v[30:31], v[20:21] neg_lo:[0,1] neg_hi:[0,1]
	v_cmp_neq_f32_e32 vcc, s4, v38
	v_add_f32_e32 v9, v36, v9
	v_add_f32_e32 v8, v8, v9
	;; [unrolled: 1-line block ×3, first 2 shown]
	v_mul_f32_e32 v36, v35, v9
	v_mul_f32_e32 v18, v33, v36
	v_fma_f32 v20, v36, v33, -v18
	v_fmac_f32_e32 v20, v36, v34
	v_sub_f32_e32 v19, v19, v9
	v_add_f32_e32 v33, v8, v19
	v_add_f32_e32 v8, v18, v20
	v_sub_f32_e32 v19, v9, v8
	v_pk_add_f32 v[30:31], v[8:9], v[18:19] neg_lo:[0,1] neg_hi:[0,1]
	v_mov_b32_e32 v21, v8
	v_pk_add_f32 v[8:9], v[30:31], v[20:21] neg_lo:[0,1] neg_hi:[0,1]
	v_cvt_f32_i32_e32 v18, v32
	v_add_f32_e32 v9, v33, v9
	v_add_f32_e32 v8, v8, v9
	;; [unrolled: 1-line block ×4, first 2 shown]
	v_sub_f32_e32 v9, v19, v37
	v_mul_f32_e32 v8, v35, v8
	v_sub_f32_e32 v9, v36, v9
	v_add_f32_e32 v8, v9, v8
	v_add_f32_e32 v20, v19, v8
	v_mul_f32_e32 v30, v20, v20
	v_mov_b32_e32 v9, 0x3ecc95a3
	v_sub_f32_e32 v19, v20, v19
	v_fmac_f32_e32 v9, 0x3e9b6dac, v30
	v_sub_f32_e32 v8, v8, v19
	v_fmaak_f32 v9, v30, v9, 0x3f2aaada
	v_ldexp_f32 v31, v8, 1
	v_mul_f32_e32 v19, v20, v30
	v_mov_b32_e32 v8, 0x3f317218
	v_pk_mul_f32 v[8:9], v[18:19], v[8:9]
	v_ldexp_f32 v21, v20, 1
	v_fma_f32 v19, v18, s2, -v8
	v_fmamk_f32 v20, v18, 0xb102e308, v19
	v_pk_add_f32 v[18:19], v[8:9], v[20:21]
	v_mov_b32_e32 v30, v8
	v_sub_f32_e32 v21, v19, v21
	v_sub_f32_e32 v21, v9, v21
	v_add_f32_e32 v31, v31, v21
	v_pk_add_f32 v[8:9], v[18:19], v[8:9] neg_lo:[0,1] neg_hi:[0,1]
	v_pk_add_f32 v[32:33], v[18:19], v[30:31]
	v_mov_b32_e32 v21, v18
	v_mov_b32_e32 v9, v33
	v_pk_add_f32 v[34:35], v[20:21], v[8:9] neg_lo:[0,1] neg_hi:[0,1]
	v_pk_add_f32 v[8:9], v[20:21], v[8:9]
	v_mov_b32_e32 v30, v31
	v_pk_add_f32 v[20:21], v[8:9], v[18:19] op_sel:[1,0] op_sel_hi:[0,1] neg_lo:[0,1] neg_hi:[0,1]
	v_pk_add_f32 v[36:37], v[32:33], v[20:21] op_sel_hi:[1,0] neg_lo:[0,1] neg_hi:[0,1]
	v_mov_b32_e32 v32, v33
	v_mov_b32_e32 v33, v9
	v_pk_mov_b32 v[20:21], v[18:19], v[20:21] op_sel:[1,0]
	v_mov_b32_e32 v31, v18
	v_pk_add_f32 v[20:21], v[32:33], v[20:21] neg_lo:[0,1] neg_hi:[0,1]
	v_mov_b32_e32 v36, v34
	v_pk_add_f32 v[18:19], v[30:31], v[20:21] neg_lo:[0,1] neg_hi:[0,1]
	v_mov_b32_e32 v35, v9
	v_pk_add_f32 v[20:21], v[36:37], v[18:19]
	s_mov_b32 s2, 0x33800000
	v_pk_add_f32 v[30:31], v[20:21], v[20:21] op_sel:[0,1] op_sel_hi:[1,0]
	s_nop 0
	v_pk_add_f32 v[8:9], v[8:9], v[30:31] op_sel:[1,0] op_sel_hi:[0,1]
	v_mov_b32_e32 v21, v8
	v_pk_add_f32 v[32:33], v[20:21], v[34:35] neg_lo:[0,1] neg_hi:[0,1]
	v_mov_b32_e32 v19, v30
	v_sub_f32_e32 v9, v20, v32
	v_pk_add_f32 v[18:19], v[18:19], v[32:33] neg_lo:[0,1] neg_hi:[0,1]
	v_sub_f32_e32 v9, v34, v9
	v_add_f32_e32 v9, v18, v9
	v_add_f32_e32 v9, v9, v19
	;; [unrolled: 1-line block ×3, first 2 shown]
	v_cndmask_b32_e32 v8, v22, v8, vcc
	v_cmp_lt_f32_e64 vcc, |v38|, s2
	s_nop 1
	v_cndmask_b32_e32 v8, v8, v38, vcc
	v_add_f32_e32 v8, v7, v8
.LBB438_286:
	s_or_b64 exec, exec, s[0:1]
	v_bfe_u32 v7, v8, 16, 1
	v_add3_u32 v7, v8, v7, s3
	v_cmp_o_f32_e32 vcc, v8, v8
	s_movk_i32 s2, 0x1f8
	s_nop 0
	v_cndmask_b32_sdwa v18, v6, v7, vcc dst_sel:DWORD dst_unused:UNUSED_PAD src0_sel:DWORD src1_sel:WORD_1
	v_lshlrev_b32_e32 v6, 16, v18
	v_max_f32_e32 v8, v6, v6
	v_min_f32_e32 v7, v8, v24
	v_cmp_u_f32_e32 vcc, v6, v6
	v_max_f32_e32 v8, v8, v24
	s_nop 0
	v_cndmask_b32_e32 v7, v7, v6, vcc
	v_cndmask_b32_e32 v8, v8, v6, vcc
	v_cndmask_b32_e64 v7, v7, v4, s[18:19]
	v_cndmask_b32_e64 v4, v8, v4, s[18:19]
	v_cmp_neq_f32_e32 vcc, v7, v4
	v_cmp_class_f32_e64 s[0:1], v7, s2
	s_or_b64 s[4:5], vcc, s[0:1]
	s_and_saveexec_b64 s[0:1], s[4:5]
	s_cbranch_execz .LBB438_288
; %bb.287:
	v_sub_f32_e32 v6, v7, v4
	s_mov_b32 s3, 0x3fb8aa3b
	v_mul_f32_e32 v7, 0x3fb8aa3b, v6
	v_fma_f32 v8, v6, s3, -v7
	v_rndne_f32_e32 v9, v7
	v_fmamk_f32 v8, v6, 0x32a5705f, v8
	v_sub_f32_e32 v7, v7, v9
	v_add_f32_e32 v7, v7, v8
	v_exp_f32_e32 v7, v7
	v_cvt_i32_f32_e32 v8, v9
	s_mov_b32 s3, 0xc2ce8ed0
	v_cmp_ngt_f32_e32 vcc, s3, v6
	s_mov_b32 s3, 0x42b17218
	v_ldexp_f32 v7, v7, v8
	v_cndmask_b32_e32 v7, 0, v7, vcc
	v_mov_b32_e32 v19, 0x7f800000
	v_cmp_nlt_f32_e32 vcc, s3, v6
	s_mov_b32 s3, 0x3f2aaaab
	s_mov_b32 s4, 0x7f800000
	v_cndmask_b32_e32 v22, v19, v7, vcc
	v_add_f32_e32 v8, 1.0, v22
	v_add_f32_e32 v6, -1.0, v8
	v_sub_f32_e32 v7, v6, v8
	v_add_f32_e32 v7, 1.0, v7
	v_sub_f32_e32 v6, v22, v6
	v_add_f32_e32 v9, v6, v7
	v_frexp_mant_f32_e32 v20, v8
	v_cvt_f64_f32_e32 v[6:7], v8
	v_frexp_exp_i32_f64_e32 v6, v[6:7]
	v_cmp_gt_f32_e32 vcc, s3, v20
	s_mov_b32 s3, 0x3f317218
	s_nop 0
	v_subbrev_co_u32_e32 v24, vcc, 0, v6, vcc
	v_sub_u32_e32 v6, 0, v24
	v_ldexp_f32 v7, v8, v6
	v_add_f32_e32 v8, -1.0, v7
	v_add_f32_e32 v20, 1.0, v7
	v_ldexp_f32 v6, v9, v6
	v_add_f32_e32 v9, 1.0, v8
	v_add_f32_e32 v21, -1.0, v20
	v_sub_f32_e32 v9, v7, v9
	v_sub_f32_e32 v7, v7, v21
	v_add_f32_e32 v9, v6, v9
	v_add_f32_e32 v6, v6, v7
	;; [unrolled: 1-line block ×3, first 2 shown]
	v_rcp_f32_e32 v34, v32
	v_sub_f32_e32 v7, v20, v32
	v_add_f32_e32 v33, v6, v7
	v_add_f32_e32 v7, v8, v9
	v_mul_f32_e32 v36, v7, v34
	v_sub_f32_e32 v6, v8, v7
	v_mul_f32_e32 v8, v32, v36
	v_fma_f32 v20, v36, v32, -v8
	v_fmac_f32_e32 v20, v36, v33
	s_waitcnt lgkmcnt(0)
	v_add_f32_e32 v35, v9, v6
	v_add_f32_e32 v6, v8, v20
	v_sub_f32_e32 v9, v7, v6
	v_pk_add_f32 v[30:31], v[6:7], v[8:9] neg_lo:[0,1] neg_hi:[0,1]
	v_mov_b32_e32 v21, v6
	v_pk_add_f32 v[6:7], v[30:31], v[20:21] neg_lo:[0,1] neg_hi:[0,1]
	v_cmp_neq_f32_e32 vcc, s4, v22
	v_add_f32_e32 v7, v35, v7
	v_add_f32_e32 v6, v6, v7
	;; [unrolled: 1-line block ×3, first 2 shown]
	v_mul_f32_e32 v35, v34, v7
	v_mul_f32_e32 v8, v32, v35
	v_fma_f32 v20, v35, v32, -v8
	v_fmac_f32_e32 v20, v35, v33
	v_sub_f32_e32 v9, v9, v7
	v_add_f32_e32 v32, v6, v9
	v_add_f32_e32 v6, v8, v20
	v_sub_f32_e32 v9, v7, v6
	v_pk_add_f32 v[30:31], v[6:7], v[8:9] neg_lo:[0,1] neg_hi:[0,1]
	v_mov_b32_e32 v21, v6
	v_pk_add_f32 v[6:7], v[30:31], v[20:21] neg_lo:[0,1] neg_hi:[0,1]
	v_cvt_f32_i32_e32 v8, v24
	v_add_f32_e32 v7, v32, v7
	v_add_f32_e32 v6, v6, v7
	v_add_f32_e32 v6, v9, v6
	v_add_f32_e32 v9, v36, v35
	v_sub_f32_e32 v7, v9, v36
	v_mul_f32_e32 v6, v34, v6
	v_sub_f32_e32 v7, v35, v7
	v_add_f32_e32 v6, v7, v6
	v_add_f32_e32 v20, v9, v6
	v_mul_f32_e32 v30, v20, v20
	v_mov_b32_e32 v7, 0x3ecc95a3
	v_sub_f32_e32 v9, v20, v9
	v_fmac_f32_e32 v7, 0x3e9b6dac, v30
	v_sub_f32_e32 v6, v6, v9
	v_fmaak_f32 v7, v30, v7, 0x3f2aaada
	v_ldexp_f32 v24, v6, 1
	v_mul_f32_e32 v9, v20, v30
	v_mov_b32_e32 v6, 0x3f317218
	v_pk_mul_f32 v[6:7], v[8:9], v[6:7]
	v_ldexp_f32 v21, v20, 1
	v_fma_f32 v9, v8, s3, -v6
	v_fmamk_f32 v20, v8, 0xb102e308, v9
	v_pk_add_f32 v[8:9], v[6:7], v[20:21]
	v_mov_b32_e32 v30, v6
	v_sub_f32_e32 v21, v9, v21
	v_sub_f32_e32 v21, v7, v21
	v_add_f32_e32 v31, v24, v21
	v_pk_add_f32 v[6:7], v[8:9], v[6:7] neg_lo:[0,1] neg_hi:[0,1]
	v_pk_add_f32 v[32:33], v[8:9], v[30:31]
	v_mov_b32_e32 v21, v8
	v_mov_b32_e32 v7, v33
	v_pk_add_f32 v[34:35], v[20:21], v[6:7] neg_lo:[0,1] neg_hi:[0,1]
	v_pk_add_f32 v[6:7], v[20:21], v[6:7]
	v_mov_b32_e32 v30, v31
	v_pk_add_f32 v[20:21], v[6:7], v[8:9] op_sel:[1,0] op_sel_hi:[0,1] neg_lo:[0,1] neg_hi:[0,1]
	v_pk_add_f32 v[36:37], v[32:33], v[20:21] op_sel_hi:[1,0] neg_lo:[0,1] neg_hi:[0,1]
	v_mov_b32_e32 v32, v33
	v_mov_b32_e32 v33, v7
	v_pk_mov_b32 v[20:21], v[8:9], v[20:21] op_sel:[1,0]
	v_mov_b32_e32 v31, v8
	v_pk_add_f32 v[20:21], v[32:33], v[20:21] neg_lo:[0,1] neg_hi:[0,1]
	v_mov_b32_e32 v36, v34
	v_pk_add_f32 v[8:9], v[30:31], v[20:21] neg_lo:[0,1] neg_hi:[0,1]
	v_mov_b32_e32 v35, v7
	v_pk_add_f32 v[20:21], v[36:37], v[8:9]
	s_mov_b32 s3, 0x33800000
	v_pk_add_f32 v[30:31], v[20:21], v[20:21] op_sel:[0,1] op_sel_hi:[1,0]
	s_nop 0
	v_pk_add_f32 v[6:7], v[6:7], v[30:31] op_sel:[1,0] op_sel_hi:[0,1]
	v_mov_b32_e32 v21, v6
	v_pk_add_f32 v[32:33], v[20:21], v[34:35] neg_lo:[0,1] neg_hi:[0,1]
	v_mov_b32_e32 v9, v30
	v_sub_f32_e32 v7, v20, v32
	v_pk_add_f32 v[8:9], v[8:9], v[32:33] neg_lo:[0,1] neg_hi:[0,1]
	v_sub_f32_e32 v7, v34, v7
	v_add_f32_e32 v7, v8, v7
	v_add_f32_e32 v7, v7, v9
	;; [unrolled: 1-line block ×3, first 2 shown]
	v_cndmask_b32_e32 v6, v19, v6, vcc
	v_cmp_lt_f32_e64 vcc, |v22|, s3
	s_nop 1
	v_cndmask_b32_e32 v6, v6, v22, vcc
	v_add_f32_e32 v6, v4, v6
.LBB438_288:
	s_or_b64 exec, exec, s[0:1]
	v_bfe_u32 v4, v6, 16, 1
	s_movk_i32 s3, 0x7fff
	v_add3_u32 v7, v6, v4, s3
	v_cmp_o_f32_e32 vcc, v6, v6
	v_mov_b32_e32 v4, 0x7fc0
	s_nop 0
	v_cndmask_b32_sdwa v19, v4, v7, vcc dst_sel:DWORD dst_unused:UNUSED_PAD src0_sel:DWORD src1_sel:WORD_1
	v_lshlrev_b32_e32 v7, 16, v19
	v_max_f32_e32 v6, v7, v7
	v_min_f32_e32 v8, v6, v25
	v_cmp_u_f32_e32 vcc, v7, v7
	v_max_f32_e32 v6, v6, v25
	s_nop 0
	v_cndmask_b32_e32 v8, v8, v7, vcc
	v_cndmask_b32_e32 v6, v6, v7, vcc
	v_cndmask_b32_e64 v8, v8, v23, s[20:21]
	v_cndmask_b32_e64 v6, v6, v23, s[20:21]
	v_cmp_neq_f32_e32 vcc, v8, v6
	v_cmp_class_f32_e64 s[0:1], v8, s2
	s_or_b64 s[4:5], vcc, s[0:1]
	s_and_saveexec_b64 s[0:1], s[4:5]
	s_cbranch_execz .LBB438_290
; %bb.289:
	v_sub_f32_e32 v7, v8, v6
	s_mov_b32 s2, 0x3fb8aa3b
	v_mul_f32_e32 v8, 0x3fb8aa3b, v7
	v_fma_f32 v9, v7, s2, -v8
	v_rndne_f32_e32 v20, v8
	v_fmamk_f32 v9, v7, 0x32a5705f, v9
	v_sub_f32_e32 v8, v8, v20
	v_add_f32_e32 v8, v8, v9
	v_exp_f32_e32 v8, v8
	v_cvt_i32_f32_e32 v9, v20
	s_mov_b32 s2, 0xc2ce8ed0
	v_cmp_ngt_f32_e32 vcc, s2, v7
	s_mov_b32 s2, 0x42b17218
	v_ldexp_f32 v8, v8, v9
	v_cndmask_b32_e32 v8, 0, v8, vcc
	v_mov_b32_e32 v36, 0x7f800000
	v_cmp_nlt_f32_e32 vcc, s2, v7
	s_mov_b32 s2, 0x3f2aaaab
	s_mov_b32 s4, 0x7f800000
	v_cndmask_b32_e32 v7, v36, v8, vcc
	v_add_f32_e32 v20, 1.0, v7
	v_add_f32_e32 v8, -1.0, v20
	v_sub_f32_e32 v9, v8, v20
	v_add_f32_e32 v9, 1.0, v9
	v_sub_f32_e32 v8, v7, v8
	v_add_f32_e32 v21, v8, v9
	v_frexp_mant_f32_e32 v22, v20
	v_cvt_f64_f32_e32 v[8:9], v20
	v_frexp_exp_i32_f64_e32 v8, v[8:9]
	v_cmp_gt_f32_e32 vcc, s2, v22
	s_mov_b32 s2, 0x3f317218
	s_nop 0
	v_subbrev_co_u32_e32 v30, vcc, 0, v8, vcc
	v_sub_u32_e32 v8, 0, v30
	v_ldexp_f32 v9, v20, v8
	v_add_f32_e32 v20, -1.0, v9
	v_add_f32_e32 v22, 1.0, v9
	v_ldexp_f32 v8, v21, v8
	v_add_f32_e32 v21, 1.0, v20
	v_add_f32_e32 v23, -1.0, v22
	v_sub_f32_e32 v21, v9, v21
	v_sub_f32_e32 v9, v9, v23
	v_add_f32_e32 v21, v8, v21
	v_add_f32_e32 v8, v8, v9
	v_add_f32_e32 v31, v22, v8
	v_rcp_f32_e32 v33, v31
	v_sub_f32_e32 v9, v22, v31
	v_add_f32_e32 v32, v8, v9
	v_add_f32_e32 v9, v20, v21
	s_waitcnt lgkmcnt(0)
	v_mul_f32_e32 v35, v9, v33
	v_sub_f32_e32 v8, v20, v9
	v_mul_f32_e32 v20, v31, v35
	v_fma_f32 v22, v35, v31, -v20
	v_fmac_f32_e32 v22, v35, v32
	v_add_f32_e32 v34, v21, v8
	v_add_f32_e32 v8, v20, v22
	v_sub_f32_e32 v21, v9, v8
	v_pk_add_f32 v[24:25], v[8:9], v[20:21] neg_lo:[0,1] neg_hi:[0,1]
	v_mov_b32_e32 v23, v8
	v_pk_add_f32 v[8:9], v[24:25], v[22:23] neg_lo:[0,1] neg_hi:[0,1]
	v_cmp_neq_f32_e32 vcc, s4, v7
	v_add_f32_e32 v9, v34, v9
	v_add_f32_e32 v8, v8, v9
	;; [unrolled: 1-line block ×3, first 2 shown]
	v_mul_f32_e32 v34, v33, v9
	v_mul_f32_e32 v20, v31, v34
	v_fma_f32 v22, v34, v31, -v20
	v_fmac_f32_e32 v22, v34, v32
	v_sub_f32_e32 v21, v21, v9
	v_add_f32_e32 v31, v8, v21
	v_add_f32_e32 v8, v20, v22
	v_sub_f32_e32 v21, v9, v8
	v_pk_add_f32 v[24:25], v[8:9], v[20:21] neg_lo:[0,1] neg_hi:[0,1]
	v_mov_b32_e32 v23, v8
	v_pk_add_f32 v[8:9], v[24:25], v[22:23] neg_lo:[0,1] neg_hi:[0,1]
	v_cvt_f32_i32_e32 v20, v30
	v_add_f32_e32 v9, v31, v9
	v_add_f32_e32 v8, v8, v9
	v_add_f32_e32 v8, v21, v8
	v_add_f32_e32 v21, v35, v34
	v_sub_f32_e32 v9, v21, v35
	v_mul_f32_e32 v8, v33, v8
	v_sub_f32_e32 v9, v34, v9
	v_add_f32_e32 v8, v9, v8
	v_add_f32_e32 v22, v21, v8
	v_mul_f32_e32 v24, v22, v22
	v_mov_b32_e32 v9, 0x3ecc95a3
	v_sub_f32_e32 v21, v22, v21
	v_fmac_f32_e32 v9, 0x3e9b6dac, v24
	v_sub_f32_e32 v8, v8, v21
	v_fmaak_f32 v9, v24, v9, 0x3f2aaada
	v_ldexp_f32 v25, v8, 1
	v_mul_f32_e32 v21, v22, v24
	v_mov_b32_e32 v8, 0x3f317218
	v_pk_mul_f32 v[8:9], v[20:21], v[8:9]
	v_ldexp_f32 v23, v22, 1
	v_fma_f32 v21, v20, s2, -v8
	v_fmamk_f32 v22, v20, 0xb102e308, v21
	v_pk_add_f32 v[20:21], v[8:9], v[22:23]
	v_mov_b32_e32 v24, v8
	v_sub_f32_e32 v23, v21, v23
	v_sub_f32_e32 v23, v9, v23
	v_add_f32_e32 v25, v25, v23
	v_pk_add_f32 v[8:9], v[20:21], v[8:9] neg_lo:[0,1] neg_hi:[0,1]
	v_pk_add_f32 v[30:31], v[20:21], v[24:25]
	v_mov_b32_e32 v23, v20
	v_mov_b32_e32 v9, v31
	v_pk_add_f32 v[32:33], v[22:23], v[8:9] neg_lo:[0,1] neg_hi:[0,1]
	v_pk_add_f32 v[8:9], v[22:23], v[8:9]
	v_mov_b32_e32 v24, v25
	v_pk_add_f32 v[22:23], v[8:9], v[20:21] op_sel:[1,0] op_sel_hi:[0,1] neg_lo:[0,1] neg_hi:[0,1]
	v_pk_add_f32 v[34:35], v[30:31], v[22:23] op_sel_hi:[1,0] neg_lo:[0,1] neg_hi:[0,1]
	v_mov_b32_e32 v30, v31
	v_mov_b32_e32 v31, v9
	v_pk_mov_b32 v[22:23], v[20:21], v[22:23] op_sel:[1,0]
	v_mov_b32_e32 v25, v20
	v_pk_add_f32 v[22:23], v[30:31], v[22:23] neg_lo:[0,1] neg_hi:[0,1]
	v_mov_b32_e32 v34, v32
	v_pk_add_f32 v[20:21], v[24:25], v[22:23] neg_lo:[0,1] neg_hi:[0,1]
	v_mov_b32_e32 v33, v9
	v_pk_add_f32 v[22:23], v[34:35], v[20:21]
	s_mov_b32 s2, 0x33800000
	v_pk_add_f32 v[24:25], v[22:23], v[22:23] op_sel:[0,1] op_sel_hi:[1,0]
	s_nop 0
	v_pk_add_f32 v[8:9], v[8:9], v[24:25] op_sel:[1,0] op_sel_hi:[0,1]
	v_mov_b32_e32 v23, v8
	v_pk_add_f32 v[30:31], v[22:23], v[32:33] neg_lo:[0,1] neg_hi:[0,1]
	v_mov_b32_e32 v21, v24
	v_sub_f32_e32 v9, v22, v30
	v_pk_add_f32 v[20:21], v[20:21], v[30:31] neg_lo:[0,1] neg_hi:[0,1]
	v_sub_f32_e32 v9, v32, v9
	v_add_f32_e32 v9, v20, v9
	v_add_f32_e32 v9, v9, v21
	;; [unrolled: 1-line block ×3, first 2 shown]
	v_cndmask_b32_e32 v8, v36, v8, vcc
	v_cmp_lt_f32_e64 vcc, |v7|, s2
	s_nop 1
	v_cndmask_b32_e32 v7, v8, v7, vcc
	v_add_f32_e32 v7, v6, v7
.LBB438_290:
	s_or_b64 exec, exec, s[0:1]
	v_bfe_u32 v6, v7, 16, 1
	v_add3_u32 v6, v7, v6, s3
	v_cmp_o_f32_e32 vcc, v7, v7
	s_movk_i32 s2, 0x1f8
	s_nop 0
	v_cndmask_b32_sdwa v20, v4, v6, vcc dst_sel:DWORD dst_unused:UNUSED_PAD src0_sel:DWORD src1_sel:WORD_1
	v_lshlrev_b32_e32 v6, 16, v20
	v_max_f32_e32 v4, v6, v6
	v_min_f32_e32 v7, v4, v27
	v_cmp_u_f32_e32 vcc, v6, v6
	v_max_f32_e32 v4, v4, v27
	s_nop 0
	v_cndmask_b32_e32 v7, v7, v6, vcc
	v_cndmask_b32_e32 v4, v4, v6, vcc
	v_cndmask_b32_e64 v7, v7, v5, s[22:23]
	v_cndmask_b32_e64 v4, v4, v5, s[22:23]
	v_cmp_neq_f32_e32 vcc, v7, v4
	v_cmp_class_f32_e64 s[0:1], v7, s2
	s_or_b64 s[4:5], vcc, s[0:1]
	s_and_saveexec_b64 s[0:1], s[4:5]
	s_cbranch_execz .LBB438_292
; %bb.291:
	v_sub_f32_e32 v5, v7, v4
	s_mov_b32 s3, 0x3fb8aa3b
	v_mul_f32_e32 v6, 0x3fb8aa3b, v5
	v_fma_f32 v7, v5, s3, -v6
	v_rndne_f32_e32 v8, v6
	v_fmamk_f32 v7, v5, 0x32a5705f, v7
	v_sub_f32_e32 v6, v6, v8
	v_add_f32_e32 v6, v6, v7
	v_exp_f32_e32 v6, v6
	v_cvt_i32_f32_e32 v7, v8
	s_mov_b32 s3, 0xc2ce8ed0
	v_cmp_ngt_f32_e32 vcc, s3, v5
	s_mov_b32 s3, 0x42b17218
	v_ldexp_f32 v6, v6, v7
	v_cndmask_b32_e32 v6, 0, v6, vcc
	v_mov_b32_e32 v21, 0x7f800000
	v_cmp_nlt_f32_e32 vcc, s3, v5
	s_mov_b32 s3, 0x3f2aaaab
	s_mov_b32 s4, 0x7f800000
	v_cndmask_b32_e32 v5, v21, v6, vcc
	v_add_f32_e32 v8, 1.0, v5
	v_add_f32_e32 v6, -1.0, v8
	v_sub_f32_e32 v7, v6, v8
	v_add_f32_e32 v7, 1.0, v7
	v_sub_f32_e32 v6, v5, v6
	v_add_f32_e32 v9, v6, v7
	v_frexp_mant_f32_e32 v22, v8
	v_cvt_f64_f32_e32 v[6:7], v8
	v_frexp_exp_i32_f64_e32 v6, v[6:7]
	v_cmp_gt_f32_e32 vcc, s3, v22
	s_mov_b32 s3, 0x3f317218
	s_nop 0
	v_subbrev_co_u32_e32 v27, vcc, 0, v6, vcc
	v_sub_u32_e32 v6, 0, v27
	v_ldexp_f32 v7, v8, v6
	v_add_f32_e32 v8, -1.0, v7
	v_add_f32_e32 v22, 1.0, v7
	v_ldexp_f32 v6, v9, v6
	v_add_f32_e32 v9, 1.0, v8
	v_add_f32_e32 v23, -1.0, v22
	v_sub_f32_e32 v9, v7, v9
	v_sub_f32_e32 v7, v7, v23
	v_add_f32_e32 v9, v6, v9
	v_add_f32_e32 v6, v6, v7
	;; [unrolled: 1-line block ×3, first 2 shown]
	v_rcp_f32_e32 v32, v30
	v_sub_f32_e32 v7, v22, v30
	v_add_f32_e32 v31, v6, v7
	v_add_f32_e32 v7, v8, v9
	v_mul_f32_e32 v34, v7, v32
	v_sub_f32_e32 v6, v8, v7
	v_mul_f32_e32 v8, v30, v34
	v_fma_f32 v22, v34, v30, -v8
	v_fmac_f32_e32 v22, v34, v31
	v_add_f32_e32 v33, v9, v6
	v_add_f32_e32 v6, v8, v22
	v_sub_f32_e32 v9, v7, v6
	v_pk_add_f32 v[24:25], v[6:7], v[8:9] neg_lo:[0,1] neg_hi:[0,1]
	v_mov_b32_e32 v23, v6
	v_pk_add_f32 v[6:7], v[24:25], v[22:23] neg_lo:[0,1] neg_hi:[0,1]
	v_cmp_neq_f32_e32 vcc, s4, v5
	v_add_f32_e32 v7, v33, v7
	v_add_f32_e32 v6, v6, v7
	;; [unrolled: 1-line block ×3, first 2 shown]
	v_mul_f32_e32 v33, v32, v7
	v_mul_f32_e32 v8, v30, v33
	v_fma_f32 v22, v33, v30, -v8
	v_fmac_f32_e32 v22, v33, v31
	v_sub_f32_e32 v9, v9, v7
	v_add_f32_e32 v30, v6, v9
	v_add_f32_e32 v6, v8, v22
	v_sub_f32_e32 v9, v7, v6
	v_pk_add_f32 v[24:25], v[6:7], v[8:9] neg_lo:[0,1] neg_hi:[0,1]
	v_mov_b32_e32 v23, v6
	v_pk_add_f32 v[6:7], v[24:25], v[22:23] neg_lo:[0,1] neg_hi:[0,1]
	v_cvt_f32_i32_e32 v8, v27
	v_add_f32_e32 v7, v30, v7
	v_add_f32_e32 v6, v6, v7
	;; [unrolled: 1-line block ×4, first 2 shown]
	v_sub_f32_e32 v7, v9, v34
	v_mul_f32_e32 v6, v32, v6
	v_sub_f32_e32 v7, v33, v7
	v_add_f32_e32 v6, v7, v6
	v_add_f32_e32 v22, v9, v6
	v_mul_f32_e32 v24, v22, v22
	v_mov_b32_e32 v7, 0x3ecc95a3
	v_sub_f32_e32 v9, v22, v9
	v_fmac_f32_e32 v7, 0x3e9b6dac, v24
	v_sub_f32_e32 v6, v6, v9
	v_fmaak_f32 v7, v24, v7, 0x3f2aaada
	v_ldexp_f32 v25, v6, 1
	v_mul_f32_e32 v9, v22, v24
	v_mov_b32_e32 v6, 0x3f317218
	v_pk_mul_f32 v[6:7], v[8:9], v[6:7]
	v_ldexp_f32 v23, v22, 1
	v_fma_f32 v9, v8, s3, -v6
	v_fmamk_f32 v22, v8, 0xb102e308, v9
	v_pk_add_f32 v[8:9], v[6:7], v[22:23]
	v_mov_b32_e32 v24, v6
	v_sub_f32_e32 v23, v9, v23
	v_sub_f32_e32 v23, v7, v23
	v_add_f32_e32 v25, v25, v23
	v_pk_add_f32 v[6:7], v[8:9], v[6:7] neg_lo:[0,1] neg_hi:[0,1]
	v_pk_add_f32 v[30:31], v[8:9], v[24:25]
	v_mov_b32_e32 v23, v8
	v_mov_b32_e32 v7, v31
	v_pk_add_f32 v[32:33], v[22:23], v[6:7] neg_lo:[0,1] neg_hi:[0,1]
	v_pk_add_f32 v[6:7], v[22:23], v[6:7]
	v_mov_b32_e32 v24, v25
	v_pk_add_f32 v[22:23], v[6:7], v[8:9] op_sel:[1,0] op_sel_hi:[0,1] neg_lo:[0,1] neg_hi:[0,1]
	s_waitcnt lgkmcnt(0)
	v_pk_add_f32 v[34:35], v[30:31], v[22:23] op_sel_hi:[1,0] neg_lo:[0,1] neg_hi:[0,1]
	v_mov_b32_e32 v30, v31
	v_mov_b32_e32 v31, v7
	v_pk_mov_b32 v[22:23], v[8:9], v[22:23] op_sel:[1,0]
	v_mov_b32_e32 v25, v8
	v_pk_add_f32 v[22:23], v[30:31], v[22:23] neg_lo:[0,1] neg_hi:[0,1]
	v_mov_b32_e32 v34, v32
	v_pk_add_f32 v[8:9], v[24:25], v[22:23] neg_lo:[0,1] neg_hi:[0,1]
	v_mov_b32_e32 v33, v7
	v_pk_add_f32 v[22:23], v[34:35], v[8:9]
	s_mov_b32 s3, 0x33800000
	v_pk_add_f32 v[24:25], v[22:23], v[22:23] op_sel:[0,1] op_sel_hi:[1,0]
	s_nop 0
	v_pk_add_f32 v[6:7], v[6:7], v[24:25] op_sel:[1,0] op_sel_hi:[0,1]
	v_mov_b32_e32 v23, v6
	v_pk_add_f32 v[30:31], v[22:23], v[32:33] neg_lo:[0,1] neg_hi:[0,1]
	v_mov_b32_e32 v9, v24
	v_sub_f32_e32 v7, v22, v30
	v_pk_add_f32 v[8:9], v[8:9], v[30:31] neg_lo:[0,1] neg_hi:[0,1]
	v_sub_f32_e32 v7, v32, v7
	v_add_f32_e32 v7, v8, v7
	v_add_f32_e32 v7, v7, v9
	;; [unrolled: 1-line block ×3, first 2 shown]
	v_cndmask_b32_e32 v6, v21, v6, vcc
	v_cmp_lt_f32_e64 vcc, |v5|, s3
	s_nop 1
	v_cndmask_b32_e32 v5, v6, v5, vcc
	v_add_f32_e32 v6, v4, v5
.LBB438_292:
	s_or_b64 exec, exec, s[0:1]
	v_bfe_u32 v4, v6, 16, 1
	s_movk_i32 s3, 0x7fff
	v_add3_u32 v5, v6, v4, s3
	v_cmp_o_f32_e32 vcc, v6, v6
	v_mov_b32_e32 v4, 0x7fc0
	s_nop 0
	v_cndmask_b32_sdwa v21, v4, v5, vcc dst_sel:DWORD dst_unused:UNUSED_PAD src0_sel:DWORD src1_sel:WORD_1
	v_lshlrev_b32_e32 v6, 16, v21
	v_max_f32_e32 v5, v6, v6
	v_min_f32_e32 v7, v5, v28
	v_cmp_u_f32_e32 vcc, v6, v6
	v_max_f32_e32 v5, v5, v28
	s_nop 0
	v_cndmask_b32_e32 v7, v7, v6, vcc
	v_cndmask_b32_e32 v5, v5, v6, vcc
	v_cndmask_b32_e64 v7, v7, v26, s[24:25]
	v_cndmask_b32_e64 v5, v5, v26, s[24:25]
	v_cmp_neq_f32_e32 vcc, v7, v5
	v_cmp_class_f32_e64 s[0:1], v7, s2
	s_or_b64 s[4:5], vcc, s[0:1]
	s_and_saveexec_b64 s[0:1], s[4:5]
	s_cbranch_execz .LBB438_294
; %bb.293:
	v_sub_f32_e32 v6, v7, v5
	s_mov_b32 s2, 0x3fb8aa3b
	v_mul_f32_e32 v7, 0x3fb8aa3b, v6
	v_fma_f32 v8, v6, s2, -v7
	v_rndne_f32_e32 v9, v7
	v_fmamk_f32 v8, v6, 0x32a5705f, v8
	v_sub_f32_e32 v7, v7, v9
	v_add_f32_e32 v7, v7, v8
	v_exp_f32_e32 v7, v7
	v_cvt_i32_f32_e32 v8, v9
	s_mov_b32 s2, 0xc2ce8ed0
	v_cmp_ngt_f32_e32 vcc, s2, v6
	s_mov_b32 s2, 0x42b17218
	v_ldexp_f32 v7, v7, v8
	v_cndmask_b32_e32 v7, 0, v7, vcc
	v_mov_b32_e32 v28, 0x7f800000
	v_cmp_nlt_f32_e32 vcc, s2, v6
	s_mov_b32 s2, 0x3f2aaaab
	s_mov_b32 s4, 0x7f800000
	v_cndmask_b32_e32 v34, v28, v7, vcc
	v_add_f32_e32 v8, 1.0, v34
	v_add_f32_e32 v6, -1.0, v8
	v_sub_f32_e32 v7, v6, v8
	v_add_f32_e32 v7, 1.0, v7
	v_sub_f32_e32 v6, v34, v6
	v_add_f32_e32 v9, v6, v7
	v_frexp_mant_f32_e32 v22, v8
	v_cvt_f64_f32_e32 v[6:7], v8
	v_frexp_exp_i32_f64_e32 v6, v[6:7]
	v_cmp_gt_f32_e32 vcc, s2, v22
	s_mov_b32 s2, 0x3f317218
	s_nop 0
	v_subbrev_co_u32_e32 v26, vcc, 0, v6, vcc
	v_sub_u32_e32 v6, 0, v26
	v_ldexp_f32 v7, v8, v6
	v_add_f32_e32 v8, -1.0, v7
	v_add_f32_e32 v22, 1.0, v7
	v_ldexp_f32 v6, v9, v6
	v_add_f32_e32 v9, 1.0, v8
	v_add_f32_e32 v23, -1.0, v22
	v_sub_f32_e32 v9, v7, v9
	v_sub_f32_e32 v7, v7, v23
	v_add_f32_e32 v9, v6, v9
	v_add_f32_e32 v6, v6, v7
	;; [unrolled: 1-line block ×3, first 2 shown]
	v_rcp_f32_e32 v31, v27
	v_sub_f32_e32 v7, v22, v27
	v_add_f32_e32 v30, v6, v7
	v_add_f32_e32 v7, v8, v9
	v_mul_f32_e32 v33, v7, v31
	v_sub_f32_e32 v6, v8, v7
	v_mul_f32_e32 v8, v27, v33
	v_fma_f32 v22, v33, v27, -v8
	v_fmac_f32_e32 v22, v33, v30
	v_add_f32_e32 v32, v9, v6
	v_add_f32_e32 v6, v8, v22
	v_sub_f32_e32 v9, v7, v6
	v_pk_add_f32 v[24:25], v[6:7], v[8:9] neg_lo:[0,1] neg_hi:[0,1]
	v_mov_b32_e32 v23, v6
	v_pk_add_f32 v[6:7], v[24:25], v[22:23] neg_lo:[0,1] neg_hi:[0,1]
	v_cmp_neq_f32_e32 vcc, s4, v34
	v_add_f32_e32 v7, v32, v7
	v_add_f32_e32 v6, v6, v7
	;; [unrolled: 1-line block ×3, first 2 shown]
	v_mul_f32_e32 v32, v31, v7
	v_mul_f32_e32 v8, v27, v32
	v_fma_f32 v22, v32, v27, -v8
	v_fmac_f32_e32 v22, v32, v30
	v_sub_f32_e32 v9, v9, v7
	v_add_f32_e32 v27, v6, v9
	v_add_f32_e32 v6, v8, v22
	v_sub_f32_e32 v9, v7, v6
	v_pk_add_f32 v[24:25], v[6:7], v[8:9] neg_lo:[0,1] neg_hi:[0,1]
	v_mov_b32_e32 v23, v6
	v_pk_add_f32 v[6:7], v[24:25], v[22:23] neg_lo:[0,1] neg_hi:[0,1]
	v_cvt_f32_i32_e32 v8, v26
	v_add_f32_e32 v7, v27, v7
	v_add_f32_e32 v6, v6, v7
	v_add_f32_e32 v6, v9, v6
	v_add_f32_e32 v9, v33, v32
	v_sub_f32_e32 v7, v9, v33
	v_mul_f32_e32 v6, v31, v6
	v_sub_f32_e32 v7, v32, v7
	v_add_f32_e32 v6, v7, v6
	v_add_f32_e32 v22, v9, v6
	v_mul_f32_e32 v24, v22, v22
	v_mov_b32_e32 v7, 0x3ecc95a3
	v_sub_f32_e32 v9, v22, v9
	v_fmac_f32_e32 v7, 0x3e9b6dac, v24
	v_sub_f32_e32 v6, v6, v9
	v_fmaak_f32 v7, v24, v7, 0x3f2aaada
	v_ldexp_f32 v25, v6, 1
	v_mul_f32_e32 v9, v22, v24
	v_mov_b32_e32 v6, 0x3f317218
	v_pk_mul_f32 v[6:7], v[8:9], v[6:7]
	v_ldexp_f32 v23, v22, 1
	v_fma_f32 v9, v8, s2, -v6
	v_fmamk_f32 v22, v8, 0xb102e308, v9
	v_pk_add_f32 v[8:9], v[6:7], v[22:23]
	v_mov_b32_e32 v24, v6
	v_sub_f32_e32 v23, v9, v23
	v_sub_f32_e32 v23, v7, v23
	v_add_f32_e32 v25, v25, v23
	v_pk_add_f32 v[6:7], v[8:9], v[6:7] neg_lo:[0,1] neg_hi:[0,1]
	v_pk_add_f32 v[26:27], v[8:9], v[24:25]
	v_mov_b32_e32 v23, v8
	v_mov_b32_e32 v7, v27
	v_pk_add_f32 v[30:31], v[22:23], v[6:7] neg_lo:[0,1] neg_hi:[0,1]
	v_pk_add_f32 v[6:7], v[22:23], v[6:7]
	v_mov_b32_e32 v24, v25
	v_pk_add_f32 v[22:23], v[6:7], v[8:9] op_sel:[1,0] op_sel_hi:[0,1] neg_lo:[0,1] neg_hi:[0,1]
	v_pk_add_f32 v[32:33], v[26:27], v[22:23] op_sel_hi:[1,0] neg_lo:[0,1] neg_hi:[0,1]
	v_mov_b32_e32 v26, v27
	v_mov_b32_e32 v27, v7
	v_pk_mov_b32 v[22:23], v[8:9], v[22:23] op_sel:[1,0]
	v_mov_b32_e32 v25, v8
	v_pk_add_f32 v[22:23], v[26:27], v[22:23] neg_lo:[0,1] neg_hi:[0,1]
	v_mov_b32_e32 v32, v30
	v_pk_add_f32 v[8:9], v[24:25], v[22:23] neg_lo:[0,1] neg_hi:[0,1]
	v_mov_b32_e32 v31, v7
	v_pk_add_f32 v[22:23], v[32:33], v[8:9]
	s_mov_b32 s2, 0x33800000
	v_pk_add_f32 v[24:25], v[22:23], v[22:23] op_sel:[0,1] op_sel_hi:[1,0]
	s_nop 0
	v_pk_add_f32 v[6:7], v[6:7], v[24:25] op_sel:[1,0] op_sel_hi:[0,1]
	v_mov_b32_e32 v23, v6
	v_pk_add_f32 v[26:27], v[22:23], v[30:31] neg_lo:[0,1] neg_hi:[0,1]
	v_mov_b32_e32 v9, v24
	v_sub_f32_e32 v7, v22, v26
	v_pk_add_f32 v[8:9], v[8:9], v[26:27] neg_lo:[0,1] neg_hi:[0,1]
	v_sub_f32_e32 v7, v30, v7
	v_add_f32_e32 v7, v8, v7
	v_add_f32_e32 v7, v7, v9
	;; [unrolled: 1-line block ×3, first 2 shown]
	v_cndmask_b32_e32 v6, v28, v6, vcc
	v_cmp_lt_f32_e64 vcc, |v34|, s2
	s_nop 1
	v_cndmask_b32_e32 v6, v6, v34, vcc
	v_add_f32_e32 v6, v5, v6
.LBB438_294:
	s_or_b64 exec, exec, s[0:1]
	v_bfe_u32 v5, v6, 16, 1
	v_add3_u32 v5, v6, v5, s3
	v_cmp_o_f32_e32 vcc, v6, v6
	s_movk_i32 s0, 0x1f8
	s_nop 0
	v_cndmask_b32_sdwa v22, v4, v5, vcc dst_sel:DWORD dst_unused:UNUSED_PAD src0_sel:DWORD src1_sel:WORD_1
	v_lshlrev_b32_e32 v4, 16, v22
	v_max_f32_e32 v6, v4, v4
	v_min_f32_e32 v5, v6, v29
	v_cmp_u_f32_e32 vcc, v4, v4
	v_max_f32_e32 v6, v6, v29
	s_nop 0
	v_cndmask_b32_e32 v5, v5, v4, vcc
	v_cndmask_b32_e32 v6, v6, v4, vcc
	v_cndmask_b32_e64 v5, v5, v3, s[26:27]
	v_cndmask_b32_e64 v3, v6, v3, s[26:27]
	v_cmp_neq_f32_e32 vcc, v5, v3
	v_cmp_class_f32_e64 s[0:1], v5, s0
	s_or_b64 s[2:3], vcc, s[0:1]
	s_and_saveexec_b64 s[0:1], s[2:3]
	s_cbranch_execz .LBB438_296
; %bb.295:
	v_sub_f32_e32 v4, v5, v3
	s_mov_b32 s2, 0x3fb8aa3b
	v_mul_f32_e32 v5, 0x3fb8aa3b, v4
	v_fma_f32 v6, v4, s2, -v5
	v_rndne_f32_e32 v7, v5
	v_fmamk_f32 v6, v4, 0x32a5705f, v6
	v_sub_f32_e32 v5, v5, v7
	v_add_f32_e32 v5, v5, v6
	v_exp_f32_e32 v5, v5
	v_cvt_i32_f32_e32 v6, v7
	s_mov_b32 s2, 0xc2ce8ed0
	v_cmp_ngt_f32_e32 vcc, s2, v4
	s_mov_b32 s2, 0x42b17218
	v_ldexp_f32 v5, v5, v6
	v_cndmask_b32_e32 v5, 0, v5, vcc
	v_mov_b32_e32 v23, 0x7f800000
	v_cmp_nlt_f32_e32 vcc, s2, v4
	s_mov_b32 s2, 0x3f2aaaab
	s_mov_b32 s3, 0x7f800000
	v_cndmask_b32_e32 v32, v23, v5, vcc
	v_add_f32_e32 v6, 1.0, v32
	v_add_f32_e32 v4, -1.0, v6
	v_sub_f32_e32 v5, v4, v6
	v_add_f32_e32 v5, 1.0, v5
	v_sub_f32_e32 v4, v32, v4
	v_add_f32_e32 v7, v4, v5
	v_frexp_mant_f32_e32 v8, v6
	v_cvt_f64_f32_e32 v[4:5], v6
	v_frexp_exp_i32_f64_e32 v4, v[4:5]
	v_cmp_gt_f32_e32 vcc, s2, v8
	s_mov_b32 s2, 0x3f317218
	s_nop 0
	v_subbrev_co_u32_e32 v26, vcc, 0, v4, vcc
	v_sub_u32_e32 v4, 0, v26
	v_ldexp_f32 v5, v6, v4
	v_add_f32_e32 v6, -1.0, v5
	v_add_f32_e32 v8, 1.0, v5
	v_ldexp_f32 v4, v7, v4
	v_add_f32_e32 v7, 1.0, v6
	v_add_f32_e32 v9, -1.0, v8
	v_sub_f32_e32 v7, v5, v7
	v_sub_f32_e32 v5, v5, v9
	v_add_f32_e32 v7, v4, v7
	v_add_f32_e32 v4, v4, v5
	;; [unrolled: 1-line block ×3, first 2 shown]
	v_rcp_f32_e32 v29, v27
	v_sub_f32_e32 v5, v8, v27
	v_add_f32_e32 v28, v4, v5
	v_add_f32_e32 v5, v6, v7
	v_mul_f32_e32 v31, v5, v29
	v_sub_f32_e32 v4, v6, v5
	v_mul_f32_e32 v6, v27, v31
	v_fma_f32 v8, v31, v27, -v6
	v_fmac_f32_e32 v8, v31, v28
	v_add_f32_e32 v30, v7, v4
	v_add_f32_e32 v4, v6, v8
	v_sub_f32_e32 v7, v5, v4
	v_pk_add_f32 v[24:25], v[4:5], v[6:7] neg_lo:[0,1] neg_hi:[0,1]
	v_mov_b32_e32 v9, v4
	v_pk_add_f32 v[4:5], v[24:25], v[8:9] neg_lo:[0,1] neg_hi:[0,1]
	v_cmp_neq_f32_e32 vcc, s3, v32
	v_add_f32_e32 v5, v30, v5
	v_add_f32_e32 v4, v4, v5
	;; [unrolled: 1-line block ×3, first 2 shown]
	v_mul_f32_e32 v30, v29, v5
	v_mul_f32_e32 v6, v27, v30
	v_fma_f32 v8, v30, v27, -v6
	v_fmac_f32_e32 v8, v30, v28
	v_sub_f32_e32 v7, v7, v5
	v_add_f32_e32 v27, v4, v7
	v_add_f32_e32 v4, v6, v8
	v_sub_f32_e32 v7, v5, v4
	v_pk_add_f32 v[24:25], v[4:5], v[6:7] neg_lo:[0,1] neg_hi:[0,1]
	v_mov_b32_e32 v9, v4
	v_pk_add_f32 v[4:5], v[24:25], v[8:9] neg_lo:[0,1] neg_hi:[0,1]
	v_cvt_f32_i32_e32 v6, v26
	v_add_f32_e32 v5, v27, v5
	v_add_f32_e32 v4, v4, v5
	;; [unrolled: 1-line block ×4, first 2 shown]
	v_sub_f32_e32 v5, v7, v31
	v_mul_f32_e32 v4, v29, v4
	v_sub_f32_e32 v5, v30, v5
	v_add_f32_e32 v4, v5, v4
	v_add_f32_e32 v8, v7, v4
	v_mul_f32_e32 v24, v8, v8
	v_mov_b32_e32 v5, 0x3ecc95a3
	v_sub_f32_e32 v7, v8, v7
	v_fmac_f32_e32 v5, 0x3e9b6dac, v24
	v_sub_f32_e32 v4, v4, v7
	v_fmaak_f32 v5, v24, v5, 0x3f2aaada
	v_ldexp_f32 v25, v4, 1
	v_mul_f32_e32 v7, v8, v24
	v_mov_b32_e32 v4, 0x3f317218
	v_pk_mul_f32 v[4:5], v[6:7], v[4:5]
	v_ldexp_f32 v9, v8, 1
	v_fma_f32 v7, v6, s2, -v4
	v_fmamk_f32 v8, v6, 0xb102e308, v7
	v_pk_add_f32 v[6:7], v[4:5], v[8:9]
	v_mov_b32_e32 v24, v4
	v_sub_f32_e32 v9, v7, v9
	v_sub_f32_e32 v9, v5, v9
	v_add_f32_e32 v25, v25, v9
	v_pk_add_f32 v[4:5], v[6:7], v[4:5] neg_lo:[0,1] neg_hi:[0,1]
	v_pk_add_f32 v[26:27], v[6:7], v[24:25]
	v_mov_b32_e32 v9, v6
	v_mov_b32_e32 v5, v27
	v_pk_add_f32 v[28:29], v[8:9], v[4:5] neg_lo:[0,1] neg_hi:[0,1]
	v_pk_add_f32 v[4:5], v[8:9], v[4:5]
	v_mov_b32_e32 v24, v25
	v_pk_add_f32 v[8:9], v[4:5], v[6:7] op_sel:[1,0] op_sel_hi:[0,1] neg_lo:[0,1] neg_hi:[0,1]
	v_pk_add_f32 v[30:31], v[26:27], v[8:9] op_sel_hi:[1,0] neg_lo:[0,1] neg_hi:[0,1]
	v_mov_b32_e32 v26, v27
	v_mov_b32_e32 v27, v5
	v_pk_mov_b32 v[8:9], v[6:7], v[8:9] op_sel:[1,0]
	v_mov_b32_e32 v25, v6
	v_pk_add_f32 v[8:9], v[26:27], v[8:9] neg_lo:[0,1] neg_hi:[0,1]
	v_mov_b32_e32 v30, v28
	v_pk_add_f32 v[6:7], v[24:25], v[8:9] neg_lo:[0,1] neg_hi:[0,1]
	v_mov_b32_e32 v29, v5
	v_pk_add_f32 v[8:9], v[30:31], v[6:7]
	s_mov_b32 s2, 0x33800000
	v_pk_add_f32 v[24:25], v[8:9], v[8:9] op_sel:[0,1] op_sel_hi:[1,0]
	s_nop 0
	v_pk_add_f32 v[4:5], v[4:5], v[24:25] op_sel:[1,0] op_sel_hi:[0,1]
	v_mov_b32_e32 v9, v4
	v_pk_add_f32 v[26:27], v[8:9], v[28:29] neg_lo:[0,1] neg_hi:[0,1]
	v_mov_b32_e32 v7, v24
	v_sub_f32_e32 v5, v8, v26
	v_pk_add_f32 v[6:7], v[6:7], v[26:27] neg_lo:[0,1] neg_hi:[0,1]
	v_sub_f32_e32 v5, v28, v5
	v_add_f32_e32 v5, v6, v5
	v_add_f32_e32 v5, v5, v7
	;; [unrolled: 1-line block ×3, first 2 shown]
	v_cndmask_b32_e32 v4, v23, v4, vcc
	v_cmp_lt_f32_e64 vcc, |v32|, s2
	s_nop 1
	v_cndmask_b32_e32 v4, v4, v32, vcc
	v_add_f32_e32 v4, v3, v4
.LBB438_296:
	s_or_b64 exec, exec, s[0:1]
	v_bfe_u32 v3, v4, 16, 1
	s_movk_i32 s0, 0x7fff
	v_add3_u32 v3, v4, v3, s0
	v_cmp_o_f32_e32 vcc, v4, v4
	v_mov_b32_e32 v4, 0x7fc0
	s_movk_i32 s0, 0x7f
	v_cndmask_b32_sdwa v23, v4, v3, vcc dst_sel:DWORD dst_unused:UNUSED_PAD src0_sel:DWORD src1_sel:WORD_1
	v_cmp_eq_u32_e32 vcc, s0, v0
	s_and_saveexec_b64 s[0:1], vcc
	s_cbranch_execz .LBB438_298
; %bb.297:
	s_mov_b32 s2, 0x20000
	v_mov_b32_e32 v3, 0
	v_or_b32_sdwa v4, v23, s2 dst_sel:DWORD dst_unused:UNUSED_PAD src0_sel:WORD_0 src1_sel:DWORD
	global_store_dword v3, v4, s[54:55] offset:256 sc1
.LBB438_298:
	s_or_b64 exec, exec, s[0:1]
.LBB438_299:
	s_add_u32 s0, s40, s38
	s_addc_u32 s1, s41, s39
	s_add_u32 s0, s0, s52
	s_addc_u32 s1, s1, s53
	s_mov_b64 s[2:3], -1
	s_and_b64 vcc, exec, s[42:43]
	s_waitcnt lgkmcnt(0)
	s_barrier
	s_cbranch_vccz .LBB438_301
; %bb.300:
	s_mov_b32 s2, 0x5040100
	v_perm_b32 v3, v13, v12, s2
	v_perm_b32 v4, v11, v10, s2
	ds_write2_b32 v1, v4, v3 offset1:1
	v_perm_b32 v3, v17, v16, s2
	v_perm_b32 v4, v15, v14, s2
	ds_write2_b32 v1, v4, v3 offset0:2 offset1:3
	v_perm_b32 v3, v21, v20, s2
	v_perm_b32 v4, v19, v18, s2
	ds_write2_b32 v1, v4, v3 offset0:4 offset1:5
	v_perm_b32 v3, v23, v22, s2
	ds_write_b32 v1, v3 offset:24
	s_waitcnt lgkmcnt(0)
	s_barrier
	ds_read_u16 v3, v2
	ds_read_u16 v4, v2 offset:256
	ds_read_u16 v5, v2 offset:512
	;; [unrolled: 1-line block ×13, first 2 shown]
	s_waitcnt lgkmcnt(13)
	global_store_short v2, v3, s[0:1]
	s_waitcnt lgkmcnt(12)
	global_store_short v2, v4, s[0:1] offset:256
	s_waitcnt lgkmcnt(11)
	global_store_short v2, v5, s[0:1] offset:512
	s_waitcnt lgkmcnt(10)
	global_store_short v2, v6, s[0:1] offset:768
	s_waitcnt lgkmcnt(9)
	global_store_short v2, v7, s[0:1] offset:1024
	s_waitcnt lgkmcnt(8)
	global_store_short v2, v8, s[0:1] offset:1280
	s_waitcnt lgkmcnt(7)
	global_store_short v2, v9, s[0:1] offset:1536
	s_waitcnt lgkmcnt(6)
	global_store_short v2, v24, s[0:1] offset:1792
	s_waitcnt lgkmcnt(5)
	global_store_short v2, v25, s[0:1] offset:2048
	s_waitcnt lgkmcnt(4)
	global_store_short v2, v26, s[0:1] offset:2304
	s_waitcnt lgkmcnt(3)
	global_store_short v2, v27, s[0:1] offset:2560
	s_waitcnt lgkmcnt(2)
	global_store_short v2, v28, s[0:1] offset:2816
	s_waitcnt lgkmcnt(1)
	global_store_short v2, v29, s[0:1] offset:3072
	s_waitcnt lgkmcnt(0)
	global_store_short v2, v30, s[0:1] offset:3328
	s_mov_b64 s[2:3], 0
.LBB438_301:
	s_andn2_b64 vcc, exec, s[2:3]
	s_cbranch_vccnz .LBB438_381
; %bb.302:
	s_mov_b32 s2, 0x5040100
	v_perm_b32 v3, v13, v12, s2
	v_perm_b32 v4, v11, v10, s2
	ds_write2_b32 v1, v4, v3 offset1:1
	v_perm_b32 v3, v17, v16, s2
	v_perm_b32 v4, v15, v14, s2
	ds_write2_b32 v1, v4, v3 offset0:2 offset1:3
	v_perm_b32 v3, v21, v20, s2
	v_perm_b32 v4, v19, v18, s2
	ds_write2_b32 v1, v4, v3 offset0:4 offset1:5
	v_perm_b32 v3, v23, v22, s2
	ds_write_b32 v1, v3 offset:24
	s_waitcnt lgkmcnt(0)
	s_barrier
	ds_read_u16 v8, v2
	ds_read_u16 v7, v2 offset:256
	ds_read_u16 v9, v2 offset:512
	;; [unrolled: 1-line block ×13, first 2 shown]
	v_mov_b32_e32 v3, 0
	v_lshl_add_u64 v[4:5], s[0:1], 0, v[2:3]
	v_cmp_gt_u32_e32 vcc, s33, v0
	s_and_saveexec_b64 s[0:1], vcc
	s_cbranch_execz .LBB438_304
; %bb.303:
	s_waitcnt lgkmcnt(13)
	global_store_short v[4:5], v8, off
.LBB438_304:
	s_or_b64 exec, exec, s[0:1]
	v_or_b32_e32 v1, 0x80, v0
	v_cmp_gt_u32_e32 vcc, s33, v1
	s_and_saveexec_b64 s[0:1], vcc
	s_cbranch_execz .LBB438_306
; %bb.305:
	s_waitcnt lgkmcnt(12)
	global_store_short v[4:5], v7, off offset:256
.LBB438_306:
	s_or_b64 exec, exec, s[0:1]
	v_or_b32_e32 v1, 0x100, v0
	v_cmp_gt_u32_e32 vcc, s33, v1
	s_and_saveexec_b64 s[0:1], vcc
	s_cbranch_execz .LBB438_308
; %bb.307:
	s_waitcnt lgkmcnt(11)
	global_store_short v[4:5], v9, off offset:512
.LBB438_308:
	;; [unrolled: 9-line block ×13, first 2 shown]
	s_or_b64 exec, exec, s[0:1]
	v_cmp_lt_u64_e64 s[0:1], s[50:51], 2
	s_and_b64 vcc, exec, s[0:1]
	s_cbranch_vccnz .LBB438_381
; %bb.331:
	s_add_u32 s0, s33, -1
	s_addc_u32 s1, s56, -1
	s_lshr_b64 s[2:3], s[0:1], 1
	s_lshr_b32 s5, s1, 1
	s_mul_hi_u32 s3, s2, 0x49249249
	s_mul_i32 s4, s2, 0x49249249
	s_mul_i32 s7, s5, 0x24924925
	s_mul_hi_u32 s2, s2, 0x24924925
	s_mul_hi_u32 s6, s5, 0x24924925
	s_add_u32 s2, s7, s2
	s_addc_u32 s6, s6, 0
	s_add_u32 s2, s4, s2
	s_addc_u32 s2, s3, 0
	;; [unrolled: 2-line block ×3, first 2 shown]
	s_mul_hi_u32 s4, s5, 0x49249249
	s_mul_i32 s5, s5, 0x49249249
	s_add_u32 s2, s5, s2
	s_addc_u32 s3, s4, s3
	v_mov_b32_e32 v1, v3
	s_lshr_b64 s[2:3], s[2:3], 1
	v_cmp_eq_u64_e32 vcc, s[2:3], v[0:1]
	s_and_saveexec_b64 s[2:3], vcc
	s_cbranch_execz .LBB438_381
; %bb.332:
	v_mul_hi_u32_u24_e32 v1, 14, v0
	v_mul_u32_u24_e32 v0, 14, v0
	v_mov_b32_e32 v2, s1
	v_sub_co_u32_e32 v0, vcc, s0, v0
	s_nop 1
	v_subb_co_u32_e32 v1, vcc, v2, v1, vcc
	v_cmp_lt_i64_e32 vcc, 6, v[0:1]
	s_and_saveexec_b64 s[0:1], vcc
	s_xor_b64 s[0:1], exec, s[0:1]
	s_cbranch_execz .LBB438_358
; %bb.333:
	v_cmp_lt_i64_e32 vcc, 9, v[0:1]
	s_and_saveexec_b64 s[2:3], vcc
	s_xor_b64 s[2:3], exec, s[2:3]
	s_cbranch_execz .LBB438_347
; %bb.334:
	;; [unrolled: 5-line block ×4, first 2 shown]
	v_mov_b32_e32 v0, 0
	s_waitcnt lgkmcnt(0)
	global_store_short v0, v6, s[46:47]
                                        ; implicit-def: $vgpr19
.LBB438_337:
	s_andn2_saveexec_b64 s[6:7], s[6:7]
	s_cbranch_execz .LBB438_339
; %bb.338:
	v_mov_b32_e32 v0, 0
	s_waitcnt lgkmcnt(1)
	global_store_short v0, v19, s[46:47]
.LBB438_339:
	s_or_b64 exec, exec, s[6:7]
                                        ; implicit-def: $vgpr13
                                        ; implicit-def: $vgpr0_vgpr1
                                        ; implicit-def: $vgpr18
.LBB438_340:
	s_andn2_saveexec_b64 s[4:5], s[4:5]
	s_cbranch_execz .LBB438_346
; %bb.341:
	v_cmp_lt_i64_e32 vcc, 10, v[0:1]
	s_and_saveexec_b64 s[6:7], vcc
	s_xor_b64 s[6:7], exec, s[6:7]
	s_cbranch_execz .LBB438_343
; %bb.342:
	v_mov_b32_e32 v0, 0
	s_waitcnt lgkmcnt(2)
	global_store_short v0, v18, s[46:47]
                                        ; implicit-def: $vgpr13
.LBB438_343:
	s_andn2_saveexec_b64 s[6:7], s[6:7]
	s_cbranch_execz .LBB438_345
; %bb.344:
	v_mov_b32_e32 v0, 0
	s_waitcnt lgkmcnt(3)
	global_store_short v0, v13, s[46:47]
.LBB438_345:
	s_or_b64 exec, exec, s[6:7]
.LBB438_346:
	s_or_b64 exec, exec, s[4:5]
                                        ; implicit-def: $vgpr16
                                        ; implicit-def: $vgpr0_vgpr1
                                        ; implicit-def: $vgpr14
                                        ; implicit-def: $vgpr17
.LBB438_347:
	s_andn2_saveexec_b64 s[2:3], s[2:3]
	s_cbranch_execz .LBB438_357
; %bb.348:
	v_cmp_lt_i64_e32 vcc, 7, v[0:1]
	s_and_saveexec_b64 s[4:5], vcc
	s_xor_b64 s[4:5], exec, s[4:5]
	s_cbranch_execz .LBB438_354
; %bb.349:
	v_cmp_lt_i64_e32 vcc, 8, v[0:1]
	s_and_saveexec_b64 s[6:7], vcc
	s_xor_b64 s[6:7], exec, s[6:7]
	s_cbranch_execz .LBB438_351
; %bb.350:
	v_mov_b32_e32 v0, 0
	s_waitcnt lgkmcnt(4)
	global_store_short v0, v17, s[46:47]
                                        ; implicit-def: $vgpr14
.LBB438_351:
	s_andn2_saveexec_b64 s[6:7], s[6:7]
	s_cbranch_execz .LBB438_353
; %bb.352:
	v_mov_b32_e32 v0, 0
	s_waitcnt lgkmcnt(5)
	global_store_short v0, v14, s[46:47]
.LBB438_353:
	s_or_b64 exec, exec, s[6:7]
                                        ; implicit-def: $vgpr16
.LBB438_354:
	s_andn2_saveexec_b64 s[4:5], s[4:5]
	s_cbranch_execz .LBB438_356
; %bb.355:
	v_mov_b32_e32 v0, 0
	s_waitcnt lgkmcnt(6)
	global_store_short v0, v16, s[46:47]
.LBB438_356:
	s_or_b64 exec, exec, s[4:5]
.LBB438_357:
	s_or_b64 exec, exec, s[2:3]
                                        ; implicit-def: $vgpr0_vgpr1
                                        ; implicit-def: $vgpr12
                                        ; implicit-def: $vgpr7
                                        ; implicit-def: $vgpr9
                                        ; implicit-def: $vgpr8
                                        ; implicit-def: $vgpr11
                                        ; implicit-def: $vgpr10
                                        ; implicit-def: $vgpr15
.LBB438_358:
	s_andn2_saveexec_b64 s[0:1], s[0:1]
	s_cbranch_execz .LBB438_381
; %bb.359:
	v_cmp_lt_i64_e32 vcc, 3, v[0:1]
	s_and_saveexec_b64 s[0:1], vcc
	s_xor_b64 s[0:1], exec, s[0:1]
	s_cbranch_execz .LBB438_369
; %bb.360:
	v_cmp_lt_i64_e32 vcc, 4, v[0:1]
	s_and_saveexec_b64 s[2:3], vcc
	s_xor_b64 s[2:3], exec, s[2:3]
	;; [unrolled: 5-line block ×3, first 2 shown]
	s_cbranch_execz .LBB438_363
; %bb.362:
	v_mov_b32_e32 v0, 0
	s_waitcnt lgkmcnt(7)
	global_store_short v0, v15, s[46:47]
                                        ; implicit-def: $vgpr11
.LBB438_363:
	s_andn2_saveexec_b64 s[4:5], s[4:5]
	s_cbranch_execz .LBB438_365
; %bb.364:
	v_mov_b32_e32 v0, 0
	s_waitcnt lgkmcnt(8)
	global_store_short v0, v11, s[46:47]
.LBB438_365:
	s_or_b64 exec, exec, s[4:5]
                                        ; implicit-def: $vgpr12
.LBB438_366:
	s_andn2_saveexec_b64 s[2:3], s[2:3]
	s_cbranch_execz .LBB438_368
; %bb.367:
	v_mov_b32_e32 v0, 0
	s_waitcnt lgkmcnt(9)
	global_store_short v0, v12, s[46:47]
.LBB438_368:
	s_or_b64 exec, exec, s[2:3]
                                        ; implicit-def: $vgpr0_vgpr1
                                        ; implicit-def: $vgpr7
                                        ; implicit-def: $vgpr9
                                        ; implicit-def: $vgpr8
                                        ; implicit-def: $vgpr10
.LBB438_369:
	s_andn2_saveexec_b64 s[0:1], s[0:1]
	s_cbranch_execz .LBB438_381
; %bb.370:
	v_cmp_lt_i64_e32 vcc, 1, v[0:1]
	s_and_saveexec_b64 s[0:1], vcc
	s_xor_b64 s[0:1], exec, s[0:1]
	s_cbranch_execz .LBB438_376
; %bb.371:
	v_cmp_lt_i64_e32 vcc, 2, v[0:1]
	s_and_saveexec_b64 s[2:3], vcc
	s_xor_b64 s[2:3], exec, s[2:3]
	s_cbranch_execz .LBB438_373
; %bb.372:
	v_mov_b32_e32 v0, 0
	s_waitcnt lgkmcnt(10)
	global_store_short v0, v10, s[46:47]
                                        ; implicit-def: $vgpr9
.LBB438_373:
	s_andn2_saveexec_b64 s[2:3], s[2:3]
	s_cbranch_execz .LBB438_375
; %bb.374:
	v_mov_b32_e32 v0, 0
	s_waitcnt lgkmcnt(11)
	global_store_short v0, v9, s[46:47]
.LBB438_375:
	s_or_b64 exec, exec, s[2:3]
                                        ; implicit-def: $vgpr7
                                        ; implicit-def: $vgpr0_vgpr1
                                        ; implicit-def: $vgpr8
.LBB438_376:
	s_andn2_saveexec_b64 s[0:1], s[0:1]
	s_cbranch_execz .LBB438_381
; %bb.377:
	v_cmp_ne_u64_e32 vcc, 1, v[0:1]
	s_and_saveexec_b64 s[0:1], vcc
	s_xor_b64 s[0:1], exec, s[0:1]
	s_cbranch_execz .LBB438_379
; %bb.378:
	v_mov_b32_e32 v0, 0
	s_waitcnt lgkmcnt(13)
	global_store_short v0, v8, s[46:47]
                                        ; implicit-def: $vgpr7
.LBB438_379:
	s_andn2_saveexec_b64 s[0:1], s[0:1]
	s_cbranch_execz .LBB438_381
; %bb.380:
	v_mov_b32_e32 v0, 0
	s_waitcnt lgkmcnt(12)
	global_store_short v0, v7, s[46:47]
.LBB438_381:
	s_endpgm
	.section	.rodata,"a",@progbits
	.p2align	6, 0x0
	.amdhsa_kernel _ZN7rocprim17ROCPRIM_400000_NS6detail17trampoline_kernelINS0_14default_configENS1_20scan_config_selectorIN3c108BFloat16EEEZZNS1_9scan_implILNS1_25lookback_scan_determinismE0ELb0ELb0ES3_PKS6_PS6_S6_ZZZN2at6native31launch_logcumsumexp_cuda_kernelERKNSD_10TensorBaseESH_lENKUlvE_clEvENKUlvE4_clEvEUlS6_S6_E_S6_EEDaPvRmT3_T4_T5_mT6_P12ihipStream_tbENKUlT_T0_E_clISt17integral_constantIbLb0EESY_EEDaST_SU_EUlST_E_NS1_11comp_targetILNS1_3genE0ELNS1_11target_archE4294967295ELNS1_3gpuE0ELNS1_3repE0EEENS1_30default_config_static_selectorELNS0_4arch9wavefront6targetE1EEEvT1_
		.amdhsa_group_segment_fixed_size 3584
		.amdhsa_private_segment_fixed_size 0
		.amdhsa_kernarg_size 96
		.amdhsa_user_sgpr_count 2
		.amdhsa_user_sgpr_dispatch_ptr 0
		.amdhsa_user_sgpr_queue_ptr 0
		.amdhsa_user_sgpr_kernarg_segment_ptr 1
		.amdhsa_user_sgpr_dispatch_id 0
		.amdhsa_user_sgpr_kernarg_preload_length 0
		.amdhsa_user_sgpr_kernarg_preload_offset 0
		.amdhsa_user_sgpr_private_segment_size 0
		.amdhsa_uses_dynamic_stack 0
		.amdhsa_enable_private_segment 0
		.amdhsa_system_sgpr_workgroup_id_x 1
		.amdhsa_system_sgpr_workgroup_id_y 0
		.amdhsa_system_sgpr_workgroup_id_z 0
		.amdhsa_system_sgpr_workgroup_info 0
		.amdhsa_system_vgpr_workitem_id 0
		.amdhsa_next_free_vgpr 82
		.amdhsa_next_free_sgpr 64
		.amdhsa_accum_offset 84
		.amdhsa_reserve_vcc 1
		.amdhsa_float_round_mode_32 0
		.amdhsa_float_round_mode_16_64 0
		.amdhsa_float_denorm_mode_32 3
		.amdhsa_float_denorm_mode_16_64 3
		.amdhsa_dx10_clamp 1
		.amdhsa_ieee_mode 1
		.amdhsa_fp16_overflow 0
		.amdhsa_tg_split 0
		.amdhsa_exception_fp_ieee_invalid_op 0
		.amdhsa_exception_fp_denorm_src 0
		.amdhsa_exception_fp_ieee_div_zero 0
		.amdhsa_exception_fp_ieee_overflow 0
		.amdhsa_exception_fp_ieee_underflow 0
		.amdhsa_exception_fp_ieee_inexact 0
		.amdhsa_exception_int_div_zero 0
	.end_amdhsa_kernel
	.section	.text._ZN7rocprim17ROCPRIM_400000_NS6detail17trampoline_kernelINS0_14default_configENS1_20scan_config_selectorIN3c108BFloat16EEEZZNS1_9scan_implILNS1_25lookback_scan_determinismE0ELb0ELb0ES3_PKS6_PS6_S6_ZZZN2at6native31launch_logcumsumexp_cuda_kernelERKNSD_10TensorBaseESH_lENKUlvE_clEvENKUlvE4_clEvEUlS6_S6_E_S6_EEDaPvRmT3_T4_T5_mT6_P12ihipStream_tbENKUlT_T0_E_clISt17integral_constantIbLb0EESY_EEDaST_SU_EUlST_E_NS1_11comp_targetILNS1_3genE0ELNS1_11target_archE4294967295ELNS1_3gpuE0ELNS1_3repE0EEENS1_30default_config_static_selectorELNS0_4arch9wavefront6targetE1EEEvT1_,"axG",@progbits,_ZN7rocprim17ROCPRIM_400000_NS6detail17trampoline_kernelINS0_14default_configENS1_20scan_config_selectorIN3c108BFloat16EEEZZNS1_9scan_implILNS1_25lookback_scan_determinismE0ELb0ELb0ES3_PKS6_PS6_S6_ZZZN2at6native31launch_logcumsumexp_cuda_kernelERKNSD_10TensorBaseESH_lENKUlvE_clEvENKUlvE4_clEvEUlS6_S6_E_S6_EEDaPvRmT3_T4_T5_mT6_P12ihipStream_tbENKUlT_T0_E_clISt17integral_constantIbLb0EESY_EEDaST_SU_EUlST_E_NS1_11comp_targetILNS1_3genE0ELNS1_11target_archE4294967295ELNS1_3gpuE0ELNS1_3repE0EEENS1_30default_config_static_selectorELNS0_4arch9wavefront6targetE1EEEvT1_,comdat
.Lfunc_end438:
	.size	_ZN7rocprim17ROCPRIM_400000_NS6detail17trampoline_kernelINS0_14default_configENS1_20scan_config_selectorIN3c108BFloat16EEEZZNS1_9scan_implILNS1_25lookback_scan_determinismE0ELb0ELb0ES3_PKS6_PS6_S6_ZZZN2at6native31launch_logcumsumexp_cuda_kernelERKNSD_10TensorBaseESH_lENKUlvE_clEvENKUlvE4_clEvEUlS6_S6_E_S6_EEDaPvRmT3_T4_T5_mT6_P12ihipStream_tbENKUlT_T0_E_clISt17integral_constantIbLb0EESY_EEDaST_SU_EUlST_E_NS1_11comp_targetILNS1_3genE0ELNS1_11target_archE4294967295ELNS1_3gpuE0ELNS1_3repE0EEENS1_30default_config_static_selectorELNS0_4arch9wavefront6targetE1EEEvT1_, .Lfunc_end438-_ZN7rocprim17ROCPRIM_400000_NS6detail17trampoline_kernelINS0_14default_configENS1_20scan_config_selectorIN3c108BFloat16EEEZZNS1_9scan_implILNS1_25lookback_scan_determinismE0ELb0ELb0ES3_PKS6_PS6_S6_ZZZN2at6native31launch_logcumsumexp_cuda_kernelERKNSD_10TensorBaseESH_lENKUlvE_clEvENKUlvE4_clEvEUlS6_S6_E_S6_EEDaPvRmT3_T4_T5_mT6_P12ihipStream_tbENKUlT_T0_E_clISt17integral_constantIbLb0EESY_EEDaST_SU_EUlST_E_NS1_11comp_targetILNS1_3genE0ELNS1_11target_archE4294967295ELNS1_3gpuE0ELNS1_3repE0EEENS1_30default_config_static_selectorELNS0_4arch9wavefront6targetE1EEEvT1_
                                        ; -- End function
	.set _ZN7rocprim17ROCPRIM_400000_NS6detail17trampoline_kernelINS0_14default_configENS1_20scan_config_selectorIN3c108BFloat16EEEZZNS1_9scan_implILNS1_25lookback_scan_determinismE0ELb0ELb0ES3_PKS6_PS6_S6_ZZZN2at6native31launch_logcumsumexp_cuda_kernelERKNSD_10TensorBaseESH_lENKUlvE_clEvENKUlvE4_clEvEUlS6_S6_E_S6_EEDaPvRmT3_T4_T5_mT6_P12ihipStream_tbENKUlT_T0_E_clISt17integral_constantIbLb0EESY_EEDaST_SU_EUlST_E_NS1_11comp_targetILNS1_3genE0ELNS1_11target_archE4294967295ELNS1_3gpuE0ELNS1_3repE0EEENS1_30default_config_static_selectorELNS0_4arch9wavefront6targetE1EEEvT1_.num_vgpr, 82
	.set _ZN7rocprim17ROCPRIM_400000_NS6detail17trampoline_kernelINS0_14default_configENS1_20scan_config_selectorIN3c108BFloat16EEEZZNS1_9scan_implILNS1_25lookback_scan_determinismE0ELb0ELb0ES3_PKS6_PS6_S6_ZZZN2at6native31launch_logcumsumexp_cuda_kernelERKNSD_10TensorBaseESH_lENKUlvE_clEvENKUlvE4_clEvEUlS6_S6_E_S6_EEDaPvRmT3_T4_T5_mT6_P12ihipStream_tbENKUlT_T0_E_clISt17integral_constantIbLb0EESY_EEDaST_SU_EUlST_E_NS1_11comp_targetILNS1_3genE0ELNS1_11target_archE4294967295ELNS1_3gpuE0ELNS1_3repE0EEENS1_30default_config_static_selectorELNS0_4arch9wavefront6targetE1EEEvT1_.num_agpr, 0
	.set _ZN7rocprim17ROCPRIM_400000_NS6detail17trampoline_kernelINS0_14default_configENS1_20scan_config_selectorIN3c108BFloat16EEEZZNS1_9scan_implILNS1_25lookback_scan_determinismE0ELb0ELb0ES3_PKS6_PS6_S6_ZZZN2at6native31launch_logcumsumexp_cuda_kernelERKNSD_10TensorBaseESH_lENKUlvE_clEvENKUlvE4_clEvEUlS6_S6_E_S6_EEDaPvRmT3_T4_T5_mT6_P12ihipStream_tbENKUlT_T0_E_clISt17integral_constantIbLb0EESY_EEDaST_SU_EUlST_E_NS1_11comp_targetILNS1_3genE0ELNS1_11target_archE4294967295ELNS1_3gpuE0ELNS1_3repE0EEENS1_30default_config_static_selectorELNS0_4arch9wavefront6targetE1EEEvT1_.numbered_sgpr, 64
	.set _ZN7rocprim17ROCPRIM_400000_NS6detail17trampoline_kernelINS0_14default_configENS1_20scan_config_selectorIN3c108BFloat16EEEZZNS1_9scan_implILNS1_25lookback_scan_determinismE0ELb0ELb0ES3_PKS6_PS6_S6_ZZZN2at6native31launch_logcumsumexp_cuda_kernelERKNSD_10TensorBaseESH_lENKUlvE_clEvENKUlvE4_clEvEUlS6_S6_E_S6_EEDaPvRmT3_T4_T5_mT6_P12ihipStream_tbENKUlT_T0_E_clISt17integral_constantIbLb0EESY_EEDaST_SU_EUlST_E_NS1_11comp_targetILNS1_3genE0ELNS1_11target_archE4294967295ELNS1_3gpuE0ELNS1_3repE0EEENS1_30default_config_static_selectorELNS0_4arch9wavefront6targetE1EEEvT1_.num_named_barrier, 0
	.set _ZN7rocprim17ROCPRIM_400000_NS6detail17trampoline_kernelINS0_14default_configENS1_20scan_config_selectorIN3c108BFloat16EEEZZNS1_9scan_implILNS1_25lookback_scan_determinismE0ELb0ELb0ES3_PKS6_PS6_S6_ZZZN2at6native31launch_logcumsumexp_cuda_kernelERKNSD_10TensorBaseESH_lENKUlvE_clEvENKUlvE4_clEvEUlS6_S6_E_S6_EEDaPvRmT3_T4_T5_mT6_P12ihipStream_tbENKUlT_T0_E_clISt17integral_constantIbLb0EESY_EEDaST_SU_EUlST_E_NS1_11comp_targetILNS1_3genE0ELNS1_11target_archE4294967295ELNS1_3gpuE0ELNS1_3repE0EEENS1_30default_config_static_selectorELNS0_4arch9wavefront6targetE1EEEvT1_.private_seg_size, 0
	.set _ZN7rocprim17ROCPRIM_400000_NS6detail17trampoline_kernelINS0_14default_configENS1_20scan_config_selectorIN3c108BFloat16EEEZZNS1_9scan_implILNS1_25lookback_scan_determinismE0ELb0ELb0ES3_PKS6_PS6_S6_ZZZN2at6native31launch_logcumsumexp_cuda_kernelERKNSD_10TensorBaseESH_lENKUlvE_clEvENKUlvE4_clEvEUlS6_S6_E_S6_EEDaPvRmT3_T4_T5_mT6_P12ihipStream_tbENKUlT_T0_E_clISt17integral_constantIbLb0EESY_EEDaST_SU_EUlST_E_NS1_11comp_targetILNS1_3genE0ELNS1_11target_archE4294967295ELNS1_3gpuE0ELNS1_3repE0EEENS1_30default_config_static_selectorELNS0_4arch9wavefront6targetE1EEEvT1_.uses_vcc, 1
	.set _ZN7rocprim17ROCPRIM_400000_NS6detail17trampoline_kernelINS0_14default_configENS1_20scan_config_selectorIN3c108BFloat16EEEZZNS1_9scan_implILNS1_25lookback_scan_determinismE0ELb0ELb0ES3_PKS6_PS6_S6_ZZZN2at6native31launch_logcumsumexp_cuda_kernelERKNSD_10TensorBaseESH_lENKUlvE_clEvENKUlvE4_clEvEUlS6_S6_E_S6_EEDaPvRmT3_T4_T5_mT6_P12ihipStream_tbENKUlT_T0_E_clISt17integral_constantIbLb0EESY_EEDaST_SU_EUlST_E_NS1_11comp_targetILNS1_3genE0ELNS1_11target_archE4294967295ELNS1_3gpuE0ELNS1_3repE0EEENS1_30default_config_static_selectorELNS0_4arch9wavefront6targetE1EEEvT1_.uses_flat_scratch, 0
	.set _ZN7rocprim17ROCPRIM_400000_NS6detail17trampoline_kernelINS0_14default_configENS1_20scan_config_selectorIN3c108BFloat16EEEZZNS1_9scan_implILNS1_25lookback_scan_determinismE0ELb0ELb0ES3_PKS6_PS6_S6_ZZZN2at6native31launch_logcumsumexp_cuda_kernelERKNSD_10TensorBaseESH_lENKUlvE_clEvENKUlvE4_clEvEUlS6_S6_E_S6_EEDaPvRmT3_T4_T5_mT6_P12ihipStream_tbENKUlT_T0_E_clISt17integral_constantIbLb0EESY_EEDaST_SU_EUlST_E_NS1_11comp_targetILNS1_3genE0ELNS1_11target_archE4294967295ELNS1_3gpuE0ELNS1_3repE0EEENS1_30default_config_static_selectorELNS0_4arch9wavefront6targetE1EEEvT1_.has_dyn_sized_stack, 0
	.set _ZN7rocprim17ROCPRIM_400000_NS6detail17trampoline_kernelINS0_14default_configENS1_20scan_config_selectorIN3c108BFloat16EEEZZNS1_9scan_implILNS1_25lookback_scan_determinismE0ELb0ELb0ES3_PKS6_PS6_S6_ZZZN2at6native31launch_logcumsumexp_cuda_kernelERKNSD_10TensorBaseESH_lENKUlvE_clEvENKUlvE4_clEvEUlS6_S6_E_S6_EEDaPvRmT3_T4_T5_mT6_P12ihipStream_tbENKUlT_T0_E_clISt17integral_constantIbLb0EESY_EEDaST_SU_EUlST_E_NS1_11comp_targetILNS1_3genE0ELNS1_11target_archE4294967295ELNS1_3gpuE0ELNS1_3repE0EEENS1_30default_config_static_selectorELNS0_4arch9wavefront6targetE1EEEvT1_.has_recursion, 0
	.set _ZN7rocprim17ROCPRIM_400000_NS6detail17trampoline_kernelINS0_14default_configENS1_20scan_config_selectorIN3c108BFloat16EEEZZNS1_9scan_implILNS1_25lookback_scan_determinismE0ELb0ELb0ES3_PKS6_PS6_S6_ZZZN2at6native31launch_logcumsumexp_cuda_kernelERKNSD_10TensorBaseESH_lENKUlvE_clEvENKUlvE4_clEvEUlS6_S6_E_S6_EEDaPvRmT3_T4_T5_mT6_P12ihipStream_tbENKUlT_T0_E_clISt17integral_constantIbLb0EESY_EEDaST_SU_EUlST_E_NS1_11comp_targetILNS1_3genE0ELNS1_11target_archE4294967295ELNS1_3gpuE0ELNS1_3repE0EEENS1_30default_config_static_selectorELNS0_4arch9wavefront6targetE1EEEvT1_.has_indirect_call, 0
	.section	.AMDGPU.csdata,"",@progbits
; Kernel info:
; codeLenInByte = 79232
; TotalNumSgprs: 70
; NumVgprs: 82
; NumAgprs: 0
; TotalNumVgprs: 82
; ScratchSize: 0
; MemoryBound: 0
; FloatMode: 240
; IeeeMode: 1
; LDSByteSize: 3584 bytes/workgroup (compile time only)
; SGPRBlocks: 8
; VGPRBlocks: 10
; NumSGPRsForWavesPerEU: 70
; NumVGPRsForWavesPerEU: 82
; AccumOffset: 84
; Occupancy: 5
; WaveLimiterHint : 1
; COMPUTE_PGM_RSRC2:SCRATCH_EN: 0
; COMPUTE_PGM_RSRC2:USER_SGPR: 2
; COMPUTE_PGM_RSRC2:TRAP_HANDLER: 0
; COMPUTE_PGM_RSRC2:TGID_X_EN: 1
; COMPUTE_PGM_RSRC2:TGID_Y_EN: 0
; COMPUTE_PGM_RSRC2:TGID_Z_EN: 0
; COMPUTE_PGM_RSRC2:TIDIG_COMP_CNT: 0
; COMPUTE_PGM_RSRC3_GFX90A:ACCUM_OFFSET: 20
; COMPUTE_PGM_RSRC3_GFX90A:TG_SPLIT: 0
	.section	.text._ZN7rocprim17ROCPRIM_400000_NS6detail17trampoline_kernelINS0_14default_configENS1_20scan_config_selectorIN3c108BFloat16EEEZZNS1_9scan_implILNS1_25lookback_scan_determinismE0ELb0ELb0ES3_PKS6_PS6_S6_ZZZN2at6native31launch_logcumsumexp_cuda_kernelERKNSD_10TensorBaseESH_lENKUlvE_clEvENKUlvE4_clEvEUlS6_S6_E_S6_EEDaPvRmT3_T4_T5_mT6_P12ihipStream_tbENKUlT_T0_E_clISt17integral_constantIbLb0EESY_EEDaST_SU_EUlST_E_NS1_11comp_targetILNS1_3genE5ELNS1_11target_archE942ELNS1_3gpuE9ELNS1_3repE0EEENS1_30default_config_static_selectorELNS0_4arch9wavefront6targetE1EEEvT1_,"axG",@progbits,_ZN7rocprim17ROCPRIM_400000_NS6detail17trampoline_kernelINS0_14default_configENS1_20scan_config_selectorIN3c108BFloat16EEEZZNS1_9scan_implILNS1_25lookback_scan_determinismE0ELb0ELb0ES3_PKS6_PS6_S6_ZZZN2at6native31launch_logcumsumexp_cuda_kernelERKNSD_10TensorBaseESH_lENKUlvE_clEvENKUlvE4_clEvEUlS6_S6_E_S6_EEDaPvRmT3_T4_T5_mT6_P12ihipStream_tbENKUlT_T0_E_clISt17integral_constantIbLb0EESY_EEDaST_SU_EUlST_E_NS1_11comp_targetILNS1_3genE5ELNS1_11target_archE942ELNS1_3gpuE9ELNS1_3repE0EEENS1_30default_config_static_selectorELNS0_4arch9wavefront6targetE1EEEvT1_,comdat
	.globl	_ZN7rocprim17ROCPRIM_400000_NS6detail17trampoline_kernelINS0_14default_configENS1_20scan_config_selectorIN3c108BFloat16EEEZZNS1_9scan_implILNS1_25lookback_scan_determinismE0ELb0ELb0ES3_PKS6_PS6_S6_ZZZN2at6native31launch_logcumsumexp_cuda_kernelERKNSD_10TensorBaseESH_lENKUlvE_clEvENKUlvE4_clEvEUlS6_S6_E_S6_EEDaPvRmT3_T4_T5_mT6_P12ihipStream_tbENKUlT_T0_E_clISt17integral_constantIbLb0EESY_EEDaST_SU_EUlST_E_NS1_11comp_targetILNS1_3genE5ELNS1_11target_archE942ELNS1_3gpuE9ELNS1_3repE0EEENS1_30default_config_static_selectorELNS0_4arch9wavefront6targetE1EEEvT1_ ; -- Begin function _ZN7rocprim17ROCPRIM_400000_NS6detail17trampoline_kernelINS0_14default_configENS1_20scan_config_selectorIN3c108BFloat16EEEZZNS1_9scan_implILNS1_25lookback_scan_determinismE0ELb0ELb0ES3_PKS6_PS6_S6_ZZZN2at6native31launch_logcumsumexp_cuda_kernelERKNSD_10TensorBaseESH_lENKUlvE_clEvENKUlvE4_clEvEUlS6_S6_E_S6_EEDaPvRmT3_T4_T5_mT6_P12ihipStream_tbENKUlT_T0_E_clISt17integral_constantIbLb0EESY_EEDaST_SU_EUlST_E_NS1_11comp_targetILNS1_3genE5ELNS1_11target_archE942ELNS1_3gpuE9ELNS1_3repE0EEENS1_30default_config_static_selectorELNS0_4arch9wavefront6targetE1EEEvT1_
	.p2align	8
	.type	_ZN7rocprim17ROCPRIM_400000_NS6detail17trampoline_kernelINS0_14default_configENS1_20scan_config_selectorIN3c108BFloat16EEEZZNS1_9scan_implILNS1_25lookback_scan_determinismE0ELb0ELb0ES3_PKS6_PS6_S6_ZZZN2at6native31launch_logcumsumexp_cuda_kernelERKNSD_10TensorBaseESH_lENKUlvE_clEvENKUlvE4_clEvEUlS6_S6_E_S6_EEDaPvRmT3_T4_T5_mT6_P12ihipStream_tbENKUlT_T0_E_clISt17integral_constantIbLb0EESY_EEDaST_SU_EUlST_E_NS1_11comp_targetILNS1_3genE5ELNS1_11target_archE942ELNS1_3gpuE9ELNS1_3repE0EEENS1_30default_config_static_selectorELNS0_4arch9wavefront6targetE1EEEvT1_,@function
_ZN7rocprim17ROCPRIM_400000_NS6detail17trampoline_kernelINS0_14default_configENS1_20scan_config_selectorIN3c108BFloat16EEEZZNS1_9scan_implILNS1_25lookback_scan_determinismE0ELb0ELb0ES3_PKS6_PS6_S6_ZZZN2at6native31launch_logcumsumexp_cuda_kernelERKNSD_10TensorBaseESH_lENKUlvE_clEvENKUlvE4_clEvEUlS6_S6_E_S6_EEDaPvRmT3_T4_T5_mT6_P12ihipStream_tbENKUlT_T0_E_clISt17integral_constantIbLb0EESY_EEDaST_SU_EUlST_E_NS1_11comp_targetILNS1_3genE5ELNS1_11target_archE942ELNS1_3gpuE9ELNS1_3repE0EEENS1_30default_config_static_selectorELNS0_4arch9wavefront6targetE1EEEvT1_: ; @_ZN7rocprim17ROCPRIM_400000_NS6detail17trampoline_kernelINS0_14default_configENS1_20scan_config_selectorIN3c108BFloat16EEEZZNS1_9scan_implILNS1_25lookback_scan_determinismE0ELb0ELb0ES3_PKS6_PS6_S6_ZZZN2at6native31launch_logcumsumexp_cuda_kernelERKNSD_10TensorBaseESH_lENKUlvE_clEvENKUlvE4_clEvEUlS6_S6_E_S6_EEDaPvRmT3_T4_T5_mT6_P12ihipStream_tbENKUlT_T0_E_clISt17integral_constantIbLb0EESY_EEDaST_SU_EUlST_E_NS1_11comp_targetILNS1_3genE5ELNS1_11target_archE942ELNS1_3gpuE9ELNS1_3repE0EEENS1_30default_config_static_selectorELNS0_4arch9wavefront6targetE1EEEvT1_
; %bb.0:
	.section	.rodata,"a",@progbits
	.p2align	6, 0x0
	.amdhsa_kernel _ZN7rocprim17ROCPRIM_400000_NS6detail17trampoline_kernelINS0_14default_configENS1_20scan_config_selectorIN3c108BFloat16EEEZZNS1_9scan_implILNS1_25lookback_scan_determinismE0ELb0ELb0ES3_PKS6_PS6_S6_ZZZN2at6native31launch_logcumsumexp_cuda_kernelERKNSD_10TensorBaseESH_lENKUlvE_clEvENKUlvE4_clEvEUlS6_S6_E_S6_EEDaPvRmT3_T4_T5_mT6_P12ihipStream_tbENKUlT_T0_E_clISt17integral_constantIbLb0EESY_EEDaST_SU_EUlST_E_NS1_11comp_targetILNS1_3genE5ELNS1_11target_archE942ELNS1_3gpuE9ELNS1_3repE0EEENS1_30default_config_static_selectorELNS0_4arch9wavefront6targetE1EEEvT1_
		.amdhsa_group_segment_fixed_size 0
		.amdhsa_private_segment_fixed_size 0
		.amdhsa_kernarg_size 96
		.amdhsa_user_sgpr_count 2
		.amdhsa_user_sgpr_dispatch_ptr 0
		.amdhsa_user_sgpr_queue_ptr 0
		.amdhsa_user_sgpr_kernarg_segment_ptr 1
		.amdhsa_user_sgpr_dispatch_id 0
		.amdhsa_user_sgpr_kernarg_preload_length 0
		.amdhsa_user_sgpr_kernarg_preload_offset 0
		.amdhsa_user_sgpr_private_segment_size 0
		.amdhsa_uses_dynamic_stack 0
		.amdhsa_enable_private_segment 0
		.amdhsa_system_sgpr_workgroup_id_x 1
		.amdhsa_system_sgpr_workgroup_id_y 0
		.amdhsa_system_sgpr_workgroup_id_z 0
		.amdhsa_system_sgpr_workgroup_info 0
		.amdhsa_system_vgpr_workitem_id 0
		.amdhsa_next_free_vgpr 1
		.amdhsa_next_free_sgpr 0
		.amdhsa_accum_offset 4
		.amdhsa_reserve_vcc 0
		.amdhsa_float_round_mode_32 0
		.amdhsa_float_round_mode_16_64 0
		.amdhsa_float_denorm_mode_32 3
		.amdhsa_float_denorm_mode_16_64 3
		.amdhsa_dx10_clamp 1
		.amdhsa_ieee_mode 1
		.amdhsa_fp16_overflow 0
		.amdhsa_tg_split 0
		.amdhsa_exception_fp_ieee_invalid_op 0
		.amdhsa_exception_fp_denorm_src 0
		.amdhsa_exception_fp_ieee_div_zero 0
		.amdhsa_exception_fp_ieee_overflow 0
		.amdhsa_exception_fp_ieee_underflow 0
		.amdhsa_exception_fp_ieee_inexact 0
		.amdhsa_exception_int_div_zero 0
	.end_amdhsa_kernel
	.section	.text._ZN7rocprim17ROCPRIM_400000_NS6detail17trampoline_kernelINS0_14default_configENS1_20scan_config_selectorIN3c108BFloat16EEEZZNS1_9scan_implILNS1_25lookback_scan_determinismE0ELb0ELb0ES3_PKS6_PS6_S6_ZZZN2at6native31launch_logcumsumexp_cuda_kernelERKNSD_10TensorBaseESH_lENKUlvE_clEvENKUlvE4_clEvEUlS6_S6_E_S6_EEDaPvRmT3_T4_T5_mT6_P12ihipStream_tbENKUlT_T0_E_clISt17integral_constantIbLb0EESY_EEDaST_SU_EUlST_E_NS1_11comp_targetILNS1_3genE5ELNS1_11target_archE942ELNS1_3gpuE9ELNS1_3repE0EEENS1_30default_config_static_selectorELNS0_4arch9wavefront6targetE1EEEvT1_,"axG",@progbits,_ZN7rocprim17ROCPRIM_400000_NS6detail17trampoline_kernelINS0_14default_configENS1_20scan_config_selectorIN3c108BFloat16EEEZZNS1_9scan_implILNS1_25lookback_scan_determinismE0ELb0ELb0ES3_PKS6_PS6_S6_ZZZN2at6native31launch_logcumsumexp_cuda_kernelERKNSD_10TensorBaseESH_lENKUlvE_clEvENKUlvE4_clEvEUlS6_S6_E_S6_EEDaPvRmT3_T4_T5_mT6_P12ihipStream_tbENKUlT_T0_E_clISt17integral_constantIbLb0EESY_EEDaST_SU_EUlST_E_NS1_11comp_targetILNS1_3genE5ELNS1_11target_archE942ELNS1_3gpuE9ELNS1_3repE0EEENS1_30default_config_static_selectorELNS0_4arch9wavefront6targetE1EEEvT1_,comdat
.Lfunc_end439:
	.size	_ZN7rocprim17ROCPRIM_400000_NS6detail17trampoline_kernelINS0_14default_configENS1_20scan_config_selectorIN3c108BFloat16EEEZZNS1_9scan_implILNS1_25lookback_scan_determinismE0ELb0ELb0ES3_PKS6_PS6_S6_ZZZN2at6native31launch_logcumsumexp_cuda_kernelERKNSD_10TensorBaseESH_lENKUlvE_clEvENKUlvE4_clEvEUlS6_S6_E_S6_EEDaPvRmT3_T4_T5_mT6_P12ihipStream_tbENKUlT_T0_E_clISt17integral_constantIbLb0EESY_EEDaST_SU_EUlST_E_NS1_11comp_targetILNS1_3genE5ELNS1_11target_archE942ELNS1_3gpuE9ELNS1_3repE0EEENS1_30default_config_static_selectorELNS0_4arch9wavefront6targetE1EEEvT1_, .Lfunc_end439-_ZN7rocprim17ROCPRIM_400000_NS6detail17trampoline_kernelINS0_14default_configENS1_20scan_config_selectorIN3c108BFloat16EEEZZNS1_9scan_implILNS1_25lookback_scan_determinismE0ELb0ELb0ES3_PKS6_PS6_S6_ZZZN2at6native31launch_logcumsumexp_cuda_kernelERKNSD_10TensorBaseESH_lENKUlvE_clEvENKUlvE4_clEvEUlS6_S6_E_S6_EEDaPvRmT3_T4_T5_mT6_P12ihipStream_tbENKUlT_T0_E_clISt17integral_constantIbLb0EESY_EEDaST_SU_EUlST_E_NS1_11comp_targetILNS1_3genE5ELNS1_11target_archE942ELNS1_3gpuE9ELNS1_3repE0EEENS1_30default_config_static_selectorELNS0_4arch9wavefront6targetE1EEEvT1_
                                        ; -- End function
	.set _ZN7rocprim17ROCPRIM_400000_NS6detail17trampoline_kernelINS0_14default_configENS1_20scan_config_selectorIN3c108BFloat16EEEZZNS1_9scan_implILNS1_25lookback_scan_determinismE0ELb0ELb0ES3_PKS6_PS6_S6_ZZZN2at6native31launch_logcumsumexp_cuda_kernelERKNSD_10TensorBaseESH_lENKUlvE_clEvENKUlvE4_clEvEUlS6_S6_E_S6_EEDaPvRmT3_T4_T5_mT6_P12ihipStream_tbENKUlT_T0_E_clISt17integral_constantIbLb0EESY_EEDaST_SU_EUlST_E_NS1_11comp_targetILNS1_3genE5ELNS1_11target_archE942ELNS1_3gpuE9ELNS1_3repE0EEENS1_30default_config_static_selectorELNS0_4arch9wavefront6targetE1EEEvT1_.num_vgpr, 0
	.set _ZN7rocprim17ROCPRIM_400000_NS6detail17trampoline_kernelINS0_14default_configENS1_20scan_config_selectorIN3c108BFloat16EEEZZNS1_9scan_implILNS1_25lookback_scan_determinismE0ELb0ELb0ES3_PKS6_PS6_S6_ZZZN2at6native31launch_logcumsumexp_cuda_kernelERKNSD_10TensorBaseESH_lENKUlvE_clEvENKUlvE4_clEvEUlS6_S6_E_S6_EEDaPvRmT3_T4_T5_mT6_P12ihipStream_tbENKUlT_T0_E_clISt17integral_constantIbLb0EESY_EEDaST_SU_EUlST_E_NS1_11comp_targetILNS1_3genE5ELNS1_11target_archE942ELNS1_3gpuE9ELNS1_3repE0EEENS1_30default_config_static_selectorELNS0_4arch9wavefront6targetE1EEEvT1_.num_agpr, 0
	.set _ZN7rocprim17ROCPRIM_400000_NS6detail17trampoline_kernelINS0_14default_configENS1_20scan_config_selectorIN3c108BFloat16EEEZZNS1_9scan_implILNS1_25lookback_scan_determinismE0ELb0ELb0ES3_PKS6_PS6_S6_ZZZN2at6native31launch_logcumsumexp_cuda_kernelERKNSD_10TensorBaseESH_lENKUlvE_clEvENKUlvE4_clEvEUlS6_S6_E_S6_EEDaPvRmT3_T4_T5_mT6_P12ihipStream_tbENKUlT_T0_E_clISt17integral_constantIbLb0EESY_EEDaST_SU_EUlST_E_NS1_11comp_targetILNS1_3genE5ELNS1_11target_archE942ELNS1_3gpuE9ELNS1_3repE0EEENS1_30default_config_static_selectorELNS0_4arch9wavefront6targetE1EEEvT1_.numbered_sgpr, 0
	.set _ZN7rocprim17ROCPRIM_400000_NS6detail17trampoline_kernelINS0_14default_configENS1_20scan_config_selectorIN3c108BFloat16EEEZZNS1_9scan_implILNS1_25lookback_scan_determinismE0ELb0ELb0ES3_PKS6_PS6_S6_ZZZN2at6native31launch_logcumsumexp_cuda_kernelERKNSD_10TensorBaseESH_lENKUlvE_clEvENKUlvE4_clEvEUlS6_S6_E_S6_EEDaPvRmT3_T4_T5_mT6_P12ihipStream_tbENKUlT_T0_E_clISt17integral_constantIbLb0EESY_EEDaST_SU_EUlST_E_NS1_11comp_targetILNS1_3genE5ELNS1_11target_archE942ELNS1_3gpuE9ELNS1_3repE0EEENS1_30default_config_static_selectorELNS0_4arch9wavefront6targetE1EEEvT1_.num_named_barrier, 0
	.set _ZN7rocprim17ROCPRIM_400000_NS6detail17trampoline_kernelINS0_14default_configENS1_20scan_config_selectorIN3c108BFloat16EEEZZNS1_9scan_implILNS1_25lookback_scan_determinismE0ELb0ELb0ES3_PKS6_PS6_S6_ZZZN2at6native31launch_logcumsumexp_cuda_kernelERKNSD_10TensorBaseESH_lENKUlvE_clEvENKUlvE4_clEvEUlS6_S6_E_S6_EEDaPvRmT3_T4_T5_mT6_P12ihipStream_tbENKUlT_T0_E_clISt17integral_constantIbLb0EESY_EEDaST_SU_EUlST_E_NS1_11comp_targetILNS1_3genE5ELNS1_11target_archE942ELNS1_3gpuE9ELNS1_3repE0EEENS1_30default_config_static_selectorELNS0_4arch9wavefront6targetE1EEEvT1_.private_seg_size, 0
	.set _ZN7rocprim17ROCPRIM_400000_NS6detail17trampoline_kernelINS0_14default_configENS1_20scan_config_selectorIN3c108BFloat16EEEZZNS1_9scan_implILNS1_25lookback_scan_determinismE0ELb0ELb0ES3_PKS6_PS6_S6_ZZZN2at6native31launch_logcumsumexp_cuda_kernelERKNSD_10TensorBaseESH_lENKUlvE_clEvENKUlvE4_clEvEUlS6_S6_E_S6_EEDaPvRmT3_T4_T5_mT6_P12ihipStream_tbENKUlT_T0_E_clISt17integral_constantIbLb0EESY_EEDaST_SU_EUlST_E_NS1_11comp_targetILNS1_3genE5ELNS1_11target_archE942ELNS1_3gpuE9ELNS1_3repE0EEENS1_30default_config_static_selectorELNS0_4arch9wavefront6targetE1EEEvT1_.uses_vcc, 0
	.set _ZN7rocprim17ROCPRIM_400000_NS6detail17trampoline_kernelINS0_14default_configENS1_20scan_config_selectorIN3c108BFloat16EEEZZNS1_9scan_implILNS1_25lookback_scan_determinismE0ELb0ELb0ES3_PKS6_PS6_S6_ZZZN2at6native31launch_logcumsumexp_cuda_kernelERKNSD_10TensorBaseESH_lENKUlvE_clEvENKUlvE4_clEvEUlS6_S6_E_S6_EEDaPvRmT3_T4_T5_mT6_P12ihipStream_tbENKUlT_T0_E_clISt17integral_constantIbLb0EESY_EEDaST_SU_EUlST_E_NS1_11comp_targetILNS1_3genE5ELNS1_11target_archE942ELNS1_3gpuE9ELNS1_3repE0EEENS1_30default_config_static_selectorELNS0_4arch9wavefront6targetE1EEEvT1_.uses_flat_scratch, 0
	.set _ZN7rocprim17ROCPRIM_400000_NS6detail17trampoline_kernelINS0_14default_configENS1_20scan_config_selectorIN3c108BFloat16EEEZZNS1_9scan_implILNS1_25lookback_scan_determinismE0ELb0ELb0ES3_PKS6_PS6_S6_ZZZN2at6native31launch_logcumsumexp_cuda_kernelERKNSD_10TensorBaseESH_lENKUlvE_clEvENKUlvE4_clEvEUlS6_S6_E_S6_EEDaPvRmT3_T4_T5_mT6_P12ihipStream_tbENKUlT_T0_E_clISt17integral_constantIbLb0EESY_EEDaST_SU_EUlST_E_NS1_11comp_targetILNS1_3genE5ELNS1_11target_archE942ELNS1_3gpuE9ELNS1_3repE0EEENS1_30default_config_static_selectorELNS0_4arch9wavefront6targetE1EEEvT1_.has_dyn_sized_stack, 0
	.set _ZN7rocprim17ROCPRIM_400000_NS6detail17trampoline_kernelINS0_14default_configENS1_20scan_config_selectorIN3c108BFloat16EEEZZNS1_9scan_implILNS1_25lookback_scan_determinismE0ELb0ELb0ES3_PKS6_PS6_S6_ZZZN2at6native31launch_logcumsumexp_cuda_kernelERKNSD_10TensorBaseESH_lENKUlvE_clEvENKUlvE4_clEvEUlS6_S6_E_S6_EEDaPvRmT3_T4_T5_mT6_P12ihipStream_tbENKUlT_T0_E_clISt17integral_constantIbLb0EESY_EEDaST_SU_EUlST_E_NS1_11comp_targetILNS1_3genE5ELNS1_11target_archE942ELNS1_3gpuE9ELNS1_3repE0EEENS1_30default_config_static_selectorELNS0_4arch9wavefront6targetE1EEEvT1_.has_recursion, 0
	.set _ZN7rocprim17ROCPRIM_400000_NS6detail17trampoline_kernelINS0_14default_configENS1_20scan_config_selectorIN3c108BFloat16EEEZZNS1_9scan_implILNS1_25lookback_scan_determinismE0ELb0ELb0ES3_PKS6_PS6_S6_ZZZN2at6native31launch_logcumsumexp_cuda_kernelERKNSD_10TensorBaseESH_lENKUlvE_clEvENKUlvE4_clEvEUlS6_S6_E_S6_EEDaPvRmT3_T4_T5_mT6_P12ihipStream_tbENKUlT_T0_E_clISt17integral_constantIbLb0EESY_EEDaST_SU_EUlST_E_NS1_11comp_targetILNS1_3genE5ELNS1_11target_archE942ELNS1_3gpuE9ELNS1_3repE0EEENS1_30default_config_static_selectorELNS0_4arch9wavefront6targetE1EEEvT1_.has_indirect_call, 0
	.section	.AMDGPU.csdata,"",@progbits
; Kernel info:
; codeLenInByte = 0
; TotalNumSgprs: 6
; NumVgprs: 0
; NumAgprs: 0
; TotalNumVgprs: 0
; ScratchSize: 0
; MemoryBound: 0
; FloatMode: 240
; IeeeMode: 1
; LDSByteSize: 0 bytes/workgroup (compile time only)
; SGPRBlocks: 0
; VGPRBlocks: 0
; NumSGPRsForWavesPerEU: 6
; NumVGPRsForWavesPerEU: 1
; AccumOffset: 4
; Occupancy: 8
; WaveLimiterHint : 0
; COMPUTE_PGM_RSRC2:SCRATCH_EN: 0
; COMPUTE_PGM_RSRC2:USER_SGPR: 2
; COMPUTE_PGM_RSRC2:TRAP_HANDLER: 0
; COMPUTE_PGM_RSRC2:TGID_X_EN: 1
; COMPUTE_PGM_RSRC2:TGID_Y_EN: 0
; COMPUTE_PGM_RSRC2:TGID_Z_EN: 0
; COMPUTE_PGM_RSRC2:TIDIG_COMP_CNT: 0
; COMPUTE_PGM_RSRC3_GFX90A:ACCUM_OFFSET: 0
; COMPUTE_PGM_RSRC3_GFX90A:TG_SPLIT: 0
	.section	.text._ZN7rocprim17ROCPRIM_400000_NS6detail17trampoline_kernelINS0_14default_configENS1_20scan_config_selectorIN3c108BFloat16EEEZZNS1_9scan_implILNS1_25lookback_scan_determinismE0ELb0ELb0ES3_PKS6_PS6_S6_ZZZN2at6native31launch_logcumsumexp_cuda_kernelERKNSD_10TensorBaseESH_lENKUlvE_clEvENKUlvE4_clEvEUlS6_S6_E_S6_EEDaPvRmT3_T4_T5_mT6_P12ihipStream_tbENKUlT_T0_E_clISt17integral_constantIbLb0EESY_EEDaST_SU_EUlST_E_NS1_11comp_targetILNS1_3genE4ELNS1_11target_archE910ELNS1_3gpuE8ELNS1_3repE0EEENS1_30default_config_static_selectorELNS0_4arch9wavefront6targetE1EEEvT1_,"axG",@progbits,_ZN7rocprim17ROCPRIM_400000_NS6detail17trampoline_kernelINS0_14default_configENS1_20scan_config_selectorIN3c108BFloat16EEEZZNS1_9scan_implILNS1_25lookback_scan_determinismE0ELb0ELb0ES3_PKS6_PS6_S6_ZZZN2at6native31launch_logcumsumexp_cuda_kernelERKNSD_10TensorBaseESH_lENKUlvE_clEvENKUlvE4_clEvEUlS6_S6_E_S6_EEDaPvRmT3_T4_T5_mT6_P12ihipStream_tbENKUlT_T0_E_clISt17integral_constantIbLb0EESY_EEDaST_SU_EUlST_E_NS1_11comp_targetILNS1_3genE4ELNS1_11target_archE910ELNS1_3gpuE8ELNS1_3repE0EEENS1_30default_config_static_selectorELNS0_4arch9wavefront6targetE1EEEvT1_,comdat
	.globl	_ZN7rocprim17ROCPRIM_400000_NS6detail17trampoline_kernelINS0_14default_configENS1_20scan_config_selectorIN3c108BFloat16EEEZZNS1_9scan_implILNS1_25lookback_scan_determinismE0ELb0ELb0ES3_PKS6_PS6_S6_ZZZN2at6native31launch_logcumsumexp_cuda_kernelERKNSD_10TensorBaseESH_lENKUlvE_clEvENKUlvE4_clEvEUlS6_S6_E_S6_EEDaPvRmT3_T4_T5_mT6_P12ihipStream_tbENKUlT_T0_E_clISt17integral_constantIbLb0EESY_EEDaST_SU_EUlST_E_NS1_11comp_targetILNS1_3genE4ELNS1_11target_archE910ELNS1_3gpuE8ELNS1_3repE0EEENS1_30default_config_static_selectorELNS0_4arch9wavefront6targetE1EEEvT1_ ; -- Begin function _ZN7rocprim17ROCPRIM_400000_NS6detail17trampoline_kernelINS0_14default_configENS1_20scan_config_selectorIN3c108BFloat16EEEZZNS1_9scan_implILNS1_25lookback_scan_determinismE0ELb0ELb0ES3_PKS6_PS6_S6_ZZZN2at6native31launch_logcumsumexp_cuda_kernelERKNSD_10TensorBaseESH_lENKUlvE_clEvENKUlvE4_clEvEUlS6_S6_E_S6_EEDaPvRmT3_T4_T5_mT6_P12ihipStream_tbENKUlT_T0_E_clISt17integral_constantIbLb0EESY_EEDaST_SU_EUlST_E_NS1_11comp_targetILNS1_3genE4ELNS1_11target_archE910ELNS1_3gpuE8ELNS1_3repE0EEENS1_30default_config_static_selectorELNS0_4arch9wavefront6targetE1EEEvT1_
	.p2align	8
	.type	_ZN7rocprim17ROCPRIM_400000_NS6detail17trampoline_kernelINS0_14default_configENS1_20scan_config_selectorIN3c108BFloat16EEEZZNS1_9scan_implILNS1_25lookback_scan_determinismE0ELb0ELb0ES3_PKS6_PS6_S6_ZZZN2at6native31launch_logcumsumexp_cuda_kernelERKNSD_10TensorBaseESH_lENKUlvE_clEvENKUlvE4_clEvEUlS6_S6_E_S6_EEDaPvRmT3_T4_T5_mT6_P12ihipStream_tbENKUlT_T0_E_clISt17integral_constantIbLb0EESY_EEDaST_SU_EUlST_E_NS1_11comp_targetILNS1_3genE4ELNS1_11target_archE910ELNS1_3gpuE8ELNS1_3repE0EEENS1_30default_config_static_selectorELNS0_4arch9wavefront6targetE1EEEvT1_,@function
_ZN7rocprim17ROCPRIM_400000_NS6detail17trampoline_kernelINS0_14default_configENS1_20scan_config_selectorIN3c108BFloat16EEEZZNS1_9scan_implILNS1_25lookback_scan_determinismE0ELb0ELb0ES3_PKS6_PS6_S6_ZZZN2at6native31launch_logcumsumexp_cuda_kernelERKNSD_10TensorBaseESH_lENKUlvE_clEvENKUlvE4_clEvEUlS6_S6_E_S6_EEDaPvRmT3_T4_T5_mT6_P12ihipStream_tbENKUlT_T0_E_clISt17integral_constantIbLb0EESY_EEDaST_SU_EUlST_E_NS1_11comp_targetILNS1_3genE4ELNS1_11target_archE910ELNS1_3gpuE8ELNS1_3repE0EEENS1_30default_config_static_selectorELNS0_4arch9wavefront6targetE1EEEvT1_: ; @_ZN7rocprim17ROCPRIM_400000_NS6detail17trampoline_kernelINS0_14default_configENS1_20scan_config_selectorIN3c108BFloat16EEEZZNS1_9scan_implILNS1_25lookback_scan_determinismE0ELb0ELb0ES3_PKS6_PS6_S6_ZZZN2at6native31launch_logcumsumexp_cuda_kernelERKNSD_10TensorBaseESH_lENKUlvE_clEvENKUlvE4_clEvEUlS6_S6_E_S6_EEDaPvRmT3_T4_T5_mT6_P12ihipStream_tbENKUlT_T0_E_clISt17integral_constantIbLb0EESY_EEDaST_SU_EUlST_E_NS1_11comp_targetILNS1_3genE4ELNS1_11target_archE910ELNS1_3gpuE8ELNS1_3repE0EEENS1_30default_config_static_selectorELNS0_4arch9wavefront6targetE1EEEvT1_
; %bb.0:
	.section	.rodata,"a",@progbits
	.p2align	6, 0x0
	.amdhsa_kernel _ZN7rocprim17ROCPRIM_400000_NS6detail17trampoline_kernelINS0_14default_configENS1_20scan_config_selectorIN3c108BFloat16EEEZZNS1_9scan_implILNS1_25lookback_scan_determinismE0ELb0ELb0ES3_PKS6_PS6_S6_ZZZN2at6native31launch_logcumsumexp_cuda_kernelERKNSD_10TensorBaseESH_lENKUlvE_clEvENKUlvE4_clEvEUlS6_S6_E_S6_EEDaPvRmT3_T4_T5_mT6_P12ihipStream_tbENKUlT_T0_E_clISt17integral_constantIbLb0EESY_EEDaST_SU_EUlST_E_NS1_11comp_targetILNS1_3genE4ELNS1_11target_archE910ELNS1_3gpuE8ELNS1_3repE0EEENS1_30default_config_static_selectorELNS0_4arch9wavefront6targetE1EEEvT1_
		.amdhsa_group_segment_fixed_size 0
		.amdhsa_private_segment_fixed_size 0
		.amdhsa_kernarg_size 96
		.amdhsa_user_sgpr_count 2
		.amdhsa_user_sgpr_dispatch_ptr 0
		.amdhsa_user_sgpr_queue_ptr 0
		.amdhsa_user_sgpr_kernarg_segment_ptr 1
		.amdhsa_user_sgpr_dispatch_id 0
		.amdhsa_user_sgpr_kernarg_preload_length 0
		.amdhsa_user_sgpr_kernarg_preload_offset 0
		.amdhsa_user_sgpr_private_segment_size 0
		.amdhsa_uses_dynamic_stack 0
		.amdhsa_enable_private_segment 0
		.amdhsa_system_sgpr_workgroup_id_x 1
		.amdhsa_system_sgpr_workgroup_id_y 0
		.amdhsa_system_sgpr_workgroup_id_z 0
		.amdhsa_system_sgpr_workgroup_info 0
		.amdhsa_system_vgpr_workitem_id 0
		.amdhsa_next_free_vgpr 1
		.amdhsa_next_free_sgpr 0
		.amdhsa_accum_offset 4
		.amdhsa_reserve_vcc 0
		.amdhsa_float_round_mode_32 0
		.amdhsa_float_round_mode_16_64 0
		.amdhsa_float_denorm_mode_32 3
		.amdhsa_float_denorm_mode_16_64 3
		.amdhsa_dx10_clamp 1
		.amdhsa_ieee_mode 1
		.amdhsa_fp16_overflow 0
		.amdhsa_tg_split 0
		.amdhsa_exception_fp_ieee_invalid_op 0
		.amdhsa_exception_fp_denorm_src 0
		.amdhsa_exception_fp_ieee_div_zero 0
		.amdhsa_exception_fp_ieee_overflow 0
		.amdhsa_exception_fp_ieee_underflow 0
		.amdhsa_exception_fp_ieee_inexact 0
		.amdhsa_exception_int_div_zero 0
	.end_amdhsa_kernel
	.section	.text._ZN7rocprim17ROCPRIM_400000_NS6detail17trampoline_kernelINS0_14default_configENS1_20scan_config_selectorIN3c108BFloat16EEEZZNS1_9scan_implILNS1_25lookback_scan_determinismE0ELb0ELb0ES3_PKS6_PS6_S6_ZZZN2at6native31launch_logcumsumexp_cuda_kernelERKNSD_10TensorBaseESH_lENKUlvE_clEvENKUlvE4_clEvEUlS6_S6_E_S6_EEDaPvRmT3_T4_T5_mT6_P12ihipStream_tbENKUlT_T0_E_clISt17integral_constantIbLb0EESY_EEDaST_SU_EUlST_E_NS1_11comp_targetILNS1_3genE4ELNS1_11target_archE910ELNS1_3gpuE8ELNS1_3repE0EEENS1_30default_config_static_selectorELNS0_4arch9wavefront6targetE1EEEvT1_,"axG",@progbits,_ZN7rocprim17ROCPRIM_400000_NS6detail17trampoline_kernelINS0_14default_configENS1_20scan_config_selectorIN3c108BFloat16EEEZZNS1_9scan_implILNS1_25lookback_scan_determinismE0ELb0ELb0ES3_PKS6_PS6_S6_ZZZN2at6native31launch_logcumsumexp_cuda_kernelERKNSD_10TensorBaseESH_lENKUlvE_clEvENKUlvE4_clEvEUlS6_S6_E_S6_EEDaPvRmT3_T4_T5_mT6_P12ihipStream_tbENKUlT_T0_E_clISt17integral_constantIbLb0EESY_EEDaST_SU_EUlST_E_NS1_11comp_targetILNS1_3genE4ELNS1_11target_archE910ELNS1_3gpuE8ELNS1_3repE0EEENS1_30default_config_static_selectorELNS0_4arch9wavefront6targetE1EEEvT1_,comdat
.Lfunc_end440:
	.size	_ZN7rocprim17ROCPRIM_400000_NS6detail17trampoline_kernelINS0_14default_configENS1_20scan_config_selectorIN3c108BFloat16EEEZZNS1_9scan_implILNS1_25lookback_scan_determinismE0ELb0ELb0ES3_PKS6_PS6_S6_ZZZN2at6native31launch_logcumsumexp_cuda_kernelERKNSD_10TensorBaseESH_lENKUlvE_clEvENKUlvE4_clEvEUlS6_S6_E_S6_EEDaPvRmT3_T4_T5_mT6_P12ihipStream_tbENKUlT_T0_E_clISt17integral_constantIbLb0EESY_EEDaST_SU_EUlST_E_NS1_11comp_targetILNS1_3genE4ELNS1_11target_archE910ELNS1_3gpuE8ELNS1_3repE0EEENS1_30default_config_static_selectorELNS0_4arch9wavefront6targetE1EEEvT1_, .Lfunc_end440-_ZN7rocprim17ROCPRIM_400000_NS6detail17trampoline_kernelINS0_14default_configENS1_20scan_config_selectorIN3c108BFloat16EEEZZNS1_9scan_implILNS1_25lookback_scan_determinismE0ELb0ELb0ES3_PKS6_PS6_S6_ZZZN2at6native31launch_logcumsumexp_cuda_kernelERKNSD_10TensorBaseESH_lENKUlvE_clEvENKUlvE4_clEvEUlS6_S6_E_S6_EEDaPvRmT3_T4_T5_mT6_P12ihipStream_tbENKUlT_T0_E_clISt17integral_constantIbLb0EESY_EEDaST_SU_EUlST_E_NS1_11comp_targetILNS1_3genE4ELNS1_11target_archE910ELNS1_3gpuE8ELNS1_3repE0EEENS1_30default_config_static_selectorELNS0_4arch9wavefront6targetE1EEEvT1_
                                        ; -- End function
	.set _ZN7rocprim17ROCPRIM_400000_NS6detail17trampoline_kernelINS0_14default_configENS1_20scan_config_selectorIN3c108BFloat16EEEZZNS1_9scan_implILNS1_25lookback_scan_determinismE0ELb0ELb0ES3_PKS6_PS6_S6_ZZZN2at6native31launch_logcumsumexp_cuda_kernelERKNSD_10TensorBaseESH_lENKUlvE_clEvENKUlvE4_clEvEUlS6_S6_E_S6_EEDaPvRmT3_T4_T5_mT6_P12ihipStream_tbENKUlT_T0_E_clISt17integral_constantIbLb0EESY_EEDaST_SU_EUlST_E_NS1_11comp_targetILNS1_3genE4ELNS1_11target_archE910ELNS1_3gpuE8ELNS1_3repE0EEENS1_30default_config_static_selectorELNS0_4arch9wavefront6targetE1EEEvT1_.num_vgpr, 0
	.set _ZN7rocprim17ROCPRIM_400000_NS6detail17trampoline_kernelINS0_14default_configENS1_20scan_config_selectorIN3c108BFloat16EEEZZNS1_9scan_implILNS1_25lookback_scan_determinismE0ELb0ELb0ES3_PKS6_PS6_S6_ZZZN2at6native31launch_logcumsumexp_cuda_kernelERKNSD_10TensorBaseESH_lENKUlvE_clEvENKUlvE4_clEvEUlS6_S6_E_S6_EEDaPvRmT3_T4_T5_mT6_P12ihipStream_tbENKUlT_T0_E_clISt17integral_constantIbLb0EESY_EEDaST_SU_EUlST_E_NS1_11comp_targetILNS1_3genE4ELNS1_11target_archE910ELNS1_3gpuE8ELNS1_3repE0EEENS1_30default_config_static_selectorELNS0_4arch9wavefront6targetE1EEEvT1_.num_agpr, 0
	.set _ZN7rocprim17ROCPRIM_400000_NS6detail17trampoline_kernelINS0_14default_configENS1_20scan_config_selectorIN3c108BFloat16EEEZZNS1_9scan_implILNS1_25lookback_scan_determinismE0ELb0ELb0ES3_PKS6_PS6_S6_ZZZN2at6native31launch_logcumsumexp_cuda_kernelERKNSD_10TensorBaseESH_lENKUlvE_clEvENKUlvE4_clEvEUlS6_S6_E_S6_EEDaPvRmT3_T4_T5_mT6_P12ihipStream_tbENKUlT_T0_E_clISt17integral_constantIbLb0EESY_EEDaST_SU_EUlST_E_NS1_11comp_targetILNS1_3genE4ELNS1_11target_archE910ELNS1_3gpuE8ELNS1_3repE0EEENS1_30default_config_static_selectorELNS0_4arch9wavefront6targetE1EEEvT1_.numbered_sgpr, 0
	.set _ZN7rocprim17ROCPRIM_400000_NS6detail17trampoline_kernelINS0_14default_configENS1_20scan_config_selectorIN3c108BFloat16EEEZZNS1_9scan_implILNS1_25lookback_scan_determinismE0ELb0ELb0ES3_PKS6_PS6_S6_ZZZN2at6native31launch_logcumsumexp_cuda_kernelERKNSD_10TensorBaseESH_lENKUlvE_clEvENKUlvE4_clEvEUlS6_S6_E_S6_EEDaPvRmT3_T4_T5_mT6_P12ihipStream_tbENKUlT_T0_E_clISt17integral_constantIbLb0EESY_EEDaST_SU_EUlST_E_NS1_11comp_targetILNS1_3genE4ELNS1_11target_archE910ELNS1_3gpuE8ELNS1_3repE0EEENS1_30default_config_static_selectorELNS0_4arch9wavefront6targetE1EEEvT1_.num_named_barrier, 0
	.set _ZN7rocprim17ROCPRIM_400000_NS6detail17trampoline_kernelINS0_14default_configENS1_20scan_config_selectorIN3c108BFloat16EEEZZNS1_9scan_implILNS1_25lookback_scan_determinismE0ELb0ELb0ES3_PKS6_PS6_S6_ZZZN2at6native31launch_logcumsumexp_cuda_kernelERKNSD_10TensorBaseESH_lENKUlvE_clEvENKUlvE4_clEvEUlS6_S6_E_S6_EEDaPvRmT3_T4_T5_mT6_P12ihipStream_tbENKUlT_T0_E_clISt17integral_constantIbLb0EESY_EEDaST_SU_EUlST_E_NS1_11comp_targetILNS1_3genE4ELNS1_11target_archE910ELNS1_3gpuE8ELNS1_3repE0EEENS1_30default_config_static_selectorELNS0_4arch9wavefront6targetE1EEEvT1_.private_seg_size, 0
	.set _ZN7rocprim17ROCPRIM_400000_NS6detail17trampoline_kernelINS0_14default_configENS1_20scan_config_selectorIN3c108BFloat16EEEZZNS1_9scan_implILNS1_25lookback_scan_determinismE0ELb0ELb0ES3_PKS6_PS6_S6_ZZZN2at6native31launch_logcumsumexp_cuda_kernelERKNSD_10TensorBaseESH_lENKUlvE_clEvENKUlvE4_clEvEUlS6_S6_E_S6_EEDaPvRmT3_T4_T5_mT6_P12ihipStream_tbENKUlT_T0_E_clISt17integral_constantIbLb0EESY_EEDaST_SU_EUlST_E_NS1_11comp_targetILNS1_3genE4ELNS1_11target_archE910ELNS1_3gpuE8ELNS1_3repE0EEENS1_30default_config_static_selectorELNS0_4arch9wavefront6targetE1EEEvT1_.uses_vcc, 0
	.set _ZN7rocprim17ROCPRIM_400000_NS6detail17trampoline_kernelINS0_14default_configENS1_20scan_config_selectorIN3c108BFloat16EEEZZNS1_9scan_implILNS1_25lookback_scan_determinismE0ELb0ELb0ES3_PKS6_PS6_S6_ZZZN2at6native31launch_logcumsumexp_cuda_kernelERKNSD_10TensorBaseESH_lENKUlvE_clEvENKUlvE4_clEvEUlS6_S6_E_S6_EEDaPvRmT3_T4_T5_mT6_P12ihipStream_tbENKUlT_T0_E_clISt17integral_constantIbLb0EESY_EEDaST_SU_EUlST_E_NS1_11comp_targetILNS1_3genE4ELNS1_11target_archE910ELNS1_3gpuE8ELNS1_3repE0EEENS1_30default_config_static_selectorELNS0_4arch9wavefront6targetE1EEEvT1_.uses_flat_scratch, 0
	.set _ZN7rocprim17ROCPRIM_400000_NS6detail17trampoline_kernelINS0_14default_configENS1_20scan_config_selectorIN3c108BFloat16EEEZZNS1_9scan_implILNS1_25lookback_scan_determinismE0ELb0ELb0ES3_PKS6_PS6_S6_ZZZN2at6native31launch_logcumsumexp_cuda_kernelERKNSD_10TensorBaseESH_lENKUlvE_clEvENKUlvE4_clEvEUlS6_S6_E_S6_EEDaPvRmT3_T4_T5_mT6_P12ihipStream_tbENKUlT_T0_E_clISt17integral_constantIbLb0EESY_EEDaST_SU_EUlST_E_NS1_11comp_targetILNS1_3genE4ELNS1_11target_archE910ELNS1_3gpuE8ELNS1_3repE0EEENS1_30default_config_static_selectorELNS0_4arch9wavefront6targetE1EEEvT1_.has_dyn_sized_stack, 0
	.set _ZN7rocprim17ROCPRIM_400000_NS6detail17trampoline_kernelINS0_14default_configENS1_20scan_config_selectorIN3c108BFloat16EEEZZNS1_9scan_implILNS1_25lookback_scan_determinismE0ELb0ELb0ES3_PKS6_PS6_S6_ZZZN2at6native31launch_logcumsumexp_cuda_kernelERKNSD_10TensorBaseESH_lENKUlvE_clEvENKUlvE4_clEvEUlS6_S6_E_S6_EEDaPvRmT3_T4_T5_mT6_P12ihipStream_tbENKUlT_T0_E_clISt17integral_constantIbLb0EESY_EEDaST_SU_EUlST_E_NS1_11comp_targetILNS1_3genE4ELNS1_11target_archE910ELNS1_3gpuE8ELNS1_3repE0EEENS1_30default_config_static_selectorELNS0_4arch9wavefront6targetE1EEEvT1_.has_recursion, 0
	.set _ZN7rocprim17ROCPRIM_400000_NS6detail17trampoline_kernelINS0_14default_configENS1_20scan_config_selectorIN3c108BFloat16EEEZZNS1_9scan_implILNS1_25lookback_scan_determinismE0ELb0ELb0ES3_PKS6_PS6_S6_ZZZN2at6native31launch_logcumsumexp_cuda_kernelERKNSD_10TensorBaseESH_lENKUlvE_clEvENKUlvE4_clEvEUlS6_S6_E_S6_EEDaPvRmT3_T4_T5_mT6_P12ihipStream_tbENKUlT_T0_E_clISt17integral_constantIbLb0EESY_EEDaST_SU_EUlST_E_NS1_11comp_targetILNS1_3genE4ELNS1_11target_archE910ELNS1_3gpuE8ELNS1_3repE0EEENS1_30default_config_static_selectorELNS0_4arch9wavefront6targetE1EEEvT1_.has_indirect_call, 0
	.section	.AMDGPU.csdata,"",@progbits
; Kernel info:
; codeLenInByte = 0
; TotalNumSgprs: 6
; NumVgprs: 0
; NumAgprs: 0
; TotalNumVgprs: 0
; ScratchSize: 0
; MemoryBound: 0
; FloatMode: 240
; IeeeMode: 1
; LDSByteSize: 0 bytes/workgroup (compile time only)
; SGPRBlocks: 0
; VGPRBlocks: 0
; NumSGPRsForWavesPerEU: 6
; NumVGPRsForWavesPerEU: 1
; AccumOffset: 4
; Occupancy: 8
; WaveLimiterHint : 0
; COMPUTE_PGM_RSRC2:SCRATCH_EN: 0
; COMPUTE_PGM_RSRC2:USER_SGPR: 2
; COMPUTE_PGM_RSRC2:TRAP_HANDLER: 0
; COMPUTE_PGM_RSRC2:TGID_X_EN: 1
; COMPUTE_PGM_RSRC2:TGID_Y_EN: 0
; COMPUTE_PGM_RSRC2:TGID_Z_EN: 0
; COMPUTE_PGM_RSRC2:TIDIG_COMP_CNT: 0
; COMPUTE_PGM_RSRC3_GFX90A:ACCUM_OFFSET: 0
; COMPUTE_PGM_RSRC3_GFX90A:TG_SPLIT: 0
	.section	.text._ZN7rocprim17ROCPRIM_400000_NS6detail17trampoline_kernelINS0_14default_configENS1_20scan_config_selectorIN3c108BFloat16EEEZZNS1_9scan_implILNS1_25lookback_scan_determinismE0ELb0ELb0ES3_PKS6_PS6_S6_ZZZN2at6native31launch_logcumsumexp_cuda_kernelERKNSD_10TensorBaseESH_lENKUlvE_clEvENKUlvE4_clEvEUlS6_S6_E_S6_EEDaPvRmT3_T4_T5_mT6_P12ihipStream_tbENKUlT_T0_E_clISt17integral_constantIbLb0EESY_EEDaST_SU_EUlST_E_NS1_11comp_targetILNS1_3genE3ELNS1_11target_archE908ELNS1_3gpuE7ELNS1_3repE0EEENS1_30default_config_static_selectorELNS0_4arch9wavefront6targetE1EEEvT1_,"axG",@progbits,_ZN7rocprim17ROCPRIM_400000_NS6detail17trampoline_kernelINS0_14default_configENS1_20scan_config_selectorIN3c108BFloat16EEEZZNS1_9scan_implILNS1_25lookback_scan_determinismE0ELb0ELb0ES3_PKS6_PS6_S6_ZZZN2at6native31launch_logcumsumexp_cuda_kernelERKNSD_10TensorBaseESH_lENKUlvE_clEvENKUlvE4_clEvEUlS6_S6_E_S6_EEDaPvRmT3_T4_T5_mT6_P12ihipStream_tbENKUlT_T0_E_clISt17integral_constantIbLb0EESY_EEDaST_SU_EUlST_E_NS1_11comp_targetILNS1_3genE3ELNS1_11target_archE908ELNS1_3gpuE7ELNS1_3repE0EEENS1_30default_config_static_selectorELNS0_4arch9wavefront6targetE1EEEvT1_,comdat
	.globl	_ZN7rocprim17ROCPRIM_400000_NS6detail17trampoline_kernelINS0_14default_configENS1_20scan_config_selectorIN3c108BFloat16EEEZZNS1_9scan_implILNS1_25lookback_scan_determinismE0ELb0ELb0ES3_PKS6_PS6_S6_ZZZN2at6native31launch_logcumsumexp_cuda_kernelERKNSD_10TensorBaseESH_lENKUlvE_clEvENKUlvE4_clEvEUlS6_S6_E_S6_EEDaPvRmT3_T4_T5_mT6_P12ihipStream_tbENKUlT_T0_E_clISt17integral_constantIbLb0EESY_EEDaST_SU_EUlST_E_NS1_11comp_targetILNS1_3genE3ELNS1_11target_archE908ELNS1_3gpuE7ELNS1_3repE0EEENS1_30default_config_static_selectorELNS0_4arch9wavefront6targetE1EEEvT1_ ; -- Begin function _ZN7rocprim17ROCPRIM_400000_NS6detail17trampoline_kernelINS0_14default_configENS1_20scan_config_selectorIN3c108BFloat16EEEZZNS1_9scan_implILNS1_25lookback_scan_determinismE0ELb0ELb0ES3_PKS6_PS6_S6_ZZZN2at6native31launch_logcumsumexp_cuda_kernelERKNSD_10TensorBaseESH_lENKUlvE_clEvENKUlvE4_clEvEUlS6_S6_E_S6_EEDaPvRmT3_T4_T5_mT6_P12ihipStream_tbENKUlT_T0_E_clISt17integral_constantIbLb0EESY_EEDaST_SU_EUlST_E_NS1_11comp_targetILNS1_3genE3ELNS1_11target_archE908ELNS1_3gpuE7ELNS1_3repE0EEENS1_30default_config_static_selectorELNS0_4arch9wavefront6targetE1EEEvT1_
	.p2align	8
	.type	_ZN7rocprim17ROCPRIM_400000_NS6detail17trampoline_kernelINS0_14default_configENS1_20scan_config_selectorIN3c108BFloat16EEEZZNS1_9scan_implILNS1_25lookback_scan_determinismE0ELb0ELb0ES3_PKS6_PS6_S6_ZZZN2at6native31launch_logcumsumexp_cuda_kernelERKNSD_10TensorBaseESH_lENKUlvE_clEvENKUlvE4_clEvEUlS6_S6_E_S6_EEDaPvRmT3_T4_T5_mT6_P12ihipStream_tbENKUlT_T0_E_clISt17integral_constantIbLb0EESY_EEDaST_SU_EUlST_E_NS1_11comp_targetILNS1_3genE3ELNS1_11target_archE908ELNS1_3gpuE7ELNS1_3repE0EEENS1_30default_config_static_selectorELNS0_4arch9wavefront6targetE1EEEvT1_,@function
_ZN7rocprim17ROCPRIM_400000_NS6detail17trampoline_kernelINS0_14default_configENS1_20scan_config_selectorIN3c108BFloat16EEEZZNS1_9scan_implILNS1_25lookback_scan_determinismE0ELb0ELb0ES3_PKS6_PS6_S6_ZZZN2at6native31launch_logcumsumexp_cuda_kernelERKNSD_10TensorBaseESH_lENKUlvE_clEvENKUlvE4_clEvEUlS6_S6_E_S6_EEDaPvRmT3_T4_T5_mT6_P12ihipStream_tbENKUlT_T0_E_clISt17integral_constantIbLb0EESY_EEDaST_SU_EUlST_E_NS1_11comp_targetILNS1_3genE3ELNS1_11target_archE908ELNS1_3gpuE7ELNS1_3repE0EEENS1_30default_config_static_selectorELNS0_4arch9wavefront6targetE1EEEvT1_: ; @_ZN7rocprim17ROCPRIM_400000_NS6detail17trampoline_kernelINS0_14default_configENS1_20scan_config_selectorIN3c108BFloat16EEEZZNS1_9scan_implILNS1_25lookback_scan_determinismE0ELb0ELb0ES3_PKS6_PS6_S6_ZZZN2at6native31launch_logcumsumexp_cuda_kernelERKNSD_10TensorBaseESH_lENKUlvE_clEvENKUlvE4_clEvEUlS6_S6_E_S6_EEDaPvRmT3_T4_T5_mT6_P12ihipStream_tbENKUlT_T0_E_clISt17integral_constantIbLb0EESY_EEDaST_SU_EUlST_E_NS1_11comp_targetILNS1_3genE3ELNS1_11target_archE908ELNS1_3gpuE7ELNS1_3repE0EEENS1_30default_config_static_selectorELNS0_4arch9wavefront6targetE1EEEvT1_
; %bb.0:
	.section	.rodata,"a",@progbits
	.p2align	6, 0x0
	.amdhsa_kernel _ZN7rocprim17ROCPRIM_400000_NS6detail17trampoline_kernelINS0_14default_configENS1_20scan_config_selectorIN3c108BFloat16EEEZZNS1_9scan_implILNS1_25lookback_scan_determinismE0ELb0ELb0ES3_PKS6_PS6_S6_ZZZN2at6native31launch_logcumsumexp_cuda_kernelERKNSD_10TensorBaseESH_lENKUlvE_clEvENKUlvE4_clEvEUlS6_S6_E_S6_EEDaPvRmT3_T4_T5_mT6_P12ihipStream_tbENKUlT_T0_E_clISt17integral_constantIbLb0EESY_EEDaST_SU_EUlST_E_NS1_11comp_targetILNS1_3genE3ELNS1_11target_archE908ELNS1_3gpuE7ELNS1_3repE0EEENS1_30default_config_static_selectorELNS0_4arch9wavefront6targetE1EEEvT1_
		.amdhsa_group_segment_fixed_size 0
		.amdhsa_private_segment_fixed_size 0
		.amdhsa_kernarg_size 96
		.amdhsa_user_sgpr_count 2
		.amdhsa_user_sgpr_dispatch_ptr 0
		.amdhsa_user_sgpr_queue_ptr 0
		.amdhsa_user_sgpr_kernarg_segment_ptr 1
		.amdhsa_user_sgpr_dispatch_id 0
		.amdhsa_user_sgpr_kernarg_preload_length 0
		.amdhsa_user_sgpr_kernarg_preload_offset 0
		.amdhsa_user_sgpr_private_segment_size 0
		.amdhsa_uses_dynamic_stack 0
		.amdhsa_enable_private_segment 0
		.amdhsa_system_sgpr_workgroup_id_x 1
		.amdhsa_system_sgpr_workgroup_id_y 0
		.amdhsa_system_sgpr_workgroup_id_z 0
		.amdhsa_system_sgpr_workgroup_info 0
		.amdhsa_system_vgpr_workitem_id 0
		.amdhsa_next_free_vgpr 1
		.amdhsa_next_free_sgpr 0
		.amdhsa_accum_offset 4
		.amdhsa_reserve_vcc 0
		.amdhsa_float_round_mode_32 0
		.amdhsa_float_round_mode_16_64 0
		.amdhsa_float_denorm_mode_32 3
		.amdhsa_float_denorm_mode_16_64 3
		.amdhsa_dx10_clamp 1
		.amdhsa_ieee_mode 1
		.amdhsa_fp16_overflow 0
		.amdhsa_tg_split 0
		.amdhsa_exception_fp_ieee_invalid_op 0
		.amdhsa_exception_fp_denorm_src 0
		.amdhsa_exception_fp_ieee_div_zero 0
		.amdhsa_exception_fp_ieee_overflow 0
		.amdhsa_exception_fp_ieee_underflow 0
		.amdhsa_exception_fp_ieee_inexact 0
		.amdhsa_exception_int_div_zero 0
	.end_amdhsa_kernel
	.section	.text._ZN7rocprim17ROCPRIM_400000_NS6detail17trampoline_kernelINS0_14default_configENS1_20scan_config_selectorIN3c108BFloat16EEEZZNS1_9scan_implILNS1_25lookback_scan_determinismE0ELb0ELb0ES3_PKS6_PS6_S6_ZZZN2at6native31launch_logcumsumexp_cuda_kernelERKNSD_10TensorBaseESH_lENKUlvE_clEvENKUlvE4_clEvEUlS6_S6_E_S6_EEDaPvRmT3_T4_T5_mT6_P12ihipStream_tbENKUlT_T0_E_clISt17integral_constantIbLb0EESY_EEDaST_SU_EUlST_E_NS1_11comp_targetILNS1_3genE3ELNS1_11target_archE908ELNS1_3gpuE7ELNS1_3repE0EEENS1_30default_config_static_selectorELNS0_4arch9wavefront6targetE1EEEvT1_,"axG",@progbits,_ZN7rocprim17ROCPRIM_400000_NS6detail17trampoline_kernelINS0_14default_configENS1_20scan_config_selectorIN3c108BFloat16EEEZZNS1_9scan_implILNS1_25lookback_scan_determinismE0ELb0ELb0ES3_PKS6_PS6_S6_ZZZN2at6native31launch_logcumsumexp_cuda_kernelERKNSD_10TensorBaseESH_lENKUlvE_clEvENKUlvE4_clEvEUlS6_S6_E_S6_EEDaPvRmT3_T4_T5_mT6_P12ihipStream_tbENKUlT_T0_E_clISt17integral_constantIbLb0EESY_EEDaST_SU_EUlST_E_NS1_11comp_targetILNS1_3genE3ELNS1_11target_archE908ELNS1_3gpuE7ELNS1_3repE0EEENS1_30default_config_static_selectorELNS0_4arch9wavefront6targetE1EEEvT1_,comdat
.Lfunc_end441:
	.size	_ZN7rocprim17ROCPRIM_400000_NS6detail17trampoline_kernelINS0_14default_configENS1_20scan_config_selectorIN3c108BFloat16EEEZZNS1_9scan_implILNS1_25lookback_scan_determinismE0ELb0ELb0ES3_PKS6_PS6_S6_ZZZN2at6native31launch_logcumsumexp_cuda_kernelERKNSD_10TensorBaseESH_lENKUlvE_clEvENKUlvE4_clEvEUlS6_S6_E_S6_EEDaPvRmT3_T4_T5_mT6_P12ihipStream_tbENKUlT_T0_E_clISt17integral_constantIbLb0EESY_EEDaST_SU_EUlST_E_NS1_11comp_targetILNS1_3genE3ELNS1_11target_archE908ELNS1_3gpuE7ELNS1_3repE0EEENS1_30default_config_static_selectorELNS0_4arch9wavefront6targetE1EEEvT1_, .Lfunc_end441-_ZN7rocprim17ROCPRIM_400000_NS6detail17trampoline_kernelINS0_14default_configENS1_20scan_config_selectorIN3c108BFloat16EEEZZNS1_9scan_implILNS1_25lookback_scan_determinismE0ELb0ELb0ES3_PKS6_PS6_S6_ZZZN2at6native31launch_logcumsumexp_cuda_kernelERKNSD_10TensorBaseESH_lENKUlvE_clEvENKUlvE4_clEvEUlS6_S6_E_S6_EEDaPvRmT3_T4_T5_mT6_P12ihipStream_tbENKUlT_T0_E_clISt17integral_constantIbLb0EESY_EEDaST_SU_EUlST_E_NS1_11comp_targetILNS1_3genE3ELNS1_11target_archE908ELNS1_3gpuE7ELNS1_3repE0EEENS1_30default_config_static_selectorELNS0_4arch9wavefront6targetE1EEEvT1_
                                        ; -- End function
	.set _ZN7rocprim17ROCPRIM_400000_NS6detail17trampoline_kernelINS0_14default_configENS1_20scan_config_selectorIN3c108BFloat16EEEZZNS1_9scan_implILNS1_25lookback_scan_determinismE0ELb0ELb0ES3_PKS6_PS6_S6_ZZZN2at6native31launch_logcumsumexp_cuda_kernelERKNSD_10TensorBaseESH_lENKUlvE_clEvENKUlvE4_clEvEUlS6_S6_E_S6_EEDaPvRmT3_T4_T5_mT6_P12ihipStream_tbENKUlT_T0_E_clISt17integral_constantIbLb0EESY_EEDaST_SU_EUlST_E_NS1_11comp_targetILNS1_3genE3ELNS1_11target_archE908ELNS1_3gpuE7ELNS1_3repE0EEENS1_30default_config_static_selectorELNS0_4arch9wavefront6targetE1EEEvT1_.num_vgpr, 0
	.set _ZN7rocprim17ROCPRIM_400000_NS6detail17trampoline_kernelINS0_14default_configENS1_20scan_config_selectorIN3c108BFloat16EEEZZNS1_9scan_implILNS1_25lookback_scan_determinismE0ELb0ELb0ES3_PKS6_PS6_S6_ZZZN2at6native31launch_logcumsumexp_cuda_kernelERKNSD_10TensorBaseESH_lENKUlvE_clEvENKUlvE4_clEvEUlS6_S6_E_S6_EEDaPvRmT3_T4_T5_mT6_P12ihipStream_tbENKUlT_T0_E_clISt17integral_constantIbLb0EESY_EEDaST_SU_EUlST_E_NS1_11comp_targetILNS1_3genE3ELNS1_11target_archE908ELNS1_3gpuE7ELNS1_3repE0EEENS1_30default_config_static_selectorELNS0_4arch9wavefront6targetE1EEEvT1_.num_agpr, 0
	.set _ZN7rocprim17ROCPRIM_400000_NS6detail17trampoline_kernelINS0_14default_configENS1_20scan_config_selectorIN3c108BFloat16EEEZZNS1_9scan_implILNS1_25lookback_scan_determinismE0ELb0ELb0ES3_PKS6_PS6_S6_ZZZN2at6native31launch_logcumsumexp_cuda_kernelERKNSD_10TensorBaseESH_lENKUlvE_clEvENKUlvE4_clEvEUlS6_S6_E_S6_EEDaPvRmT3_T4_T5_mT6_P12ihipStream_tbENKUlT_T0_E_clISt17integral_constantIbLb0EESY_EEDaST_SU_EUlST_E_NS1_11comp_targetILNS1_3genE3ELNS1_11target_archE908ELNS1_3gpuE7ELNS1_3repE0EEENS1_30default_config_static_selectorELNS0_4arch9wavefront6targetE1EEEvT1_.numbered_sgpr, 0
	.set _ZN7rocprim17ROCPRIM_400000_NS6detail17trampoline_kernelINS0_14default_configENS1_20scan_config_selectorIN3c108BFloat16EEEZZNS1_9scan_implILNS1_25lookback_scan_determinismE0ELb0ELb0ES3_PKS6_PS6_S6_ZZZN2at6native31launch_logcumsumexp_cuda_kernelERKNSD_10TensorBaseESH_lENKUlvE_clEvENKUlvE4_clEvEUlS6_S6_E_S6_EEDaPvRmT3_T4_T5_mT6_P12ihipStream_tbENKUlT_T0_E_clISt17integral_constantIbLb0EESY_EEDaST_SU_EUlST_E_NS1_11comp_targetILNS1_3genE3ELNS1_11target_archE908ELNS1_3gpuE7ELNS1_3repE0EEENS1_30default_config_static_selectorELNS0_4arch9wavefront6targetE1EEEvT1_.num_named_barrier, 0
	.set _ZN7rocprim17ROCPRIM_400000_NS6detail17trampoline_kernelINS0_14default_configENS1_20scan_config_selectorIN3c108BFloat16EEEZZNS1_9scan_implILNS1_25lookback_scan_determinismE0ELb0ELb0ES3_PKS6_PS6_S6_ZZZN2at6native31launch_logcumsumexp_cuda_kernelERKNSD_10TensorBaseESH_lENKUlvE_clEvENKUlvE4_clEvEUlS6_S6_E_S6_EEDaPvRmT3_T4_T5_mT6_P12ihipStream_tbENKUlT_T0_E_clISt17integral_constantIbLb0EESY_EEDaST_SU_EUlST_E_NS1_11comp_targetILNS1_3genE3ELNS1_11target_archE908ELNS1_3gpuE7ELNS1_3repE0EEENS1_30default_config_static_selectorELNS0_4arch9wavefront6targetE1EEEvT1_.private_seg_size, 0
	.set _ZN7rocprim17ROCPRIM_400000_NS6detail17trampoline_kernelINS0_14default_configENS1_20scan_config_selectorIN3c108BFloat16EEEZZNS1_9scan_implILNS1_25lookback_scan_determinismE0ELb0ELb0ES3_PKS6_PS6_S6_ZZZN2at6native31launch_logcumsumexp_cuda_kernelERKNSD_10TensorBaseESH_lENKUlvE_clEvENKUlvE4_clEvEUlS6_S6_E_S6_EEDaPvRmT3_T4_T5_mT6_P12ihipStream_tbENKUlT_T0_E_clISt17integral_constantIbLb0EESY_EEDaST_SU_EUlST_E_NS1_11comp_targetILNS1_3genE3ELNS1_11target_archE908ELNS1_3gpuE7ELNS1_3repE0EEENS1_30default_config_static_selectorELNS0_4arch9wavefront6targetE1EEEvT1_.uses_vcc, 0
	.set _ZN7rocprim17ROCPRIM_400000_NS6detail17trampoline_kernelINS0_14default_configENS1_20scan_config_selectorIN3c108BFloat16EEEZZNS1_9scan_implILNS1_25lookback_scan_determinismE0ELb0ELb0ES3_PKS6_PS6_S6_ZZZN2at6native31launch_logcumsumexp_cuda_kernelERKNSD_10TensorBaseESH_lENKUlvE_clEvENKUlvE4_clEvEUlS6_S6_E_S6_EEDaPvRmT3_T4_T5_mT6_P12ihipStream_tbENKUlT_T0_E_clISt17integral_constantIbLb0EESY_EEDaST_SU_EUlST_E_NS1_11comp_targetILNS1_3genE3ELNS1_11target_archE908ELNS1_3gpuE7ELNS1_3repE0EEENS1_30default_config_static_selectorELNS0_4arch9wavefront6targetE1EEEvT1_.uses_flat_scratch, 0
	.set _ZN7rocprim17ROCPRIM_400000_NS6detail17trampoline_kernelINS0_14default_configENS1_20scan_config_selectorIN3c108BFloat16EEEZZNS1_9scan_implILNS1_25lookback_scan_determinismE0ELb0ELb0ES3_PKS6_PS6_S6_ZZZN2at6native31launch_logcumsumexp_cuda_kernelERKNSD_10TensorBaseESH_lENKUlvE_clEvENKUlvE4_clEvEUlS6_S6_E_S6_EEDaPvRmT3_T4_T5_mT6_P12ihipStream_tbENKUlT_T0_E_clISt17integral_constantIbLb0EESY_EEDaST_SU_EUlST_E_NS1_11comp_targetILNS1_3genE3ELNS1_11target_archE908ELNS1_3gpuE7ELNS1_3repE0EEENS1_30default_config_static_selectorELNS0_4arch9wavefront6targetE1EEEvT1_.has_dyn_sized_stack, 0
	.set _ZN7rocprim17ROCPRIM_400000_NS6detail17trampoline_kernelINS0_14default_configENS1_20scan_config_selectorIN3c108BFloat16EEEZZNS1_9scan_implILNS1_25lookback_scan_determinismE0ELb0ELb0ES3_PKS6_PS6_S6_ZZZN2at6native31launch_logcumsumexp_cuda_kernelERKNSD_10TensorBaseESH_lENKUlvE_clEvENKUlvE4_clEvEUlS6_S6_E_S6_EEDaPvRmT3_T4_T5_mT6_P12ihipStream_tbENKUlT_T0_E_clISt17integral_constantIbLb0EESY_EEDaST_SU_EUlST_E_NS1_11comp_targetILNS1_3genE3ELNS1_11target_archE908ELNS1_3gpuE7ELNS1_3repE0EEENS1_30default_config_static_selectorELNS0_4arch9wavefront6targetE1EEEvT1_.has_recursion, 0
	.set _ZN7rocprim17ROCPRIM_400000_NS6detail17trampoline_kernelINS0_14default_configENS1_20scan_config_selectorIN3c108BFloat16EEEZZNS1_9scan_implILNS1_25lookback_scan_determinismE0ELb0ELb0ES3_PKS6_PS6_S6_ZZZN2at6native31launch_logcumsumexp_cuda_kernelERKNSD_10TensorBaseESH_lENKUlvE_clEvENKUlvE4_clEvEUlS6_S6_E_S6_EEDaPvRmT3_T4_T5_mT6_P12ihipStream_tbENKUlT_T0_E_clISt17integral_constantIbLb0EESY_EEDaST_SU_EUlST_E_NS1_11comp_targetILNS1_3genE3ELNS1_11target_archE908ELNS1_3gpuE7ELNS1_3repE0EEENS1_30default_config_static_selectorELNS0_4arch9wavefront6targetE1EEEvT1_.has_indirect_call, 0
	.section	.AMDGPU.csdata,"",@progbits
; Kernel info:
; codeLenInByte = 0
; TotalNumSgprs: 6
; NumVgprs: 0
; NumAgprs: 0
; TotalNumVgprs: 0
; ScratchSize: 0
; MemoryBound: 0
; FloatMode: 240
; IeeeMode: 1
; LDSByteSize: 0 bytes/workgroup (compile time only)
; SGPRBlocks: 0
; VGPRBlocks: 0
; NumSGPRsForWavesPerEU: 6
; NumVGPRsForWavesPerEU: 1
; AccumOffset: 4
; Occupancy: 8
; WaveLimiterHint : 0
; COMPUTE_PGM_RSRC2:SCRATCH_EN: 0
; COMPUTE_PGM_RSRC2:USER_SGPR: 2
; COMPUTE_PGM_RSRC2:TRAP_HANDLER: 0
; COMPUTE_PGM_RSRC2:TGID_X_EN: 1
; COMPUTE_PGM_RSRC2:TGID_Y_EN: 0
; COMPUTE_PGM_RSRC2:TGID_Z_EN: 0
; COMPUTE_PGM_RSRC2:TIDIG_COMP_CNT: 0
; COMPUTE_PGM_RSRC3_GFX90A:ACCUM_OFFSET: 0
; COMPUTE_PGM_RSRC3_GFX90A:TG_SPLIT: 0
	.section	.text._ZN7rocprim17ROCPRIM_400000_NS6detail17trampoline_kernelINS0_14default_configENS1_20scan_config_selectorIN3c108BFloat16EEEZZNS1_9scan_implILNS1_25lookback_scan_determinismE0ELb0ELb0ES3_PKS6_PS6_S6_ZZZN2at6native31launch_logcumsumexp_cuda_kernelERKNSD_10TensorBaseESH_lENKUlvE_clEvENKUlvE4_clEvEUlS6_S6_E_S6_EEDaPvRmT3_T4_T5_mT6_P12ihipStream_tbENKUlT_T0_E_clISt17integral_constantIbLb0EESY_EEDaST_SU_EUlST_E_NS1_11comp_targetILNS1_3genE2ELNS1_11target_archE906ELNS1_3gpuE6ELNS1_3repE0EEENS1_30default_config_static_selectorELNS0_4arch9wavefront6targetE1EEEvT1_,"axG",@progbits,_ZN7rocprim17ROCPRIM_400000_NS6detail17trampoline_kernelINS0_14default_configENS1_20scan_config_selectorIN3c108BFloat16EEEZZNS1_9scan_implILNS1_25lookback_scan_determinismE0ELb0ELb0ES3_PKS6_PS6_S6_ZZZN2at6native31launch_logcumsumexp_cuda_kernelERKNSD_10TensorBaseESH_lENKUlvE_clEvENKUlvE4_clEvEUlS6_S6_E_S6_EEDaPvRmT3_T4_T5_mT6_P12ihipStream_tbENKUlT_T0_E_clISt17integral_constantIbLb0EESY_EEDaST_SU_EUlST_E_NS1_11comp_targetILNS1_3genE2ELNS1_11target_archE906ELNS1_3gpuE6ELNS1_3repE0EEENS1_30default_config_static_selectorELNS0_4arch9wavefront6targetE1EEEvT1_,comdat
	.globl	_ZN7rocprim17ROCPRIM_400000_NS6detail17trampoline_kernelINS0_14default_configENS1_20scan_config_selectorIN3c108BFloat16EEEZZNS1_9scan_implILNS1_25lookback_scan_determinismE0ELb0ELb0ES3_PKS6_PS6_S6_ZZZN2at6native31launch_logcumsumexp_cuda_kernelERKNSD_10TensorBaseESH_lENKUlvE_clEvENKUlvE4_clEvEUlS6_S6_E_S6_EEDaPvRmT3_T4_T5_mT6_P12ihipStream_tbENKUlT_T0_E_clISt17integral_constantIbLb0EESY_EEDaST_SU_EUlST_E_NS1_11comp_targetILNS1_3genE2ELNS1_11target_archE906ELNS1_3gpuE6ELNS1_3repE0EEENS1_30default_config_static_selectorELNS0_4arch9wavefront6targetE1EEEvT1_ ; -- Begin function _ZN7rocprim17ROCPRIM_400000_NS6detail17trampoline_kernelINS0_14default_configENS1_20scan_config_selectorIN3c108BFloat16EEEZZNS1_9scan_implILNS1_25lookback_scan_determinismE0ELb0ELb0ES3_PKS6_PS6_S6_ZZZN2at6native31launch_logcumsumexp_cuda_kernelERKNSD_10TensorBaseESH_lENKUlvE_clEvENKUlvE4_clEvEUlS6_S6_E_S6_EEDaPvRmT3_T4_T5_mT6_P12ihipStream_tbENKUlT_T0_E_clISt17integral_constantIbLb0EESY_EEDaST_SU_EUlST_E_NS1_11comp_targetILNS1_3genE2ELNS1_11target_archE906ELNS1_3gpuE6ELNS1_3repE0EEENS1_30default_config_static_selectorELNS0_4arch9wavefront6targetE1EEEvT1_
	.p2align	8
	.type	_ZN7rocprim17ROCPRIM_400000_NS6detail17trampoline_kernelINS0_14default_configENS1_20scan_config_selectorIN3c108BFloat16EEEZZNS1_9scan_implILNS1_25lookback_scan_determinismE0ELb0ELb0ES3_PKS6_PS6_S6_ZZZN2at6native31launch_logcumsumexp_cuda_kernelERKNSD_10TensorBaseESH_lENKUlvE_clEvENKUlvE4_clEvEUlS6_S6_E_S6_EEDaPvRmT3_T4_T5_mT6_P12ihipStream_tbENKUlT_T0_E_clISt17integral_constantIbLb0EESY_EEDaST_SU_EUlST_E_NS1_11comp_targetILNS1_3genE2ELNS1_11target_archE906ELNS1_3gpuE6ELNS1_3repE0EEENS1_30default_config_static_selectorELNS0_4arch9wavefront6targetE1EEEvT1_,@function
_ZN7rocprim17ROCPRIM_400000_NS6detail17trampoline_kernelINS0_14default_configENS1_20scan_config_selectorIN3c108BFloat16EEEZZNS1_9scan_implILNS1_25lookback_scan_determinismE0ELb0ELb0ES3_PKS6_PS6_S6_ZZZN2at6native31launch_logcumsumexp_cuda_kernelERKNSD_10TensorBaseESH_lENKUlvE_clEvENKUlvE4_clEvEUlS6_S6_E_S6_EEDaPvRmT3_T4_T5_mT6_P12ihipStream_tbENKUlT_T0_E_clISt17integral_constantIbLb0EESY_EEDaST_SU_EUlST_E_NS1_11comp_targetILNS1_3genE2ELNS1_11target_archE906ELNS1_3gpuE6ELNS1_3repE0EEENS1_30default_config_static_selectorELNS0_4arch9wavefront6targetE1EEEvT1_: ; @_ZN7rocprim17ROCPRIM_400000_NS6detail17trampoline_kernelINS0_14default_configENS1_20scan_config_selectorIN3c108BFloat16EEEZZNS1_9scan_implILNS1_25lookback_scan_determinismE0ELb0ELb0ES3_PKS6_PS6_S6_ZZZN2at6native31launch_logcumsumexp_cuda_kernelERKNSD_10TensorBaseESH_lENKUlvE_clEvENKUlvE4_clEvEUlS6_S6_E_S6_EEDaPvRmT3_T4_T5_mT6_P12ihipStream_tbENKUlT_T0_E_clISt17integral_constantIbLb0EESY_EEDaST_SU_EUlST_E_NS1_11comp_targetILNS1_3genE2ELNS1_11target_archE906ELNS1_3gpuE6ELNS1_3repE0EEENS1_30default_config_static_selectorELNS0_4arch9wavefront6targetE1EEEvT1_
; %bb.0:
	.section	.rodata,"a",@progbits
	.p2align	6, 0x0
	.amdhsa_kernel _ZN7rocprim17ROCPRIM_400000_NS6detail17trampoline_kernelINS0_14default_configENS1_20scan_config_selectorIN3c108BFloat16EEEZZNS1_9scan_implILNS1_25lookback_scan_determinismE0ELb0ELb0ES3_PKS6_PS6_S6_ZZZN2at6native31launch_logcumsumexp_cuda_kernelERKNSD_10TensorBaseESH_lENKUlvE_clEvENKUlvE4_clEvEUlS6_S6_E_S6_EEDaPvRmT3_T4_T5_mT6_P12ihipStream_tbENKUlT_T0_E_clISt17integral_constantIbLb0EESY_EEDaST_SU_EUlST_E_NS1_11comp_targetILNS1_3genE2ELNS1_11target_archE906ELNS1_3gpuE6ELNS1_3repE0EEENS1_30default_config_static_selectorELNS0_4arch9wavefront6targetE1EEEvT1_
		.amdhsa_group_segment_fixed_size 0
		.amdhsa_private_segment_fixed_size 0
		.amdhsa_kernarg_size 96
		.amdhsa_user_sgpr_count 2
		.amdhsa_user_sgpr_dispatch_ptr 0
		.amdhsa_user_sgpr_queue_ptr 0
		.amdhsa_user_sgpr_kernarg_segment_ptr 1
		.amdhsa_user_sgpr_dispatch_id 0
		.amdhsa_user_sgpr_kernarg_preload_length 0
		.amdhsa_user_sgpr_kernarg_preload_offset 0
		.amdhsa_user_sgpr_private_segment_size 0
		.amdhsa_uses_dynamic_stack 0
		.amdhsa_enable_private_segment 0
		.amdhsa_system_sgpr_workgroup_id_x 1
		.amdhsa_system_sgpr_workgroup_id_y 0
		.amdhsa_system_sgpr_workgroup_id_z 0
		.amdhsa_system_sgpr_workgroup_info 0
		.amdhsa_system_vgpr_workitem_id 0
		.amdhsa_next_free_vgpr 1
		.amdhsa_next_free_sgpr 0
		.amdhsa_accum_offset 4
		.amdhsa_reserve_vcc 0
		.amdhsa_float_round_mode_32 0
		.amdhsa_float_round_mode_16_64 0
		.amdhsa_float_denorm_mode_32 3
		.amdhsa_float_denorm_mode_16_64 3
		.amdhsa_dx10_clamp 1
		.amdhsa_ieee_mode 1
		.amdhsa_fp16_overflow 0
		.amdhsa_tg_split 0
		.amdhsa_exception_fp_ieee_invalid_op 0
		.amdhsa_exception_fp_denorm_src 0
		.amdhsa_exception_fp_ieee_div_zero 0
		.amdhsa_exception_fp_ieee_overflow 0
		.amdhsa_exception_fp_ieee_underflow 0
		.amdhsa_exception_fp_ieee_inexact 0
		.amdhsa_exception_int_div_zero 0
	.end_amdhsa_kernel
	.section	.text._ZN7rocprim17ROCPRIM_400000_NS6detail17trampoline_kernelINS0_14default_configENS1_20scan_config_selectorIN3c108BFloat16EEEZZNS1_9scan_implILNS1_25lookback_scan_determinismE0ELb0ELb0ES3_PKS6_PS6_S6_ZZZN2at6native31launch_logcumsumexp_cuda_kernelERKNSD_10TensorBaseESH_lENKUlvE_clEvENKUlvE4_clEvEUlS6_S6_E_S6_EEDaPvRmT3_T4_T5_mT6_P12ihipStream_tbENKUlT_T0_E_clISt17integral_constantIbLb0EESY_EEDaST_SU_EUlST_E_NS1_11comp_targetILNS1_3genE2ELNS1_11target_archE906ELNS1_3gpuE6ELNS1_3repE0EEENS1_30default_config_static_selectorELNS0_4arch9wavefront6targetE1EEEvT1_,"axG",@progbits,_ZN7rocprim17ROCPRIM_400000_NS6detail17trampoline_kernelINS0_14default_configENS1_20scan_config_selectorIN3c108BFloat16EEEZZNS1_9scan_implILNS1_25lookback_scan_determinismE0ELb0ELb0ES3_PKS6_PS6_S6_ZZZN2at6native31launch_logcumsumexp_cuda_kernelERKNSD_10TensorBaseESH_lENKUlvE_clEvENKUlvE4_clEvEUlS6_S6_E_S6_EEDaPvRmT3_T4_T5_mT6_P12ihipStream_tbENKUlT_T0_E_clISt17integral_constantIbLb0EESY_EEDaST_SU_EUlST_E_NS1_11comp_targetILNS1_3genE2ELNS1_11target_archE906ELNS1_3gpuE6ELNS1_3repE0EEENS1_30default_config_static_selectorELNS0_4arch9wavefront6targetE1EEEvT1_,comdat
.Lfunc_end442:
	.size	_ZN7rocprim17ROCPRIM_400000_NS6detail17trampoline_kernelINS0_14default_configENS1_20scan_config_selectorIN3c108BFloat16EEEZZNS1_9scan_implILNS1_25lookback_scan_determinismE0ELb0ELb0ES3_PKS6_PS6_S6_ZZZN2at6native31launch_logcumsumexp_cuda_kernelERKNSD_10TensorBaseESH_lENKUlvE_clEvENKUlvE4_clEvEUlS6_S6_E_S6_EEDaPvRmT3_T4_T5_mT6_P12ihipStream_tbENKUlT_T0_E_clISt17integral_constantIbLb0EESY_EEDaST_SU_EUlST_E_NS1_11comp_targetILNS1_3genE2ELNS1_11target_archE906ELNS1_3gpuE6ELNS1_3repE0EEENS1_30default_config_static_selectorELNS0_4arch9wavefront6targetE1EEEvT1_, .Lfunc_end442-_ZN7rocprim17ROCPRIM_400000_NS6detail17trampoline_kernelINS0_14default_configENS1_20scan_config_selectorIN3c108BFloat16EEEZZNS1_9scan_implILNS1_25lookback_scan_determinismE0ELb0ELb0ES3_PKS6_PS6_S6_ZZZN2at6native31launch_logcumsumexp_cuda_kernelERKNSD_10TensorBaseESH_lENKUlvE_clEvENKUlvE4_clEvEUlS6_S6_E_S6_EEDaPvRmT3_T4_T5_mT6_P12ihipStream_tbENKUlT_T0_E_clISt17integral_constantIbLb0EESY_EEDaST_SU_EUlST_E_NS1_11comp_targetILNS1_3genE2ELNS1_11target_archE906ELNS1_3gpuE6ELNS1_3repE0EEENS1_30default_config_static_selectorELNS0_4arch9wavefront6targetE1EEEvT1_
                                        ; -- End function
	.set _ZN7rocprim17ROCPRIM_400000_NS6detail17trampoline_kernelINS0_14default_configENS1_20scan_config_selectorIN3c108BFloat16EEEZZNS1_9scan_implILNS1_25lookback_scan_determinismE0ELb0ELb0ES3_PKS6_PS6_S6_ZZZN2at6native31launch_logcumsumexp_cuda_kernelERKNSD_10TensorBaseESH_lENKUlvE_clEvENKUlvE4_clEvEUlS6_S6_E_S6_EEDaPvRmT3_T4_T5_mT6_P12ihipStream_tbENKUlT_T0_E_clISt17integral_constantIbLb0EESY_EEDaST_SU_EUlST_E_NS1_11comp_targetILNS1_3genE2ELNS1_11target_archE906ELNS1_3gpuE6ELNS1_3repE0EEENS1_30default_config_static_selectorELNS0_4arch9wavefront6targetE1EEEvT1_.num_vgpr, 0
	.set _ZN7rocprim17ROCPRIM_400000_NS6detail17trampoline_kernelINS0_14default_configENS1_20scan_config_selectorIN3c108BFloat16EEEZZNS1_9scan_implILNS1_25lookback_scan_determinismE0ELb0ELb0ES3_PKS6_PS6_S6_ZZZN2at6native31launch_logcumsumexp_cuda_kernelERKNSD_10TensorBaseESH_lENKUlvE_clEvENKUlvE4_clEvEUlS6_S6_E_S6_EEDaPvRmT3_T4_T5_mT6_P12ihipStream_tbENKUlT_T0_E_clISt17integral_constantIbLb0EESY_EEDaST_SU_EUlST_E_NS1_11comp_targetILNS1_3genE2ELNS1_11target_archE906ELNS1_3gpuE6ELNS1_3repE0EEENS1_30default_config_static_selectorELNS0_4arch9wavefront6targetE1EEEvT1_.num_agpr, 0
	.set _ZN7rocprim17ROCPRIM_400000_NS6detail17trampoline_kernelINS0_14default_configENS1_20scan_config_selectorIN3c108BFloat16EEEZZNS1_9scan_implILNS1_25lookback_scan_determinismE0ELb0ELb0ES3_PKS6_PS6_S6_ZZZN2at6native31launch_logcumsumexp_cuda_kernelERKNSD_10TensorBaseESH_lENKUlvE_clEvENKUlvE4_clEvEUlS6_S6_E_S6_EEDaPvRmT3_T4_T5_mT6_P12ihipStream_tbENKUlT_T0_E_clISt17integral_constantIbLb0EESY_EEDaST_SU_EUlST_E_NS1_11comp_targetILNS1_3genE2ELNS1_11target_archE906ELNS1_3gpuE6ELNS1_3repE0EEENS1_30default_config_static_selectorELNS0_4arch9wavefront6targetE1EEEvT1_.numbered_sgpr, 0
	.set _ZN7rocprim17ROCPRIM_400000_NS6detail17trampoline_kernelINS0_14default_configENS1_20scan_config_selectorIN3c108BFloat16EEEZZNS1_9scan_implILNS1_25lookback_scan_determinismE0ELb0ELb0ES3_PKS6_PS6_S6_ZZZN2at6native31launch_logcumsumexp_cuda_kernelERKNSD_10TensorBaseESH_lENKUlvE_clEvENKUlvE4_clEvEUlS6_S6_E_S6_EEDaPvRmT3_T4_T5_mT6_P12ihipStream_tbENKUlT_T0_E_clISt17integral_constantIbLb0EESY_EEDaST_SU_EUlST_E_NS1_11comp_targetILNS1_3genE2ELNS1_11target_archE906ELNS1_3gpuE6ELNS1_3repE0EEENS1_30default_config_static_selectorELNS0_4arch9wavefront6targetE1EEEvT1_.num_named_barrier, 0
	.set _ZN7rocprim17ROCPRIM_400000_NS6detail17trampoline_kernelINS0_14default_configENS1_20scan_config_selectorIN3c108BFloat16EEEZZNS1_9scan_implILNS1_25lookback_scan_determinismE0ELb0ELb0ES3_PKS6_PS6_S6_ZZZN2at6native31launch_logcumsumexp_cuda_kernelERKNSD_10TensorBaseESH_lENKUlvE_clEvENKUlvE4_clEvEUlS6_S6_E_S6_EEDaPvRmT3_T4_T5_mT6_P12ihipStream_tbENKUlT_T0_E_clISt17integral_constantIbLb0EESY_EEDaST_SU_EUlST_E_NS1_11comp_targetILNS1_3genE2ELNS1_11target_archE906ELNS1_3gpuE6ELNS1_3repE0EEENS1_30default_config_static_selectorELNS0_4arch9wavefront6targetE1EEEvT1_.private_seg_size, 0
	.set _ZN7rocprim17ROCPRIM_400000_NS6detail17trampoline_kernelINS0_14default_configENS1_20scan_config_selectorIN3c108BFloat16EEEZZNS1_9scan_implILNS1_25lookback_scan_determinismE0ELb0ELb0ES3_PKS6_PS6_S6_ZZZN2at6native31launch_logcumsumexp_cuda_kernelERKNSD_10TensorBaseESH_lENKUlvE_clEvENKUlvE4_clEvEUlS6_S6_E_S6_EEDaPvRmT3_T4_T5_mT6_P12ihipStream_tbENKUlT_T0_E_clISt17integral_constantIbLb0EESY_EEDaST_SU_EUlST_E_NS1_11comp_targetILNS1_3genE2ELNS1_11target_archE906ELNS1_3gpuE6ELNS1_3repE0EEENS1_30default_config_static_selectorELNS0_4arch9wavefront6targetE1EEEvT1_.uses_vcc, 0
	.set _ZN7rocprim17ROCPRIM_400000_NS6detail17trampoline_kernelINS0_14default_configENS1_20scan_config_selectorIN3c108BFloat16EEEZZNS1_9scan_implILNS1_25lookback_scan_determinismE0ELb0ELb0ES3_PKS6_PS6_S6_ZZZN2at6native31launch_logcumsumexp_cuda_kernelERKNSD_10TensorBaseESH_lENKUlvE_clEvENKUlvE4_clEvEUlS6_S6_E_S6_EEDaPvRmT3_T4_T5_mT6_P12ihipStream_tbENKUlT_T0_E_clISt17integral_constantIbLb0EESY_EEDaST_SU_EUlST_E_NS1_11comp_targetILNS1_3genE2ELNS1_11target_archE906ELNS1_3gpuE6ELNS1_3repE0EEENS1_30default_config_static_selectorELNS0_4arch9wavefront6targetE1EEEvT1_.uses_flat_scratch, 0
	.set _ZN7rocprim17ROCPRIM_400000_NS6detail17trampoline_kernelINS0_14default_configENS1_20scan_config_selectorIN3c108BFloat16EEEZZNS1_9scan_implILNS1_25lookback_scan_determinismE0ELb0ELb0ES3_PKS6_PS6_S6_ZZZN2at6native31launch_logcumsumexp_cuda_kernelERKNSD_10TensorBaseESH_lENKUlvE_clEvENKUlvE4_clEvEUlS6_S6_E_S6_EEDaPvRmT3_T4_T5_mT6_P12ihipStream_tbENKUlT_T0_E_clISt17integral_constantIbLb0EESY_EEDaST_SU_EUlST_E_NS1_11comp_targetILNS1_3genE2ELNS1_11target_archE906ELNS1_3gpuE6ELNS1_3repE0EEENS1_30default_config_static_selectorELNS0_4arch9wavefront6targetE1EEEvT1_.has_dyn_sized_stack, 0
	.set _ZN7rocprim17ROCPRIM_400000_NS6detail17trampoline_kernelINS0_14default_configENS1_20scan_config_selectorIN3c108BFloat16EEEZZNS1_9scan_implILNS1_25lookback_scan_determinismE0ELb0ELb0ES3_PKS6_PS6_S6_ZZZN2at6native31launch_logcumsumexp_cuda_kernelERKNSD_10TensorBaseESH_lENKUlvE_clEvENKUlvE4_clEvEUlS6_S6_E_S6_EEDaPvRmT3_T4_T5_mT6_P12ihipStream_tbENKUlT_T0_E_clISt17integral_constantIbLb0EESY_EEDaST_SU_EUlST_E_NS1_11comp_targetILNS1_3genE2ELNS1_11target_archE906ELNS1_3gpuE6ELNS1_3repE0EEENS1_30default_config_static_selectorELNS0_4arch9wavefront6targetE1EEEvT1_.has_recursion, 0
	.set _ZN7rocprim17ROCPRIM_400000_NS6detail17trampoline_kernelINS0_14default_configENS1_20scan_config_selectorIN3c108BFloat16EEEZZNS1_9scan_implILNS1_25lookback_scan_determinismE0ELb0ELb0ES3_PKS6_PS6_S6_ZZZN2at6native31launch_logcumsumexp_cuda_kernelERKNSD_10TensorBaseESH_lENKUlvE_clEvENKUlvE4_clEvEUlS6_S6_E_S6_EEDaPvRmT3_T4_T5_mT6_P12ihipStream_tbENKUlT_T0_E_clISt17integral_constantIbLb0EESY_EEDaST_SU_EUlST_E_NS1_11comp_targetILNS1_3genE2ELNS1_11target_archE906ELNS1_3gpuE6ELNS1_3repE0EEENS1_30default_config_static_selectorELNS0_4arch9wavefront6targetE1EEEvT1_.has_indirect_call, 0
	.section	.AMDGPU.csdata,"",@progbits
; Kernel info:
; codeLenInByte = 0
; TotalNumSgprs: 6
; NumVgprs: 0
; NumAgprs: 0
; TotalNumVgprs: 0
; ScratchSize: 0
; MemoryBound: 0
; FloatMode: 240
; IeeeMode: 1
; LDSByteSize: 0 bytes/workgroup (compile time only)
; SGPRBlocks: 0
; VGPRBlocks: 0
; NumSGPRsForWavesPerEU: 6
; NumVGPRsForWavesPerEU: 1
; AccumOffset: 4
; Occupancy: 8
; WaveLimiterHint : 0
; COMPUTE_PGM_RSRC2:SCRATCH_EN: 0
; COMPUTE_PGM_RSRC2:USER_SGPR: 2
; COMPUTE_PGM_RSRC2:TRAP_HANDLER: 0
; COMPUTE_PGM_RSRC2:TGID_X_EN: 1
; COMPUTE_PGM_RSRC2:TGID_Y_EN: 0
; COMPUTE_PGM_RSRC2:TGID_Z_EN: 0
; COMPUTE_PGM_RSRC2:TIDIG_COMP_CNT: 0
; COMPUTE_PGM_RSRC3_GFX90A:ACCUM_OFFSET: 0
; COMPUTE_PGM_RSRC3_GFX90A:TG_SPLIT: 0
	.section	.text._ZN7rocprim17ROCPRIM_400000_NS6detail17trampoline_kernelINS0_14default_configENS1_20scan_config_selectorIN3c108BFloat16EEEZZNS1_9scan_implILNS1_25lookback_scan_determinismE0ELb0ELb0ES3_PKS6_PS6_S6_ZZZN2at6native31launch_logcumsumexp_cuda_kernelERKNSD_10TensorBaseESH_lENKUlvE_clEvENKUlvE4_clEvEUlS6_S6_E_S6_EEDaPvRmT3_T4_T5_mT6_P12ihipStream_tbENKUlT_T0_E_clISt17integral_constantIbLb0EESY_EEDaST_SU_EUlST_E_NS1_11comp_targetILNS1_3genE10ELNS1_11target_archE1201ELNS1_3gpuE5ELNS1_3repE0EEENS1_30default_config_static_selectorELNS0_4arch9wavefront6targetE1EEEvT1_,"axG",@progbits,_ZN7rocprim17ROCPRIM_400000_NS6detail17trampoline_kernelINS0_14default_configENS1_20scan_config_selectorIN3c108BFloat16EEEZZNS1_9scan_implILNS1_25lookback_scan_determinismE0ELb0ELb0ES3_PKS6_PS6_S6_ZZZN2at6native31launch_logcumsumexp_cuda_kernelERKNSD_10TensorBaseESH_lENKUlvE_clEvENKUlvE4_clEvEUlS6_S6_E_S6_EEDaPvRmT3_T4_T5_mT6_P12ihipStream_tbENKUlT_T0_E_clISt17integral_constantIbLb0EESY_EEDaST_SU_EUlST_E_NS1_11comp_targetILNS1_3genE10ELNS1_11target_archE1201ELNS1_3gpuE5ELNS1_3repE0EEENS1_30default_config_static_selectorELNS0_4arch9wavefront6targetE1EEEvT1_,comdat
	.globl	_ZN7rocprim17ROCPRIM_400000_NS6detail17trampoline_kernelINS0_14default_configENS1_20scan_config_selectorIN3c108BFloat16EEEZZNS1_9scan_implILNS1_25lookback_scan_determinismE0ELb0ELb0ES3_PKS6_PS6_S6_ZZZN2at6native31launch_logcumsumexp_cuda_kernelERKNSD_10TensorBaseESH_lENKUlvE_clEvENKUlvE4_clEvEUlS6_S6_E_S6_EEDaPvRmT3_T4_T5_mT6_P12ihipStream_tbENKUlT_T0_E_clISt17integral_constantIbLb0EESY_EEDaST_SU_EUlST_E_NS1_11comp_targetILNS1_3genE10ELNS1_11target_archE1201ELNS1_3gpuE5ELNS1_3repE0EEENS1_30default_config_static_selectorELNS0_4arch9wavefront6targetE1EEEvT1_ ; -- Begin function _ZN7rocprim17ROCPRIM_400000_NS6detail17trampoline_kernelINS0_14default_configENS1_20scan_config_selectorIN3c108BFloat16EEEZZNS1_9scan_implILNS1_25lookback_scan_determinismE0ELb0ELb0ES3_PKS6_PS6_S6_ZZZN2at6native31launch_logcumsumexp_cuda_kernelERKNSD_10TensorBaseESH_lENKUlvE_clEvENKUlvE4_clEvEUlS6_S6_E_S6_EEDaPvRmT3_T4_T5_mT6_P12ihipStream_tbENKUlT_T0_E_clISt17integral_constantIbLb0EESY_EEDaST_SU_EUlST_E_NS1_11comp_targetILNS1_3genE10ELNS1_11target_archE1201ELNS1_3gpuE5ELNS1_3repE0EEENS1_30default_config_static_selectorELNS0_4arch9wavefront6targetE1EEEvT1_
	.p2align	8
	.type	_ZN7rocprim17ROCPRIM_400000_NS6detail17trampoline_kernelINS0_14default_configENS1_20scan_config_selectorIN3c108BFloat16EEEZZNS1_9scan_implILNS1_25lookback_scan_determinismE0ELb0ELb0ES3_PKS6_PS6_S6_ZZZN2at6native31launch_logcumsumexp_cuda_kernelERKNSD_10TensorBaseESH_lENKUlvE_clEvENKUlvE4_clEvEUlS6_S6_E_S6_EEDaPvRmT3_T4_T5_mT6_P12ihipStream_tbENKUlT_T0_E_clISt17integral_constantIbLb0EESY_EEDaST_SU_EUlST_E_NS1_11comp_targetILNS1_3genE10ELNS1_11target_archE1201ELNS1_3gpuE5ELNS1_3repE0EEENS1_30default_config_static_selectorELNS0_4arch9wavefront6targetE1EEEvT1_,@function
_ZN7rocprim17ROCPRIM_400000_NS6detail17trampoline_kernelINS0_14default_configENS1_20scan_config_selectorIN3c108BFloat16EEEZZNS1_9scan_implILNS1_25lookback_scan_determinismE0ELb0ELb0ES3_PKS6_PS6_S6_ZZZN2at6native31launch_logcumsumexp_cuda_kernelERKNSD_10TensorBaseESH_lENKUlvE_clEvENKUlvE4_clEvEUlS6_S6_E_S6_EEDaPvRmT3_T4_T5_mT6_P12ihipStream_tbENKUlT_T0_E_clISt17integral_constantIbLb0EESY_EEDaST_SU_EUlST_E_NS1_11comp_targetILNS1_3genE10ELNS1_11target_archE1201ELNS1_3gpuE5ELNS1_3repE0EEENS1_30default_config_static_selectorELNS0_4arch9wavefront6targetE1EEEvT1_: ; @_ZN7rocprim17ROCPRIM_400000_NS6detail17trampoline_kernelINS0_14default_configENS1_20scan_config_selectorIN3c108BFloat16EEEZZNS1_9scan_implILNS1_25lookback_scan_determinismE0ELb0ELb0ES3_PKS6_PS6_S6_ZZZN2at6native31launch_logcumsumexp_cuda_kernelERKNSD_10TensorBaseESH_lENKUlvE_clEvENKUlvE4_clEvEUlS6_S6_E_S6_EEDaPvRmT3_T4_T5_mT6_P12ihipStream_tbENKUlT_T0_E_clISt17integral_constantIbLb0EESY_EEDaST_SU_EUlST_E_NS1_11comp_targetILNS1_3genE10ELNS1_11target_archE1201ELNS1_3gpuE5ELNS1_3repE0EEENS1_30default_config_static_selectorELNS0_4arch9wavefront6targetE1EEEvT1_
; %bb.0:
	.section	.rodata,"a",@progbits
	.p2align	6, 0x0
	.amdhsa_kernel _ZN7rocprim17ROCPRIM_400000_NS6detail17trampoline_kernelINS0_14default_configENS1_20scan_config_selectorIN3c108BFloat16EEEZZNS1_9scan_implILNS1_25lookback_scan_determinismE0ELb0ELb0ES3_PKS6_PS6_S6_ZZZN2at6native31launch_logcumsumexp_cuda_kernelERKNSD_10TensorBaseESH_lENKUlvE_clEvENKUlvE4_clEvEUlS6_S6_E_S6_EEDaPvRmT3_T4_T5_mT6_P12ihipStream_tbENKUlT_T0_E_clISt17integral_constantIbLb0EESY_EEDaST_SU_EUlST_E_NS1_11comp_targetILNS1_3genE10ELNS1_11target_archE1201ELNS1_3gpuE5ELNS1_3repE0EEENS1_30default_config_static_selectorELNS0_4arch9wavefront6targetE1EEEvT1_
		.amdhsa_group_segment_fixed_size 0
		.amdhsa_private_segment_fixed_size 0
		.amdhsa_kernarg_size 96
		.amdhsa_user_sgpr_count 2
		.amdhsa_user_sgpr_dispatch_ptr 0
		.amdhsa_user_sgpr_queue_ptr 0
		.amdhsa_user_sgpr_kernarg_segment_ptr 1
		.amdhsa_user_sgpr_dispatch_id 0
		.amdhsa_user_sgpr_kernarg_preload_length 0
		.amdhsa_user_sgpr_kernarg_preload_offset 0
		.amdhsa_user_sgpr_private_segment_size 0
		.amdhsa_uses_dynamic_stack 0
		.amdhsa_enable_private_segment 0
		.amdhsa_system_sgpr_workgroup_id_x 1
		.amdhsa_system_sgpr_workgroup_id_y 0
		.amdhsa_system_sgpr_workgroup_id_z 0
		.amdhsa_system_sgpr_workgroup_info 0
		.amdhsa_system_vgpr_workitem_id 0
		.amdhsa_next_free_vgpr 1
		.amdhsa_next_free_sgpr 0
		.amdhsa_accum_offset 4
		.amdhsa_reserve_vcc 0
		.amdhsa_float_round_mode_32 0
		.amdhsa_float_round_mode_16_64 0
		.amdhsa_float_denorm_mode_32 3
		.amdhsa_float_denorm_mode_16_64 3
		.amdhsa_dx10_clamp 1
		.amdhsa_ieee_mode 1
		.amdhsa_fp16_overflow 0
		.amdhsa_tg_split 0
		.amdhsa_exception_fp_ieee_invalid_op 0
		.amdhsa_exception_fp_denorm_src 0
		.amdhsa_exception_fp_ieee_div_zero 0
		.amdhsa_exception_fp_ieee_overflow 0
		.amdhsa_exception_fp_ieee_underflow 0
		.amdhsa_exception_fp_ieee_inexact 0
		.amdhsa_exception_int_div_zero 0
	.end_amdhsa_kernel
	.section	.text._ZN7rocprim17ROCPRIM_400000_NS6detail17trampoline_kernelINS0_14default_configENS1_20scan_config_selectorIN3c108BFloat16EEEZZNS1_9scan_implILNS1_25lookback_scan_determinismE0ELb0ELb0ES3_PKS6_PS6_S6_ZZZN2at6native31launch_logcumsumexp_cuda_kernelERKNSD_10TensorBaseESH_lENKUlvE_clEvENKUlvE4_clEvEUlS6_S6_E_S6_EEDaPvRmT3_T4_T5_mT6_P12ihipStream_tbENKUlT_T0_E_clISt17integral_constantIbLb0EESY_EEDaST_SU_EUlST_E_NS1_11comp_targetILNS1_3genE10ELNS1_11target_archE1201ELNS1_3gpuE5ELNS1_3repE0EEENS1_30default_config_static_selectorELNS0_4arch9wavefront6targetE1EEEvT1_,"axG",@progbits,_ZN7rocprim17ROCPRIM_400000_NS6detail17trampoline_kernelINS0_14default_configENS1_20scan_config_selectorIN3c108BFloat16EEEZZNS1_9scan_implILNS1_25lookback_scan_determinismE0ELb0ELb0ES3_PKS6_PS6_S6_ZZZN2at6native31launch_logcumsumexp_cuda_kernelERKNSD_10TensorBaseESH_lENKUlvE_clEvENKUlvE4_clEvEUlS6_S6_E_S6_EEDaPvRmT3_T4_T5_mT6_P12ihipStream_tbENKUlT_T0_E_clISt17integral_constantIbLb0EESY_EEDaST_SU_EUlST_E_NS1_11comp_targetILNS1_3genE10ELNS1_11target_archE1201ELNS1_3gpuE5ELNS1_3repE0EEENS1_30default_config_static_selectorELNS0_4arch9wavefront6targetE1EEEvT1_,comdat
.Lfunc_end443:
	.size	_ZN7rocprim17ROCPRIM_400000_NS6detail17trampoline_kernelINS0_14default_configENS1_20scan_config_selectorIN3c108BFloat16EEEZZNS1_9scan_implILNS1_25lookback_scan_determinismE0ELb0ELb0ES3_PKS6_PS6_S6_ZZZN2at6native31launch_logcumsumexp_cuda_kernelERKNSD_10TensorBaseESH_lENKUlvE_clEvENKUlvE4_clEvEUlS6_S6_E_S6_EEDaPvRmT3_T4_T5_mT6_P12ihipStream_tbENKUlT_T0_E_clISt17integral_constantIbLb0EESY_EEDaST_SU_EUlST_E_NS1_11comp_targetILNS1_3genE10ELNS1_11target_archE1201ELNS1_3gpuE5ELNS1_3repE0EEENS1_30default_config_static_selectorELNS0_4arch9wavefront6targetE1EEEvT1_, .Lfunc_end443-_ZN7rocprim17ROCPRIM_400000_NS6detail17trampoline_kernelINS0_14default_configENS1_20scan_config_selectorIN3c108BFloat16EEEZZNS1_9scan_implILNS1_25lookback_scan_determinismE0ELb0ELb0ES3_PKS6_PS6_S6_ZZZN2at6native31launch_logcumsumexp_cuda_kernelERKNSD_10TensorBaseESH_lENKUlvE_clEvENKUlvE4_clEvEUlS6_S6_E_S6_EEDaPvRmT3_T4_T5_mT6_P12ihipStream_tbENKUlT_T0_E_clISt17integral_constantIbLb0EESY_EEDaST_SU_EUlST_E_NS1_11comp_targetILNS1_3genE10ELNS1_11target_archE1201ELNS1_3gpuE5ELNS1_3repE0EEENS1_30default_config_static_selectorELNS0_4arch9wavefront6targetE1EEEvT1_
                                        ; -- End function
	.set _ZN7rocprim17ROCPRIM_400000_NS6detail17trampoline_kernelINS0_14default_configENS1_20scan_config_selectorIN3c108BFloat16EEEZZNS1_9scan_implILNS1_25lookback_scan_determinismE0ELb0ELb0ES3_PKS6_PS6_S6_ZZZN2at6native31launch_logcumsumexp_cuda_kernelERKNSD_10TensorBaseESH_lENKUlvE_clEvENKUlvE4_clEvEUlS6_S6_E_S6_EEDaPvRmT3_T4_T5_mT6_P12ihipStream_tbENKUlT_T0_E_clISt17integral_constantIbLb0EESY_EEDaST_SU_EUlST_E_NS1_11comp_targetILNS1_3genE10ELNS1_11target_archE1201ELNS1_3gpuE5ELNS1_3repE0EEENS1_30default_config_static_selectorELNS0_4arch9wavefront6targetE1EEEvT1_.num_vgpr, 0
	.set _ZN7rocprim17ROCPRIM_400000_NS6detail17trampoline_kernelINS0_14default_configENS1_20scan_config_selectorIN3c108BFloat16EEEZZNS1_9scan_implILNS1_25lookback_scan_determinismE0ELb0ELb0ES3_PKS6_PS6_S6_ZZZN2at6native31launch_logcumsumexp_cuda_kernelERKNSD_10TensorBaseESH_lENKUlvE_clEvENKUlvE4_clEvEUlS6_S6_E_S6_EEDaPvRmT3_T4_T5_mT6_P12ihipStream_tbENKUlT_T0_E_clISt17integral_constantIbLb0EESY_EEDaST_SU_EUlST_E_NS1_11comp_targetILNS1_3genE10ELNS1_11target_archE1201ELNS1_3gpuE5ELNS1_3repE0EEENS1_30default_config_static_selectorELNS0_4arch9wavefront6targetE1EEEvT1_.num_agpr, 0
	.set _ZN7rocprim17ROCPRIM_400000_NS6detail17trampoline_kernelINS0_14default_configENS1_20scan_config_selectorIN3c108BFloat16EEEZZNS1_9scan_implILNS1_25lookback_scan_determinismE0ELb0ELb0ES3_PKS6_PS6_S6_ZZZN2at6native31launch_logcumsumexp_cuda_kernelERKNSD_10TensorBaseESH_lENKUlvE_clEvENKUlvE4_clEvEUlS6_S6_E_S6_EEDaPvRmT3_T4_T5_mT6_P12ihipStream_tbENKUlT_T0_E_clISt17integral_constantIbLb0EESY_EEDaST_SU_EUlST_E_NS1_11comp_targetILNS1_3genE10ELNS1_11target_archE1201ELNS1_3gpuE5ELNS1_3repE0EEENS1_30default_config_static_selectorELNS0_4arch9wavefront6targetE1EEEvT1_.numbered_sgpr, 0
	.set _ZN7rocprim17ROCPRIM_400000_NS6detail17trampoline_kernelINS0_14default_configENS1_20scan_config_selectorIN3c108BFloat16EEEZZNS1_9scan_implILNS1_25lookback_scan_determinismE0ELb0ELb0ES3_PKS6_PS6_S6_ZZZN2at6native31launch_logcumsumexp_cuda_kernelERKNSD_10TensorBaseESH_lENKUlvE_clEvENKUlvE4_clEvEUlS6_S6_E_S6_EEDaPvRmT3_T4_T5_mT6_P12ihipStream_tbENKUlT_T0_E_clISt17integral_constantIbLb0EESY_EEDaST_SU_EUlST_E_NS1_11comp_targetILNS1_3genE10ELNS1_11target_archE1201ELNS1_3gpuE5ELNS1_3repE0EEENS1_30default_config_static_selectorELNS0_4arch9wavefront6targetE1EEEvT1_.num_named_barrier, 0
	.set _ZN7rocprim17ROCPRIM_400000_NS6detail17trampoline_kernelINS0_14default_configENS1_20scan_config_selectorIN3c108BFloat16EEEZZNS1_9scan_implILNS1_25lookback_scan_determinismE0ELb0ELb0ES3_PKS6_PS6_S6_ZZZN2at6native31launch_logcumsumexp_cuda_kernelERKNSD_10TensorBaseESH_lENKUlvE_clEvENKUlvE4_clEvEUlS6_S6_E_S6_EEDaPvRmT3_T4_T5_mT6_P12ihipStream_tbENKUlT_T0_E_clISt17integral_constantIbLb0EESY_EEDaST_SU_EUlST_E_NS1_11comp_targetILNS1_3genE10ELNS1_11target_archE1201ELNS1_3gpuE5ELNS1_3repE0EEENS1_30default_config_static_selectorELNS0_4arch9wavefront6targetE1EEEvT1_.private_seg_size, 0
	.set _ZN7rocprim17ROCPRIM_400000_NS6detail17trampoline_kernelINS0_14default_configENS1_20scan_config_selectorIN3c108BFloat16EEEZZNS1_9scan_implILNS1_25lookback_scan_determinismE0ELb0ELb0ES3_PKS6_PS6_S6_ZZZN2at6native31launch_logcumsumexp_cuda_kernelERKNSD_10TensorBaseESH_lENKUlvE_clEvENKUlvE4_clEvEUlS6_S6_E_S6_EEDaPvRmT3_T4_T5_mT6_P12ihipStream_tbENKUlT_T0_E_clISt17integral_constantIbLb0EESY_EEDaST_SU_EUlST_E_NS1_11comp_targetILNS1_3genE10ELNS1_11target_archE1201ELNS1_3gpuE5ELNS1_3repE0EEENS1_30default_config_static_selectorELNS0_4arch9wavefront6targetE1EEEvT1_.uses_vcc, 0
	.set _ZN7rocprim17ROCPRIM_400000_NS6detail17trampoline_kernelINS0_14default_configENS1_20scan_config_selectorIN3c108BFloat16EEEZZNS1_9scan_implILNS1_25lookback_scan_determinismE0ELb0ELb0ES3_PKS6_PS6_S6_ZZZN2at6native31launch_logcumsumexp_cuda_kernelERKNSD_10TensorBaseESH_lENKUlvE_clEvENKUlvE4_clEvEUlS6_S6_E_S6_EEDaPvRmT3_T4_T5_mT6_P12ihipStream_tbENKUlT_T0_E_clISt17integral_constantIbLb0EESY_EEDaST_SU_EUlST_E_NS1_11comp_targetILNS1_3genE10ELNS1_11target_archE1201ELNS1_3gpuE5ELNS1_3repE0EEENS1_30default_config_static_selectorELNS0_4arch9wavefront6targetE1EEEvT1_.uses_flat_scratch, 0
	.set _ZN7rocprim17ROCPRIM_400000_NS6detail17trampoline_kernelINS0_14default_configENS1_20scan_config_selectorIN3c108BFloat16EEEZZNS1_9scan_implILNS1_25lookback_scan_determinismE0ELb0ELb0ES3_PKS6_PS6_S6_ZZZN2at6native31launch_logcumsumexp_cuda_kernelERKNSD_10TensorBaseESH_lENKUlvE_clEvENKUlvE4_clEvEUlS6_S6_E_S6_EEDaPvRmT3_T4_T5_mT6_P12ihipStream_tbENKUlT_T0_E_clISt17integral_constantIbLb0EESY_EEDaST_SU_EUlST_E_NS1_11comp_targetILNS1_3genE10ELNS1_11target_archE1201ELNS1_3gpuE5ELNS1_3repE0EEENS1_30default_config_static_selectorELNS0_4arch9wavefront6targetE1EEEvT1_.has_dyn_sized_stack, 0
	.set _ZN7rocprim17ROCPRIM_400000_NS6detail17trampoline_kernelINS0_14default_configENS1_20scan_config_selectorIN3c108BFloat16EEEZZNS1_9scan_implILNS1_25lookback_scan_determinismE0ELb0ELb0ES3_PKS6_PS6_S6_ZZZN2at6native31launch_logcumsumexp_cuda_kernelERKNSD_10TensorBaseESH_lENKUlvE_clEvENKUlvE4_clEvEUlS6_S6_E_S6_EEDaPvRmT3_T4_T5_mT6_P12ihipStream_tbENKUlT_T0_E_clISt17integral_constantIbLb0EESY_EEDaST_SU_EUlST_E_NS1_11comp_targetILNS1_3genE10ELNS1_11target_archE1201ELNS1_3gpuE5ELNS1_3repE0EEENS1_30default_config_static_selectorELNS0_4arch9wavefront6targetE1EEEvT1_.has_recursion, 0
	.set _ZN7rocprim17ROCPRIM_400000_NS6detail17trampoline_kernelINS0_14default_configENS1_20scan_config_selectorIN3c108BFloat16EEEZZNS1_9scan_implILNS1_25lookback_scan_determinismE0ELb0ELb0ES3_PKS6_PS6_S6_ZZZN2at6native31launch_logcumsumexp_cuda_kernelERKNSD_10TensorBaseESH_lENKUlvE_clEvENKUlvE4_clEvEUlS6_S6_E_S6_EEDaPvRmT3_T4_T5_mT6_P12ihipStream_tbENKUlT_T0_E_clISt17integral_constantIbLb0EESY_EEDaST_SU_EUlST_E_NS1_11comp_targetILNS1_3genE10ELNS1_11target_archE1201ELNS1_3gpuE5ELNS1_3repE0EEENS1_30default_config_static_selectorELNS0_4arch9wavefront6targetE1EEEvT1_.has_indirect_call, 0
	.section	.AMDGPU.csdata,"",@progbits
; Kernel info:
; codeLenInByte = 0
; TotalNumSgprs: 6
; NumVgprs: 0
; NumAgprs: 0
; TotalNumVgprs: 0
; ScratchSize: 0
; MemoryBound: 0
; FloatMode: 240
; IeeeMode: 1
; LDSByteSize: 0 bytes/workgroup (compile time only)
; SGPRBlocks: 0
; VGPRBlocks: 0
; NumSGPRsForWavesPerEU: 6
; NumVGPRsForWavesPerEU: 1
; AccumOffset: 4
; Occupancy: 8
; WaveLimiterHint : 0
; COMPUTE_PGM_RSRC2:SCRATCH_EN: 0
; COMPUTE_PGM_RSRC2:USER_SGPR: 2
; COMPUTE_PGM_RSRC2:TRAP_HANDLER: 0
; COMPUTE_PGM_RSRC2:TGID_X_EN: 1
; COMPUTE_PGM_RSRC2:TGID_Y_EN: 0
; COMPUTE_PGM_RSRC2:TGID_Z_EN: 0
; COMPUTE_PGM_RSRC2:TIDIG_COMP_CNT: 0
; COMPUTE_PGM_RSRC3_GFX90A:ACCUM_OFFSET: 0
; COMPUTE_PGM_RSRC3_GFX90A:TG_SPLIT: 0
	.section	.text._ZN7rocprim17ROCPRIM_400000_NS6detail17trampoline_kernelINS0_14default_configENS1_20scan_config_selectorIN3c108BFloat16EEEZZNS1_9scan_implILNS1_25lookback_scan_determinismE0ELb0ELb0ES3_PKS6_PS6_S6_ZZZN2at6native31launch_logcumsumexp_cuda_kernelERKNSD_10TensorBaseESH_lENKUlvE_clEvENKUlvE4_clEvEUlS6_S6_E_S6_EEDaPvRmT3_T4_T5_mT6_P12ihipStream_tbENKUlT_T0_E_clISt17integral_constantIbLb0EESY_EEDaST_SU_EUlST_E_NS1_11comp_targetILNS1_3genE10ELNS1_11target_archE1200ELNS1_3gpuE4ELNS1_3repE0EEENS1_30default_config_static_selectorELNS0_4arch9wavefront6targetE1EEEvT1_,"axG",@progbits,_ZN7rocprim17ROCPRIM_400000_NS6detail17trampoline_kernelINS0_14default_configENS1_20scan_config_selectorIN3c108BFloat16EEEZZNS1_9scan_implILNS1_25lookback_scan_determinismE0ELb0ELb0ES3_PKS6_PS6_S6_ZZZN2at6native31launch_logcumsumexp_cuda_kernelERKNSD_10TensorBaseESH_lENKUlvE_clEvENKUlvE4_clEvEUlS6_S6_E_S6_EEDaPvRmT3_T4_T5_mT6_P12ihipStream_tbENKUlT_T0_E_clISt17integral_constantIbLb0EESY_EEDaST_SU_EUlST_E_NS1_11comp_targetILNS1_3genE10ELNS1_11target_archE1200ELNS1_3gpuE4ELNS1_3repE0EEENS1_30default_config_static_selectorELNS0_4arch9wavefront6targetE1EEEvT1_,comdat
	.globl	_ZN7rocprim17ROCPRIM_400000_NS6detail17trampoline_kernelINS0_14default_configENS1_20scan_config_selectorIN3c108BFloat16EEEZZNS1_9scan_implILNS1_25lookback_scan_determinismE0ELb0ELb0ES3_PKS6_PS6_S6_ZZZN2at6native31launch_logcumsumexp_cuda_kernelERKNSD_10TensorBaseESH_lENKUlvE_clEvENKUlvE4_clEvEUlS6_S6_E_S6_EEDaPvRmT3_T4_T5_mT6_P12ihipStream_tbENKUlT_T0_E_clISt17integral_constantIbLb0EESY_EEDaST_SU_EUlST_E_NS1_11comp_targetILNS1_3genE10ELNS1_11target_archE1200ELNS1_3gpuE4ELNS1_3repE0EEENS1_30default_config_static_selectorELNS0_4arch9wavefront6targetE1EEEvT1_ ; -- Begin function _ZN7rocprim17ROCPRIM_400000_NS6detail17trampoline_kernelINS0_14default_configENS1_20scan_config_selectorIN3c108BFloat16EEEZZNS1_9scan_implILNS1_25lookback_scan_determinismE0ELb0ELb0ES3_PKS6_PS6_S6_ZZZN2at6native31launch_logcumsumexp_cuda_kernelERKNSD_10TensorBaseESH_lENKUlvE_clEvENKUlvE4_clEvEUlS6_S6_E_S6_EEDaPvRmT3_T4_T5_mT6_P12ihipStream_tbENKUlT_T0_E_clISt17integral_constantIbLb0EESY_EEDaST_SU_EUlST_E_NS1_11comp_targetILNS1_3genE10ELNS1_11target_archE1200ELNS1_3gpuE4ELNS1_3repE0EEENS1_30default_config_static_selectorELNS0_4arch9wavefront6targetE1EEEvT1_
	.p2align	8
	.type	_ZN7rocprim17ROCPRIM_400000_NS6detail17trampoline_kernelINS0_14default_configENS1_20scan_config_selectorIN3c108BFloat16EEEZZNS1_9scan_implILNS1_25lookback_scan_determinismE0ELb0ELb0ES3_PKS6_PS6_S6_ZZZN2at6native31launch_logcumsumexp_cuda_kernelERKNSD_10TensorBaseESH_lENKUlvE_clEvENKUlvE4_clEvEUlS6_S6_E_S6_EEDaPvRmT3_T4_T5_mT6_P12ihipStream_tbENKUlT_T0_E_clISt17integral_constantIbLb0EESY_EEDaST_SU_EUlST_E_NS1_11comp_targetILNS1_3genE10ELNS1_11target_archE1200ELNS1_3gpuE4ELNS1_3repE0EEENS1_30default_config_static_selectorELNS0_4arch9wavefront6targetE1EEEvT1_,@function
_ZN7rocprim17ROCPRIM_400000_NS6detail17trampoline_kernelINS0_14default_configENS1_20scan_config_selectorIN3c108BFloat16EEEZZNS1_9scan_implILNS1_25lookback_scan_determinismE0ELb0ELb0ES3_PKS6_PS6_S6_ZZZN2at6native31launch_logcumsumexp_cuda_kernelERKNSD_10TensorBaseESH_lENKUlvE_clEvENKUlvE4_clEvEUlS6_S6_E_S6_EEDaPvRmT3_T4_T5_mT6_P12ihipStream_tbENKUlT_T0_E_clISt17integral_constantIbLb0EESY_EEDaST_SU_EUlST_E_NS1_11comp_targetILNS1_3genE10ELNS1_11target_archE1200ELNS1_3gpuE4ELNS1_3repE0EEENS1_30default_config_static_selectorELNS0_4arch9wavefront6targetE1EEEvT1_: ; @_ZN7rocprim17ROCPRIM_400000_NS6detail17trampoline_kernelINS0_14default_configENS1_20scan_config_selectorIN3c108BFloat16EEEZZNS1_9scan_implILNS1_25lookback_scan_determinismE0ELb0ELb0ES3_PKS6_PS6_S6_ZZZN2at6native31launch_logcumsumexp_cuda_kernelERKNSD_10TensorBaseESH_lENKUlvE_clEvENKUlvE4_clEvEUlS6_S6_E_S6_EEDaPvRmT3_T4_T5_mT6_P12ihipStream_tbENKUlT_T0_E_clISt17integral_constantIbLb0EESY_EEDaST_SU_EUlST_E_NS1_11comp_targetILNS1_3genE10ELNS1_11target_archE1200ELNS1_3gpuE4ELNS1_3repE0EEENS1_30default_config_static_selectorELNS0_4arch9wavefront6targetE1EEEvT1_
; %bb.0:
	.section	.rodata,"a",@progbits
	.p2align	6, 0x0
	.amdhsa_kernel _ZN7rocprim17ROCPRIM_400000_NS6detail17trampoline_kernelINS0_14default_configENS1_20scan_config_selectorIN3c108BFloat16EEEZZNS1_9scan_implILNS1_25lookback_scan_determinismE0ELb0ELb0ES3_PKS6_PS6_S6_ZZZN2at6native31launch_logcumsumexp_cuda_kernelERKNSD_10TensorBaseESH_lENKUlvE_clEvENKUlvE4_clEvEUlS6_S6_E_S6_EEDaPvRmT3_T4_T5_mT6_P12ihipStream_tbENKUlT_T0_E_clISt17integral_constantIbLb0EESY_EEDaST_SU_EUlST_E_NS1_11comp_targetILNS1_3genE10ELNS1_11target_archE1200ELNS1_3gpuE4ELNS1_3repE0EEENS1_30default_config_static_selectorELNS0_4arch9wavefront6targetE1EEEvT1_
		.amdhsa_group_segment_fixed_size 0
		.amdhsa_private_segment_fixed_size 0
		.amdhsa_kernarg_size 96
		.amdhsa_user_sgpr_count 2
		.amdhsa_user_sgpr_dispatch_ptr 0
		.amdhsa_user_sgpr_queue_ptr 0
		.amdhsa_user_sgpr_kernarg_segment_ptr 1
		.amdhsa_user_sgpr_dispatch_id 0
		.amdhsa_user_sgpr_kernarg_preload_length 0
		.amdhsa_user_sgpr_kernarg_preload_offset 0
		.amdhsa_user_sgpr_private_segment_size 0
		.amdhsa_uses_dynamic_stack 0
		.amdhsa_enable_private_segment 0
		.amdhsa_system_sgpr_workgroup_id_x 1
		.amdhsa_system_sgpr_workgroup_id_y 0
		.amdhsa_system_sgpr_workgroup_id_z 0
		.amdhsa_system_sgpr_workgroup_info 0
		.amdhsa_system_vgpr_workitem_id 0
		.amdhsa_next_free_vgpr 1
		.amdhsa_next_free_sgpr 0
		.amdhsa_accum_offset 4
		.amdhsa_reserve_vcc 0
		.amdhsa_float_round_mode_32 0
		.amdhsa_float_round_mode_16_64 0
		.amdhsa_float_denorm_mode_32 3
		.amdhsa_float_denorm_mode_16_64 3
		.amdhsa_dx10_clamp 1
		.amdhsa_ieee_mode 1
		.amdhsa_fp16_overflow 0
		.amdhsa_tg_split 0
		.amdhsa_exception_fp_ieee_invalid_op 0
		.amdhsa_exception_fp_denorm_src 0
		.amdhsa_exception_fp_ieee_div_zero 0
		.amdhsa_exception_fp_ieee_overflow 0
		.amdhsa_exception_fp_ieee_underflow 0
		.amdhsa_exception_fp_ieee_inexact 0
		.amdhsa_exception_int_div_zero 0
	.end_amdhsa_kernel
	.section	.text._ZN7rocprim17ROCPRIM_400000_NS6detail17trampoline_kernelINS0_14default_configENS1_20scan_config_selectorIN3c108BFloat16EEEZZNS1_9scan_implILNS1_25lookback_scan_determinismE0ELb0ELb0ES3_PKS6_PS6_S6_ZZZN2at6native31launch_logcumsumexp_cuda_kernelERKNSD_10TensorBaseESH_lENKUlvE_clEvENKUlvE4_clEvEUlS6_S6_E_S6_EEDaPvRmT3_T4_T5_mT6_P12ihipStream_tbENKUlT_T0_E_clISt17integral_constantIbLb0EESY_EEDaST_SU_EUlST_E_NS1_11comp_targetILNS1_3genE10ELNS1_11target_archE1200ELNS1_3gpuE4ELNS1_3repE0EEENS1_30default_config_static_selectorELNS0_4arch9wavefront6targetE1EEEvT1_,"axG",@progbits,_ZN7rocprim17ROCPRIM_400000_NS6detail17trampoline_kernelINS0_14default_configENS1_20scan_config_selectorIN3c108BFloat16EEEZZNS1_9scan_implILNS1_25lookback_scan_determinismE0ELb0ELb0ES3_PKS6_PS6_S6_ZZZN2at6native31launch_logcumsumexp_cuda_kernelERKNSD_10TensorBaseESH_lENKUlvE_clEvENKUlvE4_clEvEUlS6_S6_E_S6_EEDaPvRmT3_T4_T5_mT6_P12ihipStream_tbENKUlT_T0_E_clISt17integral_constantIbLb0EESY_EEDaST_SU_EUlST_E_NS1_11comp_targetILNS1_3genE10ELNS1_11target_archE1200ELNS1_3gpuE4ELNS1_3repE0EEENS1_30default_config_static_selectorELNS0_4arch9wavefront6targetE1EEEvT1_,comdat
.Lfunc_end444:
	.size	_ZN7rocprim17ROCPRIM_400000_NS6detail17trampoline_kernelINS0_14default_configENS1_20scan_config_selectorIN3c108BFloat16EEEZZNS1_9scan_implILNS1_25lookback_scan_determinismE0ELb0ELb0ES3_PKS6_PS6_S6_ZZZN2at6native31launch_logcumsumexp_cuda_kernelERKNSD_10TensorBaseESH_lENKUlvE_clEvENKUlvE4_clEvEUlS6_S6_E_S6_EEDaPvRmT3_T4_T5_mT6_P12ihipStream_tbENKUlT_T0_E_clISt17integral_constantIbLb0EESY_EEDaST_SU_EUlST_E_NS1_11comp_targetILNS1_3genE10ELNS1_11target_archE1200ELNS1_3gpuE4ELNS1_3repE0EEENS1_30default_config_static_selectorELNS0_4arch9wavefront6targetE1EEEvT1_, .Lfunc_end444-_ZN7rocprim17ROCPRIM_400000_NS6detail17trampoline_kernelINS0_14default_configENS1_20scan_config_selectorIN3c108BFloat16EEEZZNS1_9scan_implILNS1_25lookback_scan_determinismE0ELb0ELb0ES3_PKS6_PS6_S6_ZZZN2at6native31launch_logcumsumexp_cuda_kernelERKNSD_10TensorBaseESH_lENKUlvE_clEvENKUlvE4_clEvEUlS6_S6_E_S6_EEDaPvRmT3_T4_T5_mT6_P12ihipStream_tbENKUlT_T0_E_clISt17integral_constantIbLb0EESY_EEDaST_SU_EUlST_E_NS1_11comp_targetILNS1_3genE10ELNS1_11target_archE1200ELNS1_3gpuE4ELNS1_3repE0EEENS1_30default_config_static_selectorELNS0_4arch9wavefront6targetE1EEEvT1_
                                        ; -- End function
	.set _ZN7rocprim17ROCPRIM_400000_NS6detail17trampoline_kernelINS0_14default_configENS1_20scan_config_selectorIN3c108BFloat16EEEZZNS1_9scan_implILNS1_25lookback_scan_determinismE0ELb0ELb0ES3_PKS6_PS6_S6_ZZZN2at6native31launch_logcumsumexp_cuda_kernelERKNSD_10TensorBaseESH_lENKUlvE_clEvENKUlvE4_clEvEUlS6_S6_E_S6_EEDaPvRmT3_T4_T5_mT6_P12ihipStream_tbENKUlT_T0_E_clISt17integral_constantIbLb0EESY_EEDaST_SU_EUlST_E_NS1_11comp_targetILNS1_3genE10ELNS1_11target_archE1200ELNS1_3gpuE4ELNS1_3repE0EEENS1_30default_config_static_selectorELNS0_4arch9wavefront6targetE1EEEvT1_.num_vgpr, 0
	.set _ZN7rocprim17ROCPRIM_400000_NS6detail17trampoline_kernelINS0_14default_configENS1_20scan_config_selectorIN3c108BFloat16EEEZZNS1_9scan_implILNS1_25lookback_scan_determinismE0ELb0ELb0ES3_PKS6_PS6_S6_ZZZN2at6native31launch_logcumsumexp_cuda_kernelERKNSD_10TensorBaseESH_lENKUlvE_clEvENKUlvE4_clEvEUlS6_S6_E_S6_EEDaPvRmT3_T4_T5_mT6_P12ihipStream_tbENKUlT_T0_E_clISt17integral_constantIbLb0EESY_EEDaST_SU_EUlST_E_NS1_11comp_targetILNS1_3genE10ELNS1_11target_archE1200ELNS1_3gpuE4ELNS1_3repE0EEENS1_30default_config_static_selectorELNS0_4arch9wavefront6targetE1EEEvT1_.num_agpr, 0
	.set _ZN7rocprim17ROCPRIM_400000_NS6detail17trampoline_kernelINS0_14default_configENS1_20scan_config_selectorIN3c108BFloat16EEEZZNS1_9scan_implILNS1_25lookback_scan_determinismE0ELb0ELb0ES3_PKS6_PS6_S6_ZZZN2at6native31launch_logcumsumexp_cuda_kernelERKNSD_10TensorBaseESH_lENKUlvE_clEvENKUlvE4_clEvEUlS6_S6_E_S6_EEDaPvRmT3_T4_T5_mT6_P12ihipStream_tbENKUlT_T0_E_clISt17integral_constantIbLb0EESY_EEDaST_SU_EUlST_E_NS1_11comp_targetILNS1_3genE10ELNS1_11target_archE1200ELNS1_3gpuE4ELNS1_3repE0EEENS1_30default_config_static_selectorELNS0_4arch9wavefront6targetE1EEEvT1_.numbered_sgpr, 0
	.set _ZN7rocprim17ROCPRIM_400000_NS6detail17trampoline_kernelINS0_14default_configENS1_20scan_config_selectorIN3c108BFloat16EEEZZNS1_9scan_implILNS1_25lookback_scan_determinismE0ELb0ELb0ES3_PKS6_PS6_S6_ZZZN2at6native31launch_logcumsumexp_cuda_kernelERKNSD_10TensorBaseESH_lENKUlvE_clEvENKUlvE4_clEvEUlS6_S6_E_S6_EEDaPvRmT3_T4_T5_mT6_P12ihipStream_tbENKUlT_T0_E_clISt17integral_constantIbLb0EESY_EEDaST_SU_EUlST_E_NS1_11comp_targetILNS1_3genE10ELNS1_11target_archE1200ELNS1_3gpuE4ELNS1_3repE0EEENS1_30default_config_static_selectorELNS0_4arch9wavefront6targetE1EEEvT1_.num_named_barrier, 0
	.set _ZN7rocprim17ROCPRIM_400000_NS6detail17trampoline_kernelINS0_14default_configENS1_20scan_config_selectorIN3c108BFloat16EEEZZNS1_9scan_implILNS1_25lookback_scan_determinismE0ELb0ELb0ES3_PKS6_PS6_S6_ZZZN2at6native31launch_logcumsumexp_cuda_kernelERKNSD_10TensorBaseESH_lENKUlvE_clEvENKUlvE4_clEvEUlS6_S6_E_S6_EEDaPvRmT3_T4_T5_mT6_P12ihipStream_tbENKUlT_T0_E_clISt17integral_constantIbLb0EESY_EEDaST_SU_EUlST_E_NS1_11comp_targetILNS1_3genE10ELNS1_11target_archE1200ELNS1_3gpuE4ELNS1_3repE0EEENS1_30default_config_static_selectorELNS0_4arch9wavefront6targetE1EEEvT1_.private_seg_size, 0
	.set _ZN7rocprim17ROCPRIM_400000_NS6detail17trampoline_kernelINS0_14default_configENS1_20scan_config_selectorIN3c108BFloat16EEEZZNS1_9scan_implILNS1_25lookback_scan_determinismE0ELb0ELb0ES3_PKS6_PS6_S6_ZZZN2at6native31launch_logcumsumexp_cuda_kernelERKNSD_10TensorBaseESH_lENKUlvE_clEvENKUlvE4_clEvEUlS6_S6_E_S6_EEDaPvRmT3_T4_T5_mT6_P12ihipStream_tbENKUlT_T0_E_clISt17integral_constantIbLb0EESY_EEDaST_SU_EUlST_E_NS1_11comp_targetILNS1_3genE10ELNS1_11target_archE1200ELNS1_3gpuE4ELNS1_3repE0EEENS1_30default_config_static_selectorELNS0_4arch9wavefront6targetE1EEEvT1_.uses_vcc, 0
	.set _ZN7rocprim17ROCPRIM_400000_NS6detail17trampoline_kernelINS0_14default_configENS1_20scan_config_selectorIN3c108BFloat16EEEZZNS1_9scan_implILNS1_25lookback_scan_determinismE0ELb0ELb0ES3_PKS6_PS6_S6_ZZZN2at6native31launch_logcumsumexp_cuda_kernelERKNSD_10TensorBaseESH_lENKUlvE_clEvENKUlvE4_clEvEUlS6_S6_E_S6_EEDaPvRmT3_T4_T5_mT6_P12ihipStream_tbENKUlT_T0_E_clISt17integral_constantIbLb0EESY_EEDaST_SU_EUlST_E_NS1_11comp_targetILNS1_3genE10ELNS1_11target_archE1200ELNS1_3gpuE4ELNS1_3repE0EEENS1_30default_config_static_selectorELNS0_4arch9wavefront6targetE1EEEvT1_.uses_flat_scratch, 0
	.set _ZN7rocprim17ROCPRIM_400000_NS6detail17trampoline_kernelINS0_14default_configENS1_20scan_config_selectorIN3c108BFloat16EEEZZNS1_9scan_implILNS1_25lookback_scan_determinismE0ELb0ELb0ES3_PKS6_PS6_S6_ZZZN2at6native31launch_logcumsumexp_cuda_kernelERKNSD_10TensorBaseESH_lENKUlvE_clEvENKUlvE4_clEvEUlS6_S6_E_S6_EEDaPvRmT3_T4_T5_mT6_P12ihipStream_tbENKUlT_T0_E_clISt17integral_constantIbLb0EESY_EEDaST_SU_EUlST_E_NS1_11comp_targetILNS1_3genE10ELNS1_11target_archE1200ELNS1_3gpuE4ELNS1_3repE0EEENS1_30default_config_static_selectorELNS0_4arch9wavefront6targetE1EEEvT1_.has_dyn_sized_stack, 0
	.set _ZN7rocprim17ROCPRIM_400000_NS6detail17trampoline_kernelINS0_14default_configENS1_20scan_config_selectorIN3c108BFloat16EEEZZNS1_9scan_implILNS1_25lookback_scan_determinismE0ELb0ELb0ES3_PKS6_PS6_S6_ZZZN2at6native31launch_logcumsumexp_cuda_kernelERKNSD_10TensorBaseESH_lENKUlvE_clEvENKUlvE4_clEvEUlS6_S6_E_S6_EEDaPvRmT3_T4_T5_mT6_P12ihipStream_tbENKUlT_T0_E_clISt17integral_constantIbLb0EESY_EEDaST_SU_EUlST_E_NS1_11comp_targetILNS1_3genE10ELNS1_11target_archE1200ELNS1_3gpuE4ELNS1_3repE0EEENS1_30default_config_static_selectorELNS0_4arch9wavefront6targetE1EEEvT1_.has_recursion, 0
	.set _ZN7rocprim17ROCPRIM_400000_NS6detail17trampoline_kernelINS0_14default_configENS1_20scan_config_selectorIN3c108BFloat16EEEZZNS1_9scan_implILNS1_25lookback_scan_determinismE0ELb0ELb0ES3_PKS6_PS6_S6_ZZZN2at6native31launch_logcumsumexp_cuda_kernelERKNSD_10TensorBaseESH_lENKUlvE_clEvENKUlvE4_clEvEUlS6_S6_E_S6_EEDaPvRmT3_T4_T5_mT6_P12ihipStream_tbENKUlT_T0_E_clISt17integral_constantIbLb0EESY_EEDaST_SU_EUlST_E_NS1_11comp_targetILNS1_3genE10ELNS1_11target_archE1200ELNS1_3gpuE4ELNS1_3repE0EEENS1_30default_config_static_selectorELNS0_4arch9wavefront6targetE1EEEvT1_.has_indirect_call, 0
	.section	.AMDGPU.csdata,"",@progbits
; Kernel info:
; codeLenInByte = 0
; TotalNumSgprs: 6
; NumVgprs: 0
; NumAgprs: 0
; TotalNumVgprs: 0
; ScratchSize: 0
; MemoryBound: 0
; FloatMode: 240
; IeeeMode: 1
; LDSByteSize: 0 bytes/workgroup (compile time only)
; SGPRBlocks: 0
; VGPRBlocks: 0
; NumSGPRsForWavesPerEU: 6
; NumVGPRsForWavesPerEU: 1
; AccumOffset: 4
; Occupancy: 8
; WaveLimiterHint : 0
; COMPUTE_PGM_RSRC2:SCRATCH_EN: 0
; COMPUTE_PGM_RSRC2:USER_SGPR: 2
; COMPUTE_PGM_RSRC2:TRAP_HANDLER: 0
; COMPUTE_PGM_RSRC2:TGID_X_EN: 1
; COMPUTE_PGM_RSRC2:TGID_Y_EN: 0
; COMPUTE_PGM_RSRC2:TGID_Z_EN: 0
; COMPUTE_PGM_RSRC2:TIDIG_COMP_CNT: 0
; COMPUTE_PGM_RSRC3_GFX90A:ACCUM_OFFSET: 0
; COMPUTE_PGM_RSRC3_GFX90A:TG_SPLIT: 0
	.section	.text._ZN7rocprim17ROCPRIM_400000_NS6detail17trampoline_kernelINS0_14default_configENS1_20scan_config_selectorIN3c108BFloat16EEEZZNS1_9scan_implILNS1_25lookback_scan_determinismE0ELb0ELb0ES3_PKS6_PS6_S6_ZZZN2at6native31launch_logcumsumexp_cuda_kernelERKNSD_10TensorBaseESH_lENKUlvE_clEvENKUlvE4_clEvEUlS6_S6_E_S6_EEDaPvRmT3_T4_T5_mT6_P12ihipStream_tbENKUlT_T0_E_clISt17integral_constantIbLb0EESY_EEDaST_SU_EUlST_E_NS1_11comp_targetILNS1_3genE9ELNS1_11target_archE1100ELNS1_3gpuE3ELNS1_3repE0EEENS1_30default_config_static_selectorELNS0_4arch9wavefront6targetE1EEEvT1_,"axG",@progbits,_ZN7rocprim17ROCPRIM_400000_NS6detail17trampoline_kernelINS0_14default_configENS1_20scan_config_selectorIN3c108BFloat16EEEZZNS1_9scan_implILNS1_25lookback_scan_determinismE0ELb0ELb0ES3_PKS6_PS6_S6_ZZZN2at6native31launch_logcumsumexp_cuda_kernelERKNSD_10TensorBaseESH_lENKUlvE_clEvENKUlvE4_clEvEUlS6_S6_E_S6_EEDaPvRmT3_T4_T5_mT6_P12ihipStream_tbENKUlT_T0_E_clISt17integral_constantIbLb0EESY_EEDaST_SU_EUlST_E_NS1_11comp_targetILNS1_3genE9ELNS1_11target_archE1100ELNS1_3gpuE3ELNS1_3repE0EEENS1_30default_config_static_selectorELNS0_4arch9wavefront6targetE1EEEvT1_,comdat
	.globl	_ZN7rocprim17ROCPRIM_400000_NS6detail17trampoline_kernelINS0_14default_configENS1_20scan_config_selectorIN3c108BFloat16EEEZZNS1_9scan_implILNS1_25lookback_scan_determinismE0ELb0ELb0ES3_PKS6_PS6_S6_ZZZN2at6native31launch_logcumsumexp_cuda_kernelERKNSD_10TensorBaseESH_lENKUlvE_clEvENKUlvE4_clEvEUlS6_S6_E_S6_EEDaPvRmT3_T4_T5_mT6_P12ihipStream_tbENKUlT_T0_E_clISt17integral_constantIbLb0EESY_EEDaST_SU_EUlST_E_NS1_11comp_targetILNS1_3genE9ELNS1_11target_archE1100ELNS1_3gpuE3ELNS1_3repE0EEENS1_30default_config_static_selectorELNS0_4arch9wavefront6targetE1EEEvT1_ ; -- Begin function _ZN7rocprim17ROCPRIM_400000_NS6detail17trampoline_kernelINS0_14default_configENS1_20scan_config_selectorIN3c108BFloat16EEEZZNS1_9scan_implILNS1_25lookback_scan_determinismE0ELb0ELb0ES3_PKS6_PS6_S6_ZZZN2at6native31launch_logcumsumexp_cuda_kernelERKNSD_10TensorBaseESH_lENKUlvE_clEvENKUlvE4_clEvEUlS6_S6_E_S6_EEDaPvRmT3_T4_T5_mT6_P12ihipStream_tbENKUlT_T0_E_clISt17integral_constantIbLb0EESY_EEDaST_SU_EUlST_E_NS1_11comp_targetILNS1_3genE9ELNS1_11target_archE1100ELNS1_3gpuE3ELNS1_3repE0EEENS1_30default_config_static_selectorELNS0_4arch9wavefront6targetE1EEEvT1_
	.p2align	8
	.type	_ZN7rocprim17ROCPRIM_400000_NS6detail17trampoline_kernelINS0_14default_configENS1_20scan_config_selectorIN3c108BFloat16EEEZZNS1_9scan_implILNS1_25lookback_scan_determinismE0ELb0ELb0ES3_PKS6_PS6_S6_ZZZN2at6native31launch_logcumsumexp_cuda_kernelERKNSD_10TensorBaseESH_lENKUlvE_clEvENKUlvE4_clEvEUlS6_S6_E_S6_EEDaPvRmT3_T4_T5_mT6_P12ihipStream_tbENKUlT_T0_E_clISt17integral_constantIbLb0EESY_EEDaST_SU_EUlST_E_NS1_11comp_targetILNS1_3genE9ELNS1_11target_archE1100ELNS1_3gpuE3ELNS1_3repE0EEENS1_30default_config_static_selectorELNS0_4arch9wavefront6targetE1EEEvT1_,@function
_ZN7rocprim17ROCPRIM_400000_NS6detail17trampoline_kernelINS0_14default_configENS1_20scan_config_selectorIN3c108BFloat16EEEZZNS1_9scan_implILNS1_25lookback_scan_determinismE0ELb0ELb0ES3_PKS6_PS6_S6_ZZZN2at6native31launch_logcumsumexp_cuda_kernelERKNSD_10TensorBaseESH_lENKUlvE_clEvENKUlvE4_clEvEUlS6_S6_E_S6_EEDaPvRmT3_T4_T5_mT6_P12ihipStream_tbENKUlT_T0_E_clISt17integral_constantIbLb0EESY_EEDaST_SU_EUlST_E_NS1_11comp_targetILNS1_3genE9ELNS1_11target_archE1100ELNS1_3gpuE3ELNS1_3repE0EEENS1_30default_config_static_selectorELNS0_4arch9wavefront6targetE1EEEvT1_: ; @_ZN7rocprim17ROCPRIM_400000_NS6detail17trampoline_kernelINS0_14default_configENS1_20scan_config_selectorIN3c108BFloat16EEEZZNS1_9scan_implILNS1_25lookback_scan_determinismE0ELb0ELb0ES3_PKS6_PS6_S6_ZZZN2at6native31launch_logcumsumexp_cuda_kernelERKNSD_10TensorBaseESH_lENKUlvE_clEvENKUlvE4_clEvEUlS6_S6_E_S6_EEDaPvRmT3_T4_T5_mT6_P12ihipStream_tbENKUlT_T0_E_clISt17integral_constantIbLb0EESY_EEDaST_SU_EUlST_E_NS1_11comp_targetILNS1_3genE9ELNS1_11target_archE1100ELNS1_3gpuE3ELNS1_3repE0EEENS1_30default_config_static_selectorELNS0_4arch9wavefront6targetE1EEEvT1_
; %bb.0:
	.section	.rodata,"a",@progbits
	.p2align	6, 0x0
	.amdhsa_kernel _ZN7rocprim17ROCPRIM_400000_NS6detail17trampoline_kernelINS0_14default_configENS1_20scan_config_selectorIN3c108BFloat16EEEZZNS1_9scan_implILNS1_25lookback_scan_determinismE0ELb0ELb0ES3_PKS6_PS6_S6_ZZZN2at6native31launch_logcumsumexp_cuda_kernelERKNSD_10TensorBaseESH_lENKUlvE_clEvENKUlvE4_clEvEUlS6_S6_E_S6_EEDaPvRmT3_T4_T5_mT6_P12ihipStream_tbENKUlT_T0_E_clISt17integral_constantIbLb0EESY_EEDaST_SU_EUlST_E_NS1_11comp_targetILNS1_3genE9ELNS1_11target_archE1100ELNS1_3gpuE3ELNS1_3repE0EEENS1_30default_config_static_selectorELNS0_4arch9wavefront6targetE1EEEvT1_
		.amdhsa_group_segment_fixed_size 0
		.amdhsa_private_segment_fixed_size 0
		.amdhsa_kernarg_size 96
		.amdhsa_user_sgpr_count 2
		.amdhsa_user_sgpr_dispatch_ptr 0
		.amdhsa_user_sgpr_queue_ptr 0
		.amdhsa_user_sgpr_kernarg_segment_ptr 1
		.amdhsa_user_sgpr_dispatch_id 0
		.amdhsa_user_sgpr_kernarg_preload_length 0
		.amdhsa_user_sgpr_kernarg_preload_offset 0
		.amdhsa_user_sgpr_private_segment_size 0
		.amdhsa_uses_dynamic_stack 0
		.amdhsa_enable_private_segment 0
		.amdhsa_system_sgpr_workgroup_id_x 1
		.amdhsa_system_sgpr_workgroup_id_y 0
		.amdhsa_system_sgpr_workgroup_id_z 0
		.amdhsa_system_sgpr_workgroup_info 0
		.amdhsa_system_vgpr_workitem_id 0
		.amdhsa_next_free_vgpr 1
		.amdhsa_next_free_sgpr 0
		.amdhsa_accum_offset 4
		.amdhsa_reserve_vcc 0
		.amdhsa_float_round_mode_32 0
		.amdhsa_float_round_mode_16_64 0
		.amdhsa_float_denorm_mode_32 3
		.amdhsa_float_denorm_mode_16_64 3
		.amdhsa_dx10_clamp 1
		.amdhsa_ieee_mode 1
		.amdhsa_fp16_overflow 0
		.amdhsa_tg_split 0
		.amdhsa_exception_fp_ieee_invalid_op 0
		.amdhsa_exception_fp_denorm_src 0
		.amdhsa_exception_fp_ieee_div_zero 0
		.amdhsa_exception_fp_ieee_overflow 0
		.amdhsa_exception_fp_ieee_underflow 0
		.amdhsa_exception_fp_ieee_inexact 0
		.amdhsa_exception_int_div_zero 0
	.end_amdhsa_kernel
	.section	.text._ZN7rocprim17ROCPRIM_400000_NS6detail17trampoline_kernelINS0_14default_configENS1_20scan_config_selectorIN3c108BFloat16EEEZZNS1_9scan_implILNS1_25lookback_scan_determinismE0ELb0ELb0ES3_PKS6_PS6_S6_ZZZN2at6native31launch_logcumsumexp_cuda_kernelERKNSD_10TensorBaseESH_lENKUlvE_clEvENKUlvE4_clEvEUlS6_S6_E_S6_EEDaPvRmT3_T4_T5_mT6_P12ihipStream_tbENKUlT_T0_E_clISt17integral_constantIbLb0EESY_EEDaST_SU_EUlST_E_NS1_11comp_targetILNS1_3genE9ELNS1_11target_archE1100ELNS1_3gpuE3ELNS1_3repE0EEENS1_30default_config_static_selectorELNS0_4arch9wavefront6targetE1EEEvT1_,"axG",@progbits,_ZN7rocprim17ROCPRIM_400000_NS6detail17trampoline_kernelINS0_14default_configENS1_20scan_config_selectorIN3c108BFloat16EEEZZNS1_9scan_implILNS1_25lookback_scan_determinismE0ELb0ELb0ES3_PKS6_PS6_S6_ZZZN2at6native31launch_logcumsumexp_cuda_kernelERKNSD_10TensorBaseESH_lENKUlvE_clEvENKUlvE4_clEvEUlS6_S6_E_S6_EEDaPvRmT3_T4_T5_mT6_P12ihipStream_tbENKUlT_T0_E_clISt17integral_constantIbLb0EESY_EEDaST_SU_EUlST_E_NS1_11comp_targetILNS1_3genE9ELNS1_11target_archE1100ELNS1_3gpuE3ELNS1_3repE0EEENS1_30default_config_static_selectorELNS0_4arch9wavefront6targetE1EEEvT1_,comdat
.Lfunc_end445:
	.size	_ZN7rocprim17ROCPRIM_400000_NS6detail17trampoline_kernelINS0_14default_configENS1_20scan_config_selectorIN3c108BFloat16EEEZZNS1_9scan_implILNS1_25lookback_scan_determinismE0ELb0ELb0ES3_PKS6_PS6_S6_ZZZN2at6native31launch_logcumsumexp_cuda_kernelERKNSD_10TensorBaseESH_lENKUlvE_clEvENKUlvE4_clEvEUlS6_S6_E_S6_EEDaPvRmT3_T4_T5_mT6_P12ihipStream_tbENKUlT_T0_E_clISt17integral_constantIbLb0EESY_EEDaST_SU_EUlST_E_NS1_11comp_targetILNS1_3genE9ELNS1_11target_archE1100ELNS1_3gpuE3ELNS1_3repE0EEENS1_30default_config_static_selectorELNS0_4arch9wavefront6targetE1EEEvT1_, .Lfunc_end445-_ZN7rocprim17ROCPRIM_400000_NS6detail17trampoline_kernelINS0_14default_configENS1_20scan_config_selectorIN3c108BFloat16EEEZZNS1_9scan_implILNS1_25lookback_scan_determinismE0ELb0ELb0ES3_PKS6_PS6_S6_ZZZN2at6native31launch_logcumsumexp_cuda_kernelERKNSD_10TensorBaseESH_lENKUlvE_clEvENKUlvE4_clEvEUlS6_S6_E_S6_EEDaPvRmT3_T4_T5_mT6_P12ihipStream_tbENKUlT_T0_E_clISt17integral_constantIbLb0EESY_EEDaST_SU_EUlST_E_NS1_11comp_targetILNS1_3genE9ELNS1_11target_archE1100ELNS1_3gpuE3ELNS1_3repE0EEENS1_30default_config_static_selectorELNS0_4arch9wavefront6targetE1EEEvT1_
                                        ; -- End function
	.set _ZN7rocprim17ROCPRIM_400000_NS6detail17trampoline_kernelINS0_14default_configENS1_20scan_config_selectorIN3c108BFloat16EEEZZNS1_9scan_implILNS1_25lookback_scan_determinismE0ELb0ELb0ES3_PKS6_PS6_S6_ZZZN2at6native31launch_logcumsumexp_cuda_kernelERKNSD_10TensorBaseESH_lENKUlvE_clEvENKUlvE4_clEvEUlS6_S6_E_S6_EEDaPvRmT3_T4_T5_mT6_P12ihipStream_tbENKUlT_T0_E_clISt17integral_constantIbLb0EESY_EEDaST_SU_EUlST_E_NS1_11comp_targetILNS1_3genE9ELNS1_11target_archE1100ELNS1_3gpuE3ELNS1_3repE0EEENS1_30default_config_static_selectorELNS0_4arch9wavefront6targetE1EEEvT1_.num_vgpr, 0
	.set _ZN7rocprim17ROCPRIM_400000_NS6detail17trampoline_kernelINS0_14default_configENS1_20scan_config_selectorIN3c108BFloat16EEEZZNS1_9scan_implILNS1_25lookback_scan_determinismE0ELb0ELb0ES3_PKS6_PS6_S6_ZZZN2at6native31launch_logcumsumexp_cuda_kernelERKNSD_10TensorBaseESH_lENKUlvE_clEvENKUlvE4_clEvEUlS6_S6_E_S6_EEDaPvRmT3_T4_T5_mT6_P12ihipStream_tbENKUlT_T0_E_clISt17integral_constantIbLb0EESY_EEDaST_SU_EUlST_E_NS1_11comp_targetILNS1_3genE9ELNS1_11target_archE1100ELNS1_3gpuE3ELNS1_3repE0EEENS1_30default_config_static_selectorELNS0_4arch9wavefront6targetE1EEEvT1_.num_agpr, 0
	.set _ZN7rocprim17ROCPRIM_400000_NS6detail17trampoline_kernelINS0_14default_configENS1_20scan_config_selectorIN3c108BFloat16EEEZZNS1_9scan_implILNS1_25lookback_scan_determinismE0ELb0ELb0ES3_PKS6_PS6_S6_ZZZN2at6native31launch_logcumsumexp_cuda_kernelERKNSD_10TensorBaseESH_lENKUlvE_clEvENKUlvE4_clEvEUlS6_S6_E_S6_EEDaPvRmT3_T4_T5_mT6_P12ihipStream_tbENKUlT_T0_E_clISt17integral_constantIbLb0EESY_EEDaST_SU_EUlST_E_NS1_11comp_targetILNS1_3genE9ELNS1_11target_archE1100ELNS1_3gpuE3ELNS1_3repE0EEENS1_30default_config_static_selectorELNS0_4arch9wavefront6targetE1EEEvT1_.numbered_sgpr, 0
	.set _ZN7rocprim17ROCPRIM_400000_NS6detail17trampoline_kernelINS0_14default_configENS1_20scan_config_selectorIN3c108BFloat16EEEZZNS1_9scan_implILNS1_25lookback_scan_determinismE0ELb0ELb0ES3_PKS6_PS6_S6_ZZZN2at6native31launch_logcumsumexp_cuda_kernelERKNSD_10TensorBaseESH_lENKUlvE_clEvENKUlvE4_clEvEUlS6_S6_E_S6_EEDaPvRmT3_T4_T5_mT6_P12ihipStream_tbENKUlT_T0_E_clISt17integral_constantIbLb0EESY_EEDaST_SU_EUlST_E_NS1_11comp_targetILNS1_3genE9ELNS1_11target_archE1100ELNS1_3gpuE3ELNS1_3repE0EEENS1_30default_config_static_selectorELNS0_4arch9wavefront6targetE1EEEvT1_.num_named_barrier, 0
	.set _ZN7rocprim17ROCPRIM_400000_NS6detail17trampoline_kernelINS0_14default_configENS1_20scan_config_selectorIN3c108BFloat16EEEZZNS1_9scan_implILNS1_25lookback_scan_determinismE0ELb0ELb0ES3_PKS6_PS6_S6_ZZZN2at6native31launch_logcumsumexp_cuda_kernelERKNSD_10TensorBaseESH_lENKUlvE_clEvENKUlvE4_clEvEUlS6_S6_E_S6_EEDaPvRmT3_T4_T5_mT6_P12ihipStream_tbENKUlT_T0_E_clISt17integral_constantIbLb0EESY_EEDaST_SU_EUlST_E_NS1_11comp_targetILNS1_3genE9ELNS1_11target_archE1100ELNS1_3gpuE3ELNS1_3repE0EEENS1_30default_config_static_selectorELNS0_4arch9wavefront6targetE1EEEvT1_.private_seg_size, 0
	.set _ZN7rocprim17ROCPRIM_400000_NS6detail17trampoline_kernelINS0_14default_configENS1_20scan_config_selectorIN3c108BFloat16EEEZZNS1_9scan_implILNS1_25lookback_scan_determinismE0ELb0ELb0ES3_PKS6_PS6_S6_ZZZN2at6native31launch_logcumsumexp_cuda_kernelERKNSD_10TensorBaseESH_lENKUlvE_clEvENKUlvE4_clEvEUlS6_S6_E_S6_EEDaPvRmT3_T4_T5_mT6_P12ihipStream_tbENKUlT_T0_E_clISt17integral_constantIbLb0EESY_EEDaST_SU_EUlST_E_NS1_11comp_targetILNS1_3genE9ELNS1_11target_archE1100ELNS1_3gpuE3ELNS1_3repE0EEENS1_30default_config_static_selectorELNS0_4arch9wavefront6targetE1EEEvT1_.uses_vcc, 0
	.set _ZN7rocprim17ROCPRIM_400000_NS6detail17trampoline_kernelINS0_14default_configENS1_20scan_config_selectorIN3c108BFloat16EEEZZNS1_9scan_implILNS1_25lookback_scan_determinismE0ELb0ELb0ES3_PKS6_PS6_S6_ZZZN2at6native31launch_logcumsumexp_cuda_kernelERKNSD_10TensorBaseESH_lENKUlvE_clEvENKUlvE4_clEvEUlS6_S6_E_S6_EEDaPvRmT3_T4_T5_mT6_P12ihipStream_tbENKUlT_T0_E_clISt17integral_constantIbLb0EESY_EEDaST_SU_EUlST_E_NS1_11comp_targetILNS1_3genE9ELNS1_11target_archE1100ELNS1_3gpuE3ELNS1_3repE0EEENS1_30default_config_static_selectorELNS0_4arch9wavefront6targetE1EEEvT1_.uses_flat_scratch, 0
	.set _ZN7rocprim17ROCPRIM_400000_NS6detail17trampoline_kernelINS0_14default_configENS1_20scan_config_selectorIN3c108BFloat16EEEZZNS1_9scan_implILNS1_25lookback_scan_determinismE0ELb0ELb0ES3_PKS6_PS6_S6_ZZZN2at6native31launch_logcumsumexp_cuda_kernelERKNSD_10TensorBaseESH_lENKUlvE_clEvENKUlvE4_clEvEUlS6_S6_E_S6_EEDaPvRmT3_T4_T5_mT6_P12ihipStream_tbENKUlT_T0_E_clISt17integral_constantIbLb0EESY_EEDaST_SU_EUlST_E_NS1_11comp_targetILNS1_3genE9ELNS1_11target_archE1100ELNS1_3gpuE3ELNS1_3repE0EEENS1_30default_config_static_selectorELNS0_4arch9wavefront6targetE1EEEvT1_.has_dyn_sized_stack, 0
	.set _ZN7rocprim17ROCPRIM_400000_NS6detail17trampoline_kernelINS0_14default_configENS1_20scan_config_selectorIN3c108BFloat16EEEZZNS1_9scan_implILNS1_25lookback_scan_determinismE0ELb0ELb0ES3_PKS6_PS6_S6_ZZZN2at6native31launch_logcumsumexp_cuda_kernelERKNSD_10TensorBaseESH_lENKUlvE_clEvENKUlvE4_clEvEUlS6_S6_E_S6_EEDaPvRmT3_T4_T5_mT6_P12ihipStream_tbENKUlT_T0_E_clISt17integral_constantIbLb0EESY_EEDaST_SU_EUlST_E_NS1_11comp_targetILNS1_3genE9ELNS1_11target_archE1100ELNS1_3gpuE3ELNS1_3repE0EEENS1_30default_config_static_selectorELNS0_4arch9wavefront6targetE1EEEvT1_.has_recursion, 0
	.set _ZN7rocprim17ROCPRIM_400000_NS6detail17trampoline_kernelINS0_14default_configENS1_20scan_config_selectorIN3c108BFloat16EEEZZNS1_9scan_implILNS1_25lookback_scan_determinismE0ELb0ELb0ES3_PKS6_PS6_S6_ZZZN2at6native31launch_logcumsumexp_cuda_kernelERKNSD_10TensorBaseESH_lENKUlvE_clEvENKUlvE4_clEvEUlS6_S6_E_S6_EEDaPvRmT3_T4_T5_mT6_P12ihipStream_tbENKUlT_T0_E_clISt17integral_constantIbLb0EESY_EEDaST_SU_EUlST_E_NS1_11comp_targetILNS1_3genE9ELNS1_11target_archE1100ELNS1_3gpuE3ELNS1_3repE0EEENS1_30default_config_static_selectorELNS0_4arch9wavefront6targetE1EEEvT1_.has_indirect_call, 0
	.section	.AMDGPU.csdata,"",@progbits
; Kernel info:
; codeLenInByte = 0
; TotalNumSgprs: 6
; NumVgprs: 0
; NumAgprs: 0
; TotalNumVgprs: 0
; ScratchSize: 0
; MemoryBound: 0
; FloatMode: 240
; IeeeMode: 1
; LDSByteSize: 0 bytes/workgroup (compile time only)
; SGPRBlocks: 0
; VGPRBlocks: 0
; NumSGPRsForWavesPerEU: 6
; NumVGPRsForWavesPerEU: 1
; AccumOffset: 4
; Occupancy: 8
; WaveLimiterHint : 0
; COMPUTE_PGM_RSRC2:SCRATCH_EN: 0
; COMPUTE_PGM_RSRC2:USER_SGPR: 2
; COMPUTE_PGM_RSRC2:TRAP_HANDLER: 0
; COMPUTE_PGM_RSRC2:TGID_X_EN: 1
; COMPUTE_PGM_RSRC2:TGID_Y_EN: 0
; COMPUTE_PGM_RSRC2:TGID_Z_EN: 0
; COMPUTE_PGM_RSRC2:TIDIG_COMP_CNT: 0
; COMPUTE_PGM_RSRC3_GFX90A:ACCUM_OFFSET: 0
; COMPUTE_PGM_RSRC3_GFX90A:TG_SPLIT: 0
	.section	.text._ZN7rocprim17ROCPRIM_400000_NS6detail17trampoline_kernelINS0_14default_configENS1_20scan_config_selectorIN3c108BFloat16EEEZZNS1_9scan_implILNS1_25lookback_scan_determinismE0ELb0ELb0ES3_PKS6_PS6_S6_ZZZN2at6native31launch_logcumsumexp_cuda_kernelERKNSD_10TensorBaseESH_lENKUlvE_clEvENKUlvE4_clEvEUlS6_S6_E_S6_EEDaPvRmT3_T4_T5_mT6_P12ihipStream_tbENKUlT_T0_E_clISt17integral_constantIbLb0EESY_EEDaST_SU_EUlST_E_NS1_11comp_targetILNS1_3genE8ELNS1_11target_archE1030ELNS1_3gpuE2ELNS1_3repE0EEENS1_30default_config_static_selectorELNS0_4arch9wavefront6targetE1EEEvT1_,"axG",@progbits,_ZN7rocprim17ROCPRIM_400000_NS6detail17trampoline_kernelINS0_14default_configENS1_20scan_config_selectorIN3c108BFloat16EEEZZNS1_9scan_implILNS1_25lookback_scan_determinismE0ELb0ELb0ES3_PKS6_PS6_S6_ZZZN2at6native31launch_logcumsumexp_cuda_kernelERKNSD_10TensorBaseESH_lENKUlvE_clEvENKUlvE4_clEvEUlS6_S6_E_S6_EEDaPvRmT3_T4_T5_mT6_P12ihipStream_tbENKUlT_T0_E_clISt17integral_constantIbLb0EESY_EEDaST_SU_EUlST_E_NS1_11comp_targetILNS1_3genE8ELNS1_11target_archE1030ELNS1_3gpuE2ELNS1_3repE0EEENS1_30default_config_static_selectorELNS0_4arch9wavefront6targetE1EEEvT1_,comdat
	.globl	_ZN7rocprim17ROCPRIM_400000_NS6detail17trampoline_kernelINS0_14default_configENS1_20scan_config_selectorIN3c108BFloat16EEEZZNS1_9scan_implILNS1_25lookback_scan_determinismE0ELb0ELb0ES3_PKS6_PS6_S6_ZZZN2at6native31launch_logcumsumexp_cuda_kernelERKNSD_10TensorBaseESH_lENKUlvE_clEvENKUlvE4_clEvEUlS6_S6_E_S6_EEDaPvRmT3_T4_T5_mT6_P12ihipStream_tbENKUlT_T0_E_clISt17integral_constantIbLb0EESY_EEDaST_SU_EUlST_E_NS1_11comp_targetILNS1_3genE8ELNS1_11target_archE1030ELNS1_3gpuE2ELNS1_3repE0EEENS1_30default_config_static_selectorELNS0_4arch9wavefront6targetE1EEEvT1_ ; -- Begin function _ZN7rocprim17ROCPRIM_400000_NS6detail17trampoline_kernelINS0_14default_configENS1_20scan_config_selectorIN3c108BFloat16EEEZZNS1_9scan_implILNS1_25lookback_scan_determinismE0ELb0ELb0ES3_PKS6_PS6_S6_ZZZN2at6native31launch_logcumsumexp_cuda_kernelERKNSD_10TensorBaseESH_lENKUlvE_clEvENKUlvE4_clEvEUlS6_S6_E_S6_EEDaPvRmT3_T4_T5_mT6_P12ihipStream_tbENKUlT_T0_E_clISt17integral_constantIbLb0EESY_EEDaST_SU_EUlST_E_NS1_11comp_targetILNS1_3genE8ELNS1_11target_archE1030ELNS1_3gpuE2ELNS1_3repE0EEENS1_30default_config_static_selectorELNS0_4arch9wavefront6targetE1EEEvT1_
	.p2align	8
	.type	_ZN7rocprim17ROCPRIM_400000_NS6detail17trampoline_kernelINS0_14default_configENS1_20scan_config_selectorIN3c108BFloat16EEEZZNS1_9scan_implILNS1_25lookback_scan_determinismE0ELb0ELb0ES3_PKS6_PS6_S6_ZZZN2at6native31launch_logcumsumexp_cuda_kernelERKNSD_10TensorBaseESH_lENKUlvE_clEvENKUlvE4_clEvEUlS6_S6_E_S6_EEDaPvRmT3_T4_T5_mT6_P12ihipStream_tbENKUlT_T0_E_clISt17integral_constantIbLb0EESY_EEDaST_SU_EUlST_E_NS1_11comp_targetILNS1_3genE8ELNS1_11target_archE1030ELNS1_3gpuE2ELNS1_3repE0EEENS1_30default_config_static_selectorELNS0_4arch9wavefront6targetE1EEEvT1_,@function
_ZN7rocprim17ROCPRIM_400000_NS6detail17trampoline_kernelINS0_14default_configENS1_20scan_config_selectorIN3c108BFloat16EEEZZNS1_9scan_implILNS1_25lookback_scan_determinismE0ELb0ELb0ES3_PKS6_PS6_S6_ZZZN2at6native31launch_logcumsumexp_cuda_kernelERKNSD_10TensorBaseESH_lENKUlvE_clEvENKUlvE4_clEvEUlS6_S6_E_S6_EEDaPvRmT3_T4_T5_mT6_P12ihipStream_tbENKUlT_T0_E_clISt17integral_constantIbLb0EESY_EEDaST_SU_EUlST_E_NS1_11comp_targetILNS1_3genE8ELNS1_11target_archE1030ELNS1_3gpuE2ELNS1_3repE0EEENS1_30default_config_static_selectorELNS0_4arch9wavefront6targetE1EEEvT1_: ; @_ZN7rocprim17ROCPRIM_400000_NS6detail17trampoline_kernelINS0_14default_configENS1_20scan_config_selectorIN3c108BFloat16EEEZZNS1_9scan_implILNS1_25lookback_scan_determinismE0ELb0ELb0ES3_PKS6_PS6_S6_ZZZN2at6native31launch_logcumsumexp_cuda_kernelERKNSD_10TensorBaseESH_lENKUlvE_clEvENKUlvE4_clEvEUlS6_S6_E_S6_EEDaPvRmT3_T4_T5_mT6_P12ihipStream_tbENKUlT_T0_E_clISt17integral_constantIbLb0EESY_EEDaST_SU_EUlST_E_NS1_11comp_targetILNS1_3genE8ELNS1_11target_archE1030ELNS1_3gpuE2ELNS1_3repE0EEENS1_30default_config_static_selectorELNS0_4arch9wavefront6targetE1EEEvT1_
; %bb.0:
	.section	.rodata,"a",@progbits
	.p2align	6, 0x0
	.amdhsa_kernel _ZN7rocprim17ROCPRIM_400000_NS6detail17trampoline_kernelINS0_14default_configENS1_20scan_config_selectorIN3c108BFloat16EEEZZNS1_9scan_implILNS1_25lookback_scan_determinismE0ELb0ELb0ES3_PKS6_PS6_S6_ZZZN2at6native31launch_logcumsumexp_cuda_kernelERKNSD_10TensorBaseESH_lENKUlvE_clEvENKUlvE4_clEvEUlS6_S6_E_S6_EEDaPvRmT3_T4_T5_mT6_P12ihipStream_tbENKUlT_T0_E_clISt17integral_constantIbLb0EESY_EEDaST_SU_EUlST_E_NS1_11comp_targetILNS1_3genE8ELNS1_11target_archE1030ELNS1_3gpuE2ELNS1_3repE0EEENS1_30default_config_static_selectorELNS0_4arch9wavefront6targetE1EEEvT1_
		.amdhsa_group_segment_fixed_size 0
		.amdhsa_private_segment_fixed_size 0
		.amdhsa_kernarg_size 96
		.amdhsa_user_sgpr_count 2
		.amdhsa_user_sgpr_dispatch_ptr 0
		.amdhsa_user_sgpr_queue_ptr 0
		.amdhsa_user_sgpr_kernarg_segment_ptr 1
		.amdhsa_user_sgpr_dispatch_id 0
		.amdhsa_user_sgpr_kernarg_preload_length 0
		.amdhsa_user_sgpr_kernarg_preload_offset 0
		.amdhsa_user_sgpr_private_segment_size 0
		.amdhsa_uses_dynamic_stack 0
		.amdhsa_enable_private_segment 0
		.amdhsa_system_sgpr_workgroup_id_x 1
		.amdhsa_system_sgpr_workgroup_id_y 0
		.amdhsa_system_sgpr_workgroup_id_z 0
		.amdhsa_system_sgpr_workgroup_info 0
		.amdhsa_system_vgpr_workitem_id 0
		.amdhsa_next_free_vgpr 1
		.amdhsa_next_free_sgpr 0
		.amdhsa_accum_offset 4
		.amdhsa_reserve_vcc 0
		.amdhsa_float_round_mode_32 0
		.amdhsa_float_round_mode_16_64 0
		.amdhsa_float_denorm_mode_32 3
		.amdhsa_float_denorm_mode_16_64 3
		.amdhsa_dx10_clamp 1
		.amdhsa_ieee_mode 1
		.amdhsa_fp16_overflow 0
		.amdhsa_tg_split 0
		.amdhsa_exception_fp_ieee_invalid_op 0
		.amdhsa_exception_fp_denorm_src 0
		.amdhsa_exception_fp_ieee_div_zero 0
		.amdhsa_exception_fp_ieee_overflow 0
		.amdhsa_exception_fp_ieee_underflow 0
		.amdhsa_exception_fp_ieee_inexact 0
		.amdhsa_exception_int_div_zero 0
	.end_amdhsa_kernel
	.section	.text._ZN7rocprim17ROCPRIM_400000_NS6detail17trampoline_kernelINS0_14default_configENS1_20scan_config_selectorIN3c108BFloat16EEEZZNS1_9scan_implILNS1_25lookback_scan_determinismE0ELb0ELb0ES3_PKS6_PS6_S6_ZZZN2at6native31launch_logcumsumexp_cuda_kernelERKNSD_10TensorBaseESH_lENKUlvE_clEvENKUlvE4_clEvEUlS6_S6_E_S6_EEDaPvRmT3_T4_T5_mT6_P12ihipStream_tbENKUlT_T0_E_clISt17integral_constantIbLb0EESY_EEDaST_SU_EUlST_E_NS1_11comp_targetILNS1_3genE8ELNS1_11target_archE1030ELNS1_3gpuE2ELNS1_3repE0EEENS1_30default_config_static_selectorELNS0_4arch9wavefront6targetE1EEEvT1_,"axG",@progbits,_ZN7rocprim17ROCPRIM_400000_NS6detail17trampoline_kernelINS0_14default_configENS1_20scan_config_selectorIN3c108BFloat16EEEZZNS1_9scan_implILNS1_25lookback_scan_determinismE0ELb0ELb0ES3_PKS6_PS6_S6_ZZZN2at6native31launch_logcumsumexp_cuda_kernelERKNSD_10TensorBaseESH_lENKUlvE_clEvENKUlvE4_clEvEUlS6_S6_E_S6_EEDaPvRmT3_T4_T5_mT6_P12ihipStream_tbENKUlT_T0_E_clISt17integral_constantIbLb0EESY_EEDaST_SU_EUlST_E_NS1_11comp_targetILNS1_3genE8ELNS1_11target_archE1030ELNS1_3gpuE2ELNS1_3repE0EEENS1_30default_config_static_selectorELNS0_4arch9wavefront6targetE1EEEvT1_,comdat
.Lfunc_end446:
	.size	_ZN7rocprim17ROCPRIM_400000_NS6detail17trampoline_kernelINS0_14default_configENS1_20scan_config_selectorIN3c108BFloat16EEEZZNS1_9scan_implILNS1_25lookback_scan_determinismE0ELb0ELb0ES3_PKS6_PS6_S6_ZZZN2at6native31launch_logcumsumexp_cuda_kernelERKNSD_10TensorBaseESH_lENKUlvE_clEvENKUlvE4_clEvEUlS6_S6_E_S6_EEDaPvRmT3_T4_T5_mT6_P12ihipStream_tbENKUlT_T0_E_clISt17integral_constantIbLb0EESY_EEDaST_SU_EUlST_E_NS1_11comp_targetILNS1_3genE8ELNS1_11target_archE1030ELNS1_3gpuE2ELNS1_3repE0EEENS1_30default_config_static_selectorELNS0_4arch9wavefront6targetE1EEEvT1_, .Lfunc_end446-_ZN7rocprim17ROCPRIM_400000_NS6detail17trampoline_kernelINS0_14default_configENS1_20scan_config_selectorIN3c108BFloat16EEEZZNS1_9scan_implILNS1_25lookback_scan_determinismE0ELb0ELb0ES3_PKS6_PS6_S6_ZZZN2at6native31launch_logcumsumexp_cuda_kernelERKNSD_10TensorBaseESH_lENKUlvE_clEvENKUlvE4_clEvEUlS6_S6_E_S6_EEDaPvRmT3_T4_T5_mT6_P12ihipStream_tbENKUlT_T0_E_clISt17integral_constantIbLb0EESY_EEDaST_SU_EUlST_E_NS1_11comp_targetILNS1_3genE8ELNS1_11target_archE1030ELNS1_3gpuE2ELNS1_3repE0EEENS1_30default_config_static_selectorELNS0_4arch9wavefront6targetE1EEEvT1_
                                        ; -- End function
	.set _ZN7rocprim17ROCPRIM_400000_NS6detail17trampoline_kernelINS0_14default_configENS1_20scan_config_selectorIN3c108BFloat16EEEZZNS1_9scan_implILNS1_25lookback_scan_determinismE0ELb0ELb0ES3_PKS6_PS6_S6_ZZZN2at6native31launch_logcumsumexp_cuda_kernelERKNSD_10TensorBaseESH_lENKUlvE_clEvENKUlvE4_clEvEUlS6_S6_E_S6_EEDaPvRmT3_T4_T5_mT6_P12ihipStream_tbENKUlT_T0_E_clISt17integral_constantIbLb0EESY_EEDaST_SU_EUlST_E_NS1_11comp_targetILNS1_3genE8ELNS1_11target_archE1030ELNS1_3gpuE2ELNS1_3repE0EEENS1_30default_config_static_selectorELNS0_4arch9wavefront6targetE1EEEvT1_.num_vgpr, 0
	.set _ZN7rocprim17ROCPRIM_400000_NS6detail17trampoline_kernelINS0_14default_configENS1_20scan_config_selectorIN3c108BFloat16EEEZZNS1_9scan_implILNS1_25lookback_scan_determinismE0ELb0ELb0ES3_PKS6_PS6_S6_ZZZN2at6native31launch_logcumsumexp_cuda_kernelERKNSD_10TensorBaseESH_lENKUlvE_clEvENKUlvE4_clEvEUlS6_S6_E_S6_EEDaPvRmT3_T4_T5_mT6_P12ihipStream_tbENKUlT_T0_E_clISt17integral_constantIbLb0EESY_EEDaST_SU_EUlST_E_NS1_11comp_targetILNS1_3genE8ELNS1_11target_archE1030ELNS1_3gpuE2ELNS1_3repE0EEENS1_30default_config_static_selectorELNS0_4arch9wavefront6targetE1EEEvT1_.num_agpr, 0
	.set _ZN7rocprim17ROCPRIM_400000_NS6detail17trampoline_kernelINS0_14default_configENS1_20scan_config_selectorIN3c108BFloat16EEEZZNS1_9scan_implILNS1_25lookback_scan_determinismE0ELb0ELb0ES3_PKS6_PS6_S6_ZZZN2at6native31launch_logcumsumexp_cuda_kernelERKNSD_10TensorBaseESH_lENKUlvE_clEvENKUlvE4_clEvEUlS6_S6_E_S6_EEDaPvRmT3_T4_T5_mT6_P12ihipStream_tbENKUlT_T0_E_clISt17integral_constantIbLb0EESY_EEDaST_SU_EUlST_E_NS1_11comp_targetILNS1_3genE8ELNS1_11target_archE1030ELNS1_3gpuE2ELNS1_3repE0EEENS1_30default_config_static_selectorELNS0_4arch9wavefront6targetE1EEEvT1_.numbered_sgpr, 0
	.set _ZN7rocprim17ROCPRIM_400000_NS6detail17trampoline_kernelINS0_14default_configENS1_20scan_config_selectorIN3c108BFloat16EEEZZNS1_9scan_implILNS1_25lookback_scan_determinismE0ELb0ELb0ES3_PKS6_PS6_S6_ZZZN2at6native31launch_logcumsumexp_cuda_kernelERKNSD_10TensorBaseESH_lENKUlvE_clEvENKUlvE4_clEvEUlS6_S6_E_S6_EEDaPvRmT3_T4_T5_mT6_P12ihipStream_tbENKUlT_T0_E_clISt17integral_constantIbLb0EESY_EEDaST_SU_EUlST_E_NS1_11comp_targetILNS1_3genE8ELNS1_11target_archE1030ELNS1_3gpuE2ELNS1_3repE0EEENS1_30default_config_static_selectorELNS0_4arch9wavefront6targetE1EEEvT1_.num_named_barrier, 0
	.set _ZN7rocprim17ROCPRIM_400000_NS6detail17trampoline_kernelINS0_14default_configENS1_20scan_config_selectorIN3c108BFloat16EEEZZNS1_9scan_implILNS1_25lookback_scan_determinismE0ELb0ELb0ES3_PKS6_PS6_S6_ZZZN2at6native31launch_logcumsumexp_cuda_kernelERKNSD_10TensorBaseESH_lENKUlvE_clEvENKUlvE4_clEvEUlS6_S6_E_S6_EEDaPvRmT3_T4_T5_mT6_P12ihipStream_tbENKUlT_T0_E_clISt17integral_constantIbLb0EESY_EEDaST_SU_EUlST_E_NS1_11comp_targetILNS1_3genE8ELNS1_11target_archE1030ELNS1_3gpuE2ELNS1_3repE0EEENS1_30default_config_static_selectorELNS0_4arch9wavefront6targetE1EEEvT1_.private_seg_size, 0
	.set _ZN7rocprim17ROCPRIM_400000_NS6detail17trampoline_kernelINS0_14default_configENS1_20scan_config_selectorIN3c108BFloat16EEEZZNS1_9scan_implILNS1_25lookback_scan_determinismE0ELb0ELb0ES3_PKS6_PS6_S6_ZZZN2at6native31launch_logcumsumexp_cuda_kernelERKNSD_10TensorBaseESH_lENKUlvE_clEvENKUlvE4_clEvEUlS6_S6_E_S6_EEDaPvRmT3_T4_T5_mT6_P12ihipStream_tbENKUlT_T0_E_clISt17integral_constantIbLb0EESY_EEDaST_SU_EUlST_E_NS1_11comp_targetILNS1_3genE8ELNS1_11target_archE1030ELNS1_3gpuE2ELNS1_3repE0EEENS1_30default_config_static_selectorELNS0_4arch9wavefront6targetE1EEEvT1_.uses_vcc, 0
	.set _ZN7rocprim17ROCPRIM_400000_NS6detail17trampoline_kernelINS0_14default_configENS1_20scan_config_selectorIN3c108BFloat16EEEZZNS1_9scan_implILNS1_25lookback_scan_determinismE0ELb0ELb0ES3_PKS6_PS6_S6_ZZZN2at6native31launch_logcumsumexp_cuda_kernelERKNSD_10TensorBaseESH_lENKUlvE_clEvENKUlvE4_clEvEUlS6_S6_E_S6_EEDaPvRmT3_T4_T5_mT6_P12ihipStream_tbENKUlT_T0_E_clISt17integral_constantIbLb0EESY_EEDaST_SU_EUlST_E_NS1_11comp_targetILNS1_3genE8ELNS1_11target_archE1030ELNS1_3gpuE2ELNS1_3repE0EEENS1_30default_config_static_selectorELNS0_4arch9wavefront6targetE1EEEvT1_.uses_flat_scratch, 0
	.set _ZN7rocprim17ROCPRIM_400000_NS6detail17trampoline_kernelINS0_14default_configENS1_20scan_config_selectorIN3c108BFloat16EEEZZNS1_9scan_implILNS1_25lookback_scan_determinismE0ELb0ELb0ES3_PKS6_PS6_S6_ZZZN2at6native31launch_logcumsumexp_cuda_kernelERKNSD_10TensorBaseESH_lENKUlvE_clEvENKUlvE4_clEvEUlS6_S6_E_S6_EEDaPvRmT3_T4_T5_mT6_P12ihipStream_tbENKUlT_T0_E_clISt17integral_constantIbLb0EESY_EEDaST_SU_EUlST_E_NS1_11comp_targetILNS1_3genE8ELNS1_11target_archE1030ELNS1_3gpuE2ELNS1_3repE0EEENS1_30default_config_static_selectorELNS0_4arch9wavefront6targetE1EEEvT1_.has_dyn_sized_stack, 0
	.set _ZN7rocprim17ROCPRIM_400000_NS6detail17trampoline_kernelINS0_14default_configENS1_20scan_config_selectorIN3c108BFloat16EEEZZNS1_9scan_implILNS1_25lookback_scan_determinismE0ELb0ELb0ES3_PKS6_PS6_S6_ZZZN2at6native31launch_logcumsumexp_cuda_kernelERKNSD_10TensorBaseESH_lENKUlvE_clEvENKUlvE4_clEvEUlS6_S6_E_S6_EEDaPvRmT3_T4_T5_mT6_P12ihipStream_tbENKUlT_T0_E_clISt17integral_constantIbLb0EESY_EEDaST_SU_EUlST_E_NS1_11comp_targetILNS1_3genE8ELNS1_11target_archE1030ELNS1_3gpuE2ELNS1_3repE0EEENS1_30default_config_static_selectorELNS0_4arch9wavefront6targetE1EEEvT1_.has_recursion, 0
	.set _ZN7rocprim17ROCPRIM_400000_NS6detail17trampoline_kernelINS0_14default_configENS1_20scan_config_selectorIN3c108BFloat16EEEZZNS1_9scan_implILNS1_25lookback_scan_determinismE0ELb0ELb0ES3_PKS6_PS6_S6_ZZZN2at6native31launch_logcumsumexp_cuda_kernelERKNSD_10TensorBaseESH_lENKUlvE_clEvENKUlvE4_clEvEUlS6_S6_E_S6_EEDaPvRmT3_T4_T5_mT6_P12ihipStream_tbENKUlT_T0_E_clISt17integral_constantIbLb0EESY_EEDaST_SU_EUlST_E_NS1_11comp_targetILNS1_3genE8ELNS1_11target_archE1030ELNS1_3gpuE2ELNS1_3repE0EEENS1_30default_config_static_selectorELNS0_4arch9wavefront6targetE1EEEvT1_.has_indirect_call, 0
	.section	.AMDGPU.csdata,"",@progbits
; Kernel info:
; codeLenInByte = 0
; TotalNumSgprs: 6
; NumVgprs: 0
; NumAgprs: 0
; TotalNumVgprs: 0
; ScratchSize: 0
; MemoryBound: 0
; FloatMode: 240
; IeeeMode: 1
; LDSByteSize: 0 bytes/workgroup (compile time only)
; SGPRBlocks: 0
; VGPRBlocks: 0
; NumSGPRsForWavesPerEU: 6
; NumVGPRsForWavesPerEU: 1
; AccumOffset: 4
; Occupancy: 8
; WaveLimiterHint : 0
; COMPUTE_PGM_RSRC2:SCRATCH_EN: 0
; COMPUTE_PGM_RSRC2:USER_SGPR: 2
; COMPUTE_PGM_RSRC2:TRAP_HANDLER: 0
; COMPUTE_PGM_RSRC2:TGID_X_EN: 1
; COMPUTE_PGM_RSRC2:TGID_Y_EN: 0
; COMPUTE_PGM_RSRC2:TGID_Z_EN: 0
; COMPUTE_PGM_RSRC2:TIDIG_COMP_CNT: 0
; COMPUTE_PGM_RSRC3_GFX90A:ACCUM_OFFSET: 0
; COMPUTE_PGM_RSRC3_GFX90A:TG_SPLIT: 0
	.section	.text._ZN7rocprim17ROCPRIM_400000_NS6detail17trampoline_kernelINS0_14default_configENS1_25transform_config_selectorIN3c108BFloat16ELb1EEEZNS1_14transform_implILb1ES3_S7_PS6_S9_NS0_8identityIS6_EEEE10hipError_tT2_T3_mT4_P12ihipStream_tbEUlT_E_NS1_11comp_targetILNS1_3genE0ELNS1_11target_archE4294967295ELNS1_3gpuE0ELNS1_3repE0EEENS1_30default_config_static_selectorELNS0_4arch9wavefront6targetE1EEEvT1_,"axG",@progbits,_ZN7rocprim17ROCPRIM_400000_NS6detail17trampoline_kernelINS0_14default_configENS1_25transform_config_selectorIN3c108BFloat16ELb1EEEZNS1_14transform_implILb1ES3_S7_PS6_S9_NS0_8identityIS6_EEEE10hipError_tT2_T3_mT4_P12ihipStream_tbEUlT_E_NS1_11comp_targetILNS1_3genE0ELNS1_11target_archE4294967295ELNS1_3gpuE0ELNS1_3repE0EEENS1_30default_config_static_selectorELNS0_4arch9wavefront6targetE1EEEvT1_,comdat
	.protected	_ZN7rocprim17ROCPRIM_400000_NS6detail17trampoline_kernelINS0_14default_configENS1_25transform_config_selectorIN3c108BFloat16ELb1EEEZNS1_14transform_implILb1ES3_S7_PS6_S9_NS0_8identityIS6_EEEE10hipError_tT2_T3_mT4_P12ihipStream_tbEUlT_E_NS1_11comp_targetILNS1_3genE0ELNS1_11target_archE4294967295ELNS1_3gpuE0ELNS1_3repE0EEENS1_30default_config_static_selectorELNS0_4arch9wavefront6targetE1EEEvT1_ ; -- Begin function _ZN7rocprim17ROCPRIM_400000_NS6detail17trampoline_kernelINS0_14default_configENS1_25transform_config_selectorIN3c108BFloat16ELb1EEEZNS1_14transform_implILb1ES3_S7_PS6_S9_NS0_8identityIS6_EEEE10hipError_tT2_T3_mT4_P12ihipStream_tbEUlT_E_NS1_11comp_targetILNS1_3genE0ELNS1_11target_archE4294967295ELNS1_3gpuE0ELNS1_3repE0EEENS1_30default_config_static_selectorELNS0_4arch9wavefront6targetE1EEEvT1_
	.globl	_ZN7rocprim17ROCPRIM_400000_NS6detail17trampoline_kernelINS0_14default_configENS1_25transform_config_selectorIN3c108BFloat16ELb1EEEZNS1_14transform_implILb1ES3_S7_PS6_S9_NS0_8identityIS6_EEEE10hipError_tT2_T3_mT4_P12ihipStream_tbEUlT_E_NS1_11comp_targetILNS1_3genE0ELNS1_11target_archE4294967295ELNS1_3gpuE0ELNS1_3repE0EEENS1_30default_config_static_selectorELNS0_4arch9wavefront6targetE1EEEvT1_
	.p2align	8
	.type	_ZN7rocprim17ROCPRIM_400000_NS6detail17trampoline_kernelINS0_14default_configENS1_25transform_config_selectorIN3c108BFloat16ELb1EEEZNS1_14transform_implILb1ES3_S7_PS6_S9_NS0_8identityIS6_EEEE10hipError_tT2_T3_mT4_P12ihipStream_tbEUlT_E_NS1_11comp_targetILNS1_3genE0ELNS1_11target_archE4294967295ELNS1_3gpuE0ELNS1_3repE0EEENS1_30default_config_static_selectorELNS0_4arch9wavefront6targetE1EEEvT1_,@function
_ZN7rocprim17ROCPRIM_400000_NS6detail17trampoline_kernelINS0_14default_configENS1_25transform_config_selectorIN3c108BFloat16ELb1EEEZNS1_14transform_implILb1ES3_S7_PS6_S9_NS0_8identityIS6_EEEE10hipError_tT2_T3_mT4_P12ihipStream_tbEUlT_E_NS1_11comp_targetILNS1_3genE0ELNS1_11target_archE4294967295ELNS1_3gpuE0ELNS1_3repE0EEENS1_30default_config_static_selectorELNS0_4arch9wavefront6targetE1EEEvT1_: ; @_ZN7rocprim17ROCPRIM_400000_NS6detail17trampoline_kernelINS0_14default_configENS1_25transform_config_selectorIN3c108BFloat16ELb1EEEZNS1_14transform_implILb1ES3_S7_PS6_S9_NS0_8identityIS6_EEEE10hipError_tT2_T3_mT4_P12ihipStream_tbEUlT_E_NS1_11comp_targetILNS1_3genE0ELNS1_11target_archE4294967295ELNS1_3gpuE0ELNS1_3repE0EEENS1_30default_config_static_selectorELNS0_4arch9wavefront6targetE1EEEvT1_
; %bb.0:
	s_load_dwordx8 s[4:11], s[0:1], 0x0
	s_load_dword s3, s[0:1], 0x28
	s_waitcnt lgkmcnt(0)
	s_lshl_b64 s[0:1], s[6:7], 1
	s_add_u32 s4, s4, s0
	s_addc_u32 s5, s5, s1
	s_add_u32 s9, s10, s0
	s_addc_u32 s14, s11, s1
	s_lshl_b32 s0, s2, 9
	s_mov_b32 s1, 0
	s_add_i32 s3, s3, -1
	s_lshl_b64 s[10:11], s[0:1], 1
	s_add_u32 s12, s4, s10
	s_addc_u32 s13, s5, s11
	s_cmp_lg_u32 s2, s3
	s_mov_b64 s[2:3], -1
	s_cbranch_scc0 .LBB447_2
; %bb.1:
	v_lshlrev_b32_e32 v1, 3, v0
	global_load_dwordx2 v[2:3], v1, s[12:13]
	s_add_u32 s2, s9, s10
	s_addc_u32 s3, s14, s11
	s_waitcnt vmcnt(0)
	global_store_dwordx2 v1, v[2:3], s[2:3]
	s_mov_b64 s[2:3], 0
.LBB447_2:
	s_andn2_b64 vcc, exec, s[2:3]
	s_cbranch_vccnz .LBB447_16
; %bb.3:
	s_sub_i32 s6, s8, s0
	v_cmp_gt_u32_e32 vcc, s6, v0
	v_lshlrev_b32_e32 v1, 1, v0
                                        ; implicit-def: $vgpr2
	s_and_saveexec_b64 s[0:1], vcc
	s_cbranch_execz .LBB447_5
; %bb.4:
	global_load_ushort v2, v1, s[12:13]
.LBB447_5:
	s_or_b64 exec, exec, s[0:1]
	v_or_b32_e32 v3, 0x80, v0
	v_cmp_gt_u32_e64 s[0:1], s6, v3
                                        ; implicit-def: $vgpr3
	s_and_saveexec_b64 s[2:3], s[0:1]
	s_cbranch_execz .LBB447_7
; %bb.6:
	global_load_ushort v3, v1, s[12:13] offset:256
.LBB447_7:
	s_or_b64 exec, exec, s[2:3]
	v_or_b32_e32 v4, 0x100, v0
	v_cmp_gt_u32_e64 s[2:3], s6, v4
                                        ; implicit-def: $vgpr4
	s_and_saveexec_b64 s[4:5], s[2:3]
	s_cbranch_execz .LBB447_9
; %bb.8:
	global_load_ushort v4, v1, s[12:13] offset:512
.LBB447_9:
	s_or_b64 exec, exec, s[4:5]
	v_or_b32_e32 v1, 0x180, v0
	v_cmp_gt_u32_e64 s[4:5], s6, v1
	v_cmp_le_u32_e64 s[6:7], s6, v1
	s_and_saveexec_b64 s[16:17], s[6:7]
	s_xor_b64 s[6:7], exec, s[16:17]
	s_or_saveexec_b64 s[6:7], s[6:7]
                                        ; implicit-def: $vgpr5
	s_xor_b64 exec, exec, s[6:7]
	s_cbranch_execz .LBB447_11
; %bb.10:
	v_lshlrev_b32_e32 v1, 1, v0
	global_load_ushort v5, v1, s[12:13] offset:768
.LBB447_11:
	s_or_b64 exec, exec, s[6:7]
	s_add_u32 s6, s9, s10
	s_addc_u32 s7, s14, s11
	v_lshlrev_b32_e32 v0, 1, v0
	v_mov_b32_e32 v1, 0
	v_lshl_add_u64 v[0:1], s[6:7], 0, v[0:1]
	s_and_saveexec_b64 s[6:7], vcc
	s_cbranch_execnz .LBB447_17
; %bb.12:
	s_or_b64 exec, exec, s[6:7]
	s_and_saveexec_b64 s[6:7], s[0:1]
	s_cbranch_execnz .LBB447_18
.LBB447_13:
	s_or_b64 exec, exec, s[6:7]
	s_and_saveexec_b64 s[0:1], s[2:3]
	s_cbranch_execnz .LBB447_19
.LBB447_14:
	s_or_b64 exec, exec, s[0:1]
	s_and_saveexec_b64 s[0:1], s[4:5]
	s_cbranch_execz .LBB447_16
.LBB447_15:
	s_waitcnt vmcnt(0)
	global_store_short v[0:1], v5, off offset:768
.LBB447_16:
	s_endpgm
.LBB447_17:
	s_waitcnt vmcnt(0)
	global_store_short v[0:1], v2, off
	s_or_b64 exec, exec, s[6:7]
	s_and_saveexec_b64 s[6:7], s[0:1]
	s_cbranch_execz .LBB447_13
.LBB447_18:
	s_waitcnt vmcnt(0)
	global_store_short v[0:1], v3, off offset:256
	s_or_b64 exec, exec, s[6:7]
	s_and_saveexec_b64 s[0:1], s[2:3]
	s_cbranch_execz .LBB447_14
.LBB447_19:
	s_waitcnt vmcnt(0)
	global_store_short v[0:1], v4, off offset:512
	s_or_b64 exec, exec, s[0:1]
	s_and_saveexec_b64 s[0:1], s[4:5]
	s_cbranch_execnz .LBB447_15
	s_branch .LBB447_16
	.section	.rodata,"a",@progbits
	.p2align	6, 0x0
	.amdhsa_kernel _ZN7rocprim17ROCPRIM_400000_NS6detail17trampoline_kernelINS0_14default_configENS1_25transform_config_selectorIN3c108BFloat16ELb1EEEZNS1_14transform_implILb1ES3_S7_PS6_S9_NS0_8identityIS6_EEEE10hipError_tT2_T3_mT4_P12ihipStream_tbEUlT_E_NS1_11comp_targetILNS1_3genE0ELNS1_11target_archE4294967295ELNS1_3gpuE0ELNS1_3repE0EEENS1_30default_config_static_selectorELNS0_4arch9wavefront6targetE1EEEvT1_
		.amdhsa_group_segment_fixed_size 0
		.amdhsa_private_segment_fixed_size 0
		.amdhsa_kernarg_size 296
		.amdhsa_user_sgpr_count 2
		.amdhsa_user_sgpr_dispatch_ptr 0
		.amdhsa_user_sgpr_queue_ptr 0
		.amdhsa_user_sgpr_kernarg_segment_ptr 1
		.amdhsa_user_sgpr_dispatch_id 0
		.amdhsa_user_sgpr_kernarg_preload_length 0
		.amdhsa_user_sgpr_kernarg_preload_offset 0
		.amdhsa_user_sgpr_private_segment_size 0
		.amdhsa_uses_dynamic_stack 0
		.amdhsa_enable_private_segment 0
		.amdhsa_system_sgpr_workgroup_id_x 1
		.amdhsa_system_sgpr_workgroup_id_y 0
		.amdhsa_system_sgpr_workgroup_id_z 0
		.amdhsa_system_sgpr_workgroup_info 0
		.amdhsa_system_vgpr_workitem_id 0
		.amdhsa_next_free_vgpr 6
		.amdhsa_next_free_sgpr 18
		.amdhsa_accum_offset 8
		.amdhsa_reserve_vcc 1
		.amdhsa_float_round_mode_32 0
		.amdhsa_float_round_mode_16_64 0
		.amdhsa_float_denorm_mode_32 3
		.amdhsa_float_denorm_mode_16_64 3
		.amdhsa_dx10_clamp 1
		.amdhsa_ieee_mode 1
		.amdhsa_fp16_overflow 0
		.amdhsa_tg_split 0
		.amdhsa_exception_fp_ieee_invalid_op 0
		.amdhsa_exception_fp_denorm_src 0
		.amdhsa_exception_fp_ieee_div_zero 0
		.amdhsa_exception_fp_ieee_overflow 0
		.amdhsa_exception_fp_ieee_underflow 0
		.amdhsa_exception_fp_ieee_inexact 0
		.amdhsa_exception_int_div_zero 0
	.end_amdhsa_kernel
	.section	.text._ZN7rocprim17ROCPRIM_400000_NS6detail17trampoline_kernelINS0_14default_configENS1_25transform_config_selectorIN3c108BFloat16ELb1EEEZNS1_14transform_implILb1ES3_S7_PS6_S9_NS0_8identityIS6_EEEE10hipError_tT2_T3_mT4_P12ihipStream_tbEUlT_E_NS1_11comp_targetILNS1_3genE0ELNS1_11target_archE4294967295ELNS1_3gpuE0ELNS1_3repE0EEENS1_30default_config_static_selectorELNS0_4arch9wavefront6targetE1EEEvT1_,"axG",@progbits,_ZN7rocprim17ROCPRIM_400000_NS6detail17trampoline_kernelINS0_14default_configENS1_25transform_config_selectorIN3c108BFloat16ELb1EEEZNS1_14transform_implILb1ES3_S7_PS6_S9_NS0_8identityIS6_EEEE10hipError_tT2_T3_mT4_P12ihipStream_tbEUlT_E_NS1_11comp_targetILNS1_3genE0ELNS1_11target_archE4294967295ELNS1_3gpuE0ELNS1_3repE0EEENS1_30default_config_static_selectorELNS0_4arch9wavefront6targetE1EEEvT1_,comdat
.Lfunc_end447:
	.size	_ZN7rocprim17ROCPRIM_400000_NS6detail17trampoline_kernelINS0_14default_configENS1_25transform_config_selectorIN3c108BFloat16ELb1EEEZNS1_14transform_implILb1ES3_S7_PS6_S9_NS0_8identityIS6_EEEE10hipError_tT2_T3_mT4_P12ihipStream_tbEUlT_E_NS1_11comp_targetILNS1_3genE0ELNS1_11target_archE4294967295ELNS1_3gpuE0ELNS1_3repE0EEENS1_30default_config_static_selectorELNS0_4arch9wavefront6targetE1EEEvT1_, .Lfunc_end447-_ZN7rocprim17ROCPRIM_400000_NS6detail17trampoline_kernelINS0_14default_configENS1_25transform_config_selectorIN3c108BFloat16ELb1EEEZNS1_14transform_implILb1ES3_S7_PS6_S9_NS0_8identityIS6_EEEE10hipError_tT2_T3_mT4_P12ihipStream_tbEUlT_E_NS1_11comp_targetILNS1_3genE0ELNS1_11target_archE4294967295ELNS1_3gpuE0ELNS1_3repE0EEENS1_30default_config_static_selectorELNS0_4arch9wavefront6targetE1EEEvT1_
                                        ; -- End function
	.set _ZN7rocprim17ROCPRIM_400000_NS6detail17trampoline_kernelINS0_14default_configENS1_25transform_config_selectorIN3c108BFloat16ELb1EEEZNS1_14transform_implILb1ES3_S7_PS6_S9_NS0_8identityIS6_EEEE10hipError_tT2_T3_mT4_P12ihipStream_tbEUlT_E_NS1_11comp_targetILNS1_3genE0ELNS1_11target_archE4294967295ELNS1_3gpuE0ELNS1_3repE0EEENS1_30default_config_static_selectorELNS0_4arch9wavefront6targetE1EEEvT1_.num_vgpr, 6
	.set _ZN7rocprim17ROCPRIM_400000_NS6detail17trampoline_kernelINS0_14default_configENS1_25transform_config_selectorIN3c108BFloat16ELb1EEEZNS1_14transform_implILb1ES3_S7_PS6_S9_NS0_8identityIS6_EEEE10hipError_tT2_T3_mT4_P12ihipStream_tbEUlT_E_NS1_11comp_targetILNS1_3genE0ELNS1_11target_archE4294967295ELNS1_3gpuE0ELNS1_3repE0EEENS1_30default_config_static_selectorELNS0_4arch9wavefront6targetE1EEEvT1_.num_agpr, 0
	.set _ZN7rocprim17ROCPRIM_400000_NS6detail17trampoline_kernelINS0_14default_configENS1_25transform_config_selectorIN3c108BFloat16ELb1EEEZNS1_14transform_implILb1ES3_S7_PS6_S9_NS0_8identityIS6_EEEE10hipError_tT2_T3_mT4_P12ihipStream_tbEUlT_E_NS1_11comp_targetILNS1_3genE0ELNS1_11target_archE4294967295ELNS1_3gpuE0ELNS1_3repE0EEENS1_30default_config_static_selectorELNS0_4arch9wavefront6targetE1EEEvT1_.numbered_sgpr, 18
	.set _ZN7rocprim17ROCPRIM_400000_NS6detail17trampoline_kernelINS0_14default_configENS1_25transform_config_selectorIN3c108BFloat16ELb1EEEZNS1_14transform_implILb1ES3_S7_PS6_S9_NS0_8identityIS6_EEEE10hipError_tT2_T3_mT4_P12ihipStream_tbEUlT_E_NS1_11comp_targetILNS1_3genE0ELNS1_11target_archE4294967295ELNS1_3gpuE0ELNS1_3repE0EEENS1_30default_config_static_selectorELNS0_4arch9wavefront6targetE1EEEvT1_.num_named_barrier, 0
	.set _ZN7rocprim17ROCPRIM_400000_NS6detail17trampoline_kernelINS0_14default_configENS1_25transform_config_selectorIN3c108BFloat16ELb1EEEZNS1_14transform_implILb1ES3_S7_PS6_S9_NS0_8identityIS6_EEEE10hipError_tT2_T3_mT4_P12ihipStream_tbEUlT_E_NS1_11comp_targetILNS1_3genE0ELNS1_11target_archE4294967295ELNS1_3gpuE0ELNS1_3repE0EEENS1_30default_config_static_selectorELNS0_4arch9wavefront6targetE1EEEvT1_.private_seg_size, 0
	.set _ZN7rocprim17ROCPRIM_400000_NS6detail17trampoline_kernelINS0_14default_configENS1_25transform_config_selectorIN3c108BFloat16ELb1EEEZNS1_14transform_implILb1ES3_S7_PS6_S9_NS0_8identityIS6_EEEE10hipError_tT2_T3_mT4_P12ihipStream_tbEUlT_E_NS1_11comp_targetILNS1_3genE0ELNS1_11target_archE4294967295ELNS1_3gpuE0ELNS1_3repE0EEENS1_30default_config_static_selectorELNS0_4arch9wavefront6targetE1EEEvT1_.uses_vcc, 1
	.set _ZN7rocprim17ROCPRIM_400000_NS6detail17trampoline_kernelINS0_14default_configENS1_25transform_config_selectorIN3c108BFloat16ELb1EEEZNS1_14transform_implILb1ES3_S7_PS6_S9_NS0_8identityIS6_EEEE10hipError_tT2_T3_mT4_P12ihipStream_tbEUlT_E_NS1_11comp_targetILNS1_3genE0ELNS1_11target_archE4294967295ELNS1_3gpuE0ELNS1_3repE0EEENS1_30default_config_static_selectorELNS0_4arch9wavefront6targetE1EEEvT1_.uses_flat_scratch, 0
	.set _ZN7rocprim17ROCPRIM_400000_NS6detail17trampoline_kernelINS0_14default_configENS1_25transform_config_selectorIN3c108BFloat16ELb1EEEZNS1_14transform_implILb1ES3_S7_PS6_S9_NS0_8identityIS6_EEEE10hipError_tT2_T3_mT4_P12ihipStream_tbEUlT_E_NS1_11comp_targetILNS1_3genE0ELNS1_11target_archE4294967295ELNS1_3gpuE0ELNS1_3repE0EEENS1_30default_config_static_selectorELNS0_4arch9wavefront6targetE1EEEvT1_.has_dyn_sized_stack, 0
	.set _ZN7rocprim17ROCPRIM_400000_NS6detail17trampoline_kernelINS0_14default_configENS1_25transform_config_selectorIN3c108BFloat16ELb1EEEZNS1_14transform_implILb1ES3_S7_PS6_S9_NS0_8identityIS6_EEEE10hipError_tT2_T3_mT4_P12ihipStream_tbEUlT_E_NS1_11comp_targetILNS1_3genE0ELNS1_11target_archE4294967295ELNS1_3gpuE0ELNS1_3repE0EEENS1_30default_config_static_selectorELNS0_4arch9wavefront6targetE1EEEvT1_.has_recursion, 0
	.set _ZN7rocprim17ROCPRIM_400000_NS6detail17trampoline_kernelINS0_14default_configENS1_25transform_config_selectorIN3c108BFloat16ELb1EEEZNS1_14transform_implILb1ES3_S7_PS6_S9_NS0_8identityIS6_EEEE10hipError_tT2_T3_mT4_P12ihipStream_tbEUlT_E_NS1_11comp_targetILNS1_3genE0ELNS1_11target_archE4294967295ELNS1_3gpuE0ELNS1_3repE0EEENS1_30default_config_static_selectorELNS0_4arch9wavefront6targetE1EEEvT1_.has_indirect_call, 0
	.section	.AMDGPU.csdata,"",@progbits
; Kernel info:
; codeLenInByte = 444
; TotalNumSgprs: 24
; NumVgprs: 6
; NumAgprs: 0
; TotalNumVgprs: 6
; ScratchSize: 0
; MemoryBound: 0
; FloatMode: 240
; IeeeMode: 1
; LDSByteSize: 0 bytes/workgroup (compile time only)
; SGPRBlocks: 2
; VGPRBlocks: 0
; NumSGPRsForWavesPerEU: 24
; NumVGPRsForWavesPerEU: 6
; AccumOffset: 8
; Occupancy: 8
; WaveLimiterHint : 0
; COMPUTE_PGM_RSRC2:SCRATCH_EN: 0
; COMPUTE_PGM_RSRC2:USER_SGPR: 2
; COMPUTE_PGM_RSRC2:TRAP_HANDLER: 0
; COMPUTE_PGM_RSRC2:TGID_X_EN: 1
; COMPUTE_PGM_RSRC2:TGID_Y_EN: 0
; COMPUTE_PGM_RSRC2:TGID_Z_EN: 0
; COMPUTE_PGM_RSRC2:TIDIG_COMP_CNT: 0
; COMPUTE_PGM_RSRC3_GFX90A:ACCUM_OFFSET: 1
; COMPUTE_PGM_RSRC3_GFX90A:TG_SPLIT: 0
	.section	.text._ZN7rocprim17ROCPRIM_400000_NS6detail17trampoline_kernelINS0_14default_configENS1_25transform_config_selectorIN3c108BFloat16ELb1EEEZNS1_14transform_implILb1ES3_S7_PS6_S9_NS0_8identityIS6_EEEE10hipError_tT2_T3_mT4_P12ihipStream_tbEUlT_E_NS1_11comp_targetILNS1_3genE10ELNS1_11target_archE1201ELNS1_3gpuE5ELNS1_3repE0EEENS1_30default_config_static_selectorELNS0_4arch9wavefront6targetE1EEEvT1_,"axG",@progbits,_ZN7rocprim17ROCPRIM_400000_NS6detail17trampoline_kernelINS0_14default_configENS1_25transform_config_selectorIN3c108BFloat16ELb1EEEZNS1_14transform_implILb1ES3_S7_PS6_S9_NS0_8identityIS6_EEEE10hipError_tT2_T3_mT4_P12ihipStream_tbEUlT_E_NS1_11comp_targetILNS1_3genE10ELNS1_11target_archE1201ELNS1_3gpuE5ELNS1_3repE0EEENS1_30default_config_static_selectorELNS0_4arch9wavefront6targetE1EEEvT1_,comdat
	.protected	_ZN7rocprim17ROCPRIM_400000_NS6detail17trampoline_kernelINS0_14default_configENS1_25transform_config_selectorIN3c108BFloat16ELb1EEEZNS1_14transform_implILb1ES3_S7_PS6_S9_NS0_8identityIS6_EEEE10hipError_tT2_T3_mT4_P12ihipStream_tbEUlT_E_NS1_11comp_targetILNS1_3genE10ELNS1_11target_archE1201ELNS1_3gpuE5ELNS1_3repE0EEENS1_30default_config_static_selectorELNS0_4arch9wavefront6targetE1EEEvT1_ ; -- Begin function _ZN7rocprim17ROCPRIM_400000_NS6detail17trampoline_kernelINS0_14default_configENS1_25transform_config_selectorIN3c108BFloat16ELb1EEEZNS1_14transform_implILb1ES3_S7_PS6_S9_NS0_8identityIS6_EEEE10hipError_tT2_T3_mT4_P12ihipStream_tbEUlT_E_NS1_11comp_targetILNS1_3genE10ELNS1_11target_archE1201ELNS1_3gpuE5ELNS1_3repE0EEENS1_30default_config_static_selectorELNS0_4arch9wavefront6targetE1EEEvT1_
	.globl	_ZN7rocprim17ROCPRIM_400000_NS6detail17trampoline_kernelINS0_14default_configENS1_25transform_config_selectorIN3c108BFloat16ELb1EEEZNS1_14transform_implILb1ES3_S7_PS6_S9_NS0_8identityIS6_EEEE10hipError_tT2_T3_mT4_P12ihipStream_tbEUlT_E_NS1_11comp_targetILNS1_3genE10ELNS1_11target_archE1201ELNS1_3gpuE5ELNS1_3repE0EEENS1_30default_config_static_selectorELNS0_4arch9wavefront6targetE1EEEvT1_
	.p2align	8
	.type	_ZN7rocprim17ROCPRIM_400000_NS6detail17trampoline_kernelINS0_14default_configENS1_25transform_config_selectorIN3c108BFloat16ELb1EEEZNS1_14transform_implILb1ES3_S7_PS6_S9_NS0_8identityIS6_EEEE10hipError_tT2_T3_mT4_P12ihipStream_tbEUlT_E_NS1_11comp_targetILNS1_3genE10ELNS1_11target_archE1201ELNS1_3gpuE5ELNS1_3repE0EEENS1_30default_config_static_selectorELNS0_4arch9wavefront6targetE1EEEvT1_,@function
_ZN7rocprim17ROCPRIM_400000_NS6detail17trampoline_kernelINS0_14default_configENS1_25transform_config_selectorIN3c108BFloat16ELb1EEEZNS1_14transform_implILb1ES3_S7_PS6_S9_NS0_8identityIS6_EEEE10hipError_tT2_T3_mT4_P12ihipStream_tbEUlT_E_NS1_11comp_targetILNS1_3genE10ELNS1_11target_archE1201ELNS1_3gpuE5ELNS1_3repE0EEENS1_30default_config_static_selectorELNS0_4arch9wavefront6targetE1EEEvT1_: ; @_ZN7rocprim17ROCPRIM_400000_NS6detail17trampoline_kernelINS0_14default_configENS1_25transform_config_selectorIN3c108BFloat16ELb1EEEZNS1_14transform_implILb1ES3_S7_PS6_S9_NS0_8identityIS6_EEEE10hipError_tT2_T3_mT4_P12ihipStream_tbEUlT_E_NS1_11comp_targetILNS1_3genE10ELNS1_11target_archE1201ELNS1_3gpuE5ELNS1_3repE0EEENS1_30default_config_static_selectorELNS0_4arch9wavefront6targetE1EEEvT1_
; %bb.0:
	.section	.rodata,"a",@progbits
	.p2align	6, 0x0
	.amdhsa_kernel _ZN7rocprim17ROCPRIM_400000_NS6detail17trampoline_kernelINS0_14default_configENS1_25transform_config_selectorIN3c108BFloat16ELb1EEEZNS1_14transform_implILb1ES3_S7_PS6_S9_NS0_8identityIS6_EEEE10hipError_tT2_T3_mT4_P12ihipStream_tbEUlT_E_NS1_11comp_targetILNS1_3genE10ELNS1_11target_archE1201ELNS1_3gpuE5ELNS1_3repE0EEENS1_30default_config_static_selectorELNS0_4arch9wavefront6targetE1EEEvT1_
		.amdhsa_group_segment_fixed_size 0
		.amdhsa_private_segment_fixed_size 0
		.amdhsa_kernarg_size 40
		.amdhsa_user_sgpr_count 2
		.amdhsa_user_sgpr_dispatch_ptr 0
		.amdhsa_user_sgpr_queue_ptr 0
		.amdhsa_user_sgpr_kernarg_segment_ptr 1
		.amdhsa_user_sgpr_dispatch_id 0
		.amdhsa_user_sgpr_kernarg_preload_length 0
		.amdhsa_user_sgpr_kernarg_preload_offset 0
		.amdhsa_user_sgpr_private_segment_size 0
		.amdhsa_uses_dynamic_stack 0
		.amdhsa_enable_private_segment 0
		.amdhsa_system_sgpr_workgroup_id_x 1
		.amdhsa_system_sgpr_workgroup_id_y 0
		.amdhsa_system_sgpr_workgroup_id_z 0
		.amdhsa_system_sgpr_workgroup_info 0
		.amdhsa_system_vgpr_workitem_id 0
		.amdhsa_next_free_vgpr 1
		.amdhsa_next_free_sgpr 0
		.amdhsa_accum_offset 4
		.amdhsa_reserve_vcc 0
		.amdhsa_float_round_mode_32 0
		.amdhsa_float_round_mode_16_64 0
		.amdhsa_float_denorm_mode_32 3
		.amdhsa_float_denorm_mode_16_64 3
		.amdhsa_dx10_clamp 1
		.amdhsa_ieee_mode 1
		.amdhsa_fp16_overflow 0
		.amdhsa_tg_split 0
		.amdhsa_exception_fp_ieee_invalid_op 0
		.amdhsa_exception_fp_denorm_src 0
		.amdhsa_exception_fp_ieee_div_zero 0
		.amdhsa_exception_fp_ieee_overflow 0
		.amdhsa_exception_fp_ieee_underflow 0
		.amdhsa_exception_fp_ieee_inexact 0
		.amdhsa_exception_int_div_zero 0
	.end_amdhsa_kernel
	.section	.text._ZN7rocprim17ROCPRIM_400000_NS6detail17trampoline_kernelINS0_14default_configENS1_25transform_config_selectorIN3c108BFloat16ELb1EEEZNS1_14transform_implILb1ES3_S7_PS6_S9_NS0_8identityIS6_EEEE10hipError_tT2_T3_mT4_P12ihipStream_tbEUlT_E_NS1_11comp_targetILNS1_3genE10ELNS1_11target_archE1201ELNS1_3gpuE5ELNS1_3repE0EEENS1_30default_config_static_selectorELNS0_4arch9wavefront6targetE1EEEvT1_,"axG",@progbits,_ZN7rocprim17ROCPRIM_400000_NS6detail17trampoline_kernelINS0_14default_configENS1_25transform_config_selectorIN3c108BFloat16ELb1EEEZNS1_14transform_implILb1ES3_S7_PS6_S9_NS0_8identityIS6_EEEE10hipError_tT2_T3_mT4_P12ihipStream_tbEUlT_E_NS1_11comp_targetILNS1_3genE10ELNS1_11target_archE1201ELNS1_3gpuE5ELNS1_3repE0EEENS1_30default_config_static_selectorELNS0_4arch9wavefront6targetE1EEEvT1_,comdat
.Lfunc_end448:
	.size	_ZN7rocprim17ROCPRIM_400000_NS6detail17trampoline_kernelINS0_14default_configENS1_25transform_config_selectorIN3c108BFloat16ELb1EEEZNS1_14transform_implILb1ES3_S7_PS6_S9_NS0_8identityIS6_EEEE10hipError_tT2_T3_mT4_P12ihipStream_tbEUlT_E_NS1_11comp_targetILNS1_3genE10ELNS1_11target_archE1201ELNS1_3gpuE5ELNS1_3repE0EEENS1_30default_config_static_selectorELNS0_4arch9wavefront6targetE1EEEvT1_, .Lfunc_end448-_ZN7rocprim17ROCPRIM_400000_NS6detail17trampoline_kernelINS0_14default_configENS1_25transform_config_selectorIN3c108BFloat16ELb1EEEZNS1_14transform_implILb1ES3_S7_PS6_S9_NS0_8identityIS6_EEEE10hipError_tT2_T3_mT4_P12ihipStream_tbEUlT_E_NS1_11comp_targetILNS1_3genE10ELNS1_11target_archE1201ELNS1_3gpuE5ELNS1_3repE0EEENS1_30default_config_static_selectorELNS0_4arch9wavefront6targetE1EEEvT1_
                                        ; -- End function
	.set _ZN7rocprim17ROCPRIM_400000_NS6detail17trampoline_kernelINS0_14default_configENS1_25transform_config_selectorIN3c108BFloat16ELb1EEEZNS1_14transform_implILb1ES3_S7_PS6_S9_NS0_8identityIS6_EEEE10hipError_tT2_T3_mT4_P12ihipStream_tbEUlT_E_NS1_11comp_targetILNS1_3genE10ELNS1_11target_archE1201ELNS1_3gpuE5ELNS1_3repE0EEENS1_30default_config_static_selectorELNS0_4arch9wavefront6targetE1EEEvT1_.num_vgpr, 0
	.set _ZN7rocprim17ROCPRIM_400000_NS6detail17trampoline_kernelINS0_14default_configENS1_25transform_config_selectorIN3c108BFloat16ELb1EEEZNS1_14transform_implILb1ES3_S7_PS6_S9_NS0_8identityIS6_EEEE10hipError_tT2_T3_mT4_P12ihipStream_tbEUlT_E_NS1_11comp_targetILNS1_3genE10ELNS1_11target_archE1201ELNS1_3gpuE5ELNS1_3repE0EEENS1_30default_config_static_selectorELNS0_4arch9wavefront6targetE1EEEvT1_.num_agpr, 0
	.set _ZN7rocprim17ROCPRIM_400000_NS6detail17trampoline_kernelINS0_14default_configENS1_25transform_config_selectorIN3c108BFloat16ELb1EEEZNS1_14transform_implILb1ES3_S7_PS6_S9_NS0_8identityIS6_EEEE10hipError_tT2_T3_mT4_P12ihipStream_tbEUlT_E_NS1_11comp_targetILNS1_3genE10ELNS1_11target_archE1201ELNS1_3gpuE5ELNS1_3repE0EEENS1_30default_config_static_selectorELNS0_4arch9wavefront6targetE1EEEvT1_.numbered_sgpr, 0
	.set _ZN7rocprim17ROCPRIM_400000_NS6detail17trampoline_kernelINS0_14default_configENS1_25transform_config_selectorIN3c108BFloat16ELb1EEEZNS1_14transform_implILb1ES3_S7_PS6_S9_NS0_8identityIS6_EEEE10hipError_tT2_T3_mT4_P12ihipStream_tbEUlT_E_NS1_11comp_targetILNS1_3genE10ELNS1_11target_archE1201ELNS1_3gpuE5ELNS1_3repE0EEENS1_30default_config_static_selectorELNS0_4arch9wavefront6targetE1EEEvT1_.num_named_barrier, 0
	.set _ZN7rocprim17ROCPRIM_400000_NS6detail17trampoline_kernelINS0_14default_configENS1_25transform_config_selectorIN3c108BFloat16ELb1EEEZNS1_14transform_implILb1ES3_S7_PS6_S9_NS0_8identityIS6_EEEE10hipError_tT2_T3_mT4_P12ihipStream_tbEUlT_E_NS1_11comp_targetILNS1_3genE10ELNS1_11target_archE1201ELNS1_3gpuE5ELNS1_3repE0EEENS1_30default_config_static_selectorELNS0_4arch9wavefront6targetE1EEEvT1_.private_seg_size, 0
	.set _ZN7rocprim17ROCPRIM_400000_NS6detail17trampoline_kernelINS0_14default_configENS1_25transform_config_selectorIN3c108BFloat16ELb1EEEZNS1_14transform_implILb1ES3_S7_PS6_S9_NS0_8identityIS6_EEEE10hipError_tT2_T3_mT4_P12ihipStream_tbEUlT_E_NS1_11comp_targetILNS1_3genE10ELNS1_11target_archE1201ELNS1_3gpuE5ELNS1_3repE0EEENS1_30default_config_static_selectorELNS0_4arch9wavefront6targetE1EEEvT1_.uses_vcc, 0
	.set _ZN7rocprim17ROCPRIM_400000_NS6detail17trampoline_kernelINS0_14default_configENS1_25transform_config_selectorIN3c108BFloat16ELb1EEEZNS1_14transform_implILb1ES3_S7_PS6_S9_NS0_8identityIS6_EEEE10hipError_tT2_T3_mT4_P12ihipStream_tbEUlT_E_NS1_11comp_targetILNS1_3genE10ELNS1_11target_archE1201ELNS1_3gpuE5ELNS1_3repE0EEENS1_30default_config_static_selectorELNS0_4arch9wavefront6targetE1EEEvT1_.uses_flat_scratch, 0
	.set _ZN7rocprim17ROCPRIM_400000_NS6detail17trampoline_kernelINS0_14default_configENS1_25transform_config_selectorIN3c108BFloat16ELb1EEEZNS1_14transform_implILb1ES3_S7_PS6_S9_NS0_8identityIS6_EEEE10hipError_tT2_T3_mT4_P12ihipStream_tbEUlT_E_NS1_11comp_targetILNS1_3genE10ELNS1_11target_archE1201ELNS1_3gpuE5ELNS1_3repE0EEENS1_30default_config_static_selectorELNS0_4arch9wavefront6targetE1EEEvT1_.has_dyn_sized_stack, 0
	.set _ZN7rocprim17ROCPRIM_400000_NS6detail17trampoline_kernelINS0_14default_configENS1_25transform_config_selectorIN3c108BFloat16ELb1EEEZNS1_14transform_implILb1ES3_S7_PS6_S9_NS0_8identityIS6_EEEE10hipError_tT2_T3_mT4_P12ihipStream_tbEUlT_E_NS1_11comp_targetILNS1_3genE10ELNS1_11target_archE1201ELNS1_3gpuE5ELNS1_3repE0EEENS1_30default_config_static_selectorELNS0_4arch9wavefront6targetE1EEEvT1_.has_recursion, 0
	.set _ZN7rocprim17ROCPRIM_400000_NS6detail17trampoline_kernelINS0_14default_configENS1_25transform_config_selectorIN3c108BFloat16ELb1EEEZNS1_14transform_implILb1ES3_S7_PS6_S9_NS0_8identityIS6_EEEE10hipError_tT2_T3_mT4_P12ihipStream_tbEUlT_E_NS1_11comp_targetILNS1_3genE10ELNS1_11target_archE1201ELNS1_3gpuE5ELNS1_3repE0EEENS1_30default_config_static_selectorELNS0_4arch9wavefront6targetE1EEEvT1_.has_indirect_call, 0
	.section	.AMDGPU.csdata,"",@progbits
; Kernel info:
; codeLenInByte = 0
; TotalNumSgprs: 6
; NumVgprs: 0
; NumAgprs: 0
; TotalNumVgprs: 0
; ScratchSize: 0
; MemoryBound: 0
; FloatMode: 240
; IeeeMode: 1
; LDSByteSize: 0 bytes/workgroup (compile time only)
; SGPRBlocks: 0
; VGPRBlocks: 0
; NumSGPRsForWavesPerEU: 6
; NumVGPRsForWavesPerEU: 1
; AccumOffset: 4
; Occupancy: 8
; WaveLimiterHint : 0
; COMPUTE_PGM_RSRC2:SCRATCH_EN: 0
; COMPUTE_PGM_RSRC2:USER_SGPR: 2
; COMPUTE_PGM_RSRC2:TRAP_HANDLER: 0
; COMPUTE_PGM_RSRC2:TGID_X_EN: 1
; COMPUTE_PGM_RSRC2:TGID_Y_EN: 0
; COMPUTE_PGM_RSRC2:TGID_Z_EN: 0
; COMPUTE_PGM_RSRC2:TIDIG_COMP_CNT: 0
; COMPUTE_PGM_RSRC3_GFX90A:ACCUM_OFFSET: 0
; COMPUTE_PGM_RSRC3_GFX90A:TG_SPLIT: 0
	.section	.text._ZN7rocprim17ROCPRIM_400000_NS6detail17trampoline_kernelINS0_14default_configENS1_25transform_config_selectorIN3c108BFloat16ELb1EEEZNS1_14transform_implILb1ES3_S7_PS6_S9_NS0_8identityIS6_EEEE10hipError_tT2_T3_mT4_P12ihipStream_tbEUlT_E_NS1_11comp_targetILNS1_3genE5ELNS1_11target_archE942ELNS1_3gpuE9ELNS1_3repE0EEENS1_30default_config_static_selectorELNS0_4arch9wavefront6targetE1EEEvT1_,"axG",@progbits,_ZN7rocprim17ROCPRIM_400000_NS6detail17trampoline_kernelINS0_14default_configENS1_25transform_config_selectorIN3c108BFloat16ELb1EEEZNS1_14transform_implILb1ES3_S7_PS6_S9_NS0_8identityIS6_EEEE10hipError_tT2_T3_mT4_P12ihipStream_tbEUlT_E_NS1_11comp_targetILNS1_3genE5ELNS1_11target_archE942ELNS1_3gpuE9ELNS1_3repE0EEENS1_30default_config_static_selectorELNS0_4arch9wavefront6targetE1EEEvT1_,comdat
	.protected	_ZN7rocprim17ROCPRIM_400000_NS6detail17trampoline_kernelINS0_14default_configENS1_25transform_config_selectorIN3c108BFloat16ELb1EEEZNS1_14transform_implILb1ES3_S7_PS6_S9_NS0_8identityIS6_EEEE10hipError_tT2_T3_mT4_P12ihipStream_tbEUlT_E_NS1_11comp_targetILNS1_3genE5ELNS1_11target_archE942ELNS1_3gpuE9ELNS1_3repE0EEENS1_30default_config_static_selectorELNS0_4arch9wavefront6targetE1EEEvT1_ ; -- Begin function _ZN7rocprim17ROCPRIM_400000_NS6detail17trampoline_kernelINS0_14default_configENS1_25transform_config_selectorIN3c108BFloat16ELb1EEEZNS1_14transform_implILb1ES3_S7_PS6_S9_NS0_8identityIS6_EEEE10hipError_tT2_T3_mT4_P12ihipStream_tbEUlT_E_NS1_11comp_targetILNS1_3genE5ELNS1_11target_archE942ELNS1_3gpuE9ELNS1_3repE0EEENS1_30default_config_static_selectorELNS0_4arch9wavefront6targetE1EEEvT1_
	.globl	_ZN7rocprim17ROCPRIM_400000_NS6detail17trampoline_kernelINS0_14default_configENS1_25transform_config_selectorIN3c108BFloat16ELb1EEEZNS1_14transform_implILb1ES3_S7_PS6_S9_NS0_8identityIS6_EEEE10hipError_tT2_T3_mT4_P12ihipStream_tbEUlT_E_NS1_11comp_targetILNS1_3genE5ELNS1_11target_archE942ELNS1_3gpuE9ELNS1_3repE0EEENS1_30default_config_static_selectorELNS0_4arch9wavefront6targetE1EEEvT1_
	.p2align	8
	.type	_ZN7rocprim17ROCPRIM_400000_NS6detail17trampoline_kernelINS0_14default_configENS1_25transform_config_selectorIN3c108BFloat16ELb1EEEZNS1_14transform_implILb1ES3_S7_PS6_S9_NS0_8identityIS6_EEEE10hipError_tT2_T3_mT4_P12ihipStream_tbEUlT_E_NS1_11comp_targetILNS1_3genE5ELNS1_11target_archE942ELNS1_3gpuE9ELNS1_3repE0EEENS1_30default_config_static_selectorELNS0_4arch9wavefront6targetE1EEEvT1_,@function
_ZN7rocprim17ROCPRIM_400000_NS6detail17trampoline_kernelINS0_14default_configENS1_25transform_config_selectorIN3c108BFloat16ELb1EEEZNS1_14transform_implILb1ES3_S7_PS6_S9_NS0_8identityIS6_EEEE10hipError_tT2_T3_mT4_P12ihipStream_tbEUlT_E_NS1_11comp_targetILNS1_3genE5ELNS1_11target_archE942ELNS1_3gpuE9ELNS1_3repE0EEENS1_30default_config_static_selectorELNS0_4arch9wavefront6targetE1EEEvT1_: ; @_ZN7rocprim17ROCPRIM_400000_NS6detail17trampoline_kernelINS0_14default_configENS1_25transform_config_selectorIN3c108BFloat16ELb1EEEZNS1_14transform_implILb1ES3_S7_PS6_S9_NS0_8identityIS6_EEEE10hipError_tT2_T3_mT4_P12ihipStream_tbEUlT_E_NS1_11comp_targetILNS1_3genE5ELNS1_11target_archE942ELNS1_3gpuE9ELNS1_3repE0EEENS1_30default_config_static_selectorELNS0_4arch9wavefront6targetE1EEEvT1_
; %bb.0:
	.section	.rodata,"a",@progbits
	.p2align	6, 0x0
	.amdhsa_kernel _ZN7rocprim17ROCPRIM_400000_NS6detail17trampoline_kernelINS0_14default_configENS1_25transform_config_selectorIN3c108BFloat16ELb1EEEZNS1_14transform_implILb1ES3_S7_PS6_S9_NS0_8identityIS6_EEEE10hipError_tT2_T3_mT4_P12ihipStream_tbEUlT_E_NS1_11comp_targetILNS1_3genE5ELNS1_11target_archE942ELNS1_3gpuE9ELNS1_3repE0EEENS1_30default_config_static_selectorELNS0_4arch9wavefront6targetE1EEEvT1_
		.amdhsa_group_segment_fixed_size 0
		.amdhsa_private_segment_fixed_size 0
		.amdhsa_kernarg_size 40
		.amdhsa_user_sgpr_count 2
		.amdhsa_user_sgpr_dispatch_ptr 0
		.amdhsa_user_sgpr_queue_ptr 0
		.amdhsa_user_sgpr_kernarg_segment_ptr 1
		.amdhsa_user_sgpr_dispatch_id 0
		.amdhsa_user_sgpr_kernarg_preload_length 0
		.amdhsa_user_sgpr_kernarg_preload_offset 0
		.amdhsa_user_sgpr_private_segment_size 0
		.amdhsa_uses_dynamic_stack 0
		.amdhsa_enable_private_segment 0
		.amdhsa_system_sgpr_workgroup_id_x 1
		.amdhsa_system_sgpr_workgroup_id_y 0
		.amdhsa_system_sgpr_workgroup_id_z 0
		.amdhsa_system_sgpr_workgroup_info 0
		.amdhsa_system_vgpr_workitem_id 0
		.amdhsa_next_free_vgpr 1
		.amdhsa_next_free_sgpr 0
		.amdhsa_accum_offset 4
		.amdhsa_reserve_vcc 0
		.amdhsa_float_round_mode_32 0
		.amdhsa_float_round_mode_16_64 0
		.amdhsa_float_denorm_mode_32 3
		.amdhsa_float_denorm_mode_16_64 3
		.amdhsa_dx10_clamp 1
		.amdhsa_ieee_mode 1
		.amdhsa_fp16_overflow 0
		.amdhsa_tg_split 0
		.amdhsa_exception_fp_ieee_invalid_op 0
		.amdhsa_exception_fp_denorm_src 0
		.amdhsa_exception_fp_ieee_div_zero 0
		.amdhsa_exception_fp_ieee_overflow 0
		.amdhsa_exception_fp_ieee_underflow 0
		.amdhsa_exception_fp_ieee_inexact 0
		.amdhsa_exception_int_div_zero 0
	.end_amdhsa_kernel
	.section	.text._ZN7rocprim17ROCPRIM_400000_NS6detail17trampoline_kernelINS0_14default_configENS1_25transform_config_selectorIN3c108BFloat16ELb1EEEZNS1_14transform_implILb1ES3_S7_PS6_S9_NS0_8identityIS6_EEEE10hipError_tT2_T3_mT4_P12ihipStream_tbEUlT_E_NS1_11comp_targetILNS1_3genE5ELNS1_11target_archE942ELNS1_3gpuE9ELNS1_3repE0EEENS1_30default_config_static_selectorELNS0_4arch9wavefront6targetE1EEEvT1_,"axG",@progbits,_ZN7rocprim17ROCPRIM_400000_NS6detail17trampoline_kernelINS0_14default_configENS1_25transform_config_selectorIN3c108BFloat16ELb1EEEZNS1_14transform_implILb1ES3_S7_PS6_S9_NS0_8identityIS6_EEEE10hipError_tT2_T3_mT4_P12ihipStream_tbEUlT_E_NS1_11comp_targetILNS1_3genE5ELNS1_11target_archE942ELNS1_3gpuE9ELNS1_3repE0EEENS1_30default_config_static_selectorELNS0_4arch9wavefront6targetE1EEEvT1_,comdat
.Lfunc_end449:
	.size	_ZN7rocprim17ROCPRIM_400000_NS6detail17trampoline_kernelINS0_14default_configENS1_25transform_config_selectorIN3c108BFloat16ELb1EEEZNS1_14transform_implILb1ES3_S7_PS6_S9_NS0_8identityIS6_EEEE10hipError_tT2_T3_mT4_P12ihipStream_tbEUlT_E_NS1_11comp_targetILNS1_3genE5ELNS1_11target_archE942ELNS1_3gpuE9ELNS1_3repE0EEENS1_30default_config_static_selectorELNS0_4arch9wavefront6targetE1EEEvT1_, .Lfunc_end449-_ZN7rocprim17ROCPRIM_400000_NS6detail17trampoline_kernelINS0_14default_configENS1_25transform_config_selectorIN3c108BFloat16ELb1EEEZNS1_14transform_implILb1ES3_S7_PS6_S9_NS0_8identityIS6_EEEE10hipError_tT2_T3_mT4_P12ihipStream_tbEUlT_E_NS1_11comp_targetILNS1_3genE5ELNS1_11target_archE942ELNS1_3gpuE9ELNS1_3repE0EEENS1_30default_config_static_selectorELNS0_4arch9wavefront6targetE1EEEvT1_
                                        ; -- End function
	.set _ZN7rocprim17ROCPRIM_400000_NS6detail17trampoline_kernelINS0_14default_configENS1_25transform_config_selectorIN3c108BFloat16ELb1EEEZNS1_14transform_implILb1ES3_S7_PS6_S9_NS0_8identityIS6_EEEE10hipError_tT2_T3_mT4_P12ihipStream_tbEUlT_E_NS1_11comp_targetILNS1_3genE5ELNS1_11target_archE942ELNS1_3gpuE9ELNS1_3repE0EEENS1_30default_config_static_selectorELNS0_4arch9wavefront6targetE1EEEvT1_.num_vgpr, 0
	.set _ZN7rocprim17ROCPRIM_400000_NS6detail17trampoline_kernelINS0_14default_configENS1_25transform_config_selectorIN3c108BFloat16ELb1EEEZNS1_14transform_implILb1ES3_S7_PS6_S9_NS0_8identityIS6_EEEE10hipError_tT2_T3_mT4_P12ihipStream_tbEUlT_E_NS1_11comp_targetILNS1_3genE5ELNS1_11target_archE942ELNS1_3gpuE9ELNS1_3repE0EEENS1_30default_config_static_selectorELNS0_4arch9wavefront6targetE1EEEvT1_.num_agpr, 0
	.set _ZN7rocprim17ROCPRIM_400000_NS6detail17trampoline_kernelINS0_14default_configENS1_25transform_config_selectorIN3c108BFloat16ELb1EEEZNS1_14transform_implILb1ES3_S7_PS6_S9_NS0_8identityIS6_EEEE10hipError_tT2_T3_mT4_P12ihipStream_tbEUlT_E_NS1_11comp_targetILNS1_3genE5ELNS1_11target_archE942ELNS1_3gpuE9ELNS1_3repE0EEENS1_30default_config_static_selectorELNS0_4arch9wavefront6targetE1EEEvT1_.numbered_sgpr, 0
	.set _ZN7rocprim17ROCPRIM_400000_NS6detail17trampoline_kernelINS0_14default_configENS1_25transform_config_selectorIN3c108BFloat16ELb1EEEZNS1_14transform_implILb1ES3_S7_PS6_S9_NS0_8identityIS6_EEEE10hipError_tT2_T3_mT4_P12ihipStream_tbEUlT_E_NS1_11comp_targetILNS1_3genE5ELNS1_11target_archE942ELNS1_3gpuE9ELNS1_3repE0EEENS1_30default_config_static_selectorELNS0_4arch9wavefront6targetE1EEEvT1_.num_named_barrier, 0
	.set _ZN7rocprim17ROCPRIM_400000_NS6detail17trampoline_kernelINS0_14default_configENS1_25transform_config_selectorIN3c108BFloat16ELb1EEEZNS1_14transform_implILb1ES3_S7_PS6_S9_NS0_8identityIS6_EEEE10hipError_tT2_T3_mT4_P12ihipStream_tbEUlT_E_NS1_11comp_targetILNS1_3genE5ELNS1_11target_archE942ELNS1_3gpuE9ELNS1_3repE0EEENS1_30default_config_static_selectorELNS0_4arch9wavefront6targetE1EEEvT1_.private_seg_size, 0
	.set _ZN7rocprim17ROCPRIM_400000_NS6detail17trampoline_kernelINS0_14default_configENS1_25transform_config_selectorIN3c108BFloat16ELb1EEEZNS1_14transform_implILb1ES3_S7_PS6_S9_NS0_8identityIS6_EEEE10hipError_tT2_T3_mT4_P12ihipStream_tbEUlT_E_NS1_11comp_targetILNS1_3genE5ELNS1_11target_archE942ELNS1_3gpuE9ELNS1_3repE0EEENS1_30default_config_static_selectorELNS0_4arch9wavefront6targetE1EEEvT1_.uses_vcc, 0
	.set _ZN7rocprim17ROCPRIM_400000_NS6detail17trampoline_kernelINS0_14default_configENS1_25transform_config_selectorIN3c108BFloat16ELb1EEEZNS1_14transform_implILb1ES3_S7_PS6_S9_NS0_8identityIS6_EEEE10hipError_tT2_T3_mT4_P12ihipStream_tbEUlT_E_NS1_11comp_targetILNS1_3genE5ELNS1_11target_archE942ELNS1_3gpuE9ELNS1_3repE0EEENS1_30default_config_static_selectorELNS0_4arch9wavefront6targetE1EEEvT1_.uses_flat_scratch, 0
	.set _ZN7rocprim17ROCPRIM_400000_NS6detail17trampoline_kernelINS0_14default_configENS1_25transform_config_selectorIN3c108BFloat16ELb1EEEZNS1_14transform_implILb1ES3_S7_PS6_S9_NS0_8identityIS6_EEEE10hipError_tT2_T3_mT4_P12ihipStream_tbEUlT_E_NS1_11comp_targetILNS1_3genE5ELNS1_11target_archE942ELNS1_3gpuE9ELNS1_3repE0EEENS1_30default_config_static_selectorELNS0_4arch9wavefront6targetE1EEEvT1_.has_dyn_sized_stack, 0
	.set _ZN7rocprim17ROCPRIM_400000_NS6detail17trampoline_kernelINS0_14default_configENS1_25transform_config_selectorIN3c108BFloat16ELb1EEEZNS1_14transform_implILb1ES3_S7_PS6_S9_NS0_8identityIS6_EEEE10hipError_tT2_T3_mT4_P12ihipStream_tbEUlT_E_NS1_11comp_targetILNS1_3genE5ELNS1_11target_archE942ELNS1_3gpuE9ELNS1_3repE0EEENS1_30default_config_static_selectorELNS0_4arch9wavefront6targetE1EEEvT1_.has_recursion, 0
	.set _ZN7rocprim17ROCPRIM_400000_NS6detail17trampoline_kernelINS0_14default_configENS1_25transform_config_selectorIN3c108BFloat16ELb1EEEZNS1_14transform_implILb1ES3_S7_PS6_S9_NS0_8identityIS6_EEEE10hipError_tT2_T3_mT4_P12ihipStream_tbEUlT_E_NS1_11comp_targetILNS1_3genE5ELNS1_11target_archE942ELNS1_3gpuE9ELNS1_3repE0EEENS1_30default_config_static_selectorELNS0_4arch9wavefront6targetE1EEEvT1_.has_indirect_call, 0
	.section	.AMDGPU.csdata,"",@progbits
; Kernel info:
; codeLenInByte = 0
; TotalNumSgprs: 6
; NumVgprs: 0
; NumAgprs: 0
; TotalNumVgprs: 0
; ScratchSize: 0
; MemoryBound: 0
; FloatMode: 240
; IeeeMode: 1
; LDSByteSize: 0 bytes/workgroup (compile time only)
; SGPRBlocks: 0
; VGPRBlocks: 0
; NumSGPRsForWavesPerEU: 6
; NumVGPRsForWavesPerEU: 1
; AccumOffset: 4
; Occupancy: 8
; WaveLimiterHint : 0
; COMPUTE_PGM_RSRC2:SCRATCH_EN: 0
; COMPUTE_PGM_RSRC2:USER_SGPR: 2
; COMPUTE_PGM_RSRC2:TRAP_HANDLER: 0
; COMPUTE_PGM_RSRC2:TGID_X_EN: 1
; COMPUTE_PGM_RSRC2:TGID_Y_EN: 0
; COMPUTE_PGM_RSRC2:TGID_Z_EN: 0
; COMPUTE_PGM_RSRC2:TIDIG_COMP_CNT: 0
; COMPUTE_PGM_RSRC3_GFX90A:ACCUM_OFFSET: 0
; COMPUTE_PGM_RSRC3_GFX90A:TG_SPLIT: 0
	.section	.text._ZN7rocprim17ROCPRIM_400000_NS6detail17trampoline_kernelINS0_14default_configENS1_25transform_config_selectorIN3c108BFloat16ELb1EEEZNS1_14transform_implILb1ES3_S7_PS6_S9_NS0_8identityIS6_EEEE10hipError_tT2_T3_mT4_P12ihipStream_tbEUlT_E_NS1_11comp_targetILNS1_3genE4ELNS1_11target_archE910ELNS1_3gpuE8ELNS1_3repE0EEENS1_30default_config_static_selectorELNS0_4arch9wavefront6targetE1EEEvT1_,"axG",@progbits,_ZN7rocprim17ROCPRIM_400000_NS6detail17trampoline_kernelINS0_14default_configENS1_25transform_config_selectorIN3c108BFloat16ELb1EEEZNS1_14transform_implILb1ES3_S7_PS6_S9_NS0_8identityIS6_EEEE10hipError_tT2_T3_mT4_P12ihipStream_tbEUlT_E_NS1_11comp_targetILNS1_3genE4ELNS1_11target_archE910ELNS1_3gpuE8ELNS1_3repE0EEENS1_30default_config_static_selectorELNS0_4arch9wavefront6targetE1EEEvT1_,comdat
	.protected	_ZN7rocprim17ROCPRIM_400000_NS6detail17trampoline_kernelINS0_14default_configENS1_25transform_config_selectorIN3c108BFloat16ELb1EEEZNS1_14transform_implILb1ES3_S7_PS6_S9_NS0_8identityIS6_EEEE10hipError_tT2_T3_mT4_P12ihipStream_tbEUlT_E_NS1_11comp_targetILNS1_3genE4ELNS1_11target_archE910ELNS1_3gpuE8ELNS1_3repE0EEENS1_30default_config_static_selectorELNS0_4arch9wavefront6targetE1EEEvT1_ ; -- Begin function _ZN7rocprim17ROCPRIM_400000_NS6detail17trampoline_kernelINS0_14default_configENS1_25transform_config_selectorIN3c108BFloat16ELb1EEEZNS1_14transform_implILb1ES3_S7_PS6_S9_NS0_8identityIS6_EEEE10hipError_tT2_T3_mT4_P12ihipStream_tbEUlT_E_NS1_11comp_targetILNS1_3genE4ELNS1_11target_archE910ELNS1_3gpuE8ELNS1_3repE0EEENS1_30default_config_static_selectorELNS0_4arch9wavefront6targetE1EEEvT1_
	.globl	_ZN7rocprim17ROCPRIM_400000_NS6detail17trampoline_kernelINS0_14default_configENS1_25transform_config_selectorIN3c108BFloat16ELb1EEEZNS1_14transform_implILb1ES3_S7_PS6_S9_NS0_8identityIS6_EEEE10hipError_tT2_T3_mT4_P12ihipStream_tbEUlT_E_NS1_11comp_targetILNS1_3genE4ELNS1_11target_archE910ELNS1_3gpuE8ELNS1_3repE0EEENS1_30default_config_static_selectorELNS0_4arch9wavefront6targetE1EEEvT1_
	.p2align	8
	.type	_ZN7rocprim17ROCPRIM_400000_NS6detail17trampoline_kernelINS0_14default_configENS1_25transform_config_selectorIN3c108BFloat16ELb1EEEZNS1_14transform_implILb1ES3_S7_PS6_S9_NS0_8identityIS6_EEEE10hipError_tT2_T3_mT4_P12ihipStream_tbEUlT_E_NS1_11comp_targetILNS1_3genE4ELNS1_11target_archE910ELNS1_3gpuE8ELNS1_3repE0EEENS1_30default_config_static_selectorELNS0_4arch9wavefront6targetE1EEEvT1_,@function
_ZN7rocprim17ROCPRIM_400000_NS6detail17trampoline_kernelINS0_14default_configENS1_25transform_config_selectorIN3c108BFloat16ELb1EEEZNS1_14transform_implILb1ES3_S7_PS6_S9_NS0_8identityIS6_EEEE10hipError_tT2_T3_mT4_P12ihipStream_tbEUlT_E_NS1_11comp_targetILNS1_3genE4ELNS1_11target_archE910ELNS1_3gpuE8ELNS1_3repE0EEENS1_30default_config_static_selectorELNS0_4arch9wavefront6targetE1EEEvT1_: ; @_ZN7rocprim17ROCPRIM_400000_NS6detail17trampoline_kernelINS0_14default_configENS1_25transform_config_selectorIN3c108BFloat16ELb1EEEZNS1_14transform_implILb1ES3_S7_PS6_S9_NS0_8identityIS6_EEEE10hipError_tT2_T3_mT4_P12ihipStream_tbEUlT_E_NS1_11comp_targetILNS1_3genE4ELNS1_11target_archE910ELNS1_3gpuE8ELNS1_3repE0EEENS1_30default_config_static_selectorELNS0_4arch9wavefront6targetE1EEEvT1_
; %bb.0:
	.section	.rodata,"a",@progbits
	.p2align	6, 0x0
	.amdhsa_kernel _ZN7rocprim17ROCPRIM_400000_NS6detail17trampoline_kernelINS0_14default_configENS1_25transform_config_selectorIN3c108BFloat16ELb1EEEZNS1_14transform_implILb1ES3_S7_PS6_S9_NS0_8identityIS6_EEEE10hipError_tT2_T3_mT4_P12ihipStream_tbEUlT_E_NS1_11comp_targetILNS1_3genE4ELNS1_11target_archE910ELNS1_3gpuE8ELNS1_3repE0EEENS1_30default_config_static_selectorELNS0_4arch9wavefront6targetE1EEEvT1_
		.amdhsa_group_segment_fixed_size 0
		.amdhsa_private_segment_fixed_size 0
		.amdhsa_kernarg_size 40
		.amdhsa_user_sgpr_count 2
		.amdhsa_user_sgpr_dispatch_ptr 0
		.amdhsa_user_sgpr_queue_ptr 0
		.amdhsa_user_sgpr_kernarg_segment_ptr 1
		.amdhsa_user_sgpr_dispatch_id 0
		.amdhsa_user_sgpr_kernarg_preload_length 0
		.amdhsa_user_sgpr_kernarg_preload_offset 0
		.amdhsa_user_sgpr_private_segment_size 0
		.amdhsa_uses_dynamic_stack 0
		.amdhsa_enable_private_segment 0
		.amdhsa_system_sgpr_workgroup_id_x 1
		.amdhsa_system_sgpr_workgroup_id_y 0
		.amdhsa_system_sgpr_workgroup_id_z 0
		.amdhsa_system_sgpr_workgroup_info 0
		.amdhsa_system_vgpr_workitem_id 0
		.amdhsa_next_free_vgpr 1
		.amdhsa_next_free_sgpr 0
		.amdhsa_accum_offset 4
		.amdhsa_reserve_vcc 0
		.amdhsa_float_round_mode_32 0
		.amdhsa_float_round_mode_16_64 0
		.amdhsa_float_denorm_mode_32 3
		.amdhsa_float_denorm_mode_16_64 3
		.amdhsa_dx10_clamp 1
		.amdhsa_ieee_mode 1
		.amdhsa_fp16_overflow 0
		.amdhsa_tg_split 0
		.amdhsa_exception_fp_ieee_invalid_op 0
		.amdhsa_exception_fp_denorm_src 0
		.amdhsa_exception_fp_ieee_div_zero 0
		.amdhsa_exception_fp_ieee_overflow 0
		.amdhsa_exception_fp_ieee_underflow 0
		.amdhsa_exception_fp_ieee_inexact 0
		.amdhsa_exception_int_div_zero 0
	.end_amdhsa_kernel
	.section	.text._ZN7rocprim17ROCPRIM_400000_NS6detail17trampoline_kernelINS0_14default_configENS1_25transform_config_selectorIN3c108BFloat16ELb1EEEZNS1_14transform_implILb1ES3_S7_PS6_S9_NS0_8identityIS6_EEEE10hipError_tT2_T3_mT4_P12ihipStream_tbEUlT_E_NS1_11comp_targetILNS1_3genE4ELNS1_11target_archE910ELNS1_3gpuE8ELNS1_3repE0EEENS1_30default_config_static_selectorELNS0_4arch9wavefront6targetE1EEEvT1_,"axG",@progbits,_ZN7rocprim17ROCPRIM_400000_NS6detail17trampoline_kernelINS0_14default_configENS1_25transform_config_selectorIN3c108BFloat16ELb1EEEZNS1_14transform_implILb1ES3_S7_PS6_S9_NS0_8identityIS6_EEEE10hipError_tT2_T3_mT4_P12ihipStream_tbEUlT_E_NS1_11comp_targetILNS1_3genE4ELNS1_11target_archE910ELNS1_3gpuE8ELNS1_3repE0EEENS1_30default_config_static_selectorELNS0_4arch9wavefront6targetE1EEEvT1_,comdat
.Lfunc_end450:
	.size	_ZN7rocprim17ROCPRIM_400000_NS6detail17trampoline_kernelINS0_14default_configENS1_25transform_config_selectorIN3c108BFloat16ELb1EEEZNS1_14transform_implILb1ES3_S7_PS6_S9_NS0_8identityIS6_EEEE10hipError_tT2_T3_mT4_P12ihipStream_tbEUlT_E_NS1_11comp_targetILNS1_3genE4ELNS1_11target_archE910ELNS1_3gpuE8ELNS1_3repE0EEENS1_30default_config_static_selectorELNS0_4arch9wavefront6targetE1EEEvT1_, .Lfunc_end450-_ZN7rocprim17ROCPRIM_400000_NS6detail17trampoline_kernelINS0_14default_configENS1_25transform_config_selectorIN3c108BFloat16ELb1EEEZNS1_14transform_implILb1ES3_S7_PS6_S9_NS0_8identityIS6_EEEE10hipError_tT2_T3_mT4_P12ihipStream_tbEUlT_E_NS1_11comp_targetILNS1_3genE4ELNS1_11target_archE910ELNS1_3gpuE8ELNS1_3repE0EEENS1_30default_config_static_selectorELNS0_4arch9wavefront6targetE1EEEvT1_
                                        ; -- End function
	.set _ZN7rocprim17ROCPRIM_400000_NS6detail17trampoline_kernelINS0_14default_configENS1_25transform_config_selectorIN3c108BFloat16ELb1EEEZNS1_14transform_implILb1ES3_S7_PS6_S9_NS0_8identityIS6_EEEE10hipError_tT2_T3_mT4_P12ihipStream_tbEUlT_E_NS1_11comp_targetILNS1_3genE4ELNS1_11target_archE910ELNS1_3gpuE8ELNS1_3repE0EEENS1_30default_config_static_selectorELNS0_4arch9wavefront6targetE1EEEvT1_.num_vgpr, 0
	.set _ZN7rocprim17ROCPRIM_400000_NS6detail17trampoline_kernelINS0_14default_configENS1_25transform_config_selectorIN3c108BFloat16ELb1EEEZNS1_14transform_implILb1ES3_S7_PS6_S9_NS0_8identityIS6_EEEE10hipError_tT2_T3_mT4_P12ihipStream_tbEUlT_E_NS1_11comp_targetILNS1_3genE4ELNS1_11target_archE910ELNS1_3gpuE8ELNS1_3repE0EEENS1_30default_config_static_selectorELNS0_4arch9wavefront6targetE1EEEvT1_.num_agpr, 0
	.set _ZN7rocprim17ROCPRIM_400000_NS6detail17trampoline_kernelINS0_14default_configENS1_25transform_config_selectorIN3c108BFloat16ELb1EEEZNS1_14transform_implILb1ES3_S7_PS6_S9_NS0_8identityIS6_EEEE10hipError_tT2_T3_mT4_P12ihipStream_tbEUlT_E_NS1_11comp_targetILNS1_3genE4ELNS1_11target_archE910ELNS1_3gpuE8ELNS1_3repE0EEENS1_30default_config_static_selectorELNS0_4arch9wavefront6targetE1EEEvT1_.numbered_sgpr, 0
	.set _ZN7rocprim17ROCPRIM_400000_NS6detail17trampoline_kernelINS0_14default_configENS1_25transform_config_selectorIN3c108BFloat16ELb1EEEZNS1_14transform_implILb1ES3_S7_PS6_S9_NS0_8identityIS6_EEEE10hipError_tT2_T3_mT4_P12ihipStream_tbEUlT_E_NS1_11comp_targetILNS1_3genE4ELNS1_11target_archE910ELNS1_3gpuE8ELNS1_3repE0EEENS1_30default_config_static_selectorELNS0_4arch9wavefront6targetE1EEEvT1_.num_named_barrier, 0
	.set _ZN7rocprim17ROCPRIM_400000_NS6detail17trampoline_kernelINS0_14default_configENS1_25transform_config_selectorIN3c108BFloat16ELb1EEEZNS1_14transform_implILb1ES3_S7_PS6_S9_NS0_8identityIS6_EEEE10hipError_tT2_T3_mT4_P12ihipStream_tbEUlT_E_NS1_11comp_targetILNS1_3genE4ELNS1_11target_archE910ELNS1_3gpuE8ELNS1_3repE0EEENS1_30default_config_static_selectorELNS0_4arch9wavefront6targetE1EEEvT1_.private_seg_size, 0
	.set _ZN7rocprim17ROCPRIM_400000_NS6detail17trampoline_kernelINS0_14default_configENS1_25transform_config_selectorIN3c108BFloat16ELb1EEEZNS1_14transform_implILb1ES3_S7_PS6_S9_NS0_8identityIS6_EEEE10hipError_tT2_T3_mT4_P12ihipStream_tbEUlT_E_NS1_11comp_targetILNS1_3genE4ELNS1_11target_archE910ELNS1_3gpuE8ELNS1_3repE0EEENS1_30default_config_static_selectorELNS0_4arch9wavefront6targetE1EEEvT1_.uses_vcc, 0
	.set _ZN7rocprim17ROCPRIM_400000_NS6detail17trampoline_kernelINS0_14default_configENS1_25transform_config_selectorIN3c108BFloat16ELb1EEEZNS1_14transform_implILb1ES3_S7_PS6_S9_NS0_8identityIS6_EEEE10hipError_tT2_T3_mT4_P12ihipStream_tbEUlT_E_NS1_11comp_targetILNS1_3genE4ELNS1_11target_archE910ELNS1_3gpuE8ELNS1_3repE0EEENS1_30default_config_static_selectorELNS0_4arch9wavefront6targetE1EEEvT1_.uses_flat_scratch, 0
	.set _ZN7rocprim17ROCPRIM_400000_NS6detail17trampoline_kernelINS0_14default_configENS1_25transform_config_selectorIN3c108BFloat16ELb1EEEZNS1_14transform_implILb1ES3_S7_PS6_S9_NS0_8identityIS6_EEEE10hipError_tT2_T3_mT4_P12ihipStream_tbEUlT_E_NS1_11comp_targetILNS1_3genE4ELNS1_11target_archE910ELNS1_3gpuE8ELNS1_3repE0EEENS1_30default_config_static_selectorELNS0_4arch9wavefront6targetE1EEEvT1_.has_dyn_sized_stack, 0
	.set _ZN7rocprim17ROCPRIM_400000_NS6detail17trampoline_kernelINS0_14default_configENS1_25transform_config_selectorIN3c108BFloat16ELb1EEEZNS1_14transform_implILb1ES3_S7_PS6_S9_NS0_8identityIS6_EEEE10hipError_tT2_T3_mT4_P12ihipStream_tbEUlT_E_NS1_11comp_targetILNS1_3genE4ELNS1_11target_archE910ELNS1_3gpuE8ELNS1_3repE0EEENS1_30default_config_static_selectorELNS0_4arch9wavefront6targetE1EEEvT1_.has_recursion, 0
	.set _ZN7rocprim17ROCPRIM_400000_NS6detail17trampoline_kernelINS0_14default_configENS1_25transform_config_selectorIN3c108BFloat16ELb1EEEZNS1_14transform_implILb1ES3_S7_PS6_S9_NS0_8identityIS6_EEEE10hipError_tT2_T3_mT4_P12ihipStream_tbEUlT_E_NS1_11comp_targetILNS1_3genE4ELNS1_11target_archE910ELNS1_3gpuE8ELNS1_3repE0EEENS1_30default_config_static_selectorELNS0_4arch9wavefront6targetE1EEEvT1_.has_indirect_call, 0
	.section	.AMDGPU.csdata,"",@progbits
; Kernel info:
; codeLenInByte = 0
; TotalNumSgprs: 6
; NumVgprs: 0
; NumAgprs: 0
; TotalNumVgprs: 0
; ScratchSize: 0
; MemoryBound: 0
; FloatMode: 240
; IeeeMode: 1
; LDSByteSize: 0 bytes/workgroup (compile time only)
; SGPRBlocks: 0
; VGPRBlocks: 0
; NumSGPRsForWavesPerEU: 6
; NumVGPRsForWavesPerEU: 1
; AccumOffset: 4
; Occupancy: 8
; WaveLimiterHint : 0
; COMPUTE_PGM_RSRC2:SCRATCH_EN: 0
; COMPUTE_PGM_RSRC2:USER_SGPR: 2
; COMPUTE_PGM_RSRC2:TRAP_HANDLER: 0
; COMPUTE_PGM_RSRC2:TGID_X_EN: 1
; COMPUTE_PGM_RSRC2:TGID_Y_EN: 0
; COMPUTE_PGM_RSRC2:TGID_Z_EN: 0
; COMPUTE_PGM_RSRC2:TIDIG_COMP_CNT: 0
; COMPUTE_PGM_RSRC3_GFX90A:ACCUM_OFFSET: 0
; COMPUTE_PGM_RSRC3_GFX90A:TG_SPLIT: 0
	.section	.text._ZN7rocprim17ROCPRIM_400000_NS6detail17trampoline_kernelINS0_14default_configENS1_25transform_config_selectorIN3c108BFloat16ELb1EEEZNS1_14transform_implILb1ES3_S7_PS6_S9_NS0_8identityIS6_EEEE10hipError_tT2_T3_mT4_P12ihipStream_tbEUlT_E_NS1_11comp_targetILNS1_3genE3ELNS1_11target_archE908ELNS1_3gpuE7ELNS1_3repE0EEENS1_30default_config_static_selectorELNS0_4arch9wavefront6targetE1EEEvT1_,"axG",@progbits,_ZN7rocprim17ROCPRIM_400000_NS6detail17trampoline_kernelINS0_14default_configENS1_25transform_config_selectorIN3c108BFloat16ELb1EEEZNS1_14transform_implILb1ES3_S7_PS6_S9_NS0_8identityIS6_EEEE10hipError_tT2_T3_mT4_P12ihipStream_tbEUlT_E_NS1_11comp_targetILNS1_3genE3ELNS1_11target_archE908ELNS1_3gpuE7ELNS1_3repE0EEENS1_30default_config_static_selectorELNS0_4arch9wavefront6targetE1EEEvT1_,comdat
	.protected	_ZN7rocprim17ROCPRIM_400000_NS6detail17trampoline_kernelINS0_14default_configENS1_25transform_config_selectorIN3c108BFloat16ELb1EEEZNS1_14transform_implILb1ES3_S7_PS6_S9_NS0_8identityIS6_EEEE10hipError_tT2_T3_mT4_P12ihipStream_tbEUlT_E_NS1_11comp_targetILNS1_3genE3ELNS1_11target_archE908ELNS1_3gpuE7ELNS1_3repE0EEENS1_30default_config_static_selectorELNS0_4arch9wavefront6targetE1EEEvT1_ ; -- Begin function _ZN7rocprim17ROCPRIM_400000_NS6detail17trampoline_kernelINS0_14default_configENS1_25transform_config_selectorIN3c108BFloat16ELb1EEEZNS1_14transform_implILb1ES3_S7_PS6_S9_NS0_8identityIS6_EEEE10hipError_tT2_T3_mT4_P12ihipStream_tbEUlT_E_NS1_11comp_targetILNS1_3genE3ELNS1_11target_archE908ELNS1_3gpuE7ELNS1_3repE0EEENS1_30default_config_static_selectorELNS0_4arch9wavefront6targetE1EEEvT1_
	.globl	_ZN7rocprim17ROCPRIM_400000_NS6detail17trampoline_kernelINS0_14default_configENS1_25transform_config_selectorIN3c108BFloat16ELb1EEEZNS1_14transform_implILb1ES3_S7_PS6_S9_NS0_8identityIS6_EEEE10hipError_tT2_T3_mT4_P12ihipStream_tbEUlT_E_NS1_11comp_targetILNS1_3genE3ELNS1_11target_archE908ELNS1_3gpuE7ELNS1_3repE0EEENS1_30default_config_static_selectorELNS0_4arch9wavefront6targetE1EEEvT1_
	.p2align	8
	.type	_ZN7rocprim17ROCPRIM_400000_NS6detail17trampoline_kernelINS0_14default_configENS1_25transform_config_selectorIN3c108BFloat16ELb1EEEZNS1_14transform_implILb1ES3_S7_PS6_S9_NS0_8identityIS6_EEEE10hipError_tT2_T3_mT4_P12ihipStream_tbEUlT_E_NS1_11comp_targetILNS1_3genE3ELNS1_11target_archE908ELNS1_3gpuE7ELNS1_3repE0EEENS1_30default_config_static_selectorELNS0_4arch9wavefront6targetE1EEEvT1_,@function
_ZN7rocprim17ROCPRIM_400000_NS6detail17trampoline_kernelINS0_14default_configENS1_25transform_config_selectorIN3c108BFloat16ELb1EEEZNS1_14transform_implILb1ES3_S7_PS6_S9_NS0_8identityIS6_EEEE10hipError_tT2_T3_mT4_P12ihipStream_tbEUlT_E_NS1_11comp_targetILNS1_3genE3ELNS1_11target_archE908ELNS1_3gpuE7ELNS1_3repE0EEENS1_30default_config_static_selectorELNS0_4arch9wavefront6targetE1EEEvT1_: ; @_ZN7rocprim17ROCPRIM_400000_NS6detail17trampoline_kernelINS0_14default_configENS1_25transform_config_selectorIN3c108BFloat16ELb1EEEZNS1_14transform_implILb1ES3_S7_PS6_S9_NS0_8identityIS6_EEEE10hipError_tT2_T3_mT4_P12ihipStream_tbEUlT_E_NS1_11comp_targetILNS1_3genE3ELNS1_11target_archE908ELNS1_3gpuE7ELNS1_3repE0EEENS1_30default_config_static_selectorELNS0_4arch9wavefront6targetE1EEEvT1_
; %bb.0:
	.section	.rodata,"a",@progbits
	.p2align	6, 0x0
	.amdhsa_kernel _ZN7rocprim17ROCPRIM_400000_NS6detail17trampoline_kernelINS0_14default_configENS1_25transform_config_selectorIN3c108BFloat16ELb1EEEZNS1_14transform_implILb1ES3_S7_PS6_S9_NS0_8identityIS6_EEEE10hipError_tT2_T3_mT4_P12ihipStream_tbEUlT_E_NS1_11comp_targetILNS1_3genE3ELNS1_11target_archE908ELNS1_3gpuE7ELNS1_3repE0EEENS1_30default_config_static_selectorELNS0_4arch9wavefront6targetE1EEEvT1_
		.amdhsa_group_segment_fixed_size 0
		.amdhsa_private_segment_fixed_size 0
		.amdhsa_kernarg_size 40
		.amdhsa_user_sgpr_count 2
		.amdhsa_user_sgpr_dispatch_ptr 0
		.amdhsa_user_sgpr_queue_ptr 0
		.amdhsa_user_sgpr_kernarg_segment_ptr 1
		.amdhsa_user_sgpr_dispatch_id 0
		.amdhsa_user_sgpr_kernarg_preload_length 0
		.amdhsa_user_sgpr_kernarg_preload_offset 0
		.amdhsa_user_sgpr_private_segment_size 0
		.amdhsa_uses_dynamic_stack 0
		.amdhsa_enable_private_segment 0
		.amdhsa_system_sgpr_workgroup_id_x 1
		.amdhsa_system_sgpr_workgroup_id_y 0
		.amdhsa_system_sgpr_workgroup_id_z 0
		.amdhsa_system_sgpr_workgroup_info 0
		.amdhsa_system_vgpr_workitem_id 0
		.amdhsa_next_free_vgpr 1
		.amdhsa_next_free_sgpr 0
		.amdhsa_accum_offset 4
		.amdhsa_reserve_vcc 0
		.amdhsa_float_round_mode_32 0
		.amdhsa_float_round_mode_16_64 0
		.amdhsa_float_denorm_mode_32 3
		.amdhsa_float_denorm_mode_16_64 3
		.amdhsa_dx10_clamp 1
		.amdhsa_ieee_mode 1
		.amdhsa_fp16_overflow 0
		.amdhsa_tg_split 0
		.amdhsa_exception_fp_ieee_invalid_op 0
		.amdhsa_exception_fp_denorm_src 0
		.amdhsa_exception_fp_ieee_div_zero 0
		.amdhsa_exception_fp_ieee_overflow 0
		.amdhsa_exception_fp_ieee_underflow 0
		.amdhsa_exception_fp_ieee_inexact 0
		.amdhsa_exception_int_div_zero 0
	.end_amdhsa_kernel
	.section	.text._ZN7rocprim17ROCPRIM_400000_NS6detail17trampoline_kernelINS0_14default_configENS1_25transform_config_selectorIN3c108BFloat16ELb1EEEZNS1_14transform_implILb1ES3_S7_PS6_S9_NS0_8identityIS6_EEEE10hipError_tT2_T3_mT4_P12ihipStream_tbEUlT_E_NS1_11comp_targetILNS1_3genE3ELNS1_11target_archE908ELNS1_3gpuE7ELNS1_3repE0EEENS1_30default_config_static_selectorELNS0_4arch9wavefront6targetE1EEEvT1_,"axG",@progbits,_ZN7rocprim17ROCPRIM_400000_NS6detail17trampoline_kernelINS0_14default_configENS1_25transform_config_selectorIN3c108BFloat16ELb1EEEZNS1_14transform_implILb1ES3_S7_PS6_S9_NS0_8identityIS6_EEEE10hipError_tT2_T3_mT4_P12ihipStream_tbEUlT_E_NS1_11comp_targetILNS1_3genE3ELNS1_11target_archE908ELNS1_3gpuE7ELNS1_3repE0EEENS1_30default_config_static_selectorELNS0_4arch9wavefront6targetE1EEEvT1_,comdat
.Lfunc_end451:
	.size	_ZN7rocprim17ROCPRIM_400000_NS6detail17trampoline_kernelINS0_14default_configENS1_25transform_config_selectorIN3c108BFloat16ELb1EEEZNS1_14transform_implILb1ES3_S7_PS6_S9_NS0_8identityIS6_EEEE10hipError_tT2_T3_mT4_P12ihipStream_tbEUlT_E_NS1_11comp_targetILNS1_3genE3ELNS1_11target_archE908ELNS1_3gpuE7ELNS1_3repE0EEENS1_30default_config_static_selectorELNS0_4arch9wavefront6targetE1EEEvT1_, .Lfunc_end451-_ZN7rocprim17ROCPRIM_400000_NS6detail17trampoline_kernelINS0_14default_configENS1_25transform_config_selectorIN3c108BFloat16ELb1EEEZNS1_14transform_implILb1ES3_S7_PS6_S9_NS0_8identityIS6_EEEE10hipError_tT2_T3_mT4_P12ihipStream_tbEUlT_E_NS1_11comp_targetILNS1_3genE3ELNS1_11target_archE908ELNS1_3gpuE7ELNS1_3repE0EEENS1_30default_config_static_selectorELNS0_4arch9wavefront6targetE1EEEvT1_
                                        ; -- End function
	.set _ZN7rocprim17ROCPRIM_400000_NS6detail17trampoline_kernelINS0_14default_configENS1_25transform_config_selectorIN3c108BFloat16ELb1EEEZNS1_14transform_implILb1ES3_S7_PS6_S9_NS0_8identityIS6_EEEE10hipError_tT2_T3_mT4_P12ihipStream_tbEUlT_E_NS1_11comp_targetILNS1_3genE3ELNS1_11target_archE908ELNS1_3gpuE7ELNS1_3repE0EEENS1_30default_config_static_selectorELNS0_4arch9wavefront6targetE1EEEvT1_.num_vgpr, 0
	.set _ZN7rocprim17ROCPRIM_400000_NS6detail17trampoline_kernelINS0_14default_configENS1_25transform_config_selectorIN3c108BFloat16ELb1EEEZNS1_14transform_implILb1ES3_S7_PS6_S9_NS0_8identityIS6_EEEE10hipError_tT2_T3_mT4_P12ihipStream_tbEUlT_E_NS1_11comp_targetILNS1_3genE3ELNS1_11target_archE908ELNS1_3gpuE7ELNS1_3repE0EEENS1_30default_config_static_selectorELNS0_4arch9wavefront6targetE1EEEvT1_.num_agpr, 0
	.set _ZN7rocprim17ROCPRIM_400000_NS6detail17trampoline_kernelINS0_14default_configENS1_25transform_config_selectorIN3c108BFloat16ELb1EEEZNS1_14transform_implILb1ES3_S7_PS6_S9_NS0_8identityIS6_EEEE10hipError_tT2_T3_mT4_P12ihipStream_tbEUlT_E_NS1_11comp_targetILNS1_3genE3ELNS1_11target_archE908ELNS1_3gpuE7ELNS1_3repE0EEENS1_30default_config_static_selectorELNS0_4arch9wavefront6targetE1EEEvT1_.numbered_sgpr, 0
	.set _ZN7rocprim17ROCPRIM_400000_NS6detail17trampoline_kernelINS0_14default_configENS1_25transform_config_selectorIN3c108BFloat16ELb1EEEZNS1_14transform_implILb1ES3_S7_PS6_S9_NS0_8identityIS6_EEEE10hipError_tT2_T3_mT4_P12ihipStream_tbEUlT_E_NS1_11comp_targetILNS1_3genE3ELNS1_11target_archE908ELNS1_3gpuE7ELNS1_3repE0EEENS1_30default_config_static_selectorELNS0_4arch9wavefront6targetE1EEEvT1_.num_named_barrier, 0
	.set _ZN7rocprim17ROCPRIM_400000_NS6detail17trampoline_kernelINS0_14default_configENS1_25transform_config_selectorIN3c108BFloat16ELb1EEEZNS1_14transform_implILb1ES3_S7_PS6_S9_NS0_8identityIS6_EEEE10hipError_tT2_T3_mT4_P12ihipStream_tbEUlT_E_NS1_11comp_targetILNS1_3genE3ELNS1_11target_archE908ELNS1_3gpuE7ELNS1_3repE0EEENS1_30default_config_static_selectorELNS0_4arch9wavefront6targetE1EEEvT1_.private_seg_size, 0
	.set _ZN7rocprim17ROCPRIM_400000_NS6detail17trampoline_kernelINS0_14default_configENS1_25transform_config_selectorIN3c108BFloat16ELb1EEEZNS1_14transform_implILb1ES3_S7_PS6_S9_NS0_8identityIS6_EEEE10hipError_tT2_T3_mT4_P12ihipStream_tbEUlT_E_NS1_11comp_targetILNS1_3genE3ELNS1_11target_archE908ELNS1_3gpuE7ELNS1_3repE0EEENS1_30default_config_static_selectorELNS0_4arch9wavefront6targetE1EEEvT1_.uses_vcc, 0
	.set _ZN7rocprim17ROCPRIM_400000_NS6detail17trampoline_kernelINS0_14default_configENS1_25transform_config_selectorIN3c108BFloat16ELb1EEEZNS1_14transform_implILb1ES3_S7_PS6_S9_NS0_8identityIS6_EEEE10hipError_tT2_T3_mT4_P12ihipStream_tbEUlT_E_NS1_11comp_targetILNS1_3genE3ELNS1_11target_archE908ELNS1_3gpuE7ELNS1_3repE0EEENS1_30default_config_static_selectorELNS0_4arch9wavefront6targetE1EEEvT1_.uses_flat_scratch, 0
	.set _ZN7rocprim17ROCPRIM_400000_NS6detail17trampoline_kernelINS0_14default_configENS1_25transform_config_selectorIN3c108BFloat16ELb1EEEZNS1_14transform_implILb1ES3_S7_PS6_S9_NS0_8identityIS6_EEEE10hipError_tT2_T3_mT4_P12ihipStream_tbEUlT_E_NS1_11comp_targetILNS1_3genE3ELNS1_11target_archE908ELNS1_3gpuE7ELNS1_3repE0EEENS1_30default_config_static_selectorELNS0_4arch9wavefront6targetE1EEEvT1_.has_dyn_sized_stack, 0
	.set _ZN7rocprim17ROCPRIM_400000_NS6detail17trampoline_kernelINS0_14default_configENS1_25transform_config_selectorIN3c108BFloat16ELb1EEEZNS1_14transform_implILb1ES3_S7_PS6_S9_NS0_8identityIS6_EEEE10hipError_tT2_T3_mT4_P12ihipStream_tbEUlT_E_NS1_11comp_targetILNS1_3genE3ELNS1_11target_archE908ELNS1_3gpuE7ELNS1_3repE0EEENS1_30default_config_static_selectorELNS0_4arch9wavefront6targetE1EEEvT1_.has_recursion, 0
	.set _ZN7rocprim17ROCPRIM_400000_NS6detail17trampoline_kernelINS0_14default_configENS1_25transform_config_selectorIN3c108BFloat16ELb1EEEZNS1_14transform_implILb1ES3_S7_PS6_S9_NS0_8identityIS6_EEEE10hipError_tT2_T3_mT4_P12ihipStream_tbEUlT_E_NS1_11comp_targetILNS1_3genE3ELNS1_11target_archE908ELNS1_3gpuE7ELNS1_3repE0EEENS1_30default_config_static_selectorELNS0_4arch9wavefront6targetE1EEEvT1_.has_indirect_call, 0
	.section	.AMDGPU.csdata,"",@progbits
; Kernel info:
; codeLenInByte = 0
; TotalNumSgprs: 6
; NumVgprs: 0
; NumAgprs: 0
; TotalNumVgprs: 0
; ScratchSize: 0
; MemoryBound: 0
; FloatMode: 240
; IeeeMode: 1
; LDSByteSize: 0 bytes/workgroup (compile time only)
; SGPRBlocks: 0
; VGPRBlocks: 0
; NumSGPRsForWavesPerEU: 6
; NumVGPRsForWavesPerEU: 1
; AccumOffset: 4
; Occupancy: 8
; WaveLimiterHint : 0
; COMPUTE_PGM_RSRC2:SCRATCH_EN: 0
; COMPUTE_PGM_RSRC2:USER_SGPR: 2
; COMPUTE_PGM_RSRC2:TRAP_HANDLER: 0
; COMPUTE_PGM_RSRC2:TGID_X_EN: 1
; COMPUTE_PGM_RSRC2:TGID_Y_EN: 0
; COMPUTE_PGM_RSRC2:TGID_Z_EN: 0
; COMPUTE_PGM_RSRC2:TIDIG_COMP_CNT: 0
; COMPUTE_PGM_RSRC3_GFX90A:ACCUM_OFFSET: 0
; COMPUTE_PGM_RSRC3_GFX90A:TG_SPLIT: 0
	.section	.text._ZN7rocprim17ROCPRIM_400000_NS6detail17trampoline_kernelINS0_14default_configENS1_25transform_config_selectorIN3c108BFloat16ELb1EEEZNS1_14transform_implILb1ES3_S7_PS6_S9_NS0_8identityIS6_EEEE10hipError_tT2_T3_mT4_P12ihipStream_tbEUlT_E_NS1_11comp_targetILNS1_3genE2ELNS1_11target_archE906ELNS1_3gpuE6ELNS1_3repE0EEENS1_30default_config_static_selectorELNS0_4arch9wavefront6targetE1EEEvT1_,"axG",@progbits,_ZN7rocprim17ROCPRIM_400000_NS6detail17trampoline_kernelINS0_14default_configENS1_25transform_config_selectorIN3c108BFloat16ELb1EEEZNS1_14transform_implILb1ES3_S7_PS6_S9_NS0_8identityIS6_EEEE10hipError_tT2_T3_mT4_P12ihipStream_tbEUlT_E_NS1_11comp_targetILNS1_3genE2ELNS1_11target_archE906ELNS1_3gpuE6ELNS1_3repE0EEENS1_30default_config_static_selectorELNS0_4arch9wavefront6targetE1EEEvT1_,comdat
	.protected	_ZN7rocprim17ROCPRIM_400000_NS6detail17trampoline_kernelINS0_14default_configENS1_25transform_config_selectorIN3c108BFloat16ELb1EEEZNS1_14transform_implILb1ES3_S7_PS6_S9_NS0_8identityIS6_EEEE10hipError_tT2_T3_mT4_P12ihipStream_tbEUlT_E_NS1_11comp_targetILNS1_3genE2ELNS1_11target_archE906ELNS1_3gpuE6ELNS1_3repE0EEENS1_30default_config_static_selectorELNS0_4arch9wavefront6targetE1EEEvT1_ ; -- Begin function _ZN7rocprim17ROCPRIM_400000_NS6detail17trampoline_kernelINS0_14default_configENS1_25transform_config_selectorIN3c108BFloat16ELb1EEEZNS1_14transform_implILb1ES3_S7_PS6_S9_NS0_8identityIS6_EEEE10hipError_tT2_T3_mT4_P12ihipStream_tbEUlT_E_NS1_11comp_targetILNS1_3genE2ELNS1_11target_archE906ELNS1_3gpuE6ELNS1_3repE0EEENS1_30default_config_static_selectorELNS0_4arch9wavefront6targetE1EEEvT1_
	.globl	_ZN7rocprim17ROCPRIM_400000_NS6detail17trampoline_kernelINS0_14default_configENS1_25transform_config_selectorIN3c108BFloat16ELb1EEEZNS1_14transform_implILb1ES3_S7_PS6_S9_NS0_8identityIS6_EEEE10hipError_tT2_T3_mT4_P12ihipStream_tbEUlT_E_NS1_11comp_targetILNS1_3genE2ELNS1_11target_archE906ELNS1_3gpuE6ELNS1_3repE0EEENS1_30default_config_static_selectorELNS0_4arch9wavefront6targetE1EEEvT1_
	.p2align	8
	.type	_ZN7rocprim17ROCPRIM_400000_NS6detail17trampoline_kernelINS0_14default_configENS1_25transform_config_selectorIN3c108BFloat16ELb1EEEZNS1_14transform_implILb1ES3_S7_PS6_S9_NS0_8identityIS6_EEEE10hipError_tT2_T3_mT4_P12ihipStream_tbEUlT_E_NS1_11comp_targetILNS1_3genE2ELNS1_11target_archE906ELNS1_3gpuE6ELNS1_3repE0EEENS1_30default_config_static_selectorELNS0_4arch9wavefront6targetE1EEEvT1_,@function
_ZN7rocprim17ROCPRIM_400000_NS6detail17trampoline_kernelINS0_14default_configENS1_25transform_config_selectorIN3c108BFloat16ELb1EEEZNS1_14transform_implILb1ES3_S7_PS6_S9_NS0_8identityIS6_EEEE10hipError_tT2_T3_mT4_P12ihipStream_tbEUlT_E_NS1_11comp_targetILNS1_3genE2ELNS1_11target_archE906ELNS1_3gpuE6ELNS1_3repE0EEENS1_30default_config_static_selectorELNS0_4arch9wavefront6targetE1EEEvT1_: ; @_ZN7rocprim17ROCPRIM_400000_NS6detail17trampoline_kernelINS0_14default_configENS1_25transform_config_selectorIN3c108BFloat16ELb1EEEZNS1_14transform_implILb1ES3_S7_PS6_S9_NS0_8identityIS6_EEEE10hipError_tT2_T3_mT4_P12ihipStream_tbEUlT_E_NS1_11comp_targetILNS1_3genE2ELNS1_11target_archE906ELNS1_3gpuE6ELNS1_3repE0EEENS1_30default_config_static_selectorELNS0_4arch9wavefront6targetE1EEEvT1_
; %bb.0:
	.section	.rodata,"a",@progbits
	.p2align	6, 0x0
	.amdhsa_kernel _ZN7rocprim17ROCPRIM_400000_NS6detail17trampoline_kernelINS0_14default_configENS1_25transform_config_selectorIN3c108BFloat16ELb1EEEZNS1_14transform_implILb1ES3_S7_PS6_S9_NS0_8identityIS6_EEEE10hipError_tT2_T3_mT4_P12ihipStream_tbEUlT_E_NS1_11comp_targetILNS1_3genE2ELNS1_11target_archE906ELNS1_3gpuE6ELNS1_3repE0EEENS1_30default_config_static_selectorELNS0_4arch9wavefront6targetE1EEEvT1_
		.amdhsa_group_segment_fixed_size 0
		.amdhsa_private_segment_fixed_size 0
		.amdhsa_kernarg_size 40
		.amdhsa_user_sgpr_count 2
		.amdhsa_user_sgpr_dispatch_ptr 0
		.amdhsa_user_sgpr_queue_ptr 0
		.amdhsa_user_sgpr_kernarg_segment_ptr 1
		.amdhsa_user_sgpr_dispatch_id 0
		.amdhsa_user_sgpr_kernarg_preload_length 0
		.amdhsa_user_sgpr_kernarg_preload_offset 0
		.amdhsa_user_sgpr_private_segment_size 0
		.amdhsa_uses_dynamic_stack 0
		.amdhsa_enable_private_segment 0
		.amdhsa_system_sgpr_workgroup_id_x 1
		.amdhsa_system_sgpr_workgroup_id_y 0
		.amdhsa_system_sgpr_workgroup_id_z 0
		.amdhsa_system_sgpr_workgroup_info 0
		.amdhsa_system_vgpr_workitem_id 0
		.amdhsa_next_free_vgpr 1
		.amdhsa_next_free_sgpr 0
		.amdhsa_accum_offset 4
		.amdhsa_reserve_vcc 0
		.amdhsa_float_round_mode_32 0
		.amdhsa_float_round_mode_16_64 0
		.amdhsa_float_denorm_mode_32 3
		.amdhsa_float_denorm_mode_16_64 3
		.amdhsa_dx10_clamp 1
		.amdhsa_ieee_mode 1
		.amdhsa_fp16_overflow 0
		.amdhsa_tg_split 0
		.amdhsa_exception_fp_ieee_invalid_op 0
		.amdhsa_exception_fp_denorm_src 0
		.amdhsa_exception_fp_ieee_div_zero 0
		.amdhsa_exception_fp_ieee_overflow 0
		.amdhsa_exception_fp_ieee_underflow 0
		.amdhsa_exception_fp_ieee_inexact 0
		.amdhsa_exception_int_div_zero 0
	.end_amdhsa_kernel
	.section	.text._ZN7rocprim17ROCPRIM_400000_NS6detail17trampoline_kernelINS0_14default_configENS1_25transform_config_selectorIN3c108BFloat16ELb1EEEZNS1_14transform_implILb1ES3_S7_PS6_S9_NS0_8identityIS6_EEEE10hipError_tT2_T3_mT4_P12ihipStream_tbEUlT_E_NS1_11comp_targetILNS1_3genE2ELNS1_11target_archE906ELNS1_3gpuE6ELNS1_3repE0EEENS1_30default_config_static_selectorELNS0_4arch9wavefront6targetE1EEEvT1_,"axG",@progbits,_ZN7rocprim17ROCPRIM_400000_NS6detail17trampoline_kernelINS0_14default_configENS1_25transform_config_selectorIN3c108BFloat16ELb1EEEZNS1_14transform_implILb1ES3_S7_PS6_S9_NS0_8identityIS6_EEEE10hipError_tT2_T3_mT4_P12ihipStream_tbEUlT_E_NS1_11comp_targetILNS1_3genE2ELNS1_11target_archE906ELNS1_3gpuE6ELNS1_3repE0EEENS1_30default_config_static_selectorELNS0_4arch9wavefront6targetE1EEEvT1_,comdat
.Lfunc_end452:
	.size	_ZN7rocprim17ROCPRIM_400000_NS6detail17trampoline_kernelINS0_14default_configENS1_25transform_config_selectorIN3c108BFloat16ELb1EEEZNS1_14transform_implILb1ES3_S7_PS6_S9_NS0_8identityIS6_EEEE10hipError_tT2_T3_mT4_P12ihipStream_tbEUlT_E_NS1_11comp_targetILNS1_3genE2ELNS1_11target_archE906ELNS1_3gpuE6ELNS1_3repE0EEENS1_30default_config_static_selectorELNS0_4arch9wavefront6targetE1EEEvT1_, .Lfunc_end452-_ZN7rocprim17ROCPRIM_400000_NS6detail17trampoline_kernelINS0_14default_configENS1_25transform_config_selectorIN3c108BFloat16ELb1EEEZNS1_14transform_implILb1ES3_S7_PS6_S9_NS0_8identityIS6_EEEE10hipError_tT2_T3_mT4_P12ihipStream_tbEUlT_E_NS1_11comp_targetILNS1_3genE2ELNS1_11target_archE906ELNS1_3gpuE6ELNS1_3repE0EEENS1_30default_config_static_selectorELNS0_4arch9wavefront6targetE1EEEvT1_
                                        ; -- End function
	.set _ZN7rocprim17ROCPRIM_400000_NS6detail17trampoline_kernelINS0_14default_configENS1_25transform_config_selectorIN3c108BFloat16ELb1EEEZNS1_14transform_implILb1ES3_S7_PS6_S9_NS0_8identityIS6_EEEE10hipError_tT2_T3_mT4_P12ihipStream_tbEUlT_E_NS1_11comp_targetILNS1_3genE2ELNS1_11target_archE906ELNS1_3gpuE6ELNS1_3repE0EEENS1_30default_config_static_selectorELNS0_4arch9wavefront6targetE1EEEvT1_.num_vgpr, 0
	.set _ZN7rocprim17ROCPRIM_400000_NS6detail17trampoline_kernelINS0_14default_configENS1_25transform_config_selectorIN3c108BFloat16ELb1EEEZNS1_14transform_implILb1ES3_S7_PS6_S9_NS0_8identityIS6_EEEE10hipError_tT2_T3_mT4_P12ihipStream_tbEUlT_E_NS1_11comp_targetILNS1_3genE2ELNS1_11target_archE906ELNS1_3gpuE6ELNS1_3repE0EEENS1_30default_config_static_selectorELNS0_4arch9wavefront6targetE1EEEvT1_.num_agpr, 0
	.set _ZN7rocprim17ROCPRIM_400000_NS6detail17trampoline_kernelINS0_14default_configENS1_25transform_config_selectorIN3c108BFloat16ELb1EEEZNS1_14transform_implILb1ES3_S7_PS6_S9_NS0_8identityIS6_EEEE10hipError_tT2_T3_mT4_P12ihipStream_tbEUlT_E_NS1_11comp_targetILNS1_3genE2ELNS1_11target_archE906ELNS1_3gpuE6ELNS1_3repE0EEENS1_30default_config_static_selectorELNS0_4arch9wavefront6targetE1EEEvT1_.numbered_sgpr, 0
	.set _ZN7rocprim17ROCPRIM_400000_NS6detail17trampoline_kernelINS0_14default_configENS1_25transform_config_selectorIN3c108BFloat16ELb1EEEZNS1_14transform_implILb1ES3_S7_PS6_S9_NS0_8identityIS6_EEEE10hipError_tT2_T3_mT4_P12ihipStream_tbEUlT_E_NS1_11comp_targetILNS1_3genE2ELNS1_11target_archE906ELNS1_3gpuE6ELNS1_3repE0EEENS1_30default_config_static_selectorELNS0_4arch9wavefront6targetE1EEEvT1_.num_named_barrier, 0
	.set _ZN7rocprim17ROCPRIM_400000_NS6detail17trampoline_kernelINS0_14default_configENS1_25transform_config_selectorIN3c108BFloat16ELb1EEEZNS1_14transform_implILb1ES3_S7_PS6_S9_NS0_8identityIS6_EEEE10hipError_tT2_T3_mT4_P12ihipStream_tbEUlT_E_NS1_11comp_targetILNS1_3genE2ELNS1_11target_archE906ELNS1_3gpuE6ELNS1_3repE0EEENS1_30default_config_static_selectorELNS0_4arch9wavefront6targetE1EEEvT1_.private_seg_size, 0
	.set _ZN7rocprim17ROCPRIM_400000_NS6detail17trampoline_kernelINS0_14default_configENS1_25transform_config_selectorIN3c108BFloat16ELb1EEEZNS1_14transform_implILb1ES3_S7_PS6_S9_NS0_8identityIS6_EEEE10hipError_tT2_T3_mT4_P12ihipStream_tbEUlT_E_NS1_11comp_targetILNS1_3genE2ELNS1_11target_archE906ELNS1_3gpuE6ELNS1_3repE0EEENS1_30default_config_static_selectorELNS0_4arch9wavefront6targetE1EEEvT1_.uses_vcc, 0
	.set _ZN7rocprim17ROCPRIM_400000_NS6detail17trampoline_kernelINS0_14default_configENS1_25transform_config_selectorIN3c108BFloat16ELb1EEEZNS1_14transform_implILb1ES3_S7_PS6_S9_NS0_8identityIS6_EEEE10hipError_tT2_T3_mT4_P12ihipStream_tbEUlT_E_NS1_11comp_targetILNS1_3genE2ELNS1_11target_archE906ELNS1_3gpuE6ELNS1_3repE0EEENS1_30default_config_static_selectorELNS0_4arch9wavefront6targetE1EEEvT1_.uses_flat_scratch, 0
	.set _ZN7rocprim17ROCPRIM_400000_NS6detail17trampoline_kernelINS0_14default_configENS1_25transform_config_selectorIN3c108BFloat16ELb1EEEZNS1_14transform_implILb1ES3_S7_PS6_S9_NS0_8identityIS6_EEEE10hipError_tT2_T3_mT4_P12ihipStream_tbEUlT_E_NS1_11comp_targetILNS1_3genE2ELNS1_11target_archE906ELNS1_3gpuE6ELNS1_3repE0EEENS1_30default_config_static_selectorELNS0_4arch9wavefront6targetE1EEEvT1_.has_dyn_sized_stack, 0
	.set _ZN7rocprim17ROCPRIM_400000_NS6detail17trampoline_kernelINS0_14default_configENS1_25transform_config_selectorIN3c108BFloat16ELb1EEEZNS1_14transform_implILb1ES3_S7_PS6_S9_NS0_8identityIS6_EEEE10hipError_tT2_T3_mT4_P12ihipStream_tbEUlT_E_NS1_11comp_targetILNS1_3genE2ELNS1_11target_archE906ELNS1_3gpuE6ELNS1_3repE0EEENS1_30default_config_static_selectorELNS0_4arch9wavefront6targetE1EEEvT1_.has_recursion, 0
	.set _ZN7rocprim17ROCPRIM_400000_NS6detail17trampoline_kernelINS0_14default_configENS1_25transform_config_selectorIN3c108BFloat16ELb1EEEZNS1_14transform_implILb1ES3_S7_PS6_S9_NS0_8identityIS6_EEEE10hipError_tT2_T3_mT4_P12ihipStream_tbEUlT_E_NS1_11comp_targetILNS1_3genE2ELNS1_11target_archE906ELNS1_3gpuE6ELNS1_3repE0EEENS1_30default_config_static_selectorELNS0_4arch9wavefront6targetE1EEEvT1_.has_indirect_call, 0
	.section	.AMDGPU.csdata,"",@progbits
; Kernel info:
; codeLenInByte = 0
; TotalNumSgprs: 6
; NumVgprs: 0
; NumAgprs: 0
; TotalNumVgprs: 0
; ScratchSize: 0
; MemoryBound: 0
; FloatMode: 240
; IeeeMode: 1
; LDSByteSize: 0 bytes/workgroup (compile time only)
; SGPRBlocks: 0
; VGPRBlocks: 0
; NumSGPRsForWavesPerEU: 6
; NumVGPRsForWavesPerEU: 1
; AccumOffset: 4
; Occupancy: 8
; WaveLimiterHint : 0
; COMPUTE_PGM_RSRC2:SCRATCH_EN: 0
; COMPUTE_PGM_RSRC2:USER_SGPR: 2
; COMPUTE_PGM_RSRC2:TRAP_HANDLER: 0
; COMPUTE_PGM_RSRC2:TGID_X_EN: 1
; COMPUTE_PGM_RSRC2:TGID_Y_EN: 0
; COMPUTE_PGM_RSRC2:TGID_Z_EN: 0
; COMPUTE_PGM_RSRC2:TIDIG_COMP_CNT: 0
; COMPUTE_PGM_RSRC3_GFX90A:ACCUM_OFFSET: 0
; COMPUTE_PGM_RSRC3_GFX90A:TG_SPLIT: 0
	.section	.text._ZN7rocprim17ROCPRIM_400000_NS6detail17trampoline_kernelINS0_14default_configENS1_25transform_config_selectorIN3c108BFloat16ELb1EEEZNS1_14transform_implILb1ES3_S7_PS6_S9_NS0_8identityIS6_EEEE10hipError_tT2_T3_mT4_P12ihipStream_tbEUlT_E_NS1_11comp_targetILNS1_3genE9ELNS1_11target_archE1100ELNS1_3gpuE3ELNS1_3repE0EEENS1_30default_config_static_selectorELNS0_4arch9wavefront6targetE1EEEvT1_,"axG",@progbits,_ZN7rocprim17ROCPRIM_400000_NS6detail17trampoline_kernelINS0_14default_configENS1_25transform_config_selectorIN3c108BFloat16ELb1EEEZNS1_14transform_implILb1ES3_S7_PS6_S9_NS0_8identityIS6_EEEE10hipError_tT2_T3_mT4_P12ihipStream_tbEUlT_E_NS1_11comp_targetILNS1_3genE9ELNS1_11target_archE1100ELNS1_3gpuE3ELNS1_3repE0EEENS1_30default_config_static_selectorELNS0_4arch9wavefront6targetE1EEEvT1_,comdat
	.protected	_ZN7rocprim17ROCPRIM_400000_NS6detail17trampoline_kernelINS0_14default_configENS1_25transform_config_selectorIN3c108BFloat16ELb1EEEZNS1_14transform_implILb1ES3_S7_PS6_S9_NS0_8identityIS6_EEEE10hipError_tT2_T3_mT4_P12ihipStream_tbEUlT_E_NS1_11comp_targetILNS1_3genE9ELNS1_11target_archE1100ELNS1_3gpuE3ELNS1_3repE0EEENS1_30default_config_static_selectorELNS0_4arch9wavefront6targetE1EEEvT1_ ; -- Begin function _ZN7rocprim17ROCPRIM_400000_NS6detail17trampoline_kernelINS0_14default_configENS1_25transform_config_selectorIN3c108BFloat16ELb1EEEZNS1_14transform_implILb1ES3_S7_PS6_S9_NS0_8identityIS6_EEEE10hipError_tT2_T3_mT4_P12ihipStream_tbEUlT_E_NS1_11comp_targetILNS1_3genE9ELNS1_11target_archE1100ELNS1_3gpuE3ELNS1_3repE0EEENS1_30default_config_static_selectorELNS0_4arch9wavefront6targetE1EEEvT1_
	.globl	_ZN7rocprim17ROCPRIM_400000_NS6detail17trampoline_kernelINS0_14default_configENS1_25transform_config_selectorIN3c108BFloat16ELb1EEEZNS1_14transform_implILb1ES3_S7_PS6_S9_NS0_8identityIS6_EEEE10hipError_tT2_T3_mT4_P12ihipStream_tbEUlT_E_NS1_11comp_targetILNS1_3genE9ELNS1_11target_archE1100ELNS1_3gpuE3ELNS1_3repE0EEENS1_30default_config_static_selectorELNS0_4arch9wavefront6targetE1EEEvT1_
	.p2align	8
	.type	_ZN7rocprim17ROCPRIM_400000_NS6detail17trampoline_kernelINS0_14default_configENS1_25transform_config_selectorIN3c108BFloat16ELb1EEEZNS1_14transform_implILb1ES3_S7_PS6_S9_NS0_8identityIS6_EEEE10hipError_tT2_T3_mT4_P12ihipStream_tbEUlT_E_NS1_11comp_targetILNS1_3genE9ELNS1_11target_archE1100ELNS1_3gpuE3ELNS1_3repE0EEENS1_30default_config_static_selectorELNS0_4arch9wavefront6targetE1EEEvT1_,@function
_ZN7rocprim17ROCPRIM_400000_NS6detail17trampoline_kernelINS0_14default_configENS1_25transform_config_selectorIN3c108BFloat16ELb1EEEZNS1_14transform_implILb1ES3_S7_PS6_S9_NS0_8identityIS6_EEEE10hipError_tT2_T3_mT4_P12ihipStream_tbEUlT_E_NS1_11comp_targetILNS1_3genE9ELNS1_11target_archE1100ELNS1_3gpuE3ELNS1_3repE0EEENS1_30default_config_static_selectorELNS0_4arch9wavefront6targetE1EEEvT1_: ; @_ZN7rocprim17ROCPRIM_400000_NS6detail17trampoline_kernelINS0_14default_configENS1_25transform_config_selectorIN3c108BFloat16ELb1EEEZNS1_14transform_implILb1ES3_S7_PS6_S9_NS0_8identityIS6_EEEE10hipError_tT2_T3_mT4_P12ihipStream_tbEUlT_E_NS1_11comp_targetILNS1_3genE9ELNS1_11target_archE1100ELNS1_3gpuE3ELNS1_3repE0EEENS1_30default_config_static_selectorELNS0_4arch9wavefront6targetE1EEEvT1_
; %bb.0:
	.section	.rodata,"a",@progbits
	.p2align	6, 0x0
	.amdhsa_kernel _ZN7rocprim17ROCPRIM_400000_NS6detail17trampoline_kernelINS0_14default_configENS1_25transform_config_selectorIN3c108BFloat16ELb1EEEZNS1_14transform_implILb1ES3_S7_PS6_S9_NS0_8identityIS6_EEEE10hipError_tT2_T3_mT4_P12ihipStream_tbEUlT_E_NS1_11comp_targetILNS1_3genE9ELNS1_11target_archE1100ELNS1_3gpuE3ELNS1_3repE0EEENS1_30default_config_static_selectorELNS0_4arch9wavefront6targetE1EEEvT1_
		.amdhsa_group_segment_fixed_size 0
		.amdhsa_private_segment_fixed_size 0
		.amdhsa_kernarg_size 40
		.amdhsa_user_sgpr_count 2
		.amdhsa_user_sgpr_dispatch_ptr 0
		.amdhsa_user_sgpr_queue_ptr 0
		.amdhsa_user_sgpr_kernarg_segment_ptr 1
		.amdhsa_user_sgpr_dispatch_id 0
		.amdhsa_user_sgpr_kernarg_preload_length 0
		.amdhsa_user_sgpr_kernarg_preload_offset 0
		.amdhsa_user_sgpr_private_segment_size 0
		.amdhsa_uses_dynamic_stack 0
		.amdhsa_enable_private_segment 0
		.amdhsa_system_sgpr_workgroup_id_x 1
		.amdhsa_system_sgpr_workgroup_id_y 0
		.amdhsa_system_sgpr_workgroup_id_z 0
		.amdhsa_system_sgpr_workgroup_info 0
		.amdhsa_system_vgpr_workitem_id 0
		.amdhsa_next_free_vgpr 1
		.amdhsa_next_free_sgpr 0
		.amdhsa_accum_offset 4
		.amdhsa_reserve_vcc 0
		.amdhsa_float_round_mode_32 0
		.amdhsa_float_round_mode_16_64 0
		.amdhsa_float_denorm_mode_32 3
		.amdhsa_float_denorm_mode_16_64 3
		.amdhsa_dx10_clamp 1
		.amdhsa_ieee_mode 1
		.amdhsa_fp16_overflow 0
		.amdhsa_tg_split 0
		.amdhsa_exception_fp_ieee_invalid_op 0
		.amdhsa_exception_fp_denorm_src 0
		.amdhsa_exception_fp_ieee_div_zero 0
		.amdhsa_exception_fp_ieee_overflow 0
		.amdhsa_exception_fp_ieee_underflow 0
		.amdhsa_exception_fp_ieee_inexact 0
		.amdhsa_exception_int_div_zero 0
	.end_amdhsa_kernel
	.section	.text._ZN7rocprim17ROCPRIM_400000_NS6detail17trampoline_kernelINS0_14default_configENS1_25transform_config_selectorIN3c108BFloat16ELb1EEEZNS1_14transform_implILb1ES3_S7_PS6_S9_NS0_8identityIS6_EEEE10hipError_tT2_T3_mT4_P12ihipStream_tbEUlT_E_NS1_11comp_targetILNS1_3genE9ELNS1_11target_archE1100ELNS1_3gpuE3ELNS1_3repE0EEENS1_30default_config_static_selectorELNS0_4arch9wavefront6targetE1EEEvT1_,"axG",@progbits,_ZN7rocprim17ROCPRIM_400000_NS6detail17trampoline_kernelINS0_14default_configENS1_25transform_config_selectorIN3c108BFloat16ELb1EEEZNS1_14transform_implILb1ES3_S7_PS6_S9_NS0_8identityIS6_EEEE10hipError_tT2_T3_mT4_P12ihipStream_tbEUlT_E_NS1_11comp_targetILNS1_3genE9ELNS1_11target_archE1100ELNS1_3gpuE3ELNS1_3repE0EEENS1_30default_config_static_selectorELNS0_4arch9wavefront6targetE1EEEvT1_,comdat
.Lfunc_end453:
	.size	_ZN7rocprim17ROCPRIM_400000_NS6detail17trampoline_kernelINS0_14default_configENS1_25transform_config_selectorIN3c108BFloat16ELb1EEEZNS1_14transform_implILb1ES3_S7_PS6_S9_NS0_8identityIS6_EEEE10hipError_tT2_T3_mT4_P12ihipStream_tbEUlT_E_NS1_11comp_targetILNS1_3genE9ELNS1_11target_archE1100ELNS1_3gpuE3ELNS1_3repE0EEENS1_30default_config_static_selectorELNS0_4arch9wavefront6targetE1EEEvT1_, .Lfunc_end453-_ZN7rocprim17ROCPRIM_400000_NS6detail17trampoline_kernelINS0_14default_configENS1_25transform_config_selectorIN3c108BFloat16ELb1EEEZNS1_14transform_implILb1ES3_S7_PS6_S9_NS0_8identityIS6_EEEE10hipError_tT2_T3_mT4_P12ihipStream_tbEUlT_E_NS1_11comp_targetILNS1_3genE9ELNS1_11target_archE1100ELNS1_3gpuE3ELNS1_3repE0EEENS1_30default_config_static_selectorELNS0_4arch9wavefront6targetE1EEEvT1_
                                        ; -- End function
	.set _ZN7rocprim17ROCPRIM_400000_NS6detail17trampoline_kernelINS0_14default_configENS1_25transform_config_selectorIN3c108BFloat16ELb1EEEZNS1_14transform_implILb1ES3_S7_PS6_S9_NS0_8identityIS6_EEEE10hipError_tT2_T3_mT4_P12ihipStream_tbEUlT_E_NS1_11comp_targetILNS1_3genE9ELNS1_11target_archE1100ELNS1_3gpuE3ELNS1_3repE0EEENS1_30default_config_static_selectorELNS0_4arch9wavefront6targetE1EEEvT1_.num_vgpr, 0
	.set _ZN7rocprim17ROCPRIM_400000_NS6detail17trampoline_kernelINS0_14default_configENS1_25transform_config_selectorIN3c108BFloat16ELb1EEEZNS1_14transform_implILb1ES3_S7_PS6_S9_NS0_8identityIS6_EEEE10hipError_tT2_T3_mT4_P12ihipStream_tbEUlT_E_NS1_11comp_targetILNS1_3genE9ELNS1_11target_archE1100ELNS1_3gpuE3ELNS1_3repE0EEENS1_30default_config_static_selectorELNS0_4arch9wavefront6targetE1EEEvT1_.num_agpr, 0
	.set _ZN7rocprim17ROCPRIM_400000_NS6detail17trampoline_kernelINS0_14default_configENS1_25transform_config_selectorIN3c108BFloat16ELb1EEEZNS1_14transform_implILb1ES3_S7_PS6_S9_NS0_8identityIS6_EEEE10hipError_tT2_T3_mT4_P12ihipStream_tbEUlT_E_NS1_11comp_targetILNS1_3genE9ELNS1_11target_archE1100ELNS1_3gpuE3ELNS1_3repE0EEENS1_30default_config_static_selectorELNS0_4arch9wavefront6targetE1EEEvT1_.numbered_sgpr, 0
	.set _ZN7rocprim17ROCPRIM_400000_NS6detail17trampoline_kernelINS0_14default_configENS1_25transform_config_selectorIN3c108BFloat16ELb1EEEZNS1_14transform_implILb1ES3_S7_PS6_S9_NS0_8identityIS6_EEEE10hipError_tT2_T3_mT4_P12ihipStream_tbEUlT_E_NS1_11comp_targetILNS1_3genE9ELNS1_11target_archE1100ELNS1_3gpuE3ELNS1_3repE0EEENS1_30default_config_static_selectorELNS0_4arch9wavefront6targetE1EEEvT1_.num_named_barrier, 0
	.set _ZN7rocprim17ROCPRIM_400000_NS6detail17trampoline_kernelINS0_14default_configENS1_25transform_config_selectorIN3c108BFloat16ELb1EEEZNS1_14transform_implILb1ES3_S7_PS6_S9_NS0_8identityIS6_EEEE10hipError_tT2_T3_mT4_P12ihipStream_tbEUlT_E_NS1_11comp_targetILNS1_3genE9ELNS1_11target_archE1100ELNS1_3gpuE3ELNS1_3repE0EEENS1_30default_config_static_selectorELNS0_4arch9wavefront6targetE1EEEvT1_.private_seg_size, 0
	.set _ZN7rocprim17ROCPRIM_400000_NS6detail17trampoline_kernelINS0_14default_configENS1_25transform_config_selectorIN3c108BFloat16ELb1EEEZNS1_14transform_implILb1ES3_S7_PS6_S9_NS0_8identityIS6_EEEE10hipError_tT2_T3_mT4_P12ihipStream_tbEUlT_E_NS1_11comp_targetILNS1_3genE9ELNS1_11target_archE1100ELNS1_3gpuE3ELNS1_3repE0EEENS1_30default_config_static_selectorELNS0_4arch9wavefront6targetE1EEEvT1_.uses_vcc, 0
	.set _ZN7rocprim17ROCPRIM_400000_NS6detail17trampoline_kernelINS0_14default_configENS1_25transform_config_selectorIN3c108BFloat16ELb1EEEZNS1_14transform_implILb1ES3_S7_PS6_S9_NS0_8identityIS6_EEEE10hipError_tT2_T3_mT4_P12ihipStream_tbEUlT_E_NS1_11comp_targetILNS1_3genE9ELNS1_11target_archE1100ELNS1_3gpuE3ELNS1_3repE0EEENS1_30default_config_static_selectorELNS0_4arch9wavefront6targetE1EEEvT1_.uses_flat_scratch, 0
	.set _ZN7rocprim17ROCPRIM_400000_NS6detail17trampoline_kernelINS0_14default_configENS1_25transform_config_selectorIN3c108BFloat16ELb1EEEZNS1_14transform_implILb1ES3_S7_PS6_S9_NS0_8identityIS6_EEEE10hipError_tT2_T3_mT4_P12ihipStream_tbEUlT_E_NS1_11comp_targetILNS1_3genE9ELNS1_11target_archE1100ELNS1_3gpuE3ELNS1_3repE0EEENS1_30default_config_static_selectorELNS0_4arch9wavefront6targetE1EEEvT1_.has_dyn_sized_stack, 0
	.set _ZN7rocprim17ROCPRIM_400000_NS6detail17trampoline_kernelINS0_14default_configENS1_25transform_config_selectorIN3c108BFloat16ELb1EEEZNS1_14transform_implILb1ES3_S7_PS6_S9_NS0_8identityIS6_EEEE10hipError_tT2_T3_mT4_P12ihipStream_tbEUlT_E_NS1_11comp_targetILNS1_3genE9ELNS1_11target_archE1100ELNS1_3gpuE3ELNS1_3repE0EEENS1_30default_config_static_selectorELNS0_4arch9wavefront6targetE1EEEvT1_.has_recursion, 0
	.set _ZN7rocprim17ROCPRIM_400000_NS6detail17trampoline_kernelINS0_14default_configENS1_25transform_config_selectorIN3c108BFloat16ELb1EEEZNS1_14transform_implILb1ES3_S7_PS6_S9_NS0_8identityIS6_EEEE10hipError_tT2_T3_mT4_P12ihipStream_tbEUlT_E_NS1_11comp_targetILNS1_3genE9ELNS1_11target_archE1100ELNS1_3gpuE3ELNS1_3repE0EEENS1_30default_config_static_selectorELNS0_4arch9wavefront6targetE1EEEvT1_.has_indirect_call, 0
	.section	.AMDGPU.csdata,"",@progbits
; Kernel info:
; codeLenInByte = 0
; TotalNumSgprs: 6
; NumVgprs: 0
; NumAgprs: 0
; TotalNumVgprs: 0
; ScratchSize: 0
; MemoryBound: 0
; FloatMode: 240
; IeeeMode: 1
; LDSByteSize: 0 bytes/workgroup (compile time only)
; SGPRBlocks: 0
; VGPRBlocks: 0
; NumSGPRsForWavesPerEU: 6
; NumVGPRsForWavesPerEU: 1
; AccumOffset: 4
; Occupancy: 8
; WaveLimiterHint : 0
; COMPUTE_PGM_RSRC2:SCRATCH_EN: 0
; COMPUTE_PGM_RSRC2:USER_SGPR: 2
; COMPUTE_PGM_RSRC2:TRAP_HANDLER: 0
; COMPUTE_PGM_RSRC2:TGID_X_EN: 1
; COMPUTE_PGM_RSRC2:TGID_Y_EN: 0
; COMPUTE_PGM_RSRC2:TGID_Z_EN: 0
; COMPUTE_PGM_RSRC2:TIDIG_COMP_CNT: 0
; COMPUTE_PGM_RSRC3_GFX90A:ACCUM_OFFSET: 0
; COMPUTE_PGM_RSRC3_GFX90A:TG_SPLIT: 0
	.section	.text._ZN7rocprim17ROCPRIM_400000_NS6detail17trampoline_kernelINS0_14default_configENS1_25transform_config_selectorIN3c108BFloat16ELb1EEEZNS1_14transform_implILb1ES3_S7_PS6_S9_NS0_8identityIS6_EEEE10hipError_tT2_T3_mT4_P12ihipStream_tbEUlT_E_NS1_11comp_targetILNS1_3genE8ELNS1_11target_archE1030ELNS1_3gpuE2ELNS1_3repE0EEENS1_30default_config_static_selectorELNS0_4arch9wavefront6targetE1EEEvT1_,"axG",@progbits,_ZN7rocprim17ROCPRIM_400000_NS6detail17trampoline_kernelINS0_14default_configENS1_25transform_config_selectorIN3c108BFloat16ELb1EEEZNS1_14transform_implILb1ES3_S7_PS6_S9_NS0_8identityIS6_EEEE10hipError_tT2_T3_mT4_P12ihipStream_tbEUlT_E_NS1_11comp_targetILNS1_3genE8ELNS1_11target_archE1030ELNS1_3gpuE2ELNS1_3repE0EEENS1_30default_config_static_selectorELNS0_4arch9wavefront6targetE1EEEvT1_,comdat
	.protected	_ZN7rocprim17ROCPRIM_400000_NS6detail17trampoline_kernelINS0_14default_configENS1_25transform_config_selectorIN3c108BFloat16ELb1EEEZNS1_14transform_implILb1ES3_S7_PS6_S9_NS0_8identityIS6_EEEE10hipError_tT2_T3_mT4_P12ihipStream_tbEUlT_E_NS1_11comp_targetILNS1_3genE8ELNS1_11target_archE1030ELNS1_3gpuE2ELNS1_3repE0EEENS1_30default_config_static_selectorELNS0_4arch9wavefront6targetE1EEEvT1_ ; -- Begin function _ZN7rocprim17ROCPRIM_400000_NS6detail17trampoline_kernelINS0_14default_configENS1_25transform_config_selectorIN3c108BFloat16ELb1EEEZNS1_14transform_implILb1ES3_S7_PS6_S9_NS0_8identityIS6_EEEE10hipError_tT2_T3_mT4_P12ihipStream_tbEUlT_E_NS1_11comp_targetILNS1_3genE8ELNS1_11target_archE1030ELNS1_3gpuE2ELNS1_3repE0EEENS1_30default_config_static_selectorELNS0_4arch9wavefront6targetE1EEEvT1_
	.globl	_ZN7rocprim17ROCPRIM_400000_NS6detail17trampoline_kernelINS0_14default_configENS1_25transform_config_selectorIN3c108BFloat16ELb1EEEZNS1_14transform_implILb1ES3_S7_PS6_S9_NS0_8identityIS6_EEEE10hipError_tT2_T3_mT4_P12ihipStream_tbEUlT_E_NS1_11comp_targetILNS1_3genE8ELNS1_11target_archE1030ELNS1_3gpuE2ELNS1_3repE0EEENS1_30default_config_static_selectorELNS0_4arch9wavefront6targetE1EEEvT1_
	.p2align	8
	.type	_ZN7rocprim17ROCPRIM_400000_NS6detail17trampoline_kernelINS0_14default_configENS1_25transform_config_selectorIN3c108BFloat16ELb1EEEZNS1_14transform_implILb1ES3_S7_PS6_S9_NS0_8identityIS6_EEEE10hipError_tT2_T3_mT4_P12ihipStream_tbEUlT_E_NS1_11comp_targetILNS1_3genE8ELNS1_11target_archE1030ELNS1_3gpuE2ELNS1_3repE0EEENS1_30default_config_static_selectorELNS0_4arch9wavefront6targetE1EEEvT1_,@function
_ZN7rocprim17ROCPRIM_400000_NS6detail17trampoline_kernelINS0_14default_configENS1_25transform_config_selectorIN3c108BFloat16ELb1EEEZNS1_14transform_implILb1ES3_S7_PS6_S9_NS0_8identityIS6_EEEE10hipError_tT2_T3_mT4_P12ihipStream_tbEUlT_E_NS1_11comp_targetILNS1_3genE8ELNS1_11target_archE1030ELNS1_3gpuE2ELNS1_3repE0EEENS1_30default_config_static_selectorELNS0_4arch9wavefront6targetE1EEEvT1_: ; @_ZN7rocprim17ROCPRIM_400000_NS6detail17trampoline_kernelINS0_14default_configENS1_25transform_config_selectorIN3c108BFloat16ELb1EEEZNS1_14transform_implILb1ES3_S7_PS6_S9_NS0_8identityIS6_EEEE10hipError_tT2_T3_mT4_P12ihipStream_tbEUlT_E_NS1_11comp_targetILNS1_3genE8ELNS1_11target_archE1030ELNS1_3gpuE2ELNS1_3repE0EEENS1_30default_config_static_selectorELNS0_4arch9wavefront6targetE1EEEvT1_
; %bb.0:
	.section	.rodata,"a",@progbits
	.p2align	6, 0x0
	.amdhsa_kernel _ZN7rocprim17ROCPRIM_400000_NS6detail17trampoline_kernelINS0_14default_configENS1_25transform_config_selectorIN3c108BFloat16ELb1EEEZNS1_14transform_implILb1ES3_S7_PS6_S9_NS0_8identityIS6_EEEE10hipError_tT2_T3_mT4_P12ihipStream_tbEUlT_E_NS1_11comp_targetILNS1_3genE8ELNS1_11target_archE1030ELNS1_3gpuE2ELNS1_3repE0EEENS1_30default_config_static_selectorELNS0_4arch9wavefront6targetE1EEEvT1_
		.amdhsa_group_segment_fixed_size 0
		.amdhsa_private_segment_fixed_size 0
		.amdhsa_kernarg_size 40
		.amdhsa_user_sgpr_count 2
		.amdhsa_user_sgpr_dispatch_ptr 0
		.amdhsa_user_sgpr_queue_ptr 0
		.amdhsa_user_sgpr_kernarg_segment_ptr 1
		.amdhsa_user_sgpr_dispatch_id 0
		.amdhsa_user_sgpr_kernarg_preload_length 0
		.amdhsa_user_sgpr_kernarg_preload_offset 0
		.amdhsa_user_sgpr_private_segment_size 0
		.amdhsa_uses_dynamic_stack 0
		.amdhsa_enable_private_segment 0
		.amdhsa_system_sgpr_workgroup_id_x 1
		.amdhsa_system_sgpr_workgroup_id_y 0
		.amdhsa_system_sgpr_workgroup_id_z 0
		.amdhsa_system_sgpr_workgroup_info 0
		.amdhsa_system_vgpr_workitem_id 0
		.amdhsa_next_free_vgpr 1
		.amdhsa_next_free_sgpr 0
		.amdhsa_accum_offset 4
		.amdhsa_reserve_vcc 0
		.amdhsa_float_round_mode_32 0
		.amdhsa_float_round_mode_16_64 0
		.amdhsa_float_denorm_mode_32 3
		.amdhsa_float_denorm_mode_16_64 3
		.amdhsa_dx10_clamp 1
		.amdhsa_ieee_mode 1
		.amdhsa_fp16_overflow 0
		.amdhsa_tg_split 0
		.amdhsa_exception_fp_ieee_invalid_op 0
		.amdhsa_exception_fp_denorm_src 0
		.amdhsa_exception_fp_ieee_div_zero 0
		.amdhsa_exception_fp_ieee_overflow 0
		.amdhsa_exception_fp_ieee_underflow 0
		.amdhsa_exception_fp_ieee_inexact 0
		.amdhsa_exception_int_div_zero 0
	.end_amdhsa_kernel
	.section	.text._ZN7rocprim17ROCPRIM_400000_NS6detail17trampoline_kernelINS0_14default_configENS1_25transform_config_selectorIN3c108BFloat16ELb1EEEZNS1_14transform_implILb1ES3_S7_PS6_S9_NS0_8identityIS6_EEEE10hipError_tT2_T3_mT4_P12ihipStream_tbEUlT_E_NS1_11comp_targetILNS1_3genE8ELNS1_11target_archE1030ELNS1_3gpuE2ELNS1_3repE0EEENS1_30default_config_static_selectorELNS0_4arch9wavefront6targetE1EEEvT1_,"axG",@progbits,_ZN7rocprim17ROCPRIM_400000_NS6detail17trampoline_kernelINS0_14default_configENS1_25transform_config_selectorIN3c108BFloat16ELb1EEEZNS1_14transform_implILb1ES3_S7_PS6_S9_NS0_8identityIS6_EEEE10hipError_tT2_T3_mT4_P12ihipStream_tbEUlT_E_NS1_11comp_targetILNS1_3genE8ELNS1_11target_archE1030ELNS1_3gpuE2ELNS1_3repE0EEENS1_30default_config_static_selectorELNS0_4arch9wavefront6targetE1EEEvT1_,comdat
.Lfunc_end454:
	.size	_ZN7rocprim17ROCPRIM_400000_NS6detail17trampoline_kernelINS0_14default_configENS1_25transform_config_selectorIN3c108BFloat16ELb1EEEZNS1_14transform_implILb1ES3_S7_PS6_S9_NS0_8identityIS6_EEEE10hipError_tT2_T3_mT4_P12ihipStream_tbEUlT_E_NS1_11comp_targetILNS1_3genE8ELNS1_11target_archE1030ELNS1_3gpuE2ELNS1_3repE0EEENS1_30default_config_static_selectorELNS0_4arch9wavefront6targetE1EEEvT1_, .Lfunc_end454-_ZN7rocprim17ROCPRIM_400000_NS6detail17trampoline_kernelINS0_14default_configENS1_25transform_config_selectorIN3c108BFloat16ELb1EEEZNS1_14transform_implILb1ES3_S7_PS6_S9_NS0_8identityIS6_EEEE10hipError_tT2_T3_mT4_P12ihipStream_tbEUlT_E_NS1_11comp_targetILNS1_3genE8ELNS1_11target_archE1030ELNS1_3gpuE2ELNS1_3repE0EEENS1_30default_config_static_selectorELNS0_4arch9wavefront6targetE1EEEvT1_
                                        ; -- End function
	.set _ZN7rocprim17ROCPRIM_400000_NS6detail17trampoline_kernelINS0_14default_configENS1_25transform_config_selectorIN3c108BFloat16ELb1EEEZNS1_14transform_implILb1ES3_S7_PS6_S9_NS0_8identityIS6_EEEE10hipError_tT2_T3_mT4_P12ihipStream_tbEUlT_E_NS1_11comp_targetILNS1_3genE8ELNS1_11target_archE1030ELNS1_3gpuE2ELNS1_3repE0EEENS1_30default_config_static_selectorELNS0_4arch9wavefront6targetE1EEEvT1_.num_vgpr, 0
	.set _ZN7rocprim17ROCPRIM_400000_NS6detail17trampoline_kernelINS0_14default_configENS1_25transform_config_selectorIN3c108BFloat16ELb1EEEZNS1_14transform_implILb1ES3_S7_PS6_S9_NS0_8identityIS6_EEEE10hipError_tT2_T3_mT4_P12ihipStream_tbEUlT_E_NS1_11comp_targetILNS1_3genE8ELNS1_11target_archE1030ELNS1_3gpuE2ELNS1_3repE0EEENS1_30default_config_static_selectorELNS0_4arch9wavefront6targetE1EEEvT1_.num_agpr, 0
	.set _ZN7rocprim17ROCPRIM_400000_NS6detail17trampoline_kernelINS0_14default_configENS1_25transform_config_selectorIN3c108BFloat16ELb1EEEZNS1_14transform_implILb1ES3_S7_PS6_S9_NS0_8identityIS6_EEEE10hipError_tT2_T3_mT4_P12ihipStream_tbEUlT_E_NS1_11comp_targetILNS1_3genE8ELNS1_11target_archE1030ELNS1_3gpuE2ELNS1_3repE0EEENS1_30default_config_static_selectorELNS0_4arch9wavefront6targetE1EEEvT1_.numbered_sgpr, 0
	.set _ZN7rocprim17ROCPRIM_400000_NS6detail17trampoline_kernelINS0_14default_configENS1_25transform_config_selectorIN3c108BFloat16ELb1EEEZNS1_14transform_implILb1ES3_S7_PS6_S9_NS0_8identityIS6_EEEE10hipError_tT2_T3_mT4_P12ihipStream_tbEUlT_E_NS1_11comp_targetILNS1_3genE8ELNS1_11target_archE1030ELNS1_3gpuE2ELNS1_3repE0EEENS1_30default_config_static_selectorELNS0_4arch9wavefront6targetE1EEEvT1_.num_named_barrier, 0
	.set _ZN7rocprim17ROCPRIM_400000_NS6detail17trampoline_kernelINS0_14default_configENS1_25transform_config_selectorIN3c108BFloat16ELb1EEEZNS1_14transform_implILb1ES3_S7_PS6_S9_NS0_8identityIS6_EEEE10hipError_tT2_T3_mT4_P12ihipStream_tbEUlT_E_NS1_11comp_targetILNS1_3genE8ELNS1_11target_archE1030ELNS1_3gpuE2ELNS1_3repE0EEENS1_30default_config_static_selectorELNS0_4arch9wavefront6targetE1EEEvT1_.private_seg_size, 0
	.set _ZN7rocprim17ROCPRIM_400000_NS6detail17trampoline_kernelINS0_14default_configENS1_25transform_config_selectorIN3c108BFloat16ELb1EEEZNS1_14transform_implILb1ES3_S7_PS6_S9_NS0_8identityIS6_EEEE10hipError_tT2_T3_mT4_P12ihipStream_tbEUlT_E_NS1_11comp_targetILNS1_3genE8ELNS1_11target_archE1030ELNS1_3gpuE2ELNS1_3repE0EEENS1_30default_config_static_selectorELNS0_4arch9wavefront6targetE1EEEvT1_.uses_vcc, 0
	.set _ZN7rocprim17ROCPRIM_400000_NS6detail17trampoline_kernelINS0_14default_configENS1_25transform_config_selectorIN3c108BFloat16ELb1EEEZNS1_14transform_implILb1ES3_S7_PS6_S9_NS0_8identityIS6_EEEE10hipError_tT2_T3_mT4_P12ihipStream_tbEUlT_E_NS1_11comp_targetILNS1_3genE8ELNS1_11target_archE1030ELNS1_3gpuE2ELNS1_3repE0EEENS1_30default_config_static_selectorELNS0_4arch9wavefront6targetE1EEEvT1_.uses_flat_scratch, 0
	.set _ZN7rocprim17ROCPRIM_400000_NS6detail17trampoline_kernelINS0_14default_configENS1_25transform_config_selectorIN3c108BFloat16ELb1EEEZNS1_14transform_implILb1ES3_S7_PS6_S9_NS0_8identityIS6_EEEE10hipError_tT2_T3_mT4_P12ihipStream_tbEUlT_E_NS1_11comp_targetILNS1_3genE8ELNS1_11target_archE1030ELNS1_3gpuE2ELNS1_3repE0EEENS1_30default_config_static_selectorELNS0_4arch9wavefront6targetE1EEEvT1_.has_dyn_sized_stack, 0
	.set _ZN7rocprim17ROCPRIM_400000_NS6detail17trampoline_kernelINS0_14default_configENS1_25transform_config_selectorIN3c108BFloat16ELb1EEEZNS1_14transform_implILb1ES3_S7_PS6_S9_NS0_8identityIS6_EEEE10hipError_tT2_T3_mT4_P12ihipStream_tbEUlT_E_NS1_11comp_targetILNS1_3genE8ELNS1_11target_archE1030ELNS1_3gpuE2ELNS1_3repE0EEENS1_30default_config_static_selectorELNS0_4arch9wavefront6targetE1EEEvT1_.has_recursion, 0
	.set _ZN7rocprim17ROCPRIM_400000_NS6detail17trampoline_kernelINS0_14default_configENS1_25transform_config_selectorIN3c108BFloat16ELb1EEEZNS1_14transform_implILb1ES3_S7_PS6_S9_NS0_8identityIS6_EEEE10hipError_tT2_T3_mT4_P12ihipStream_tbEUlT_E_NS1_11comp_targetILNS1_3genE8ELNS1_11target_archE1030ELNS1_3gpuE2ELNS1_3repE0EEENS1_30default_config_static_selectorELNS0_4arch9wavefront6targetE1EEEvT1_.has_indirect_call, 0
	.section	.AMDGPU.csdata,"",@progbits
; Kernel info:
; codeLenInByte = 0
; TotalNumSgprs: 6
; NumVgprs: 0
; NumAgprs: 0
; TotalNumVgprs: 0
; ScratchSize: 0
; MemoryBound: 0
; FloatMode: 240
; IeeeMode: 1
; LDSByteSize: 0 bytes/workgroup (compile time only)
; SGPRBlocks: 0
; VGPRBlocks: 0
; NumSGPRsForWavesPerEU: 6
; NumVGPRsForWavesPerEU: 1
; AccumOffset: 4
; Occupancy: 8
; WaveLimiterHint : 0
; COMPUTE_PGM_RSRC2:SCRATCH_EN: 0
; COMPUTE_PGM_RSRC2:USER_SGPR: 2
; COMPUTE_PGM_RSRC2:TRAP_HANDLER: 0
; COMPUTE_PGM_RSRC2:TGID_X_EN: 1
; COMPUTE_PGM_RSRC2:TGID_Y_EN: 0
; COMPUTE_PGM_RSRC2:TGID_Z_EN: 0
; COMPUTE_PGM_RSRC2:TIDIG_COMP_CNT: 0
; COMPUTE_PGM_RSRC3_GFX90A:ACCUM_OFFSET: 0
; COMPUTE_PGM_RSRC3_GFX90A:TG_SPLIT: 0
	.section	.text._ZN7rocprim17ROCPRIM_400000_NS6detail17trampoline_kernelINS0_14default_configENS1_20scan_config_selectorIN3c108BFloat16EEEZZNS1_9scan_implILNS1_25lookback_scan_determinismE0ELb0ELb0ES3_PKS6_PS6_S6_ZZZN2at6native31launch_logcumsumexp_cuda_kernelERKNSD_10TensorBaseESH_lENKUlvE_clEvENKUlvE4_clEvEUlS6_S6_E_S6_EEDaPvRmT3_T4_T5_mT6_P12ihipStream_tbENKUlT_T0_E_clISt17integral_constantIbLb0EESY_EEDaST_SU_EUlST_E0_NS1_11comp_targetILNS1_3genE0ELNS1_11target_archE4294967295ELNS1_3gpuE0ELNS1_3repE0EEENS1_30default_config_static_selectorELNS0_4arch9wavefront6targetE1EEEvT1_,"axG",@progbits,_ZN7rocprim17ROCPRIM_400000_NS6detail17trampoline_kernelINS0_14default_configENS1_20scan_config_selectorIN3c108BFloat16EEEZZNS1_9scan_implILNS1_25lookback_scan_determinismE0ELb0ELb0ES3_PKS6_PS6_S6_ZZZN2at6native31launch_logcumsumexp_cuda_kernelERKNSD_10TensorBaseESH_lENKUlvE_clEvENKUlvE4_clEvEUlS6_S6_E_S6_EEDaPvRmT3_T4_T5_mT6_P12ihipStream_tbENKUlT_T0_E_clISt17integral_constantIbLb0EESY_EEDaST_SU_EUlST_E0_NS1_11comp_targetILNS1_3genE0ELNS1_11target_archE4294967295ELNS1_3gpuE0ELNS1_3repE0EEENS1_30default_config_static_selectorELNS0_4arch9wavefront6targetE1EEEvT1_,comdat
	.globl	_ZN7rocprim17ROCPRIM_400000_NS6detail17trampoline_kernelINS0_14default_configENS1_20scan_config_selectorIN3c108BFloat16EEEZZNS1_9scan_implILNS1_25lookback_scan_determinismE0ELb0ELb0ES3_PKS6_PS6_S6_ZZZN2at6native31launch_logcumsumexp_cuda_kernelERKNSD_10TensorBaseESH_lENKUlvE_clEvENKUlvE4_clEvEUlS6_S6_E_S6_EEDaPvRmT3_T4_T5_mT6_P12ihipStream_tbENKUlT_T0_E_clISt17integral_constantIbLb0EESY_EEDaST_SU_EUlST_E0_NS1_11comp_targetILNS1_3genE0ELNS1_11target_archE4294967295ELNS1_3gpuE0ELNS1_3repE0EEENS1_30default_config_static_selectorELNS0_4arch9wavefront6targetE1EEEvT1_ ; -- Begin function _ZN7rocprim17ROCPRIM_400000_NS6detail17trampoline_kernelINS0_14default_configENS1_20scan_config_selectorIN3c108BFloat16EEEZZNS1_9scan_implILNS1_25lookback_scan_determinismE0ELb0ELb0ES3_PKS6_PS6_S6_ZZZN2at6native31launch_logcumsumexp_cuda_kernelERKNSD_10TensorBaseESH_lENKUlvE_clEvENKUlvE4_clEvEUlS6_S6_E_S6_EEDaPvRmT3_T4_T5_mT6_P12ihipStream_tbENKUlT_T0_E_clISt17integral_constantIbLb0EESY_EEDaST_SU_EUlST_E0_NS1_11comp_targetILNS1_3genE0ELNS1_11target_archE4294967295ELNS1_3gpuE0ELNS1_3repE0EEENS1_30default_config_static_selectorELNS0_4arch9wavefront6targetE1EEEvT1_
	.p2align	8
	.type	_ZN7rocprim17ROCPRIM_400000_NS6detail17trampoline_kernelINS0_14default_configENS1_20scan_config_selectorIN3c108BFloat16EEEZZNS1_9scan_implILNS1_25lookback_scan_determinismE0ELb0ELb0ES3_PKS6_PS6_S6_ZZZN2at6native31launch_logcumsumexp_cuda_kernelERKNSD_10TensorBaseESH_lENKUlvE_clEvENKUlvE4_clEvEUlS6_S6_E_S6_EEDaPvRmT3_T4_T5_mT6_P12ihipStream_tbENKUlT_T0_E_clISt17integral_constantIbLb0EESY_EEDaST_SU_EUlST_E0_NS1_11comp_targetILNS1_3genE0ELNS1_11target_archE4294967295ELNS1_3gpuE0ELNS1_3repE0EEENS1_30default_config_static_selectorELNS0_4arch9wavefront6targetE1EEEvT1_,@function
_ZN7rocprim17ROCPRIM_400000_NS6detail17trampoline_kernelINS0_14default_configENS1_20scan_config_selectorIN3c108BFloat16EEEZZNS1_9scan_implILNS1_25lookback_scan_determinismE0ELb0ELb0ES3_PKS6_PS6_S6_ZZZN2at6native31launch_logcumsumexp_cuda_kernelERKNSD_10TensorBaseESH_lENKUlvE_clEvENKUlvE4_clEvEUlS6_S6_E_S6_EEDaPvRmT3_T4_T5_mT6_P12ihipStream_tbENKUlT_T0_E_clISt17integral_constantIbLb0EESY_EEDaST_SU_EUlST_E0_NS1_11comp_targetILNS1_3genE0ELNS1_11target_archE4294967295ELNS1_3gpuE0ELNS1_3repE0EEENS1_30default_config_static_selectorELNS0_4arch9wavefront6targetE1EEEvT1_: ; @_ZN7rocprim17ROCPRIM_400000_NS6detail17trampoline_kernelINS0_14default_configENS1_20scan_config_selectorIN3c108BFloat16EEEZZNS1_9scan_implILNS1_25lookback_scan_determinismE0ELb0ELb0ES3_PKS6_PS6_S6_ZZZN2at6native31launch_logcumsumexp_cuda_kernelERKNSD_10TensorBaseESH_lENKUlvE_clEvENKUlvE4_clEvEUlS6_S6_E_S6_EEDaPvRmT3_T4_T5_mT6_P12ihipStream_tbENKUlT_T0_E_clISt17integral_constantIbLb0EESY_EEDaST_SU_EUlST_E0_NS1_11comp_targetILNS1_3genE0ELNS1_11target_archE4294967295ELNS1_3gpuE0ELNS1_3repE0EEENS1_30default_config_static_selectorELNS0_4arch9wavefront6targetE1EEEvT1_
; %bb.0:
	s_load_dwordx4 s[28:31], s[0:1], 0x0
	v_mov_b32_e32 v1, 0
	v_lshlrev_b32_e32 v8, 1, v0
	s_waitcnt lgkmcnt(0)
	global_load_ushort v1, v1, s[28:29]
	v_cmp_gt_u32_e64 s[58:59], s30, v0
	s_waitcnt vmcnt(0)
	v_mov_b32_e32 v2, v1
	s_and_saveexec_b64 s[2:3], s[58:59]
	s_cbranch_execz .LBB455_2
; %bb.1:
	global_load_ushort v2, v8, s[28:29]
.LBB455_2:
	s_or_b64 exec, exec, s[2:3]
	v_or_b32_e32 v3, 0x80, v0
	v_cmp_gt_u32_e64 s[2:3], s30, v3
	v_mov_b32_e32 v3, v1
	s_and_saveexec_b64 s[4:5], s[2:3]
	s_cbranch_execz .LBB455_4
; %bb.3:
	global_load_ushort v3, v8, s[28:29] offset:256
.LBB455_4:
	s_or_b64 exec, exec, s[4:5]
	v_or_b32_e32 v4, 0x100, v0
	v_cmp_gt_u32_e64 s[4:5], s30, v4
	v_mov_b32_e32 v4, v1
	s_and_saveexec_b64 s[6:7], s[4:5]
	s_cbranch_execz .LBB455_6
; %bb.5:
	global_load_ushort v4, v8, s[28:29] offset:512
.LBB455_6:
	;; [unrolled: 9-line block ×12, first 2 shown]
	s_or_b64 exec, exec, s[26:27]
	v_or_b32_e32 v16, 0x680, v0
	v_cmp_gt_u32_e64 s[26:27], s30, v16
	v_cmp_le_u32_e32 vcc, s30, v16
	s_and_saveexec_b64 s[30:31], vcc
	s_xor_b64 s[30:31], exec, s[30:31]
	s_andn2_saveexec_b64 s[30:31], s[30:31]
	s_cbranch_execz .LBB455_28
; %bb.27:
	v_lshlrev_b32_e32 v1, 1, v0
	global_load_ushort v1, v1, s[28:29] offset:3328
.LBB455_28:
	s_or_b64 exec, exec, s[30:31]
	s_waitcnt vmcnt(0)
	ds_write_b16 v8, v2
	ds_write_b16 v8, v3 offset:256
	ds_write_b16 v8, v4 offset:512
	;; [unrolled: 1-line block ×13, first 2 shown]
	v_mad_u32_u24 v1, v0, 26, v8
	s_waitcnt lgkmcnt(0)
	s_barrier
	ds_read2_b32 v[2:3], v1 offset1:1
	ds_read2_b32 v[6:7], v1 offset0:2 offset1:3
	ds_read2_b32 v[4:5], v1 offset0:4 offset1:5
	ds_read_b32 v26, v1 offset:24
	s_movk_i32 s33, 0x1f8
	s_waitcnt lgkmcnt(3)
	v_lshlrev_b32_e32 v29, 16, v2
	v_and_b32_e32 v1, 0xffff0000, v2
	v_max_f32_e32 v16, v1, v1
	v_max_f32_e32 v31, v29, v29
	v_min_f32_e32 v30, v31, v16
	v_cmp_u_f32_e64 s[56:57], v29, v29
	v_cmp_u_f32_e64 s[28:29], v1, v1
	v_max_f32_e32 v32, v31, v16
	v_cndmask_b32_e64 v9, v30, v29, s[56:57]
	v_cndmask_b32_e64 v11, v9, v1, s[28:29]
	;; [unrolled: 1-line block ×4, first 2 shown]
	v_cmp_neq_f32_e32 vcc, v11, v9
	v_cmp_class_f32_e64 s[30:31], v11, s33
	s_or_b64 s[34:35], vcc, s[30:31]
	v_mov_b32_e32 v10, v29
	s_waitcnt lgkmcnt(0)
	s_barrier
	s_and_saveexec_b64 s[30:31], s[34:35]
	s_cbranch_execz .LBB455_30
; %bb.29:
	v_sub_f32_e32 v10, v11, v9
	s_mov_b32 s34, 0x3fb8aa3b
	v_mul_f32_e32 v11, 0x3fb8aa3b, v10
	v_fma_f32 v12, v10, s34, -v11
	v_rndne_f32_e32 v13, v11
	v_fmamk_f32 v12, v10, 0x32a5705f, v12
	v_sub_f32_e32 v11, v11, v13
	v_add_f32_e32 v11, v11, v12
	v_exp_f32_e32 v11, v11
	v_cvt_i32_f32_e32 v12, v13
	s_mov_b32 s34, 0xc2ce8ed0
	v_cmp_ngt_f32_e32 vcc, s34, v10
	s_mov_b32 s34, 0x42b17218
	v_ldexp_f32 v11, v11, v12
	v_cndmask_b32_e32 v11, 0, v11, vcc
	v_mov_b32_e32 v17, 0x7f800000
	v_cmp_nlt_f32_e32 vcc, s34, v10
	s_mov_b32 s34, 0x3f2aaaab
	s_mov_b32 s35, 0x7f800000
	v_cndmask_b32_e32 v27, v17, v11, vcc
	v_add_f32_e32 v12, 1.0, v27
	v_add_f32_e32 v10, -1.0, v12
	v_sub_f32_e32 v11, v10, v12
	v_add_f32_e32 v11, 1.0, v11
	v_sub_f32_e32 v10, v27, v10
	v_add_f32_e32 v13, v10, v11
	v_frexp_mant_f32_e32 v14, v12
	v_cvt_f64_f32_e32 v[10:11], v12
	v_frexp_exp_i32_f64_e32 v10, v[10:11]
	v_cmp_gt_f32_e32 vcc, s34, v14
	s_mov_b32 s34, 0x3f317218
	s_nop 0
	v_subbrev_co_u32_e32 v20, vcc, 0, v10, vcc
	v_sub_u32_e32 v10, 0, v20
	v_ldexp_f32 v11, v12, v10
	v_add_f32_e32 v12, -1.0, v11
	v_add_f32_e32 v14, 1.0, v11
	v_ldexp_f32 v10, v13, v10
	v_add_f32_e32 v13, 1.0, v12
	v_add_f32_e32 v15, -1.0, v14
	v_sub_f32_e32 v13, v11, v13
	v_sub_f32_e32 v11, v11, v15
	v_add_f32_e32 v13, v10, v13
	v_add_f32_e32 v10, v10, v11
	;; [unrolled: 1-line block ×3, first 2 shown]
	v_rcp_f32_e32 v23, v21
	v_sub_f32_e32 v11, v14, v21
	v_add_f32_e32 v22, v10, v11
	v_add_f32_e32 v11, v12, v13
	v_mul_f32_e32 v25, v11, v23
	v_sub_f32_e32 v10, v12, v11
	v_mul_f32_e32 v12, v21, v25
	v_fma_f32 v14, v25, v21, -v12
	v_fmac_f32_e32 v14, v25, v22
	v_add_f32_e32 v24, v13, v10
	v_add_f32_e32 v10, v12, v14
	v_sub_f32_e32 v13, v11, v10
	v_pk_add_f32 v[18:19], v[10:11], v[12:13] neg_lo:[0,1] neg_hi:[0,1]
	v_mov_b32_e32 v15, v10
	v_pk_add_f32 v[10:11], v[18:19], v[14:15] neg_lo:[0,1] neg_hi:[0,1]
	v_cmp_neq_f32_e32 vcc, s35, v27
	v_add_f32_e32 v11, v24, v11
	v_add_f32_e32 v10, v10, v11
	;; [unrolled: 1-line block ×3, first 2 shown]
	v_mul_f32_e32 v24, v23, v11
	v_mul_f32_e32 v12, v21, v24
	v_fma_f32 v14, v24, v21, -v12
	v_fmac_f32_e32 v14, v24, v22
	v_sub_f32_e32 v13, v13, v11
	v_add_f32_e32 v21, v10, v13
	v_add_f32_e32 v10, v12, v14
	v_sub_f32_e32 v13, v11, v10
	v_pk_add_f32 v[18:19], v[10:11], v[12:13] neg_lo:[0,1] neg_hi:[0,1]
	v_mov_b32_e32 v15, v10
	v_pk_add_f32 v[10:11], v[18:19], v[14:15] neg_lo:[0,1] neg_hi:[0,1]
	v_cvt_f32_i32_e32 v12, v20
	v_add_f32_e32 v11, v21, v11
	v_add_f32_e32 v10, v10, v11
	;; [unrolled: 1-line block ×4, first 2 shown]
	v_sub_f32_e32 v11, v13, v25
	v_mul_f32_e32 v10, v23, v10
	v_sub_f32_e32 v11, v24, v11
	v_add_f32_e32 v10, v11, v10
	v_add_f32_e32 v14, v13, v10
	v_mul_f32_e32 v18, v14, v14
	v_mov_b32_e32 v11, 0x3ecc95a3
	v_sub_f32_e32 v13, v14, v13
	v_fmac_f32_e32 v11, 0x3e9b6dac, v18
	v_sub_f32_e32 v10, v10, v13
	v_fmaak_f32 v11, v18, v11, 0x3f2aaada
	v_ldexp_f32 v19, v10, 1
	v_mul_f32_e32 v13, v14, v18
	v_mov_b32_e32 v10, 0x3f317218
	v_pk_mul_f32 v[10:11], v[12:13], v[10:11]
	v_ldexp_f32 v15, v14, 1
	v_fma_f32 v13, v12, s34, -v10
	v_fmamk_f32 v14, v12, 0xb102e308, v13
	v_pk_add_f32 v[12:13], v[10:11], v[14:15]
	v_mov_b32_e32 v18, v10
	v_sub_f32_e32 v15, v13, v15
	v_sub_f32_e32 v15, v11, v15
	v_add_f32_e32 v19, v19, v15
	v_pk_add_f32 v[10:11], v[12:13], v[10:11] neg_lo:[0,1] neg_hi:[0,1]
	v_pk_add_f32 v[20:21], v[12:13], v[18:19]
	v_mov_b32_e32 v15, v12
	v_mov_b32_e32 v11, v21
	v_pk_add_f32 v[22:23], v[14:15], v[10:11] neg_lo:[0,1] neg_hi:[0,1]
	v_pk_add_f32 v[10:11], v[14:15], v[10:11]
	v_mov_b32_e32 v18, v19
	v_pk_add_f32 v[14:15], v[10:11], v[12:13] op_sel:[1,0] op_sel_hi:[0,1] neg_lo:[0,1] neg_hi:[0,1]
	v_pk_add_f32 v[24:25], v[20:21], v[14:15] op_sel_hi:[1,0] neg_lo:[0,1] neg_hi:[0,1]
	v_mov_b32_e32 v20, v21
	v_mov_b32_e32 v21, v11
	v_pk_mov_b32 v[14:15], v[12:13], v[14:15] op_sel:[1,0]
	v_mov_b32_e32 v19, v12
	v_pk_add_f32 v[14:15], v[20:21], v[14:15] neg_lo:[0,1] neg_hi:[0,1]
	v_mov_b32_e32 v24, v22
	v_pk_add_f32 v[12:13], v[18:19], v[14:15] neg_lo:[0,1] neg_hi:[0,1]
	v_mov_b32_e32 v23, v11
	v_pk_add_f32 v[14:15], v[24:25], v[12:13]
	s_mov_b32 s34, 0x33800000
	v_pk_add_f32 v[18:19], v[14:15], v[14:15] op_sel:[0,1] op_sel_hi:[1,0]
	s_nop 0
	v_pk_add_f32 v[10:11], v[10:11], v[18:19] op_sel:[1,0] op_sel_hi:[0,1]
	v_mov_b32_e32 v15, v10
	v_pk_add_f32 v[20:21], v[14:15], v[22:23] neg_lo:[0,1] neg_hi:[0,1]
	v_mov_b32_e32 v13, v18
	v_sub_f32_e32 v11, v14, v20
	v_pk_add_f32 v[12:13], v[12:13], v[20:21] neg_lo:[0,1] neg_hi:[0,1]
	v_sub_f32_e32 v11, v22, v11
	v_add_f32_e32 v11, v12, v11
	v_add_f32_e32 v11, v11, v13
	;; [unrolled: 1-line block ×3, first 2 shown]
	v_cndmask_b32_e32 v10, v17, v10, vcc
	v_cmp_lt_f32_e64 vcc, |v27|, s34
	s_nop 1
	v_cndmask_b32_e32 v10, v10, v27, vcc
	v_add_f32_e32 v10, v9, v10
.LBB455_30:
	s_or_b64 exec, exec, s[30:31]
	v_bfe_u32 v9, v10, 16, 1
	s_movk_i32 s36, 0x7fff
	v_add3_u32 v9, v10, v9, s36
	v_and_b32_e32 v9, 0xffff0000, v9
	v_mov_b32_e32 v11, 0x7fc00000
	v_cmp_o_f32_e32 vcc, v10, v10
	s_nop 1
	v_cndmask_b32_e32 v13, v11, v9, vcc
	v_lshlrev_b32_e32 v9, 16, v3
	v_max_f32_e32 v12, v13, v13
	v_max_f32_e32 v10, v9, v9
	v_min_f32_e32 v14, v12, v10
	v_cmp_u_f32_e32 vcc, v13, v13
	v_max_f32_e32 v12, v12, v10
	v_cmp_u_f32_e64 s[30:31], v9, v9
	v_cndmask_b32_e32 v14, v14, v13, vcc
	v_cndmask_b32_e32 v12, v12, v13, vcc
	v_cndmask_b32_e64 v14, v14, v9, s[30:31]
	v_cndmask_b32_e64 v12, v12, v9, s[30:31]
	v_cmp_neq_f32_e32 vcc, v14, v12
	v_cmp_class_f32_e64 s[34:35], v14, s33
	s_or_b64 s[38:39], vcc, s[34:35]
	s_and_saveexec_b64 s[34:35], s[38:39]
	s_cbranch_execz .LBB455_32
; %bb.31:
	v_sub_f32_e32 v13, v14, v12
	s_mov_b32 s33, 0x3fb8aa3b
	v_mul_f32_e32 v14, 0x3fb8aa3b, v13
	v_fma_f32 v15, v13, s33, -v14
	v_rndne_f32_e32 v17, v14
	v_fmamk_f32 v15, v13, 0x32a5705f, v15
	v_sub_f32_e32 v14, v14, v17
	v_add_f32_e32 v14, v14, v15
	v_exp_f32_e32 v14, v14
	v_cvt_i32_f32_e32 v15, v17
	s_mov_b32 s33, 0xc2ce8ed0
	v_cmp_ngt_f32_e32 vcc, s33, v13
	s_mov_b32 s33, 0x42b17218
	v_ldexp_f32 v14, v14, v15
	v_cndmask_b32_e32 v14, 0, v14, vcc
	v_mov_b32_e32 v17, 0x7f800000
	v_cmp_nlt_f32_e32 vcc, s33, v13
	s_mov_b32 s33, 0x3f2aaaab
	s_mov_b32 s37, 0x7f800000
	v_cndmask_b32_e32 v13, v17, v14, vcc
	v_add_f32_e32 v18, 1.0, v13
	v_add_f32_e32 v14, -1.0, v18
	v_sub_f32_e32 v15, v14, v18
	v_add_f32_e32 v15, 1.0, v15
	v_sub_f32_e32 v14, v13, v14
	v_add_f32_e32 v19, v14, v15
	v_frexp_mant_f32_e32 v20, v18
	v_cvt_f64_f32_e32 v[14:15], v18
	v_frexp_exp_i32_f64_e32 v14, v[14:15]
	v_cmp_gt_f32_e32 vcc, s33, v20
	s_mov_b32 s33, 0x3f317218
	s_nop 0
	v_subbrev_co_u32_e32 v24, vcc, 0, v14, vcc
	v_sub_u32_e32 v14, 0, v24
	v_ldexp_f32 v15, v18, v14
	v_add_f32_e32 v18, -1.0, v15
	v_add_f32_e32 v20, 1.0, v15
	v_ldexp_f32 v14, v19, v14
	v_add_f32_e32 v19, 1.0, v18
	v_add_f32_e32 v21, -1.0, v20
	v_sub_f32_e32 v19, v15, v19
	v_sub_f32_e32 v15, v15, v21
	v_add_f32_e32 v19, v14, v19
	v_add_f32_e32 v14, v14, v15
	;; [unrolled: 1-line block ×3, first 2 shown]
	v_rcp_f32_e32 v28, v25
	v_sub_f32_e32 v15, v20, v25
	v_add_f32_e32 v27, v14, v15
	v_add_f32_e32 v15, v18, v19
	v_mul_f32_e32 v34, v15, v28
	v_sub_f32_e32 v14, v18, v15
	v_mul_f32_e32 v18, v25, v34
	v_fma_f32 v20, v34, v25, -v18
	v_fmac_f32_e32 v20, v34, v27
	v_add_f32_e32 v33, v19, v14
	v_add_f32_e32 v14, v18, v20
	v_sub_f32_e32 v19, v15, v14
	v_pk_add_f32 v[22:23], v[14:15], v[18:19] neg_lo:[0,1] neg_hi:[0,1]
	v_mov_b32_e32 v21, v14
	v_pk_add_f32 v[14:15], v[22:23], v[20:21] neg_lo:[0,1] neg_hi:[0,1]
	v_cmp_neq_f32_e32 vcc, s37, v13
	v_add_f32_e32 v15, v33, v15
	v_add_f32_e32 v14, v14, v15
	;; [unrolled: 1-line block ×3, first 2 shown]
	v_mul_f32_e32 v33, v28, v15
	v_mul_f32_e32 v18, v25, v33
	v_fma_f32 v20, v33, v25, -v18
	v_fmac_f32_e32 v20, v33, v27
	v_sub_f32_e32 v19, v19, v15
	v_add_f32_e32 v25, v14, v19
	v_add_f32_e32 v14, v18, v20
	v_sub_f32_e32 v19, v15, v14
	v_pk_add_f32 v[22:23], v[14:15], v[18:19] neg_lo:[0,1] neg_hi:[0,1]
	v_mov_b32_e32 v21, v14
	v_pk_add_f32 v[14:15], v[22:23], v[20:21] neg_lo:[0,1] neg_hi:[0,1]
	v_cvt_f32_i32_e32 v18, v24
	v_add_f32_e32 v15, v25, v15
	v_add_f32_e32 v14, v14, v15
	v_add_f32_e32 v14, v19, v14
	v_add_f32_e32 v19, v34, v33
	v_sub_f32_e32 v15, v19, v34
	v_mul_f32_e32 v14, v28, v14
	v_sub_f32_e32 v15, v33, v15
	v_add_f32_e32 v14, v15, v14
	v_add_f32_e32 v20, v19, v14
	v_mul_f32_e32 v22, v20, v20
	v_mov_b32_e32 v15, 0x3ecc95a3
	v_sub_f32_e32 v19, v20, v19
	v_fmac_f32_e32 v15, 0x3e9b6dac, v22
	v_sub_f32_e32 v14, v14, v19
	v_fmaak_f32 v15, v22, v15, 0x3f2aaada
	v_ldexp_f32 v23, v14, 1
	v_mul_f32_e32 v19, v20, v22
	v_mov_b32_e32 v14, 0x3f317218
	v_pk_mul_f32 v[14:15], v[18:19], v[14:15]
	v_ldexp_f32 v21, v20, 1
	v_fma_f32 v19, v18, s33, -v14
	v_fmamk_f32 v20, v18, 0xb102e308, v19
	v_pk_add_f32 v[18:19], v[14:15], v[20:21]
	v_mov_b32_e32 v22, v14
	v_sub_f32_e32 v21, v19, v21
	v_sub_f32_e32 v21, v15, v21
	v_add_f32_e32 v23, v23, v21
	v_pk_add_f32 v[14:15], v[18:19], v[14:15] neg_lo:[0,1] neg_hi:[0,1]
	v_pk_add_f32 v[24:25], v[18:19], v[22:23]
	v_mov_b32_e32 v21, v18
	v_mov_b32_e32 v15, v25
	v_pk_add_f32 v[34:35], v[20:21], v[14:15] neg_lo:[0,1] neg_hi:[0,1]
	v_pk_add_f32 v[14:15], v[20:21], v[14:15]
	v_mov_b32_e32 v22, v23
	v_pk_add_f32 v[20:21], v[14:15], v[18:19] op_sel:[1,0] op_sel_hi:[0,1] neg_lo:[0,1] neg_hi:[0,1]
	v_pk_add_f32 v[36:37], v[24:25], v[20:21] op_sel_hi:[1,0] neg_lo:[0,1] neg_hi:[0,1]
	v_mov_b32_e32 v24, v25
	v_mov_b32_e32 v25, v15
	v_pk_mov_b32 v[20:21], v[18:19], v[20:21] op_sel:[1,0]
	v_mov_b32_e32 v23, v18
	v_pk_add_f32 v[20:21], v[24:25], v[20:21] neg_lo:[0,1] neg_hi:[0,1]
	v_mov_b32_e32 v36, v34
	v_pk_add_f32 v[18:19], v[22:23], v[20:21] neg_lo:[0,1] neg_hi:[0,1]
	v_mov_b32_e32 v35, v15
	v_pk_add_f32 v[20:21], v[36:37], v[18:19]
	s_mov_b32 s33, 0x33800000
	v_pk_add_f32 v[22:23], v[20:21], v[20:21] op_sel:[0,1] op_sel_hi:[1,0]
	s_nop 0
	v_pk_add_f32 v[14:15], v[14:15], v[22:23] op_sel:[1,0] op_sel_hi:[0,1]
	v_mov_b32_e32 v21, v14
	v_pk_add_f32 v[24:25], v[20:21], v[34:35] neg_lo:[0,1] neg_hi:[0,1]
	v_mov_b32_e32 v19, v22
	v_sub_f32_e32 v15, v20, v24
	v_pk_add_f32 v[18:19], v[18:19], v[24:25] neg_lo:[0,1] neg_hi:[0,1]
	v_sub_f32_e32 v15, v34, v15
	v_add_f32_e32 v15, v18, v15
	v_add_f32_e32 v15, v15, v19
	;; [unrolled: 1-line block ×3, first 2 shown]
	v_cndmask_b32_e32 v14, v17, v14, vcc
	v_cmp_lt_f32_e64 vcc, |v13|, s33
	s_nop 1
	v_cndmask_b32_e32 v13, v14, v13, vcc
	v_add_f32_e32 v13, v12, v13
.LBB455_32:
	s_or_b64 exec, exec, s[34:35]
	v_bfe_u32 v12, v13, 16, 1
	v_add3_u32 v12, v13, v12, s36
	v_and_b32_e32 v12, 0xffff0000, v12
	v_cmp_o_f32_e32 vcc, v13, v13
	v_and_b32_e32 v3, 0xffff0000, v3
	v_cmp_u_f32_e64 s[34:35], v3, v3
	v_cndmask_b32_e32 v13, v11, v12, vcc
	v_max_f32_e32 v11, v13, v13
	v_max_f32_e32 v12, v3, v3
	v_min_f32_e32 v14, v11, v12
	v_cmp_u_f32_e32 vcc, v13, v13
	v_max_f32_e32 v11, v11, v12
	s_movk_i32 s33, 0x1f8
	v_cndmask_b32_e32 v14, v14, v13, vcc
	v_cndmask_b32_e32 v11, v11, v13, vcc
	v_cndmask_b32_e64 v14, v14, v3, s[34:35]
	v_cndmask_b32_e64 v11, v11, v3, s[34:35]
	v_cmp_neq_f32_e32 vcc, v14, v11
	v_cmp_class_f32_e64 s[36:37], v14, s33
	s_or_b64 s[38:39], vcc, s[36:37]
	s_and_saveexec_b64 s[36:37], s[38:39]
	s_cbranch_execz .LBB455_34
; %bb.33:
	v_sub_f32_e32 v13, v14, v11
	s_mov_b32 s38, 0x3fb8aa3b
	v_mul_f32_e32 v14, 0x3fb8aa3b, v13
	v_fma_f32 v15, v13, s38, -v14
	v_rndne_f32_e32 v17, v14
	v_fmamk_f32 v15, v13, 0x32a5705f, v15
	v_sub_f32_e32 v14, v14, v17
	v_add_f32_e32 v14, v14, v15
	v_exp_f32_e32 v14, v14
	v_cvt_i32_f32_e32 v15, v17
	s_mov_b32 s38, 0xc2ce8ed0
	v_cmp_ngt_f32_e32 vcc, s38, v13
	s_mov_b32 s38, 0x42b17218
	v_ldexp_f32 v14, v14, v15
	v_cndmask_b32_e32 v14, 0, v14, vcc
	v_mov_b32_e32 v17, 0x7f800000
	v_cmp_nlt_f32_e32 vcc, s38, v13
	s_mov_b32 s38, 0x3f2aaaab
	s_mov_b32 s39, 0x7f800000
	v_cndmask_b32_e32 v13, v17, v14, vcc
	v_add_f32_e32 v18, 1.0, v13
	v_add_f32_e32 v14, -1.0, v18
	v_sub_f32_e32 v15, v14, v18
	v_add_f32_e32 v15, 1.0, v15
	v_sub_f32_e32 v14, v13, v14
	v_add_f32_e32 v19, v14, v15
	v_frexp_mant_f32_e32 v20, v18
	v_cvt_f64_f32_e32 v[14:15], v18
	v_frexp_exp_i32_f64_e32 v14, v[14:15]
	v_cmp_gt_f32_e32 vcc, s38, v20
	s_mov_b32 s38, 0x3f317218
	s_nop 0
	v_subbrev_co_u32_e32 v24, vcc, 0, v14, vcc
	v_sub_u32_e32 v14, 0, v24
	v_ldexp_f32 v15, v18, v14
	v_add_f32_e32 v18, -1.0, v15
	v_add_f32_e32 v20, 1.0, v15
	v_ldexp_f32 v14, v19, v14
	v_add_f32_e32 v19, 1.0, v18
	v_add_f32_e32 v21, -1.0, v20
	v_sub_f32_e32 v19, v15, v19
	v_sub_f32_e32 v15, v15, v21
	v_add_f32_e32 v19, v14, v19
	v_add_f32_e32 v14, v14, v15
	;; [unrolled: 1-line block ×3, first 2 shown]
	v_rcp_f32_e32 v28, v25
	v_sub_f32_e32 v15, v20, v25
	v_add_f32_e32 v27, v14, v15
	v_add_f32_e32 v15, v18, v19
	v_mul_f32_e32 v34, v15, v28
	v_sub_f32_e32 v14, v18, v15
	v_mul_f32_e32 v18, v25, v34
	v_fma_f32 v20, v34, v25, -v18
	v_fmac_f32_e32 v20, v34, v27
	v_add_f32_e32 v33, v19, v14
	v_add_f32_e32 v14, v18, v20
	v_sub_f32_e32 v19, v15, v14
	v_pk_add_f32 v[22:23], v[14:15], v[18:19] neg_lo:[0,1] neg_hi:[0,1]
	v_mov_b32_e32 v21, v14
	v_pk_add_f32 v[14:15], v[22:23], v[20:21] neg_lo:[0,1] neg_hi:[0,1]
	v_cmp_neq_f32_e32 vcc, s39, v13
	v_add_f32_e32 v15, v33, v15
	v_add_f32_e32 v14, v14, v15
	;; [unrolled: 1-line block ×3, first 2 shown]
	v_mul_f32_e32 v33, v28, v15
	v_mul_f32_e32 v18, v25, v33
	v_fma_f32 v20, v33, v25, -v18
	v_fmac_f32_e32 v20, v33, v27
	v_sub_f32_e32 v19, v19, v15
	v_add_f32_e32 v25, v14, v19
	v_add_f32_e32 v14, v18, v20
	v_sub_f32_e32 v19, v15, v14
	v_pk_add_f32 v[22:23], v[14:15], v[18:19] neg_lo:[0,1] neg_hi:[0,1]
	v_mov_b32_e32 v21, v14
	v_pk_add_f32 v[14:15], v[22:23], v[20:21] neg_lo:[0,1] neg_hi:[0,1]
	v_cvt_f32_i32_e32 v18, v24
	v_add_f32_e32 v15, v25, v15
	v_add_f32_e32 v14, v14, v15
	;; [unrolled: 1-line block ×4, first 2 shown]
	v_sub_f32_e32 v15, v19, v34
	v_mul_f32_e32 v14, v28, v14
	v_sub_f32_e32 v15, v33, v15
	v_add_f32_e32 v14, v15, v14
	v_add_f32_e32 v20, v19, v14
	v_mul_f32_e32 v22, v20, v20
	v_mov_b32_e32 v15, 0x3ecc95a3
	v_sub_f32_e32 v19, v20, v19
	v_fmac_f32_e32 v15, 0x3e9b6dac, v22
	v_sub_f32_e32 v14, v14, v19
	v_fmaak_f32 v15, v22, v15, 0x3f2aaada
	v_ldexp_f32 v23, v14, 1
	v_mul_f32_e32 v19, v20, v22
	v_mov_b32_e32 v14, 0x3f317218
	v_pk_mul_f32 v[14:15], v[18:19], v[14:15]
	v_ldexp_f32 v21, v20, 1
	v_fma_f32 v19, v18, s38, -v14
	v_fmamk_f32 v20, v18, 0xb102e308, v19
	v_pk_add_f32 v[18:19], v[14:15], v[20:21]
	v_mov_b32_e32 v22, v14
	v_sub_f32_e32 v21, v19, v21
	v_sub_f32_e32 v21, v15, v21
	v_add_f32_e32 v23, v23, v21
	v_pk_add_f32 v[14:15], v[18:19], v[14:15] neg_lo:[0,1] neg_hi:[0,1]
	v_pk_add_f32 v[24:25], v[18:19], v[22:23]
	v_mov_b32_e32 v21, v18
	v_mov_b32_e32 v15, v25
	v_pk_add_f32 v[34:35], v[20:21], v[14:15] neg_lo:[0,1] neg_hi:[0,1]
	v_pk_add_f32 v[14:15], v[20:21], v[14:15]
	v_mov_b32_e32 v22, v23
	v_pk_add_f32 v[20:21], v[14:15], v[18:19] op_sel:[1,0] op_sel_hi:[0,1] neg_lo:[0,1] neg_hi:[0,1]
	v_pk_add_f32 v[36:37], v[24:25], v[20:21] op_sel_hi:[1,0] neg_lo:[0,1] neg_hi:[0,1]
	v_mov_b32_e32 v24, v25
	v_mov_b32_e32 v25, v15
	v_pk_mov_b32 v[20:21], v[18:19], v[20:21] op_sel:[1,0]
	v_mov_b32_e32 v23, v18
	v_pk_add_f32 v[20:21], v[24:25], v[20:21] neg_lo:[0,1] neg_hi:[0,1]
	v_mov_b32_e32 v36, v34
	v_pk_add_f32 v[18:19], v[22:23], v[20:21] neg_lo:[0,1] neg_hi:[0,1]
	v_mov_b32_e32 v35, v15
	v_pk_add_f32 v[20:21], v[36:37], v[18:19]
	s_mov_b32 s38, 0x33800000
	v_pk_add_f32 v[22:23], v[20:21], v[20:21] op_sel:[0,1] op_sel_hi:[1,0]
	s_nop 0
	v_pk_add_f32 v[14:15], v[14:15], v[22:23] op_sel:[1,0] op_sel_hi:[0,1]
	v_mov_b32_e32 v21, v14
	v_pk_add_f32 v[24:25], v[20:21], v[34:35] neg_lo:[0,1] neg_hi:[0,1]
	v_mov_b32_e32 v19, v22
	v_sub_f32_e32 v15, v20, v24
	v_pk_add_f32 v[18:19], v[18:19], v[24:25] neg_lo:[0,1] neg_hi:[0,1]
	v_sub_f32_e32 v15, v34, v15
	v_add_f32_e32 v15, v18, v15
	v_add_f32_e32 v15, v15, v19
	;; [unrolled: 1-line block ×3, first 2 shown]
	v_cndmask_b32_e32 v14, v17, v14, vcc
	v_cmp_lt_f32_e64 vcc, |v13|, s38
	s_nop 1
	v_cndmask_b32_e32 v13, v14, v13, vcc
	v_add_f32_e32 v13, v11, v13
.LBB455_34:
	s_or_b64 exec, exec, s[36:37]
	v_bfe_u32 v11, v13, 16, 1
	s_movk_i32 s40, 0x7fff
	v_add3_u32 v11, v13, v11, s40
	v_and_b32_e32 v11, 0xffff0000, v11
	v_mov_b32_e32 v14, 0x7fc00000
	v_cmp_o_f32_e32 vcc, v13, v13
	s_nop 1
	v_cndmask_b32_e32 v17, v14, v11, vcc
	v_lshlrev_b32_e32 v11, 16, v6
	v_max_f32_e32 v15, v17, v17
	v_max_f32_e32 v13, v11, v11
	v_min_f32_e32 v18, v15, v13
	v_cmp_u_f32_e32 vcc, v17, v17
	v_max_f32_e32 v15, v15, v13
	v_cmp_u_f32_e64 s[36:37], v11, v11
	v_cndmask_b32_e32 v18, v18, v17, vcc
	v_cndmask_b32_e32 v15, v15, v17, vcc
	v_cndmask_b32_e64 v18, v18, v11, s[36:37]
	v_cndmask_b32_e64 v15, v15, v11, s[36:37]
	v_cmp_neq_f32_e32 vcc, v18, v15
	v_cmp_class_f32_e64 s[38:39], v18, s33
	s_or_b64 s[42:43], vcc, s[38:39]
	s_and_saveexec_b64 s[38:39], s[42:43]
	s_cbranch_execz .LBB455_36
; %bb.35:
	v_sub_f32_e32 v17, v18, v15
	s_mov_b32 s33, 0x3fb8aa3b
	v_mul_f32_e32 v18, 0x3fb8aa3b, v17
	v_fma_f32 v19, v17, s33, -v18
	v_rndne_f32_e32 v20, v18
	v_fmamk_f32 v19, v17, 0x32a5705f, v19
	v_sub_f32_e32 v18, v18, v20
	v_add_f32_e32 v18, v18, v19
	v_exp_f32_e32 v18, v18
	v_cvt_i32_f32_e32 v19, v20
	s_mov_b32 s33, 0xc2ce8ed0
	v_cmp_ngt_f32_e32 vcc, s33, v17
	s_mov_b32 s33, 0x42b17218
	v_ldexp_f32 v18, v18, v19
	v_cndmask_b32_e32 v18, 0, v18, vcc
	v_mov_b32_e32 v27, 0x7f800000
	v_cmp_nlt_f32_e32 vcc, s33, v17
	s_mov_b32 s33, 0x3f2aaaab
	s_mov_b32 s41, 0x7f800000
	v_cndmask_b32_e32 v17, v27, v18, vcc
	v_add_f32_e32 v20, 1.0, v17
	v_add_f32_e32 v18, -1.0, v20
	v_sub_f32_e32 v19, v18, v20
	v_add_f32_e32 v19, 1.0, v19
	v_sub_f32_e32 v18, v17, v18
	v_add_f32_e32 v21, v18, v19
	v_frexp_mant_f32_e32 v22, v20
	v_cvt_f64_f32_e32 v[18:19], v20
	v_frexp_exp_i32_f64_e32 v18, v[18:19]
	v_cmp_gt_f32_e32 vcc, s33, v22
	s_mov_b32 s33, 0x3f317218
	s_nop 0
	v_subbrev_co_u32_e32 v28, vcc, 0, v18, vcc
	v_sub_u32_e32 v18, 0, v28
	v_ldexp_f32 v19, v20, v18
	v_add_f32_e32 v20, -1.0, v19
	v_add_f32_e32 v22, 1.0, v19
	v_ldexp_f32 v18, v21, v18
	v_add_f32_e32 v21, 1.0, v20
	v_add_f32_e32 v23, -1.0, v22
	v_sub_f32_e32 v21, v19, v21
	v_sub_f32_e32 v19, v19, v23
	v_add_f32_e32 v21, v18, v21
	v_add_f32_e32 v18, v18, v19
	;; [unrolled: 1-line block ×3, first 2 shown]
	v_rcp_f32_e32 v35, v33
	v_sub_f32_e32 v19, v22, v33
	v_add_f32_e32 v34, v18, v19
	v_add_f32_e32 v19, v20, v21
	v_mul_f32_e32 v37, v19, v35
	v_sub_f32_e32 v18, v20, v19
	v_mul_f32_e32 v20, v33, v37
	v_fma_f32 v22, v37, v33, -v20
	v_fmac_f32_e32 v22, v37, v34
	v_add_f32_e32 v36, v21, v18
	v_add_f32_e32 v18, v20, v22
	v_sub_f32_e32 v21, v19, v18
	v_pk_add_f32 v[24:25], v[18:19], v[20:21] neg_lo:[0,1] neg_hi:[0,1]
	v_mov_b32_e32 v23, v18
	v_pk_add_f32 v[18:19], v[24:25], v[22:23] neg_lo:[0,1] neg_hi:[0,1]
	v_cmp_neq_f32_e32 vcc, s41, v17
	v_add_f32_e32 v19, v36, v19
	v_add_f32_e32 v18, v18, v19
	v_add_f32_e32 v19, v21, v18
	v_mul_f32_e32 v36, v35, v19
	v_mul_f32_e32 v20, v33, v36
	v_fma_f32 v22, v36, v33, -v20
	v_fmac_f32_e32 v22, v36, v34
	v_sub_f32_e32 v21, v21, v19
	v_add_f32_e32 v33, v18, v21
	v_add_f32_e32 v18, v20, v22
	v_sub_f32_e32 v21, v19, v18
	v_pk_add_f32 v[24:25], v[18:19], v[20:21] neg_lo:[0,1] neg_hi:[0,1]
	v_mov_b32_e32 v23, v18
	v_pk_add_f32 v[18:19], v[24:25], v[22:23] neg_lo:[0,1] neg_hi:[0,1]
	v_cvt_f32_i32_e32 v20, v28
	v_add_f32_e32 v19, v33, v19
	v_add_f32_e32 v18, v18, v19
	;; [unrolled: 1-line block ×4, first 2 shown]
	v_sub_f32_e32 v19, v21, v37
	v_mul_f32_e32 v18, v35, v18
	v_sub_f32_e32 v19, v36, v19
	v_add_f32_e32 v18, v19, v18
	v_add_f32_e32 v22, v21, v18
	v_mul_f32_e32 v24, v22, v22
	v_mov_b32_e32 v19, 0x3ecc95a3
	v_sub_f32_e32 v21, v22, v21
	v_fmac_f32_e32 v19, 0x3e9b6dac, v24
	v_sub_f32_e32 v18, v18, v21
	v_fmaak_f32 v19, v24, v19, 0x3f2aaada
	v_ldexp_f32 v25, v18, 1
	v_mul_f32_e32 v21, v22, v24
	v_mov_b32_e32 v18, 0x3f317218
	v_pk_mul_f32 v[18:19], v[20:21], v[18:19]
	v_ldexp_f32 v23, v22, 1
	v_fma_f32 v21, v20, s33, -v18
	v_fmamk_f32 v22, v20, 0xb102e308, v21
	v_pk_add_f32 v[20:21], v[18:19], v[22:23]
	v_mov_b32_e32 v24, v18
	v_sub_f32_e32 v23, v21, v23
	v_sub_f32_e32 v23, v19, v23
	v_add_f32_e32 v25, v25, v23
	v_pk_add_f32 v[18:19], v[20:21], v[18:19] neg_lo:[0,1] neg_hi:[0,1]
	v_pk_add_f32 v[34:35], v[20:21], v[24:25]
	v_mov_b32_e32 v23, v20
	v_mov_b32_e32 v19, v35
	v_pk_add_f32 v[36:37], v[22:23], v[18:19] neg_lo:[0,1] neg_hi:[0,1]
	v_pk_add_f32 v[18:19], v[22:23], v[18:19]
	v_mov_b32_e32 v24, v25
	v_pk_add_f32 v[22:23], v[18:19], v[20:21] op_sel:[1,0] op_sel_hi:[0,1] neg_lo:[0,1] neg_hi:[0,1]
	v_pk_add_f32 v[38:39], v[34:35], v[22:23] op_sel_hi:[1,0] neg_lo:[0,1] neg_hi:[0,1]
	v_mov_b32_e32 v34, v35
	v_mov_b32_e32 v35, v19
	v_pk_mov_b32 v[22:23], v[20:21], v[22:23] op_sel:[1,0]
	v_mov_b32_e32 v25, v20
	v_pk_add_f32 v[22:23], v[34:35], v[22:23] neg_lo:[0,1] neg_hi:[0,1]
	v_mov_b32_e32 v38, v36
	v_pk_add_f32 v[20:21], v[24:25], v[22:23] neg_lo:[0,1] neg_hi:[0,1]
	v_mov_b32_e32 v37, v19
	v_pk_add_f32 v[22:23], v[38:39], v[20:21]
	s_mov_b32 s33, 0x33800000
	v_pk_add_f32 v[24:25], v[22:23], v[22:23] op_sel:[0,1] op_sel_hi:[1,0]
	s_nop 0
	v_pk_add_f32 v[18:19], v[18:19], v[24:25] op_sel:[1,0] op_sel_hi:[0,1]
	v_mov_b32_e32 v23, v18
	v_pk_add_f32 v[34:35], v[22:23], v[36:37] neg_lo:[0,1] neg_hi:[0,1]
	v_mov_b32_e32 v21, v24
	v_sub_f32_e32 v19, v22, v34
	v_pk_add_f32 v[20:21], v[20:21], v[34:35] neg_lo:[0,1] neg_hi:[0,1]
	v_sub_f32_e32 v19, v36, v19
	v_add_f32_e32 v19, v20, v19
	v_add_f32_e32 v19, v19, v21
	;; [unrolled: 1-line block ×3, first 2 shown]
	v_cndmask_b32_e32 v18, v27, v18, vcc
	v_cmp_lt_f32_e64 vcc, |v17|, s33
	s_nop 1
	v_cndmask_b32_e32 v17, v18, v17, vcc
	v_add_f32_e32 v17, v15, v17
.LBB455_36:
	s_or_b64 exec, exec, s[38:39]
	v_bfe_u32 v15, v17, 16, 1
	v_add3_u32 v15, v17, v15, s40
	v_and_b32_e32 v15, 0xffff0000, v15
	v_cmp_o_f32_e32 vcc, v17, v17
	v_and_b32_e32 v6, 0xffff0000, v6
	v_cmp_u_f32_e64 s[38:39], v6, v6
	v_cndmask_b32_e32 v17, v14, v15, vcc
	v_max_f32_e32 v14, v17, v17
	v_max_f32_e32 v15, v6, v6
	v_min_f32_e32 v18, v14, v15
	v_cmp_u_f32_e32 vcc, v17, v17
	v_max_f32_e32 v14, v14, v15
	s_movk_i32 s33, 0x1f8
	v_cndmask_b32_e32 v18, v18, v17, vcc
	v_cndmask_b32_e32 v14, v14, v17, vcc
	v_cndmask_b32_e64 v18, v18, v6, s[38:39]
	v_cndmask_b32_e64 v14, v14, v6, s[38:39]
	v_cmp_neq_f32_e32 vcc, v18, v14
	v_cmp_class_f32_e64 s[40:41], v18, s33
	s_or_b64 s[42:43], vcc, s[40:41]
	s_and_saveexec_b64 s[40:41], s[42:43]
	s_cbranch_execz .LBB455_38
; %bb.37:
	v_sub_f32_e32 v17, v18, v14
	s_mov_b32 s42, 0x3fb8aa3b
	v_mul_f32_e32 v18, 0x3fb8aa3b, v17
	v_fma_f32 v19, v17, s42, -v18
	v_rndne_f32_e32 v20, v18
	v_fmamk_f32 v19, v17, 0x32a5705f, v19
	v_sub_f32_e32 v18, v18, v20
	v_add_f32_e32 v18, v18, v19
	v_exp_f32_e32 v18, v18
	v_cvt_i32_f32_e32 v19, v20
	s_mov_b32 s42, 0xc2ce8ed0
	v_cmp_ngt_f32_e32 vcc, s42, v17
	s_mov_b32 s42, 0x42b17218
	v_ldexp_f32 v18, v18, v19
	v_cndmask_b32_e32 v18, 0, v18, vcc
	v_mov_b32_e32 v27, 0x7f800000
	v_cmp_nlt_f32_e32 vcc, s42, v17
	s_mov_b32 s42, 0x3f2aaaab
	s_mov_b32 s43, 0x7f800000
	v_cndmask_b32_e32 v17, v27, v18, vcc
	v_add_f32_e32 v20, 1.0, v17
	v_add_f32_e32 v18, -1.0, v20
	v_sub_f32_e32 v19, v18, v20
	v_add_f32_e32 v19, 1.0, v19
	v_sub_f32_e32 v18, v17, v18
	v_add_f32_e32 v21, v18, v19
	v_frexp_mant_f32_e32 v22, v20
	v_cvt_f64_f32_e32 v[18:19], v20
	v_frexp_exp_i32_f64_e32 v18, v[18:19]
	v_cmp_gt_f32_e32 vcc, s42, v22
	s_mov_b32 s42, 0x3f317218
	s_nop 0
	v_subbrev_co_u32_e32 v28, vcc, 0, v18, vcc
	v_sub_u32_e32 v18, 0, v28
	v_ldexp_f32 v19, v20, v18
	v_add_f32_e32 v20, -1.0, v19
	v_add_f32_e32 v22, 1.0, v19
	v_ldexp_f32 v18, v21, v18
	v_add_f32_e32 v21, 1.0, v20
	v_add_f32_e32 v23, -1.0, v22
	v_sub_f32_e32 v21, v19, v21
	v_sub_f32_e32 v19, v19, v23
	v_add_f32_e32 v21, v18, v21
	v_add_f32_e32 v18, v18, v19
	;; [unrolled: 1-line block ×3, first 2 shown]
	v_rcp_f32_e32 v35, v33
	v_sub_f32_e32 v19, v22, v33
	v_add_f32_e32 v34, v18, v19
	v_add_f32_e32 v19, v20, v21
	v_mul_f32_e32 v37, v19, v35
	v_sub_f32_e32 v18, v20, v19
	v_mul_f32_e32 v20, v33, v37
	v_fma_f32 v22, v37, v33, -v20
	v_fmac_f32_e32 v22, v37, v34
	v_add_f32_e32 v36, v21, v18
	v_add_f32_e32 v18, v20, v22
	v_sub_f32_e32 v21, v19, v18
	v_pk_add_f32 v[24:25], v[18:19], v[20:21] neg_lo:[0,1] neg_hi:[0,1]
	v_mov_b32_e32 v23, v18
	v_pk_add_f32 v[18:19], v[24:25], v[22:23] neg_lo:[0,1] neg_hi:[0,1]
	v_cmp_neq_f32_e32 vcc, s43, v17
	v_add_f32_e32 v19, v36, v19
	v_add_f32_e32 v18, v18, v19
	;; [unrolled: 1-line block ×3, first 2 shown]
	v_mul_f32_e32 v36, v35, v19
	v_mul_f32_e32 v20, v33, v36
	v_fma_f32 v22, v36, v33, -v20
	v_fmac_f32_e32 v22, v36, v34
	v_sub_f32_e32 v21, v21, v19
	v_add_f32_e32 v33, v18, v21
	v_add_f32_e32 v18, v20, v22
	v_sub_f32_e32 v21, v19, v18
	v_pk_add_f32 v[24:25], v[18:19], v[20:21] neg_lo:[0,1] neg_hi:[0,1]
	v_mov_b32_e32 v23, v18
	v_pk_add_f32 v[18:19], v[24:25], v[22:23] neg_lo:[0,1] neg_hi:[0,1]
	v_cvt_f32_i32_e32 v20, v28
	v_add_f32_e32 v19, v33, v19
	v_add_f32_e32 v18, v18, v19
	;; [unrolled: 1-line block ×4, first 2 shown]
	v_sub_f32_e32 v19, v21, v37
	v_mul_f32_e32 v18, v35, v18
	v_sub_f32_e32 v19, v36, v19
	v_add_f32_e32 v18, v19, v18
	v_add_f32_e32 v22, v21, v18
	v_mul_f32_e32 v24, v22, v22
	v_mov_b32_e32 v19, 0x3ecc95a3
	v_sub_f32_e32 v21, v22, v21
	v_fmac_f32_e32 v19, 0x3e9b6dac, v24
	v_sub_f32_e32 v18, v18, v21
	v_fmaak_f32 v19, v24, v19, 0x3f2aaada
	v_ldexp_f32 v25, v18, 1
	v_mul_f32_e32 v21, v22, v24
	v_mov_b32_e32 v18, 0x3f317218
	v_pk_mul_f32 v[18:19], v[20:21], v[18:19]
	v_ldexp_f32 v23, v22, 1
	v_fma_f32 v21, v20, s42, -v18
	v_fmamk_f32 v22, v20, 0xb102e308, v21
	v_pk_add_f32 v[20:21], v[18:19], v[22:23]
	v_mov_b32_e32 v24, v18
	v_sub_f32_e32 v23, v21, v23
	v_sub_f32_e32 v23, v19, v23
	v_add_f32_e32 v25, v25, v23
	v_pk_add_f32 v[18:19], v[20:21], v[18:19] neg_lo:[0,1] neg_hi:[0,1]
	v_pk_add_f32 v[34:35], v[20:21], v[24:25]
	v_mov_b32_e32 v23, v20
	v_mov_b32_e32 v19, v35
	v_pk_add_f32 v[36:37], v[22:23], v[18:19] neg_lo:[0,1] neg_hi:[0,1]
	v_pk_add_f32 v[18:19], v[22:23], v[18:19]
	v_mov_b32_e32 v24, v25
	v_pk_add_f32 v[22:23], v[18:19], v[20:21] op_sel:[1,0] op_sel_hi:[0,1] neg_lo:[0,1] neg_hi:[0,1]
	v_pk_add_f32 v[38:39], v[34:35], v[22:23] op_sel_hi:[1,0] neg_lo:[0,1] neg_hi:[0,1]
	v_mov_b32_e32 v34, v35
	v_mov_b32_e32 v35, v19
	v_pk_mov_b32 v[22:23], v[20:21], v[22:23] op_sel:[1,0]
	v_mov_b32_e32 v25, v20
	v_pk_add_f32 v[22:23], v[34:35], v[22:23] neg_lo:[0,1] neg_hi:[0,1]
	v_mov_b32_e32 v38, v36
	v_pk_add_f32 v[20:21], v[24:25], v[22:23] neg_lo:[0,1] neg_hi:[0,1]
	v_mov_b32_e32 v37, v19
	v_pk_add_f32 v[22:23], v[38:39], v[20:21]
	s_mov_b32 s42, 0x33800000
	v_pk_add_f32 v[24:25], v[22:23], v[22:23] op_sel:[0,1] op_sel_hi:[1,0]
	s_nop 0
	v_pk_add_f32 v[18:19], v[18:19], v[24:25] op_sel:[1,0] op_sel_hi:[0,1]
	v_mov_b32_e32 v23, v18
	v_pk_add_f32 v[34:35], v[22:23], v[36:37] neg_lo:[0,1] neg_hi:[0,1]
	v_mov_b32_e32 v21, v24
	v_sub_f32_e32 v19, v22, v34
	v_pk_add_f32 v[20:21], v[20:21], v[34:35] neg_lo:[0,1] neg_hi:[0,1]
	v_sub_f32_e32 v19, v36, v19
	v_add_f32_e32 v19, v20, v19
	v_add_f32_e32 v19, v19, v21
	v_add_f32_e32 v18, v18, v19
	v_cndmask_b32_e32 v18, v27, v18, vcc
	v_cmp_lt_f32_e64 vcc, |v17|, s42
	s_nop 1
	v_cndmask_b32_e32 v17, v18, v17, vcc
	v_add_f32_e32 v17, v14, v17
.LBB455_38:
	s_or_b64 exec, exec, s[40:41]
	v_bfe_u32 v14, v17, 16, 1
	s_movk_i32 s44, 0x7fff
	v_add3_u32 v14, v17, v14, s44
	v_and_b32_e32 v14, 0xffff0000, v14
	v_mov_b32_e32 v18, 0x7fc00000
	v_cmp_o_f32_e32 vcc, v17, v17
	s_nop 1
	v_cndmask_b32_e32 v20, v18, v14, vcc
	v_lshlrev_b32_e32 v14, 16, v7
	v_max_f32_e32 v19, v20, v20
	v_max_f32_e32 v17, v14, v14
	v_min_f32_e32 v21, v19, v17
	v_cmp_u_f32_e32 vcc, v20, v20
	v_max_f32_e32 v19, v19, v17
	v_cmp_u_f32_e64 s[40:41], v14, v14
	v_cndmask_b32_e32 v21, v21, v20, vcc
	v_cndmask_b32_e32 v19, v19, v20, vcc
	v_cndmask_b32_e64 v21, v21, v14, s[40:41]
	v_cndmask_b32_e64 v19, v19, v14, s[40:41]
	v_cmp_neq_f32_e32 vcc, v21, v19
	v_cmp_class_f32_e64 s[42:43], v21, s33
	s_or_b64 s[46:47], vcc, s[42:43]
	s_and_saveexec_b64 s[42:43], s[46:47]
	s_cbranch_execz .LBB455_40
; %bb.39:
	v_sub_f32_e32 v20, v21, v19
	s_mov_b32 s33, 0x3fb8aa3b
	v_mul_f32_e32 v21, 0x3fb8aa3b, v20
	v_fma_f32 v22, v20, s33, -v21
	v_rndne_f32_e32 v23, v21
	v_fmamk_f32 v22, v20, 0x32a5705f, v22
	v_sub_f32_e32 v21, v21, v23
	v_add_f32_e32 v21, v21, v22
	v_exp_f32_e32 v21, v21
	v_cvt_i32_f32_e32 v22, v23
	s_mov_b32 s33, 0xc2ce8ed0
	v_cmp_ngt_f32_e32 vcc, s33, v20
	s_mov_b32 s33, 0x42b17218
	v_ldexp_f32 v21, v21, v22
	v_cndmask_b32_e32 v21, 0, v21, vcc
	v_mov_b32_e32 v27, 0x7f800000
	v_cmp_nlt_f32_e32 vcc, s33, v20
	s_mov_b32 s33, 0x3f2aaaab
	s_mov_b32 s45, 0x7f800000
	v_cndmask_b32_e32 v28, v27, v21, vcc
	v_add_f32_e32 v22, 1.0, v28
	v_add_f32_e32 v20, -1.0, v22
	v_sub_f32_e32 v21, v20, v22
	v_add_f32_e32 v21, 1.0, v21
	v_sub_f32_e32 v20, v28, v20
	v_add_f32_e32 v23, v20, v21
	v_frexp_mant_f32_e32 v24, v22
	v_cvt_f64_f32_e32 v[20:21], v22
	v_frexp_exp_i32_f64_e32 v20, v[20:21]
	v_cmp_gt_f32_e32 vcc, s33, v24
	s_mov_b32 s33, 0x3f317218
	s_nop 0
	v_subbrev_co_u32_e32 v33, vcc, 0, v20, vcc
	v_sub_u32_e32 v20, 0, v33
	v_ldexp_f32 v21, v22, v20
	v_add_f32_e32 v22, -1.0, v21
	v_add_f32_e32 v24, 1.0, v21
	v_ldexp_f32 v20, v23, v20
	v_add_f32_e32 v23, 1.0, v22
	v_add_f32_e32 v25, -1.0, v24
	v_sub_f32_e32 v23, v21, v23
	v_sub_f32_e32 v21, v21, v25
	v_add_f32_e32 v23, v20, v23
	v_add_f32_e32 v20, v20, v21
	;; [unrolled: 1-line block ×3, first 2 shown]
	v_rcp_f32_e32 v38, v36
	v_sub_f32_e32 v21, v24, v36
	v_add_f32_e32 v37, v20, v21
	v_add_f32_e32 v21, v22, v23
	v_mul_f32_e32 v40, v21, v38
	v_sub_f32_e32 v20, v22, v21
	v_mul_f32_e32 v22, v36, v40
	v_fma_f32 v24, v40, v36, -v22
	v_fmac_f32_e32 v24, v40, v37
	v_add_f32_e32 v39, v23, v20
	v_add_f32_e32 v20, v22, v24
	v_sub_f32_e32 v23, v21, v20
	v_pk_add_f32 v[34:35], v[20:21], v[22:23] neg_lo:[0,1] neg_hi:[0,1]
	v_mov_b32_e32 v25, v20
	v_pk_add_f32 v[20:21], v[34:35], v[24:25] neg_lo:[0,1] neg_hi:[0,1]
	v_cmp_neq_f32_e32 vcc, s45, v28
	v_add_f32_e32 v21, v39, v21
	v_add_f32_e32 v20, v20, v21
	;; [unrolled: 1-line block ×3, first 2 shown]
	v_mul_f32_e32 v39, v38, v21
	v_mul_f32_e32 v22, v36, v39
	v_fma_f32 v24, v39, v36, -v22
	v_fmac_f32_e32 v24, v39, v37
	v_sub_f32_e32 v23, v23, v21
	v_add_f32_e32 v36, v20, v23
	v_add_f32_e32 v20, v22, v24
	v_sub_f32_e32 v23, v21, v20
	v_pk_add_f32 v[34:35], v[20:21], v[22:23] neg_lo:[0,1] neg_hi:[0,1]
	v_mov_b32_e32 v25, v20
	v_pk_add_f32 v[20:21], v[34:35], v[24:25] neg_lo:[0,1] neg_hi:[0,1]
	v_cvt_f32_i32_e32 v22, v33
	v_add_f32_e32 v21, v36, v21
	v_add_f32_e32 v20, v20, v21
	;; [unrolled: 1-line block ×4, first 2 shown]
	v_sub_f32_e32 v21, v23, v40
	v_mul_f32_e32 v20, v38, v20
	v_sub_f32_e32 v21, v39, v21
	v_add_f32_e32 v20, v21, v20
	v_add_f32_e32 v24, v23, v20
	v_mul_f32_e32 v34, v24, v24
	v_mov_b32_e32 v21, 0x3ecc95a3
	v_sub_f32_e32 v23, v24, v23
	v_fmac_f32_e32 v21, 0x3e9b6dac, v34
	v_sub_f32_e32 v20, v20, v23
	v_fmaak_f32 v21, v34, v21, 0x3f2aaada
	v_ldexp_f32 v33, v20, 1
	v_mul_f32_e32 v23, v24, v34
	v_mov_b32_e32 v20, 0x3f317218
	v_pk_mul_f32 v[20:21], v[22:23], v[20:21]
	v_ldexp_f32 v25, v24, 1
	v_fma_f32 v23, v22, s33, -v20
	v_fmamk_f32 v24, v22, 0xb102e308, v23
	v_pk_add_f32 v[22:23], v[20:21], v[24:25]
	v_mov_b32_e32 v34, v20
	v_sub_f32_e32 v25, v23, v25
	v_sub_f32_e32 v25, v21, v25
	v_add_f32_e32 v35, v33, v25
	v_pk_add_f32 v[20:21], v[22:23], v[20:21] neg_lo:[0,1] neg_hi:[0,1]
	v_pk_add_f32 v[36:37], v[22:23], v[34:35]
	v_mov_b32_e32 v25, v22
	v_mov_b32_e32 v21, v37
	v_pk_add_f32 v[38:39], v[24:25], v[20:21] neg_lo:[0,1] neg_hi:[0,1]
	v_pk_add_f32 v[20:21], v[24:25], v[20:21]
	v_mov_b32_e32 v34, v35
	v_pk_add_f32 v[24:25], v[20:21], v[22:23] op_sel:[1,0] op_sel_hi:[0,1] neg_lo:[0,1] neg_hi:[0,1]
	v_pk_add_f32 v[40:41], v[36:37], v[24:25] op_sel_hi:[1,0] neg_lo:[0,1] neg_hi:[0,1]
	v_mov_b32_e32 v36, v37
	v_mov_b32_e32 v37, v21
	v_pk_mov_b32 v[24:25], v[22:23], v[24:25] op_sel:[1,0]
	v_mov_b32_e32 v35, v22
	v_pk_add_f32 v[24:25], v[36:37], v[24:25] neg_lo:[0,1] neg_hi:[0,1]
	v_mov_b32_e32 v40, v38
	v_pk_add_f32 v[22:23], v[34:35], v[24:25] neg_lo:[0,1] neg_hi:[0,1]
	v_mov_b32_e32 v39, v21
	v_pk_add_f32 v[24:25], v[40:41], v[22:23]
	s_mov_b32 s33, 0x33800000
	v_pk_add_f32 v[34:35], v[24:25], v[24:25] op_sel:[0,1] op_sel_hi:[1,0]
	s_nop 0
	v_pk_add_f32 v[20:21], v[20:21], v[34:35] op_sel:[1,0] op_sel_hi:[0,1]
	v_mov_b32_e32 v25, v20
	v_pk_add_f32 v[36:37], v[24:25], v[38:39] neg_lo:[0,1] neg_hi:[0,1]
	v_mov_b32_e32 v23, v34
	v_sub_f32_e32 v21, v24, v36
	v_pk_add_f32 v[22:23], v[22:23], v[36:37] neg_lo:[0,1] neg_hi:[0,1]
	v_sub_f32_e32 v21, v38, v21
	v_add_f32_e32 v21, v22, v21
	v_add_f32_e32 v21, v21, v23
	v_add_f32_e32 v20, v20, v21
	v_cndmask_b32_e32 v20, v27, v20, vcc
	v_cmp_lt_f32_e64 vcc, |v28|, s33
	s_nop 1
	v_cndmask_b32_e32 v20, v20, v28, vcc
	v_add_f32_e32 v20, v19, v20
.LBB455_40:
	s_or_b64 exec, exec, s[42:43]
	v_bfe_u32 v19, v20, 16, 1
	v_add3_u32 v19, v20, v19, s44
	v_and_b32_e32 v19, 0xffff0000, v19
	v_cmp_o_f32_e32 vcc, v20, v20
	v_and_b32_e32 v7, 0xffff0000, v7
	v_cmp_u_f32_e64 s[42:43], v7, v7
	v_cndmask_b32_e32 v20, v18, v19, vcc
	v_max_f32_e32 v18, v20, v20
	v_max_f32_e32 v19, v7, v7
	v_min_f32_e32 v21, v18, v19
	v_cmp_u_f32_e32 vcc, v20, v20
	v_max_f32_e32 v18, v18, v19
	s_movk_i32 s33, 0x1f8
	v_cndmask_b32_e32 v21, v21, v20, vcc
	v_cndmask_b32_e32 v18, v18, v20, vcc
	v_cndmask_b32_e64 v21, v21, v7, s[42:43]
	v_cndmask_b32_e64 v18, v18, v7, s[42:43]
	v_cmp_neq_f32_e32 vcc, v21, v18
	v_cmp_class_f32_e64 s[44:45], v21, s33
	s_or_b64 s[46:47], vcc, s[44:45]
	s_and_saveexec_b64 s[44:45], s[46:47]
	s_cbranch_execz .LBB455_42
; %bb.41:
	v_sub_f32_e32 v20, v21, v18
	s_mov_b32 s46, 0x3fb8aa3b
	v_mul_f32_e32 v21, 0x3fb8aa3b, v20
	v_fma_f32 v22, v20, s46, -v21
	v_rndne_f32_e32 v23, v21
	v_fmamk_f32 v22, v20, 0x32a5705f, v22
	v_sub_f32_e32 v21, v21, v23
	v_add_f32_e32 v21, v21, v22
	v_exp_f32_e32 v21, v21
	v_cvt_i32_f32_e32 v22, v23
	s_mov_b32 s46, 0xc2ce8ed0
	v_cmp_ngt_f32_e32 vcc, s46, v20
	s_mov_b32 s46, 0x42b17218
	v_ldexp_f32 v21, v21, v22
	v_cndmask_b32_e32 v21, 0, v21, vcc
	v_mov_b32_e32 v27, 0x7f800000
	v_cmp_nlt_f32_e32 vcc, s46, v20
	s_mov_b32 s46, 0x3f2aaaab
	s_mov_b32 s47, 0x7f800000
	v_cndmask_b32_e32 v28, v27, v21, vcc
	v_add_f32_e32 v22, 1.0, v28
	v_add_f32_e32 v20, -1.0, v22
	v_sub_f32_e32 v21, v20, v22
	v_add_f32_e32 v21, 1.0, v21
	v_sub_f32_e32 v20, v28, v20
	v_add_f32_e32 v23, v20, v21
	v_frexp_mant_f32_e32 v24, v22
	v_cvt_f64_f32_e32 v[20:21], v22
	v_frexp_exp_i32_f64_e32 v20, v[20:21]
	v_cmp_gt_f32_e32 vcc, s46, v24
	s_mov_b32 s46, 0x3f317218
	s_nop 0
	v_subbrev_co_u32_e32 v33, vcc, 0, v20, vcc
	v_sub_u32_e32 v20, 0, v33
	v_ldexp_f32 v21, v22, v20
	v_add_f32_e32 v22, -1.0, v21
	v_add_f32_e32 v24, 1.0, v21
	v_ldexp_f32 v20, v23, v20
	v_add_f32_e32 v23, 1.0, v22
	v_add_f32_e32 v25, -1.0, v24
	v_sub_f32_e32 v23, v21, v23
	v_sub_f32_e32 v21, v21, v25
	v_add_f32_e32 v23, v20, v23
	v_add_f32_e32 v20, v20, v21
	;; [unrolled: 1-line block ×3, first 2 shown]
	v_rcp_f32_e32 v38, v36
	v_sub_f32_e32 v21, v24, v36
	v_add_f32_e32 v37, v20, v21
	v_add_f32_e32 v21, v22, v23
	v_mul_f32_e32 v40, v21, v38
	v_sub_f32_e32 v20, v22, v21
	v_mul_f32_e32 v22, v36, v40
	v_fma_f32 v24, v40, v36, -v22
	v_fmac_f32_e32 v24, v40, v37
	v_add_f32_e32 v39, v23, v20
	v_add_f32_e32 v20, v22, v24
	v_sub_f32_e32 v23, v21, v20
	v_pk_add_f32 v[34:35], v[20:21], v[22:23] neg_lo:[0,1] neg_hi:[0,1]
	v_mov_b32_e32 v25, v20
	v_pk_add_f32 v[20:21], v[34:35], v[24:25] neg_lo:[0,1] neg_hi:[0,1]
	v_cmp_neq_f32_e32 vcc, s47, v28
	v_add_f32_e32 v21, v39, v21
	v_add_f32_e32 v20, v20, v21
	;; [unrolled: 1-line block ×3, first 2 shown]
	v_mul_f32_e32 v39, v38, v21
	v_mul_f32_e32 v22, v36, v39
	v_fma_f32 v24, v39, v36, -v22
	v_fmac_f32_e32 v24, v39, v37
	v_sub_f32_e32 v23, v23, v21
	v_add_f32_e32 v36, v20, v23
	v_add_f32_e32 v20, v22, v24
	v_sub_f32_e32 v23, v21, v20
	v_pk_add_f32 v[34:35], v[20:21], v[22:23] neg_lo:[0,1] neg_hi:[0,1]
	v_mov_b32_e32 v25, v20
	v_pk_add_f32 v[20:21], v[34:35], v[24:25] neg_lo:[0,1] neg_hi:[0,1]
	v_cvt_f32_i32_e32 v22, v33
	v_add_f32_e32 v21, v36, v21
	v_add_f32_e32 v20, v20, v21
	;; [unrolled: 1-line block ×4, first 2 shown]
	v_sub_f32_e32 v21, v23, v40
	v_mul_f32_e32 v20, v38, v20
	v_sub_f32_e32 v21, v39, v21
	v_add_f32_e32 v20, v21, v20
	v_add_f32_e32 v24, v23, v20
	v_mul_f32_e32 v34, v24, v24
	v_mov_b32_e32 v21, 0x3ecc95a3
	v_sub_f32_e32 v23, v24, v23
	v_fmac_f32_e32 v21, 0x3e9b6dac, v34
	v_sub_f32_e32 v20, v20, v23
	v_fmaak_f32 v21, v34, v21, 0x3f2aaada
	v_ldexp_f32 v33, v20, 1
	v_mul_f32_e32 v23, v24, v34
	v_mov_b32_e32 v20, 0x3f317218
	v_pk_mul_f32 v[20:21], v[22:23], v[20:21]
	v_ldexp_f32 v25, v24, 1
	v_fma_f32 v23, v22, s46, -v20
	v_fmamk_f32 v24, v22, 0xb102e308, v23
	v_pk_add_f32 v[22:23], v[20:21], v[24:25]
	v_mov_b32_e32 v34, v20
	v_sub_f32_e32 v25, v23, v25
	v_sub_f32_e32 v25, v21, v25
	v_add_f32_e32 v35, v33, v25
	v_pk_add_f32 v[20:21], v[22:23], v[20:21] neg_lo:[0,1] neg_hi:[0,1]
	v_pk_add_f32 v[36:37], v[22:23], v[34:35]
	v_mov_b32_e32 v25, v22
	v_mov_b32_e32 v21, v37
	v_pk_add_f32 v[38:39], v[24:25], v[20:21] neg_lo:[0,1] neg_hi:[0,1]
	v_pk_add_f32 v[20:21], v[24:25], v[20:21]
	v_mov_b32_e32 v34, v35
	v_pk_add_f32 v[24:25], v[20:21], v[22:23] op_sel:[1,0] op_sel_hi:[0,1] neg_lo:[0,1] neg_hi:[0,1]
	v_pk_add_f32 v[40:41], v[36:37], v[24:25] op_sel_hi:[1,0] neg_lo:[0,1] neg_hi:[0,1]
	v_mov_b32_e32 v36, v37
	v_mov_b32_e32 v37, v21
	v_pk_mov_b32 v[24:25], v[22:23], v[24:25] op_sel:[1,0]
	v_mov_b32_e32 v35, v22
	v_pk_add_f32 v[24:25], v[36:37], v[24:25] neg_lo:[0,1] neg_hi:[0,1]
	v_mov_b32_e32 v40, v38
	v_pk_add_f32 v[22:23], v[34:35], v[24:25] neg_lo:[0,1] neg_hi:[0,1]
	v_mov_b32_e32 v39, v21
	v_pk_add_f32 v[24:25], v[40:41], v[22:23]
	s_mov_b32 s46, 0x33800000
	v_pk_add_f32 v[34:35], v[24:25], v[24:25] op_sel:[0,1] op_sel_hi:[1,0]
	s_nop 0
	v_pk_add_f32 v[20:21], v[20:21], v[34:35] op_sel:[1,0] op_sel_hi:[0,1]
	v_mov_b32_e32 v25, v20
	v_pk_add_f32 v[36:37], v[24:25], v[38:39] neg_lo:[0,1] neg_hi:[0,1]
	v_mov_b32_e32 v23, v34
	v_sub_f32_e32 v21, v24, v36
	v_pk_add_f32 v[22:23], v[22:23], v[36:37] neg_lo:[0,1] neg_hi:[0,1]
	v_sub_f32_e32 v21, v38, v21
	v_add_f32_e32 v21, v22, v21
	v_add_f32_e32 v21, v21, v23
	;; [unrolled: 1-line block ×3, first 2 shown]
	v_cndmask_b32_e32 v20, v27, v20, vcc
	v_cmp_lt_f32_e64 vcc, |v28|, s46
	s_nop 1
	v_cndmask_b32_e32 v20, v20, v28, vcc
	v_add_f32_e32 v20, v18, v20
.LBB455_42:
	s_or_b64 exec, exec, s[44:45]
	v_bfe_u32 v18, v20, 16, 1
	s_movk_i32 s48, 0x7fff
	v_add3_u32 v18, v20, v18, s48
	v_and_b32_e32 v18, 0xffff0000, v18
	v_mov_b32_e32 v21, 0x7fc00000
	v_cmp_o_f32_e32 vcc, v20, v20
	s_nop 1
	v_cndmask_b32_e32 v23, v21, v18, vcc
	v_lshlrev_b32_e32 v18, 16, v4
	v_max_f32_e32 v22, v23, v23
	v_max_f32_e32 v20, v18, v18
	v_min_f32_e32 v24, v22, v20
	v_cmp_u_f32_e32 vcc, v23, v23
	v_max_f32_e32 v22, v22, v20
	v_cmp_u_f32_e64 s[44:45], v18, v18
	v_cndmask_b32_e32 v24, v24, v23, vcc
	v_cndmask_b32_e32 v22, v22, v23, vcc
	v_cndmask_b32_e64 v24, v24, v18, s[44:45]
	v_cndmask_b32_e64 v22, v22, v18, s[44:45]
	v_cmp_neq_f32_e32 vcc, v24, v22
	v_cmp_class_f32_e64 s[46:47], v24, s33
	s_or_b64 s[50:51], vcc, s[46:47]
	s_and_saveexec_b64 s[46:47], s[50:51]
	s_cbranch_execz .LBB455_44
; %bb.43:
	v_sub_f32_e32 v23, v24, v22
	s_mov_b32 s33, 0x3fb8aa3b
	v_mul_f32_e32 v24, 0x3fb8aa3b, v23
	v_fma_f32 v25, v23, s33, -v24
	v_rndne_f32_e32 v27, v24
	v_fmamk_f32 v25, v23, 0x32a5705f, v25
	v_sub_f32_e32 v24, v24, v27
	v_add_f32_e32 v24, v24, v25
	v_exp_f32_e32 v24, v24
	v_cvt_i32_f32_e32 v25, v27
	s_mov_b32 s33, 0xc2ce8ed0
	v_cmp_ngt_f32_e32 vcc, s33, v23
	s_mov_b32 s33, 0x42b17218
	v_ldexp_f32 v24, v24, v25
	v_cndmask_b32_e32 v24, 0, v24, vcc
	v_mov_b32_e32 v27, 0x7f800000
	v_cmp_nlt_f32_e32 vcc, s33, v23
	s_mov_b32 s33, 0x3f2aaaab
	s_mov_b32 s49, 0x7f800000
	v_cndmask_b32_e32 v23, v27, v24, vcc
	v_add_f32_e32 v28, 1.0, v23
	v_add_f32_e32 v24, -1.0, v28
	v_sub_f32_e32 v25, v24, v28
	v_add_f32_e32 v25, 1.0, v25
	v_sub_f32_e32 v24, v23, v24
	v_add_f32_e32 v33, v24, v25
	v_frexp_mant_f32_e32 v34, v28
	v_cvt_f64_f32_e32 v[24:25], v28
	v_frexp_exp_i32_f64_e32 v24, v[24:25]
	v_cmp_gt_f32_e32 vcc, s33, v34
	s_mov_b32 s33, 0x3f317218
	s_nop 0
	v_subbrev_co_u32_e32 v40, vcc, 0, v24, vcc
	v_sub_u32_e32 v24, 0, v40
	v_ldexp_f32 v25, v28, v24
	v_add_f32_e32 v28, -1.0, v25
	v_add_f32_e32 v34, 1.0, v25
	v_ldexp_f32 v24, v33, v24
	v_add_f32_e32 v33, 1.0, v28
	v_add_f32_e32 v35, -1.0, v34
	v_sub_f32_e32 v33, v25, v33
	v_sub_f32_e32 v25, v25, v35
	v_add_f32_e32 v33, v24, v33
	v_add_f32_e32 v24, v24, v25
	;; [unrolled: 1-line block ×3, first 2 shown]
	v_rcp_f32_e32 v43, v41
	v_sub_f32_e32 v25, v34, v41
	v_add_f32_e32 v42, v24, v25
	v_add_f32_e32 v25, v28, v33
	v_sub_f32_e32 v24, v28, v25
	v_add_f32_e32 v28, v33, v24
	v_mul_f32_e32 v33, v25, v43
	v_mul_f32_e32 v34, v41, v33
	v_fma_f32 v36, v33, v41, -v34
	v_fmac_f32_e32 v36, v33, v42
	v_add_f32_e32 v24, v34, v36
	v_sub_f32_e32 v35, v25, v24
	v_pk_add_f32 v[38:39], v[24:25], v[34:35] neg_lo:[0,1] neg_hi:[0,1]
	v_mov_b32_e32 v37, v24
	v_pk_add_f32 v[24:25], v[38:39], v[36:37] neg_lo:[0,1] neg_hi:[0,1]
	v_cmp_neq_f32_e32 vcc, s49, v23
	v_add_f32_e32 v25, v28, v25
	v_add_f32_e32 v24, v24, v25
	;; [unrolled: 1-line block ×3, first 2 shown]
	v_mul_f32_e32 v28, v43, v25
	v_mul_f32_e32 v34, v41, v28
	v_fma_f32 v36, v28, v41, -v34
	v_fmac_f32_e32 v36, v28, v42
	v_sub_f32_e32 v35, v35, v25
	v_add_f32_e32 v41, v24, v35
	v_add_f32_e32 v24, v34, v36
	v_sub_f32_e32 v35, v25, v24
	v_pk_add_f32 v[38:39], v[24:25], v[34:35] neg_lo:[0,1] neg_hi:[0,1]
	v_mov_b32_e32 v37, v24
	v_pk_add_f32 v[24:25], v[38:39], v[36:37] neg_lo:[0,1] neg_hi:[0,1]
	v_cvt_f32_i32_e32 v34, v40
	v_add_f32_e32 v25, v41, v25
	v_add_f32_e32 v24, v24, v25
	;; [unrolled: 1-line block ×4, first 2 shown]
	v_sub_f32_e32 v25, v35, v33
	v_mul_f32_e32 v24, v43, v24
	v_sub_f32_e32 v25, v28, v25
	v_add_f32_e32 v24, v25, v24
	v_add_f32_e32 v28, v35, v24
	v_mul_f32_e32 v33, v28, v28
	v_mov_b32_e32 v25, 0x3ecc95a3
	v_sub_f32_e32 v35, v28, v35
	v_fmac_f32_e32 v25, 0x3e9b6dac, v33
	v_sub_f32_e32 v24, v24, v35
	v_fmaak_f32 v25, v33, v25, 0x3f2aaada
	v_ldexp_f32 v38, v24, 1
	v_mul_f32_e32 v35, v28, v33
	v_mov_b32_e32 v24, 0x3f317218
	v_pk_mul_f32 v[24:25], v[34:35], v[24:25]
	v_ldexp_f32 v37, v28, 1
	v_fma_f32 v28, v34, s33, -v24
	v_fmamk_f32 v36, v34, 0xb102e308, v28
	v_pk_add_f32 v[34:35], v[24:25], v[36:37]
	s_mov_b32 s33, 0x33800000
	v_sub_f32_e32 v28, v35, v37
	v_sub_f32_e32 v28, v25, v28
	v_add_f32_e32 v39, v38, v28
	v_mov_b32_e32 v38, v24
	v_pk_add_f32 v[24:25], v[34:35], v[24:25] neg_lo:[0,1] neg_hi:[0,1]
	v_pk_add_f32 v[40:41], v[34:35], v[38:39]
	v_mov_b32_e32 v37, v34
	v_mov_b32_e32 v25, v41
	v_pk_add_f32 v[42:43], v[36:37], v[24:25] neg_lo:[0,1] neg_hi:[0,1]
	v_pk_add_f32 v[24:25], v[36:37], v[24:25]
	v_mov_b32_e32 v38, v39
	v_pk_add_f32 v[36:37], v[24:25], v[34:35] op_sel:[1,0] op_sel_hi:[0,1] neg_lo:[0,1] neg_hi:[0,1]
	v_pk_add_f32 v[44:45], v[40:41], v[36:37] op_sel_hi:[1,0] neg_lo:[0,1] neg_hi:[0,1]
	v_mov_b32_e32 v40, v41
	v_mov_b32_e32 v41, v25
	v_pk_mov_b32 v[36:37], v[34:35], v[36:37] op_sel:[1,0]
	v_mov_b32_e32 v39, v34
	v_pk_add_f32 v[36:37], v[40:41], v[36:37] neg_lo:[0,1] neg_hi:[0,1]
	v_mov_b32_e32 v44, v42
	v_pk_add_f32 v[34:35], v[38:39], v[36:37] neg_lo:[0,1] neg_hi:[0,1]
	v_mov_b32_e32 v43, v25
	v_pk_add_f32 v[36:37], v[44:45], v[34:35]
	s_nop 0
	v_pk_add_f32 v[38:39], v[36:37], v[36:37] op_sel:[0,1] op_sel_hi:[1,0]
	s_nop 0
	v_pk_add_f32 v[24:25], v[24:25], v[38:39] op_sel:[1,0] op_sel_hi:[0,1]
	v_mov_b32_e32 v37, v24
	v_pk_add_f32 v[40:41], v[36:37], v[42:43] neg_lo:[0,1] neg_hi:[0,1]
	v_mov_b32_e32 v35, v38
	v_sub_f32_e32 v25, v36, v40
	v_pk_add_f32 v[34:35], v[34:35], v[40:41] neg_lo:[0,1] neg_hi:[0,1]
	v_sub_f32_e32 v25, v42, v25
	v_add_f32_e32 v25, v34, v25
	v_add_f32_e32 v25, v25, v35
	;; [unrolled: 1-line block ×3, first 2 shown]
	v_cndmask_b32_e32 v24, v27, v24, vcc
	v_cmp_lt_f32_e64 vcc, |v23|, s33
	s_nop 1
	v_cndmask_b32_e32 v23, v24, v23, vcc
	v_add_f32_e32 v23, v22, v23
.LBB455_44:
	s_or_b64 exec, exec, s[46:47]
	v_bfe_u32 v22, v23, 16, 1
	v_add3_u32 v22, v23, v22, s48
	v_and_b32_e32 v22, 0xffff0000, v22
	v_cmp_o_f32_e32 vcc, v23, v23
	v_and_b32_e32 v4, 0xffff0000, v4
	v_cmp_u_f32_e64 s[46:47], v4, v4
	v_cndmask_b32_e32 v23, v21, v22, vcc
	v_max_f32_e32 v21, v23, v23
	v_max_f32_e32 v22, v4, v4
	v_min_f32_e32 v24, v21, v22
	v_cmp_u_f32_e32 vcc, v23, v23
	v_max_f32_e32 v21, v21, v22
	s_movk_i32 s33, 0x1f8
	v_cndmask_b32_e32 v24, v24, v23, vcc
	v_cndmask_b32_e32 v21, v21, v23, vcc
	v_cndmask_b32_e64 v24, v24, v4, s[46:47]
	v_cndmask_b32_e64 v21, v21, v4, s[46:47]
	v_cmp_neq_f32_e32 vcc, v24, v21
	v_cmp_class_f32_e64 s[48:49], v24, s33
	s_or_b64 s[50:51], vcc, s[48:49]
	s_and_saveexec_b64 s[48:49], s[50:51]
	s_cbranch_execz .LBB455_46
; %bb.45:
	v_sub_f32_e32 v23, v24, v21
	s_mov_b32 s50, 0x3fb8aa3b
	v_mul_f32_e32 v24, 0x3fb8aa3b, v23
	v_fma_f32 v25, v23, s50, -v24
	v_rndne_f32_e32 v27, v24
	v_fmamk_f32 v25, v23, 0x32a5705f, v25
	v_sub_f32_e32 v24, v24, v27
	v_add_f32_e32 v24, v24, v25
	v_exp_f32_e32 v24, v24
	v_cvt_i32_f32_e32 v25, v27
	s_mov_b32 s50, 0xc2ce8ed0
	v_cmp_ngt_f32_e32 vcc, s50, v23
	s_mov_b32 s50, 0x42b17218
	v_ldexp_f32 v24, v24, v25
	v_cndmask_b32_e32 v24, 0, v24, vcc
	v_mov_b32_e32 v27, 0x7f800000
	v_cmp_nlt_f32_e32 vcc, s50, v23
	s_mov_b32 s50, 0x3f2aaaab
	s_mov_b32 s51, 0x7f800000
	v_cndmask_b32_e32 v23, v27, v24, vcc
	v_add_f32_e32 v28, 1.0, v23
	v_add_f32_e32 v24, -1.0, v28
	v_sub_f32_e32 v25, v24, v28
	v_add_f32_e32 v25, 1.0, v25
	v_sub_f32_e32 v24, v23, v24
	v_add_f32_e32 v33, v24, v25
	v_frexp_mant_f32_e32 v34, v28
	v_cvt_f64_f32_e32 v[24:25], v28
	v_frexp_exp_i32_f64_e32 v24, v[24:25]
	v_cmp_gt_f32_e32 vcc, s50, v34
	s_mov_b32 s50, 0x3f317218
	s_nop 0
	v_subbrev_co_u32_e32 v40, vcc, 0, v24, vcc
	v_sub_u32_e32 v24, 0, v40
	v_ldexp_f32 v25, v28, v24
	v_add_f32_e32 v28, -1.0, v25
	v_add_f32_e32 v34, 1.0, v25
	v_ldexp_f32 v24, v33, v24
	v_add_f32_e32 v33, 1.0, v28
	v_add_f32_e32 v35, -1.0, v34
	v_sub_f32_e32 v33, v25, v33
	v_sub_f32_e32 v25, v25, v35
	v_add_f32_e32 v33, v24, v33
	v_add_f32_e32 v24, v24, v25
	;; [unrolled: 1-line block ×3, first 2 shown]
	v_rcp_f32_e32 v43, v41
	v_sub_f32_e32 v25, v34, v41
	v_add_f32_e32 v42, v24, v25
	v_add_f32_e32 v25, v28, v33
	v_sub_f32_e32 v24, v28, v25
	v_add_f32_e32 v28, v33, v24
	v_mul_f32_e32 v33, v25, v43
	v_mul_f32_e32 v34, v41, v33
	v_fma_f32 v36, v33, v41, -v34
	v_fmac_f32_e32 v36, v33, v42
	v_add_f32_e32 v24, v34, v36
	v_sub_f32_e32 v35, v25, v24
	v_pk_add_f32 v[38:39], v[24:25], v[34:35] neg_lo:[0,1] neg_hi:[0,1]
	v_mov_b32_e32 v37, v24
	v_pk_add_f32 v[24:25], v[38:39], v[36:37] neg_lo:[0,1] neg_hi:[0,1]
	v_cmp_neq_f32_e32 vcc, s51, v23
	v_add_f32_e32 v25, v28, v25
	v_add_f32_e32 v24, v24, v25
	;; [unrolled: 1-line block ×3, first 2 shown]
	v_mul_f32_e32 v28, v43, v25
	v_mul_f32_e32 v34, v41, v28
	v_fma_f32 v36, v28, v41, -v34
	v_fmac_f32_e32 v36, v28, v42
	v_sub_f32_e32 v35, v35, v25
	v_add_f32_e32 v41, v24, v35
	v_add_f32_e32 v24, v34, v36
	v_sub_f32_e32 v35, v25, v24
	v_pk_add_f32 v[38:39], v[24:25], v[34:35] neg_lo:[0,1] neg_hi:[0,1]
	v_mov_b32_e32 v37, v24
	v_pk_add_f32 v[24:25], v[38:39], v[36:37] neg_lo:[0,1] neg_hi:[0,1]
	v_cvt_f32_i32_e32 v34, v40
	v_add_f32_e32 v25, v41, v25
	v_add_f32_e32 v24, v24, v25
	v_add_f32_e32 v24, v35, v24
	v_add_f32_e32 v35, v33, v28
	v_sub_f32_e32 v25, v35, v33
	v_mul_f32_e32 v24, v43, v24
	v_sub_f32_e32 v25, v28, v25
	v_add_f32_e32 v24, v25, v24
	v_add_f32_e32 v28, v35, v24
	v_mul_f32_e32 v33, v28, v28
	v_mov_b32_e32 v25, 0x3ecc95a3
	v_sub_f32_e32 v35, v28, v35
	v_fmac_f32_e32 v25, 0x3e9b6dac, v33
	v_sub_f32_e32 v24, v24, v35
	v_fmaak_f32 v25, v33, v25, 0x3f2aaada
	v_ldexp_f32 v38, v24, 1
	v_mul_f32_e32 v35, v28, v33
	v_mov_b32_e32 v24, 0x3f317218
	v_pk_mul_f32 v[24:25], v[34:35], v[24:25]
	v_ldexp_f32 v37, v28, 1
	v_fma_f32 v28, v34, s50, -v24
	v_fmamk_f32 v36, v34, 0xb102e308, v28
	v_pk_add_f32 v[34:35], v[24:25], v[36:37]
	s_mov_b32 s50, 0x33800000
	v_sub_f32_e32 v28, v35, v37
	v_sub_f32_e32 v28, v25, v28
	v_add_f32_e32 v39, v38, v28
	v_mov_b32_e32 v38, v24
	v_pk_add_f32 v[24:25], v[34:35], v[24:25] neg_lo:[0,1] neg_hi:[0,1]
	v_pk_add_f32 v[40:41], v[34:35], v[38:39]
	v_mov_b32_e32 v37, v34
	v_mov_b32_e32 v25, v41
	v_pk_add_f32 v[42:43], v[36:37], v[24:25] neg_lo:[0,1] neg_hi:[0,1]
	v_pk_add_f32 v[24:25], v[36:37], v[24:25]
	v_mov_b32_e32 v38, v39
	v_pk_add_f32 v[36:37], v[24:25], v[34:35] op_sel:[1,0] op_sel_hi:[0,1] neg_lo:[0,1] neg_hi:[0,1]
	v_pk_add_f32 v[44:45], v[40:41], v[36:37] op_sel_hi:[1,0] neg_lo:[0,1] neg_hi:[0,1]
	v_mov_b32_e32 v40, v41
	v_mov_b32_e32 v41, v25
	v_pk_mov_b32 v[36:37], v[34:35], v[36:37] op_sel:[1,0]
	v_mov_b32_e32 v39, v34
	v_pk_add_f32 v[36:37], v[40:41], v[36:37] neg_lo:[0,1] neg_hi:[0,1]
	v_mov_b32_e32 v44, v42
	v_pk_add_f32 v[34:35], v[38:39], v[36:37] neg_lo:[0,1] neg_hi:[0,1]
	v_mov_b32_e32 v43, v25
	v_pk_add_f32 v[36:37], v[44:45], v[34:35]
	s_nop 0
	v_pk_add_f32 v[38:39], v[36:37], v[36:37] op_sel:[0,1] op_sel_hi:[1,0]
	s_nop 0
	v_pk_add_f32 v[24:25], v[24:25], v[38:39] op_sel:[1,0] op_sel_hi:[0,1]
	v_mov_b32_e32 v37, v24
	v_pk_add_f32 v[40:41], v[36:37], v[42:43] neg_lo:[0,1] neg_hi:[0,1]
	v_mov_b32_e32 v35, v38
	v_sub_f32_e32 v25, v36, v40
	v_pk_add_f32 v[34:35], v[34:35], v[40:41] neg_lo:[0,1] neg_hi:[0,1]
	v_sub_f32_e32 v25, v42, v25
	v_add_f32_e32 v25, v34, v25
	v_add_f32_e32 v25, v25, v35
	;; [unrolled: 1-line block ×3, first 2 shown]
	v_cndmask_b32_e32 v24, v27, v24, vcc
	v_cmp_lt_f32_e64 vcc, |v23|, s50
	s_nop 1
	v_cndmask_b32_e32 v23, v24, v23, vcc
	v_add_f32_e32 v23, v21, v23
.LBB455_46:
	s_or_b64 exec, exec, s[48:49]
	v_bfe_u32 v21, v23, 16, 1
	s_movk_i32 s52, 0x7fff
	v_add3_u32 v21, v23, v21, s52
	v_and_b32_e32 v21, 0xffff0000, v21
	v_mov_b32_e32 v24, 0x7fc00000
	v_cmp_o_f32_e32 vcc, v23, v23
	s_nop 1
	v_cndmask_b32_e32 v27, v24, v21, vcc
	v_lshlrev_b32_e32 v21, 16, v5
	v_max_f32_e32 v25, v27, v27
	v_max_f32_e32 v23, v21, v21
	v_min_f32_e32 v28, v25, v23
	v_cmp_u_f32_e32 vcc, v27, v27
	v_max_f32_e32 v25, v25, v23
	v_cmp_u_f32_e64 s[48:49], v21, v21
	v_cndmask_b32_e32 v28, v28, v27, vcc
	v_cndmask_b32_e32 v25, v25, v27, vcc
	v_cndmask_b32_e64 v28, v28, v21, s[48:49]
	v_cndmask_b32_e64 v25, v25, v21, s[48:49]
	v_cmp_neq_f32_e32 vcc, v28, v25
	v_cmp_class_f32_e64 s[50:51], v28, s33
	s_or_b64 s[54:55], vcc, s[50:51]
	s_and_saveexec_b64 s[50:51], s[54:55]
	s_cbranch_execz .LBB455_48
; %bb.47:
	v_sub_f32_e32 v27, v28, v25
	s_mov_b32 s33, 0x3fb8aa3b
	v_mul_f32_e32 v28, 0x3fb8aa3b, v27
	v_fma_f32 v33, v27, s33, -v28
	v_rndne_f32_e32 v34, v28
	v_fmamk_f32 v33, v27, 0x32a5705f, v33
	v_sub_f32_e32 v28, v28, v34
	v_add_f32_e32 v28, v28, v33
	v_exp_f32_e32 v28, v28
	v_cvt_i32_f32_e32 v33, v34
	s_mov_b32 s33, 0xc2ce8ed0
	v_cmp_ngt_f32_e32 vcc, s33, v27
	s_mov_b32 s33, 0x42b17218
	v_ldexp_f32 v28, v28, v33
	v_cndmask_b32_e32 v28, 0, v28, vcc
	v_mov_b32_e32 v33, 0x7f800000
	v_cmp_nlt_f32_e32 vcc, s33, v27
	s_mov_b32 s33, 0x3f2aaaab
	s_mov_b32 s53, 0x7f800000
	v_cndmask_b32_e32 v27, v33, v28, vcc
	v_add_f32_e32 v28, 1.0, v27
	v_add_f32_e32 v34, -1.0, v28
	v_sub_f32_e32 v35, v34, v28
	v_add_f32_e32 v35, 1.0, v35
	v_sub_f32_e32 v34, v27, v34
	v_add_f32_e32 v36, v34, v35
	v_frexp_mant_f32_e32 v37, v28
	v_cvt_f64_f32_e32 v[34:35], v28
	v_frexp_exp_i32_f64_e32 v34, v[34:35]
	v_cmp_gt_f32_e32 vcc, s33, v37
	s_mov_b32 s33, 0x3f317218
	s_nop 0
	v_subbrev_co_u32_e32 v42, vcc, 0, v34, vcc
	v_sub_u32_e32 v34, 0, v42
	v_ldexp_f32 v28, v28, v34
	v_ldexp_f32 v34, v36, v34
	v_add_f32_e32 v36, -1.0, v28
	v_add_f32_e32 v35, 1.0, v36
	v_sub_f32_e32 v35, v28, v35
	v_add_f32_e32 v37, v34, v35
	v_add_f32_e32 v35, 1.0, v28
	v_add_f32_e32 v38, -1.0, v35
	v_sub_f32_e32 v28, v28, v38
	v_add_f32_e32 v28, v34, v28
	v_add_f32_e32 v43, v35, v28
	v_rcp_f32_e32 v44, v43
	v_sub_f32_e32 v34, v35, v43
	v_add_f32_e32 v35, v36, v37
	v_add_f32_e32 v28, v28, v34
	v_mul_f32_e32 v46, v35, v44
	v_sub_f32_e32 v34, v36, v35
	v_mul_f32_e32 v36, v43, v46
	v_fma_f32 v38, v46, v43, -v36
	v_fmac_f32_e32 v38, v46, v28
	v_add_f32_e32 v45, v37, v34
	v_add_f32_e32 v34, v36, v38
	v_sub_f32_e32 v37, v35, v34
	v_pk_add_f32 v[40:41], v[34:35], v[36:37] neg_lo:[0,1] neg_hi:[0,1]
	v_mov_b32_e32 v39, v34
	v_pk_add_f32 v[34:35], v[40:41], v[38:39] neg_lo:[0,1] neg_hi:[0,1]
	v_cmp_neq_f32_e32 vcc, s53, v27
	v_add_f32_e32 v35, v45, v35
	v_add_f32_e32 v34, v34, v35
	;; [unrolled: 1-line block ×3, first 2 shown]
	v_mul_f32_e32 v45, v44, v35
	v_mul_f32_e32 v36, v43, v45
	v_fma_f32 v38, v45, v43, -v36
	v_fmac_f32_e32 v38, v45, v28
	v_sub_f32_e32 v28, v37, v35
	v_add_f32_e32 v28, v34, v28
	v_add_f32_e32 v34, v36, v38
	v_sub_f32_e32 v37, v35, v34
	v_pk_add_f32 v[40:41], v[34:35], v[36:37] neg_lo:[0,1] neg_hi:[0,1]
	v_mov_b32_e32 v39, v34
	v_pk_add_f32 v[34:35], v[40:41], v[38:39] neg_lo:[0,1] neg_hi:[0,1]
	v_cvt_f32_i32_e32 v36, v42
	v_add_f32_e32 v28, v28, v35
	v_add_f32_e32 v28, v34, v28
	;; [unrolled: 1-line block ×4, first 2 shown]
	v_sub_f32_e32 v35, v34, v46
	v_mul_f32_e32 v28, v44, v28
	v_sub_f32_e32 v35, v45, v35
	v_add_f32_e32 v28, v35, v28
	v_add_f32_e32 v37, v34, v28
	v_mul_f32_e32 v38, v37, v37
	v_mov_b32_e32 v35, 0x3ecc95a3
	v_fmac_f32_e32 v35, 0x3e9b6dac, v38
	v_sub_f32_e32 v34, v37, v34
	v_fmaak_f32 v35, v38, v35, 0x3f2aaada
	v_sub_f32_e32 v28, v28, v34
	v_ldexp_f32 v39, v37, 1
	v_mul_f32_e32 v37, v37, v38
	v_mov_b32_e32 v34, 0x3f317218
	v_pk_mul_f32 v[34:35], v[36:37], v[34:35]
	v_ldexp_f32 v28, v28, 1
	v_fma_f32 v37, v36, s33, -v34
	v_fmamk_f32 v38, v36, 0xb102e308, v37
	v_pk_add_f32 v[36:37], v[34:35], v[38:39]
	v_mov_b32_e32 v40, v34
	v_sub_f32_e32 v39, v37, v39
	v_sub_f32_e32 v39, v35, v39
	v_add_f32_e32 v41, v28, v39
	v_pk_add_f32 v[34:35], v[36:37], v[34:35] neg_lo:[0,1] neg_hi:[0,1]
	v_pk_add_f32 v[42:43], v[36:37], v[40:41]
	v_mov_b32_e32 v39, v36
	v_mov_b32_e32 v35, v43
	v_pk_add_f32 v[44:45], v[38:39], v[34:35] neg_lo:[0,1] neg_hi:[0,1]
	v_pk_add_f32 v[34:35], v[38:39], v[34:35]
	v_mov_b32_e32 v40, v41
	v_pk_add_f32 v[38:39], v[34:35], v[36:37] op_sel:[1,0] op_sel_hi:[0,1] neg_lo:[0,1] neg_hi:[0,1]
	v_pk_add_f32 v[46:47], v[42:43], v[38:39] op_sel_hi:[1,0] neg_lo:[0,1] neg_hi:[0,1]
	v_mov_b32_e32 v42, v43
	v_mov_b32_e32 v43, v35
	v_pk_mov_b32 v[38:39], v[36:37], v[38:39] op_sel:[1,0]
	v_mov_b32_e32 v41, v36
	v_pk_add_f32 v[38:39], v[42:43], v[38:39] neg_lo:[0,1] neg_hi:[0,1]
	v_mov_b32_e32 v46, v44
	v_pk_add_f32 v[36:37], v[40:41], v[38:39] neg_lo:[0,1] neg_hi:[0,1]
	v_mov_b32_e32 v45, v35
	v_pk_add_f32 v[38:39], v[46:47], v[36:37]
	s_mov_b32 s33, 0x33800000
	v_pk_add_f32 v[40:41], v[38:39], v[38:39] op_sel:[0,1] op_sel_hi:[1,0]
	s_nop 0
	v_pk_add_f32 v[34:35], v[34:35], v[40:41] op_sel:[1,0] op_sel_hi:[0,1]
	v_mov_b32_e32 v39, v34
	v_pk_add_f32 v[42:43], v[38:39], v[44:45] neg_lo:[0,1] neg_hi:[0,1]
	v_mov_b32_e32 v37, v40
	v_sub_f32_e32 v28, v38, v42
	v_pk_add_f32 v[36:37], v[36:37], v[42:43] neg_lo:[0,1] neg_hi:[0,1]
	v_sub_f32_e32 v28, v44, v28
	v_add_f32_e32 v28, v36, v28
	v_add_f32_e32 v28, v28, v37
	;; [unrolled: 1-line block ×3, first 2 shown]
	v_cndmask_b32_e32 v28, v33, v28, vcc
	v_cmp_lt_f32_e64 vcc, |v27|, s33
	s_nop 1
	v_cndmask_b32_e32 v27, v28, v27, vcc
	v_add_f32_e32 v27, v25, v27
.LBB455_48:
	s_or_b64 exec, exec, s[50:51]
	v_bfe_u32 v25, v27, 16, 1
	v_add3_u32 v25, v27, v25, s52
	v_and_b32_e32 v25, 0xffff0000, v25
	v_cmp_o_f32_e32 vcc, v27, v27
	v_and_b32_e32 v5, 0xffff0000, v5
	v_cmp_u_f32_e64 s[50:51], v5, v5
	v_cndmask_b32_e32 v27, v24, v25, vcc
	v_max_f32_e32 v24, v27, v27
	v_max_f32_e32 v25, v5, v5
	v_min_f32_e32 v28, v24, v25
	v_cmp_u_f32_e32 vcc, v27, v27
	v_max_f32_e32 v24, v24, v25
	s_movk_i32 s33, 0x1f8
	v_cndmask_b32_e32 v28, v28, v27, vcc
	v_cndmask_b32_e32 v24, v24, v27, vcc
	v_cndmask_b32_e64 v28, v28, v5, s[50:51]
	v_cndmask_b32_e64 v24, v24, v5, s[50:51]
	v_cmp_neq_f32_e32 vcc, v28, v24
	v_cmp_class_f32_e64 s[52:53], v28, s33
	s_or_b64 s[54:55], vcc, s[52:53]
	s_and_saveexec_b64 s[52:53], s[54:55]
	s_cbranch_execz .LBB455_50
; %bb.49:
	v_sub_f32_e32 v27, v28, v24
	s_mov_b32 s54, 0x3fb8aa3b
	v_mul_f32_e32 v28, 0x3fb8aa3b, v27
	v_fma_f32 v33, v27, s54, -v28
	v_rndne_f32_e32 v34, v28
	v_fmamk_f32 v33, v27, 0x32a5705f, v33
	v_sub_f32_e32 v28, v28, v34
	v_add_f32_e32 v28, v28, v33
	v_exp_f32_e32 v28, v28
	v_cvt_i32_f32_e32 v33, v34
	s_mov_b32 s54, 0xc2ce8ed0
	v_cmp_ngt_f32_e32 vcc, s54, v27
	s_mov_b32 s54, 0x42b17218
	v_ldexp_f32 v28, v28, v33
	v_cndmask_b32_e32 v28, 0, v28, vcc
	v_mov_b32_e32 v33, 0x7f800000
	v_cmp_nlt_f32_e32 vcc, s54, v27
	s_mov_b32 s54, 0x3f2aaaab
	s_mov_b32 s55, 0x7f800000
	v_cndmask_b32_e32 v27, v33, v28, vcc
	v_add_f32_e32 v28, 1.0, v27
	v_add_f32_e32 v34, -1.0, v28
	v_sub_f32_e32 v35, v34, v28
	v_add_f32_e32 v35, 1.0, v35
	v_sub_f32_e32 v34, v27, v34
	v_add_f32_e32 v36, v34, v35
	v_frexp_mant_f32_e32 v37, v28
	v_cvt_f64_f32_e32 v[34:35], v28
	v_frexp_exp_i32_f64_e32 v34, v[34:35]
	v_cmp_gt_f32_e32 vcc, s54, v37
	s_mov_b32 s54, 0x3f317218
	s_nop 0
	v_subbrev_co_u32_e32 v42, vcc, 0, v34, vcc
	v_sub_u32_e32 v34, 0, v42
	v_ldexp_f32 v28, v28, v34
	v_ldexp_f32 v34, v36, v34
	v_add_f32_e32 v36, -1.0, v28
	v_add_f32_e32 v35, 1.0, v36
	v_sub_f32_e32 v35, v28, v35
	v_add_f32_e32 v37, v34, v35
	v_add_f32_e32 v35, 1.0, v28
	v_add_f32_e32 v38, -1.0, v35
	v_sub_f32_e32 v28, v28, v38
	v_add_f32_e32 v28, v34, v28
	v_add_f32_e32 v43, v35, v28
	v_rcp_f32_e32 v44, v43
	v_sub_f32_e32 v34, v35, v43
	v_add_f32_e32 v35, v36, v37
	v_add_f32_e32 v28, v28, v34
	v_mul_f32_e32 v46, v35, v44
	v_sub_f32_e32 v34, v36, v35
	v_mul_f32_e32 v36, v43, v46
	v_fma_f32 v38, v46, v43, -v36
	v_fmac_f32_e32 v38, v46, v28
	v_add_f32_e32 v45, v37, v34
	v_add_f32_e32 v34, v36, v38
	v_sub_f32_e32 v37, v35, v34
	v_pk_add_f32 v[40:41], v[34:35], v[36:37] neg_lo:[0,1] neg_hi:[0,1]
	v_mov_b32_e32 v39, v34
	v_pk_add_f32 v[34:35], v[40:41], v[38:39] neg_lo:[0,1] neg_hi:[0,1]
	v_cmp_neq_f32_e32 vcc, s55, v27
	v_add_f32_e32 v35, v45, v35
	v_add_f32_e32 v34, v34, v35
	v_add_f32_e32 v35, v37, v34
	v_mul_f32_e32 v45, v44, v35
	v_mul_f32_e32 v36, v43, v45
	v_fma_f32 v38, v45, v43, -v36
	v_fmac_f32_e32 v38, v45, v28
	v_sub_f32_e32 v28, v37, v35
	v_add_f32_e32 v28, v34, v28
	v_add_f32_e32 v34, v36, v38
	v_sub_f32_e32 v37, v35, v34
	v_pk_add_f32 v[40:41], v[34:35], v[36:37] neg_lo:[0,1] neg_hi:[0,1]
	v_mov_b32_e32 v39, v34
	v_pk_add_f32 v[34:35], v[40:41], v[38:39] neg_lo:[0,1] neg_hi:[0,1]
	v_cvt_f32_i32_e32 v36, v42
	v_add_f32_e32 v28, v28, v35
	v_add_f32_e32 v28, v34, v28
	;; [unrolled: 1-line block ×4, first 2 shown]
	v_sub_f32_e32 v35, v34, v46
	v_mul_f32_e32 v28, v44, v28
	v_sub_f32_e32 v35, v45, v35
	v_add_f32_e32 v28, v35, v28
	v_add_f32_e32 v37, v34, v28
	v_mul_f32_e32 v38, v37, v37
	v_mov_b32_e32 v35, 0x3ecc95a3
	v_fmac_f32_e32 v35, 0x3e9b6dac, v38
	v_sub_f32_e32 v34, v37, v34
	v_fmaak_f32 v35, v38, v35, 0x3f2aaada
	v_sub_f32_e32 v28, v28, v34
	v_ldexp_f32 v39, v37, 1
	v_mul_f32_e32 v37, v37, v38
	v_mov_b32_e32 v34, 0x3f317218
	v_pk_mul_f32 v[34:35], v[36:37], v[34:35]
	v_ldexp_f32 v28, v28, 1
	v_fma_f32 v37, v36, s54, -v34
	v_fmamk_f32 v38, v36, 0xb102e308, v37
	v_pk_add_f32 v[36:37], v[34:35], v[38:39]
	v_mov_b32_e32 v40, v34
	v_sub_f32_e32 v39, v37, v39
	v_sub_f32_e32 v39, v35, v39
	v_add_f32_e32 v41, v28, v39
	v_pk_add_f32 v[34:35], v[36:37], v[34:35] neg_lo:[0,1] neg_hi:[0,1]
	v_pk_add_f32 v[42:43], v[36:37], v[40:41]
	v_mov_b32_e32 v39, v36
	v_mov_b32_e32 v35, v43
	v_pk_add_f32 v[44:45], v[38:39], v[34:35] neg_lo:[0,1] neg_hi:[0,1]
	v_pk_add_f32 v[34:35], v[38:39], v[34:35]
	v_mov_b32_e32 v40, v41
	v_pk_add_f32 v[38:39], v[34:35], v[36:37] op_sel:[1,0] op_sel_hi:[0,1] neg_lo:[0,1] neg_hi:[0,1]
	v_pk_add_f32 v[46:47], v[42:43], v[38:39] op_sel_hi:[1,0] neg_lo:[0,1] neg_hi:[0,1]
	v_mov_b32_e32 v42, v43
	v_mov_b32_e32 v43, v35
	v_pk_mov_b32 v[38:39], v[36:37], v[38:39] op_sel:[1,0]
	v_mov_b32_e32 v41, v36
	v_pk_add_f32 v[38:39], v[42:43], v[38:39] neg_lo:[0,1] neg_hi:[0,1]
	v_mov_b32_e32 v46, v44
	v_pk_add_f32 v[36:37], v[40:41], v[38:39] neg_lo:[0,1] neg_hi:[0,1]
	v_mov_b32_e32 v45, v35
	v_pk_add_f32 v[38:39], v[46:47], v[36:37]
	s_mov_b32 s54, 0x33800000
	v_pk_add_f32 v[40:41], v[38:39], v[38:39] op_sel:[0,1] op_sel_hi:[1,0]
	s_nop 0
	v_pk_add_f32 v[34:35], v[34:35], v[40:41] op_sel:[1,0] op_sel_hi:[0,1]
	v_mov_b32_e32 v39, v34
	v_pk_add_f32 v[42:43], v[38:39], v[44:45] neg_lo:[0,1] neg_hi:[0,1]
	v_mov_b32_e32 v37, v40
	v_sub_f32_e32 v28, v38, v42
	v_pk_add_f32 v[36:37], v[36:37], v[42:43] neg_lo:[0,1] neg_hi:[0,1]
	v_sub_f32_e32 v28, v44, v28
	v_add_f32_e32 v28, v36, v28
	v_add_f32_e32 v28, v28, v37
	;; [unrolled: 1-line block ×3, first 2 shown]
	v_cndmask_b32_e32 v28, v33, v28, vcc
	v_cmp_lt_f32_e64 vcc, |v27|, s54
	s_nop 1
	v_cndmask_b32_e32 v27, v28, v27, vcc
	v_add_f32_e32 v27, v24, v27
.LBB455_50:
	s_or_b64 exec, exec, s[52:53]
	v_bfe_u32 v24, v27, 16, 1
	s_movk_i32 s60, 0x7fff
	v_add3_u32 v24, v27, v24, s60
	v_and_b32_e32 v24, 0xffff0000, v24
	v_mov_b32_e32 v28, 0x7fc00000
	v_cmp_o_f32_e32 vcc, v27, v27
	s_nop 1
	v_cndmask_b32_e32 v34, v28, v24, vcc
	v_lshlrev_b32_e32 v24, 16, v26
	v_max_f32_e32 v33, v34, v34
	v_max_f32_e32 v27, v24, v24
	v_min_f32_e32 v35, v33, v27
	v_cmp_u_f32_e32 vcc, v34, v34
	v_max_f32_e32 v33, v33, v27
	v_cmp_u_f32_e64 s[52:53], v24, v24
	v_cndmask_b32_e32 v35, v35, v34, vcc
	v_cndmask_b32_e32 v33, v33, v34, vcc
	v_cndmask_b32_e64 v35, v35, v24, s[52:53]
	v_cndmask_b32_e64 v33, v33, v24, s[52:53]
	v_cmp_neq_f32_e32 vcc, v35, v33
	v_cmp_class_f32_e64 s[54:55], v35, s33
	s_or_b64 s[62:63], vcc, s[54:55]
	s_and_saveexec_b64 s[54:55], s[62:63]
	s_cbranch_execz .LBB455_52
; %bb.51:
	v_sub_f32_e32 v34, v35, v33
	s_mov_b32 s33, 0x3fb8aa3b
	v_mul_f32_e32 v35, 0x3fb8aa3b, v34
	v_fma_f32 v36, v34, s33, -v35
	v_rndne_f32_e32 v37, v35
	v_fmamk_f32 v36, v34, 0x32a5705f, v36
	v_sub_f32_e32 v35, v35, v37
	v_add_f32_e32 v35, v35, v36
	v_exp_f32_e32 v35, v35
	v_cvt_i32_f32_e32 v36, v37
	s_mov_b32 s33, 0xc2ce8ed0
	v_cmp_ngt_f32_e32 vcc, s33, v34
	s_mov_b32 s33, 0x42b17218
	v_ldexp_f32 v35, v35, v36
	v_cndmask_b32_e32 v35, 0, v35, vcc
	v_mov_b32_e32 v48, 0x7f800000
	v_cmp_nlt_f32_e32 vcc, s33, v34
	s_mov_b32 s33, 0x3f2aaaab
	s_mov_b32 s61, 0x7f800000
	v_cndmask_b32_e32 v49, v48, v35, vcc
	v_add_f32_e32 v36, 1.0, v49
	v_add_f32_e32 v34, -1.0, v36
	v_sub_f32_e32 v35, v34, v36
	v_add_f32_e32 v35, 1.0, v35
	v_sub_f32_e32 v34, v49, v34
	v_add_f32_e32 v37, v34, v35
	v_frexp_mant_f32_e32 v38, v36
	v_cvt_f64_f32_e32 v[34:35], v36
	v_frexp_exp_i32_f64_e32 v34, v[34:35]
	v_cmp_gt_f32_e32 vcc, s33, v38
	s_mov_b32 s33, 0x3f317218
	s_nop 0
	v_subbrev_co_u32_e32 v42, vcc, 0, v34, vcc
	v_sub_u32_e32 v34, 0, v42
	v_ldexp_f32 v35, v36, v34
	v_add_f32_e32 v36, -1.0, v35
	v_add_f32_e32 v38, 1.0, v35
	v_ldexp_f32 v34, v37, v34
	v_add_f32_e32 v37, 1.0, v36
	v_add_f32_e32 v39, -1.0, v38
	v_sub_f32_e32 v37, v35, v37
	v_sub_f32_e32 v35, v35, v39
	v_add_f32_e32 v37, v34, v37
	v_add_f32_e32 v34, v34, v35
	;; [unrolled: 1-line block ×3, first 2 shown]
	v_rcp_f32_e32 v45, v43
	v_sub_f32_e32 v35, v38, v43
	v_add_f32_e32 v44, v34, v35
	v_add_f32_e32 v35, v36, v37
	v_mul_f32_e32 v47, v35, v45
	v_sub_f32_e32 v34, v36, v35
	v_mul_f32_e32 v36, v43, v47
	v_fma_f32 v38, v47, v43, -v36
	v_fmac_f32_e32 v38, v47, v44
	v_add_f32_e32 v46, v37, v34
	v_add_f32_e32 v34, v36, v38
	v_sub_f32_e32 v37, v35, v34
	v_pk_add_f32 v[40:41], v[34:35], v[36:37] neg_lo:[0,1] neg_hi:[0,1]
	v_mov_b32_e32 v39, v34
	v_pk_add_f32 v[34:35], v[40:41], v[38:39] neg_lo:[0,1] neg_hi:[0,1]
	v_cmp_neq_f32_e32 vcc, s61, v49
	v_add_f32_e32 v35, v46, v35
	v_add_f32_e32 v34, v34, v35
	;; [unrolled: 1-line block ×3, first 2 shown]
	v_mul_f32_e32 v46, v45, v35
	v_mul_f32_e32 v36, v43, v46
	v_fma_f32 v38, v46, v43, -v36
	v_fmac_f32_e32 v38, v46, v44
	v_sub_f32_e32 v37, v37, v35
	v_add_f32_e32 v43, v34, v37
	v_add_f32_e32 v34, v36, v38
	v_sub_f32_e32 v37, v35, v34
	v_pk_add_f32 v[40:41], v[34:35], v[36:37] neg_lo:[0,1] neg_hi:[0,1]
	v_mov_b32_e32 v39, v34
	v_pk_add_f32 v[34:35], v[40:41], v[38:39] neg_lo:[0,1] neg_hi:[0,1]
	v_cvt_f32_i32_e32 v36, v42
	v_add_f32_e32 v35, v43, v35
	v_add_f32_e32 v34, v34, v35
	;; [unrolled: 1-line block ×4, first 2 shown]
	v_sub_f32_e32 v35, v37, v47
	v_mul_f32_e32 v34, v45, v34
	v_sub_f32_e32 v35, v46, v35
	v_add_f32_e32 v34, v35, v34
	v_add_f32_e32 v38, v37, v34
	v_mul_f32_e32 v40, v38, v38
	v_mov_b32_e32 v35, 0x3ecc95a3
	v_sub_f32_e32 v37, v38, v37
	v_fmac_f32_e32 v35, 0x3e9b6dac, v40
	v_sub_f32_e32 v34, v34, v37
	v_fmaak_f32 v35, v40, v35, 0x3f2aaada
	v_ldexp_f32 v41, v34, 1
	v_mul_f32_e32 v37, v38, v40
	v_mov_b32_e32 v34, 0x3f317218
	v_pk_mul_f32 v[34:35], v[36:37], v[34:35]
	v_ldexp_f32 v39, v38, 1
	v_fma_f32 v37, v36, s33, -v34
	v_fmamk_f32 v38, v36, 0xb102e308, v37
	v_pk_add_f32 v[36:37], v[34:35], v[38:39]
	v_mov_b32_e32 v40, v34
	v_sub_f32_e32 v39, v37, v39
	v_sub_f32_e32 v39, v35, v39
	v_add_f32_e32 v41, v41, v39
	v_pk_add_f32 v[34:35], v[36:37], v[34:35] neg_lo:[0,1] neg_hi:[0,1]
	v_pk_add_f32 v[42:43], v[36:37], v[40:41]
	v_mov_b32_e32 v39, v36
	v_mov_b32_e32 v35, v43
	v_pk_add_f32 v[44:45], v[38:39], v[34:35] neg_lo:[0,1] neg_hi:[0,1]
	v_pk_add_f32 v[34:35], v[38:39], v[34:35]
	v_mov_b32_e32 v40, v41
	v_pk_add_f32 v[38:39], v[34:35], v[36:37] op_sel:[1,0] op_sel_hi:[0,1] neg_lo:[0,1] neg_hi:[0,1]
	v_pk_add_f32 v[46:47], v[42:43], v[38:39] op_sel_hi:[1,0] neg_lo:[0,1] neg_hi:[0,1]
	v_mov_b32_e32 v42, v43
	v_mov_b32_e32 v43, v35
	v_pk_mov_b32 v[38:39], v[36:37], v[38:39] op_sel:[1,0]
	v_mov_b32_e32 v41, v36
	v_pk_add_f32 v[38:39], v[42:43], v[38:39] neg_lo:[0,1] neg_hi:[0,1]
	v_mov_b32_e32 v46, v44
	v_pk_add_f32 v[36:37], v[40:41], v[38:39] neg_lo:[0,1] neg_hi:[0,1]
	v_mov_b32_e32 v45, v35
	v_pk_add_f32 v[38:39], v[46:47], v[36:37]
	s_mov_b32 s33, 0x33800000
	v_pk_add_f32 v[40:41], v[38:39], v[38:39] op_sel:[0,1] op_sel_hi:[1,0]
	s_nop 0
	v_pk_add_f32 v[34:35], v[34:35], v[40:41] op_sel:[1,0] op_sel_hi:[0,1]
	v_mov_b32_e32 v39, v34
	v_pk_add_f32 v[42:43], v[38:39], v[44:45] neg_lo:[0,1] neg_hi:[0,1]
	v_mov_b32_e32 v37, v40
	v_sub_f32_e32 v35, v38, v42
	v_pk_add_f32 v[36:37], v[36:37], v[42:43] neg_lo:[0,1] neg_hi:[0,1]
	v_sub_f32_e32 v35, v44, v35
	v_add_f32_e32 v35, v36, v35
	v_add_f32_e32 v35, v35, v37
	;; [unrolled: 1-line block ×3, first 2 shown]
	v_cndmask_b32_e32 v34, v48, v34, vcc
	v_cmp_lt_f32_e64 vcc, |v49|, s33
	s_nop 1
	v_cndmask_b32_e32 v34, v34, v49, vcc
	v_add_f32_e32 v34, v33, v34
.LBB455_52:
	s_or_b64 exec, exec, s[54:55]
	v_bfe_u32 v33, v34, 16, 1
	v_add3_u32 v33, v34, v33, s60
	v_and_b32_e32 v33, 0xffff0000, v33
	v_cmp_o_f32_e32 vcc, v34, v34
	v_and_b32_e32 v26, 0xffff0000, v26
	v_cmp_u_f32_e64 s[54:55], v26, v26
	v_cndmask_b32_e32 v34, v28, v33, vcc
	v_max_f32_e32 v33, v34, v34
	v_max_f32_e32 v28, v26, v26
	v_min_f32_e32 v35, v33, v28
	v_cmp_u_f32_e32 vcc, v34, v34
	v_max_f32_e32 v33, v33, v28
	s_movk_i32 s33, 0x1f8
	v_cndmask_b32_e32 v35, v35, v34, vcc
	v_cndmask_b32_e32 v33, v33, v34, vcc
	v_cndmask_b32_e64 v35, v35, v26, s[54:55]
	v_cndmask_b32_e64 v33, v33, v26, s[54:55]
	v_cmp_neq_f32_e32 vcc, v35, v33
	v_cmp_class_f32_e64 s[60:61], v35, s33
	s_or_b64 s[62:63], vcc, s[60:61]
	s_and_saveexec_b64 s[60:61], s[62:63]
	s_cbranch_execz .LBB455_54
; %bb.53:
	v_sub_f32_e32 v34, v35, v33
	s_mov_b32 s33, 0x3fb8aa3b
	v_mul_f32_e32 v35, 0x3fb8aa3b, v34
	v_fma_f32 v36, v34, s33, -v35
	v_rndne_f32_e32 v37, v35
	v_fmamk_f32 v36, v34, 0x32a5705f, v36
	v_sub_f32_e32 v35, v35, v37
	v_add_f32_e32 v35, v35, v36
	v_exp_f32_e32 v35, v35
	v_cvt_i32_f32_e32 v36, v37
	s_mov_b32 s33, 0xc2ce8ed0
	v_cmp_ngt_f32_e32 vcc, s33, v34
	s_mov_b32 s33, 0x42b17218
	v_ldexp_f32 v35, v35, v36
	v_cndmask_b32_e32 v35, 0, v35, vcc
	v_mov_b32_e32 v48, 0x7f800000
	v_cmp_nlt_f32_e32 vcc, s33, v34
	s_mov_b32 s33, 0x3f2aaaab
	s_mov_b32 s62, 0x7f800000
	v_cndmask_b32_e32 v49, v48, v35, vcc
	v_add_f32_e32 v36, 1.0, v49
	v_add_f32_e32 v34, -1.0, v36
	v_sub_f32_e32 v35, v34, v36
	v_add_f32_e32 v35, 1.0, v35
	v_sub_f32_e32 v34, v49, v34
	v_add_f32_e32 v37, v34, v35
	v_frexp_mant_f32_e32 v38, v36
	v_cvt_f64_f32_e32 v[34:35], v36
	v_frexp_exp_i32_f64_e32 v34, v[34:35]
	v_cmp_gt_f32_e32 vcc, s33, v38
	s_mov_b32 s33, 0x3f317218
	s_nop 0
	v_subbrev_co_u32_e32 v42, vcc, 0, v34, vcc
	v_sub_u32_e32 v34, 0, v42
	v_ldexp_f32 v35, v36, v34
	v_add_f32_e32 v36, -1.0, v35
	v_add_f32_e32 v38, 1.0, v35
	v_ldexp_f32 v34, v37, v34
	v_add_f32_e32 v37, 1.0, v36
	v_add_f32_e32 v39, -1.0, v38
	v_sub_f32_e32 v37, v35, v37
	v_sub_f32_e32 v35, v35, v39
	v_add_f32_e32 v37, v34, v37
	v_add_f32_e32 v34, v34, v35
	;; [unrolled: 1-line block ×3, first 2 shown]
	v_rcp_f32_e32 v45, v43
	v_sub_f32_e32 v35, v38, v43
	v_add_f32_e32 v44, v34, v35
	v_add_f32_e32 v35, v36, v37
	v_mul_f32_e32 v47, v35, v45
	v_sub_f32_e32 v34, v36, v35
	v_mul_f32_e32 v36, v43, v47
	v_fma_f32 v38, v47, v43, -v36
	v_fmac_f32_e32 v38, v47, v44
	v_add_f32_e32 v46, v37, v34
	v_add_f32_e32 v34, v36, v38
	v_sub_f32_e32 v37, v35, v34
	v_pk_add_f32 v[40:41], v[34:35], v[36:37] neg_lo:[0,1] neg_hi:[0,1]
	v_mov_b32_e32 v39, v34
	v_pk_add_f32 v[34:35], v[40:41], v[38:39] neg_lo:[0,1] neg_hi:[0,1]
	v_cmp_neq_f32_e32 vcc, s62, v49
	v_add_f32_e32 v35, v46, v35
	v_add_f32_e32 v34, v34, v35
	;; [unrolled: 1-line block ×3, first 2 shown]
	v_mul_f32_e32 v46, v45, v35
	v_mul_f32_e32 v36, v43, v46
	v_fma_f32 v38, v46, v43, -v36
	v_fmac_f32_e32 v38, v46, v44
	v_sub_f32_e32 v37, v37, v35
	v_add_f32_e32 v43, v34, v37
	v_add_f32_e32 v34, v36, v38
	v_sub_f32_e32 v37, v35, v34
	v_pk_add_f32 v[40:41], v[34:35], v[36:37] neg_lo:[0,1] neg_hi:[0,1]
	v_mov_b32_e32 v39, v34
	v_pk_add_f32 v[34:35], v[40:41], v[38:39] neg_lo:[0,1] neg_hi:[0,1]
	v_cvt_f32_i32_e32 v36, v42
	v_add_f32_e32 v35, v43, v35
	v_add_f32_e32 v34, v34, v35
	;; [unrolled: 1-line block ×4, first 2 shown]
	v_sub_f32_e32 v35, v37, v47
	v_mul_f32_e32 v34, v45, v34
	v_sub_f32_e32 v35, v46, v35
	v_add_f32_e32 v34, v35, v34
	v_add_f32_e32 v38, v37, v34
	v_mul_f32_e32 v40, v38, v38
	v_mov_b32_e32 v35, 0x3ecc95a3
	v_sub_f32_e32 v37, v38, v37
	v_fmac_f32_e32 v35, 0x3e9b6dac, v40
	v_sub_f32_e32 v34, v34, v37
	v_fmaak_f32 v35, v40, v35, 0x3f2aaada
	v_ldexp_f32 v41, v34, 1
	v_mul_f32_e32 v37, v38, v40
	v_mov_b32_e32 v34, 0x3f317218
	v_pk_mul_f32 v[34:35], v[36:37], v[34:35]
	v_ldexp_f32 v39, v38, 1
	v_fma_f32 v37, v36, s33, -v34
	v_fmamk_f32 v38, v36, 0xb102e308, v37
	v_pk_add_f32 v[36:37], v[34:35], v[38:39]
	v_mov_b32_e32 v40, v34
	v_sub_f32_e32 v39, v37, v39
	v_sub_f32_e32 v39, v35, v39
	v_add_f32_e32 v41, v41, v39
	v_pk_add_f32 v[34:35], v[36:37], v[34:35] neg_lo:[0,1] neg_hi:[0,1]
	v_pk_add_f32 v[42:43], v[36:37], v[40:41]
	v_mov_b32_e32 v39, v36
	v_mov_b32_e32 v35, v43
	v_pk_add_f32 v[44:45], v[38:39], v[34:35] neg_lo:[0,1] neg_hi:[0,1]
	v_pk_add_f32 v[34:35], v[38:39], v[34:35]
	v_mov_b32_e32 v40, v41
	v_pk_add_f32 v[38:39], v[34:35], v[36:37] op_sel:[1,0] op_sel_hi:[0,1] neg_lo:[0,1] neg_hi:[0,1]
	v_pk_add_f32 v[46:47], v[42:43], v[38:39] op_sel_hi:[1,0] neg_lo:[0,1] neg_hi:[0,1]
	v_mov_b32_e32 v42, v43
	v_mov_b32_e32 v43, v35
	v_pk_mov_b32 v[38:39], v[36:37], v[38:39] op_sel:[1,0]
	v_mov_b32_e32 v41, v36
	v_pk_add_f32 v[38:39], v[42:43], v[38:39] neg_lo:[0,1] neg_hi:[0,1]
	v_mov_b32_e32 v46, v44
	v_pk_add_f32 v[36:37], v[40:41], v[38:39] neg_lo:[0,1] neg_hi:[0,1]
	v_mov_b32_e32 v45, v35
	v_pk_add_f32 v[38:39], v[46:47], v[36:37]
	s_mov_b32 s33, 0x33800000
	v_pk_add_f32 v[40:41], v[38:39], v[38:39] op_sel:[0,1] op_sel_hi:[1,0]
	s_nop 0
	v_pk_add_f32 v[34:35], v[34:35], v[40:41] op_sel:[1,0] op_sel_hi:[0,1]
	v_mov_b32_e32 v39, v34
	v_pk_add_f32 v[42:43], v[38:39], v[44:45] neg_lo:[0,1] neg_hi:[0,1]
	v_mov_b32_e32 v37, v40
	v_sub_f32_e32 v35, v38, v42
	v_pk_add_f32 v[36:37], v[36:37], v[42:43] neg_lo:[0,1] neg_hi:[0,1]
	v_sub_f32_e32 v35, v44, v35
	v_add_f32_e32 v35, v36, v35
	v_add_f32_e32 v35, v35, v37
	;; [unrolled: 1-line block ×3, first 2 shown]
	v_cndmask_b32_e32 v34, v48, v34, vcc
	v_cmp_lt_f32_e64 vcc, |v49|, s33
	s_nop 1
	v_cndmask_b32_e32 v34, v34, v49, vcc
	v_add_f32_e32 v34, v33, v34
.LBB455_54:
	s_or_b64 exec, exec, s[60:61]
	v_bfe_u32 v33, v34, 16, 1
	s_movk_i32 s33, 0x7fff
	v_add3_u32 v33, v34, v33, s33
	v_cmp_o_f32_e32 vcc, v34, v34
	v_mov_b32_e32 v34, 0x7fc0
	s_nop 0
	v_cndmask_b32_sdwa v36, v34, v33, vcc dst_sel:DWORD dst_unused:UNUSED_PAD src0_sel:DWORD src1_sel:WORD_1
	v_mbcnt_lo_u32_b32 v33, -1, 0
	v_mbcnt_hi_u32_b32 v34, -1, v33
	v_and_b32_e32 v35, 15, v34
	v_and_b32_e32 v37, 0xffff, v36
	v_cmp_ne_u32_e32 vcc, 0, v35
	s_nop 0
	v_mov_b32_dpp v33, v37 row_shr:1 row_mask:0xf bank_mask:0xf
	s_and_saveexec_b64 s[62:63], vcc
	s_cbranch_execz .LBB455_58
; %bb.55:
	v_lshlrev_b32_e32 v36, 16, v33
	v_lshlrev_b32_e32 v33, 16, v37
	v_max_f32_e32 v38, v33, v33
	v_max_f32_e32 v39, v36, v36
	v_min_f32_e32 v37, v39, v38
	v_cmp_u_f32_e32 vcc, v36, v36
	v_max_f32_e32 v38, v39, v38
	v_cmp_u_f32_e64 s[60:61], v33, v33
	v_cndmask_b32_e32 v37, v37, v36, vcc
	v_cndmask_b32_e32 v38, v38, v36, vcc
	v_cndmask_b32_e64 v37, v37, v33, s[60:61]
	v_cndmask_b32_e64 v33, v38, v33, s[60:61]
	s_movk_i32 s33, 0x1f8
	v_cmp_neq_f32_e32 vcc, v37, v33
	v_cmp_class_f32_e64 s[60:61], v37, s33
	s_or_b64 s[64:65], vcc, s[60:61]
	s_and_saveexec_b64 s[60:61], s[64:65]
	s_cbranch_execz .LBB455_57
; %bb.56:
	v_sub_f32_e32 v36, v37, v33
	s_mov_b32 s33, 0x3fb8aa3b
	v_mul_f32_e32 v37, 0x3fb8aa3b, v36
	v_fma_f32 v38, v36, s33, -v37
	v_rndne_f32_e32 v39, v37
	v_fmamk_f32 v38, v36, 0x32a5705f, v38
	v_sub_f32_e32 v37, v37, v39
	v_add_f32_e32 v37, v37, v38
	v_exp_f32_e32 v37, v37
	v_cvt_i32_f32_e32 v38, v39
	s_mov_b32 s33, 0xc2ce8ed0
	v_cmp_ngt_f32_e32 vcc, s33, v36
	s_mov_b32 s33, 0x42b17218
	v_ldexp_f32 v37, v37, v38
	v_cndmask_b32_e32 v37, 0, v37, vcc
	v_mov_b32_e32 v50, 0x7f800000
	v_cmp_nlt_f32_e32 vcc, s33, v36
	s_mov_b32 s33, 0x3f2aaaab
	s_mov_b32 s64, 0x7f800000
	v_cndmask_b32_e32 v51, v50, v37, vcc
	v_add_f32_e32 v38, 1.0, v51
	v_add_f32_e32 v36, -1.0, v38
	v_sub_f32_e32 v37, v36, v38
	v_add_f32_e32 v37, 1.0, v37
	v_sub_f32_e32 v36, v51, v36
	v_add_f32_e32 v39, v36, v37
	v_frexp_mant_f32_e32 v40, v38
	v_cvt_f64_f32_e32 v[36:37], v38
	v_frexp_exp_i32_f64_e32 v36, v[36:37]
	v_cmp_gt_f32_e32 vcc, s33, v40
	s_mov_b32 s33, 0x3f317218
	s_nop 0
	v_subbrev_co_u32_e32 v44, vcc, 0, v36, vcc
	v_sub_u32_e32 v36, 0, v44
	v_ldexp_f32 v37, v38, v36
	v_add_f32_e32 v38, -1.0, v37
	v_add_f32_e32 v40, 1.0, v37
	v_ldexp_f32 v36, v39, v36
	v_add_f32_e32 v39, 1.0, v38
	v_add_f32_e32 v41, -1.0, v40
	v_sub_f32_e32 v39, v37, v39
	v_sub_f32_e32 v37, v37, v41
	v_add_f32_e32 v39, v36, v39
	v_add_f32_e32 v36, v36, v37
	;; [unrolled: 1-line block ×3, first 2 shown]
	v_rcp_f32_e32 v47, v45
	v_sub_f32_e32 v37, v40, v45
	v_add_f32_e32 v46, v36, v37
	v_add_f32_e32 v37, v38, v39
	v_mul_f32_e32 v49, v37, v47
	v_sub_f32_e32 v36, v38, v37
	v_mul_f32_e32 v38, v45, v49
	v_fma_f32 v40, v49, v45, -v38
	v_fmac_f32_e32 v40, v49, v46
	v_add_f32_e32 v48, v39, v36
	v_add_f32_e32 v36, v38, v40
	v_sub_f32_e32 v39, v37, v36
	v_pk_add_f32 v[42:43], v[36:37], v[38:39] neg_lo:[0,1] neg_hi:[0,1]
	v_mov_b32_e32 v41, v36
	v_pk_add_f32 v[36:37], v[42:43], v[40:41] neg_lo:[0,1] neg_hi:[0,1]
	v_cmp_neq_f32_e32 vcc, s64, v51
	v_add_f32_e32 v37, v48, v37
	v_add_f32_e32 v36, v36, v37
	;; [unrolled: 1-line block ×3, first 2 shown]
	v_mul_f32_e32 v48, v47, v37
	v_mul_f32_e32 v38, v45, v48
	v_fma_f32 v40, v48, v45, -v38
	v_fmac_f32_e32 v40, v48, v46
	v_sub_f32_e32 v39, v39, v37
	v_add_f32_e32 v45, v36, v39
	v_add_f32_e32 v36, v38, v40
	v_sub_f32_e32 v39, v37, v36
	v_pk_add_f32 v[42:43], v[36:37], v[38:39] neg_lo:[0,1] neg_hi:[0,1]
	v_mov_b32_e32 v41, v36
	v_pk_add_f32 v[36:37], v[42:43], v[40:41] neg_lo:[0,1] neg_hi:[0,1]
	v_cvt_f32_i32_e32 v38, v44
	v_add_f32_e32 v37, v45, v37
	v_add_f32_e32 v36, v36, v37
	;; [unrolled: 1-line block ×4, first 2 shown]
	v_sub_f32_e32 v37, v39, v49
	v_mul_f32_e32 v36, v47, v36
	v_sub_f32_e32 v37, v48, v37
	v_add_f32_e32 v36, v37, v36
	v_add_f32_e32 v40, v39, v36
	v_mul_f32_e32 v42, v40, v40
	v_mov_b32_e32 v37, 0x3ecc95a3
	v_sub_f32_e32 v39, v40, v39
	v_fmac_f32_e32 v37, 0x3e9b6dac, v42
	v_sub_f32_e32 v36, v36, v39
	v_fmaak_f32 v37, v42, v37, 0x3f2aaada
	v_ldexp_f32 v43, v36, 1
	v_mul_f32_e32 v39, v40, v42
	v_mov_b32_e32 v36, 0x3f317218
	v_pk_mul_f32 v[36:37], v[38:39], v[36:37]
	v_ldexp_f32 v41, v40, 1
	v_fma_f32 v39, v38, s33, -v36
	v_fmamk_f32 v40, v38, 0xb102e308, v39
	v_pk_add_f32 v[38:39], v[36:37], v[40:41]
	v_mov_b32_e32 v42, v36
	v_sub_f32_e32 v41, v39, v41
	v_sub_f32_e32 v41, v37, v41
	v_add_f32_e32 v43, v43, v41
	v_pk_add_f32 v[36:37], v[38:39], v[36:37] neg_lo:[0,1] neg_hi:[0,1]
	v_pk_add_f32 v[44:45], v[38:39], v[42:43]
	v_mov_b32_e32 v41, v38
	v_mov_b32_e32 v37, v45
	v_pk_add_f32 v[46:47], v[40:41], v[36:37] neg_lo:[0,1] neg_hi:[0,1]
	v_pk_add_f32 v[36:37], v[40:41], v[36:37]
	v_mov_b32_e32 v42, v43
	v_pk_add_f32 v[40:41], v[36:37], v[38:39] op_sel:[1,0] op_sel_hi:[0,1] neg_lo:[0,1] neg_hi:[0,1]
	v_pk_add_f32 v[48:49], v[44:45], v[40:41] op_sel_hi:[1,0] neg_lo:[0,1] neg_hi:[0,1]
	v_mov_b32_e32 v44, v45
	v_mov_b32_e32 v45, v37
	v_pk_mov_b32 v[40:41], v[38:39], v[40:41] op_sel:[1,0]
	v_mov_b32_e32 v43, v38
	v_pk_add_f32 v[40:41], v[44:45], v[40:41] neg_lo:[0,1] neg_hi:[0,1]
	v_mov_b32_e32 v48, v46
	v_pk_add_f32 v[38:39], v[42:43], v[40:41] neg_lo:[0,1] neg_hi:[0,1]
	v_mov_b32_e32 v47, v37
	v_pk_add_f32 v[40:41], v[48:49], v[38:39]
	s_mov_b32 s33, 0x33800000
	v_pk_add_f32 v[42:43], v[40:41], v[40:41] op_sel:[0,1] op_sel_hi:[1,0]
	s_nop 0
	v_pk_add_f32 v[36:37], v[36:37], v[42:43] op_sel:[1,0] op_sel_hi:[0,1]
	v_mov_b32_e32 v41, v36
	v_pk_add_f32 v[44:45], v[40:41], v[46:47] neg_lo:[0,1] neg_hi:[0,1]
	v_mov_b32_e32 v39, v42
	v_sub_f32_e32 v37, v40, v44
	v_pk_add_f32 v[38:39], v[38:39], v[44:45] neg_lo:[0,1] neg_hi:[0,1]
	v_sub_f32_e32 v37, v46, v37
	v_add_f32_e32 v37, v38, v37
	v_add_f32_e32 v37, v37, v39
	;; [unrolled: 1-line block ×3, first 2 shown]
	v_cndmask_b32_e32 v36, v50, v36, vcc
	v_cmp_lt_f32_e64 vcc, |v51|, s33
	s_nop 1
	v_cndmask_b32_e32 v36, v36, v51, vcc
	v_add_f32_e32 v36, v33, v36
.LBB455_57:
	s_or_b64 exec, exec, s[60:61]
	v_bfe_u32 v33, v36, 16, 1
	s_movk_i32 s33, 0x7fff
	v_add3_u32 v33, v36, v33, s33
	v_cmp_o_f32_e32 vcc, v36, v36
	v_mov_b32_e32 v36, 0x7fc0
	s_nop 0
	v_cndmask_b32_sdwa v36, v36, v33, vcc dst_sel:DWORD dst_unused:UNUSED_PAD src0_sel:DWORD src1_sel:WORD_1
	v_and_b32_e32 v37, 0xffff, v36
.LBB455_58:
	s_or_b64 exec, exec, s[62:63]
	s_load_dwordx2 s[60:61], s[0:1], 0x18
	v_mul_u32_u24_e32 v33, 26, v0
	v_mov_b32_dpp v38, v37 row_shr:2 row_mask:0xf bank_mask:0xf
	v_cmp_lt_u32_e32 vcc, 1, v35
	s_and_saveexec_b64 s[62:63], vcc
	s_cbranch_execz .LBB455_62
; %bb.59:
	v_lshlrev_b32_e32 v38, 16, v38
	v_lshlrev_b32_e32 v36, 16, v37
	v_max_f32_e32 v39, v36, v36
	v_max_f32_e32 v40, v38, v38
	v_min_f32_e32 v37, v40, v39
	v_cmp_u_f32_e32 vcc, v38, v38
	v_max_f32_e32 v39, v40, v39
	v_cmp_u_f32_e64 s[0:1], v36, v36
	v_cndmask_b32_e32 v37, v37, v38, vcc
	v_cndmask_b32_e32 v39, v39, v38, vcc
	v_cndmask_b32_e64 v37, v37, v36, s[0:1]
	v_cndmask_b32_e64 v36, v39, v36, s[0:1]
	s_movk_i32 s0, 0x1f8
	v_cmp_neq_f32_e32 vcc, v37, v36
	v_cmp_class_f32_e64 s[0:1], v37, s0
	s_or_b64 s[64:65], vcc, s[0:1]
	s_and_saveexec_b64 s[0:1], s[64:65]
	s_cbranch_execz .LBB455_61
; %bb.60:
	v_sub_f32_e32 v37, v37, v36
	s_mov_b32 s33, 0x3fb8aa3b
	v_mul_f32_e32 v38, 0x3fb8aa3b, v37
	v_fma_f32 v39, v37, s33, -v38
	v_rndne_f32_e32 v40, v38
	v_fmamk_f32 v39, v37, 0x32a5705f, v39
	v_sub_f32_e32 v38, v38, v40
	v_add_f32_e32 v38, v38, v39
	v_exp_f32_e32 v38, v38
	v_cvt_i32_f32_e32 v39, v40
	s_mov_b32 s33, 0xc2ce8ed0
	v_cmp_ngt_f32_e32 vcc, s33, v37
	s_mov_b32 s33, 0x42b17218
	v_ldexp_f32 v38, v38, v39
	v_cndmask_b32_e32 v38, 0, v38, vcc
	v_mov_b32_e32 v52, 0x7f800000
	v_cmp_nlt_f32_e32 vcc, s33, v37
	s_mov_b32 s33, 0x3f2aaaab
	s_mov_b32 s64, 0x7f800000
	v_cndmask_b32_e32 v37, v52, v38, vcc
	v_add_f32_e32 v40, 1.0, v37
	v_add_f32_e32 v38, -1.0, v40
	v_sub_f32_e32 v39, v38, v40
	v_add_f32_e32 v39, 1.0, v39
	v_sub_f32_e32 v38, v37, v38
	v_add_f32_e32 v41, v38, v39
	v_frexp_mant_f32_e32 v42, v40
	v_cvt_f64_f32_e32 v[38:39], v40
	v_frexp_exp_i32_f64_e32 v38, v[38:39]
	v_cmp_gt_f32_e32 vcc, s33, v42
	s_mov_b32 s33, 0x3f317218
	s_nop 0
	v_subbrev_co_u32_e32 v46, vcc, 0, v38, vcc
	v_sub_u32_e32 v38, 0, v46
	v_ldexp_f32 v39, v40, v38
	v_add_f32_e32 v40, -1.0, v39
	v_add_f32_e32 v42, 1.0, v39
	v_ldexp_f32 v38, v41, v38
	v_add_f32_e32 v41, 1.0, v40
	v_add_f32_e32 v43, -1.0, v42
	v_sub_f32_e32 v41, v39, v41
	v_sub_f32_e32 v39, v39, v43
	v_add_f32_e32 v41, v38, v41
	v_add_f32_e32 v38, v38, v39
	;; [unrolled: 1-line block ×3, first 2 shown]
	v_rcp_f32_e32 v49, v47
	v_sub_f32_e32 v39, v42, v47
	v_add_f32_e32 v48, v38, v39
	v_add_f32_e32 v39, v40, v41
	v_mul_f32_e32 v51, v39, v49
	v_sub_f32_e32 v38, v40, v39
	v_mul_f32_e32 v40, v47, v51
	v_fma_f32 v42, v51, v47, -v40
	v_fmac_f32_e32 v42, v51, v48
	v_add_f32_e32 v50, v41, v38
	v_add_f32_e32 v38, v40, v42
	v_sub_f32_e32 v41, v39, v38
	v_pk_add_f32 v[44:45], v[38:39], v[40:41] neg_lo:[0,1] neg_hi:[0,1]
	v_mov_b32_e32 v43, v38
	v_pk_add_f32 v[38:39], v[44:45], v[42:43] neg_lo:[0,1] neg_hi:[0,1]
	v_cmp_neq_f32_e32 vcc, s64, v37
	v_add_f32_e32 v39, v50, v39
	v_add_f32_e32 v38, v38, v39
	;; [unrolled: 1-line block ×3, first 2 shown]
	v_mul_f32_e32 v50, v49, v39
	v_mul_f32_e32 v40, v47, v50
	v_fma_f32 v42, v50, v47, -v40
	v_fmac_f32_e32 v42, v50, v48
	v_sub_f32_e32 v41, v41, v39
	v_add_f32_e32 v47, v38, v41
	v_add_f32_e32 v38, v40, v42
	v_sub_f32_e32 v41, v39, v38
	v_pk_add_f32 v[44:45], v[38:39], v[40:41] neg_lo:[0,1] neg_hi:[0,1]
	v_mov_b32_e32 v43, v38
	v_pk_add_f32 v[38:39], v[44:45], v[42:43] neg_lo:[0,1] neg_hi:[0,1]
	v_cvt_f32_i32_e32 v40, v46
	v_add_f32_e32 v39, v47, v39
	v_add_f32_e32 v38, v38, v39
	;; [unrolled: 1-line block ×4, first 2 shown]
	v_sub_f32_e32 v39, v41, v51
	v_mul_f32_e32 v38, v49, v38
	v_sub_f32_e32 v39, v50, v39
	v_add_f32_e32 v38, v39, v38
	v_add_f32_e32 v42, v41, v38
	v_mul_f32_e32 v44, v42, v42
	v_mov_b32_e32 v39, 0x3ecc95a3
	v_sub_f32_e32 v41, v42, v41
	v_fmac_f32_e32 v39, 0x3e9b6dac, v44
	v_sub_f32_e32 v38, v38, v41
	v_fmaak_f32 v39, v44, v39, 0x3f2aaada
	v_ldexp_f32 v45, v38, 1
	v_mul_f32_e32 v41, v42, v44
	v_mov_b32_e32 v38, 0x3f317218
	v_pk_mul_f32 v[38:39], v[40:41], v[38:39]
	v_ldexp_f32 v43, v42, 1
	v_fma_f32 v41, v40, s33, -v38
	v_fmamk_f32 v42, v40, 0xb102e308, v41
	v_pk_add_f32 v[40:41], v[38:39], v[42:43]
	v_mov_b32_e32 v44, v38
	v_sub_f32_e32 v43, v41, v43
	v_sub_f32_e32 v43, v39, v43
	v_add_f32_e32 v45, v45, v43
	v_pk_add_f32 v[38:39], v[40:41], v[38:39] neg_lo:[0,1] neg_hi:[0,1]
	v_pk_add_f32 v[46:47], v[40:41], v[44:45]
	v_mov_b32_e32 v43, v40
	v_mov_b32_e32 v39, v47
	v_pk_add_f32 v[48:49], v[42:43], v[38:39] neg_lo:[0,1] neg_hi:[0,1]
	v_pk_add_f32 v[38:39], v[42:43], v[38:39]
	v_mov_b32_e32 v44, v45
	v_pk_add_f32 v[42:43], v[38:39], v[40:41] op_sel:[1,0] op_sel_hi:[0,1] neg_lo:[0,1] neg_hi:[0,1]
	v_pk_add_f32 v[50:51], v[46:47], v[42:43] op_sel_hi:[1,0] neg_lo:[0,1] neg_hi:[0,1]
	v_mov_b32_e32 v46, v47
	v_mov_b32_e32 v47, v39
	v_pk_mov_b32 v[42:43], v[40:41], v[42:43] op_sel:[1,0]
	v_mov_b32_e32 v45, v40
	v_pk_add_f32 v[42:43], v[46:47], v[42:43] neg_lo:[0,1] neg_hi:[0,1]
	v_mov_b32_e32 v50, v48
	v_pk_add_f32 v[40:41], v[44:45], v[42:43] neg_lo:[0,1] neg_hi:[0,1]
	v_mov_b32_e32 v49, v39
	v_pk_add_f32 v[42:43], v[50:51], v[40:41]
	s_mov_b32 s33, 0x33800000
	v_pk_add_f32 v[44:45], v[42:43], v[42:43] op_sel:[0,1] op_sel_hi:[1,0]
	s_nop 0
	v_pk_add_f32 v[38:39], v[38:39], v[44:45] op_sel:[1,0] op_sel_hi:[0,1]
	v_mov_b32_e32 v43, v38
	v_pk_add_f32 v[46:47], v[42:43], v[48:49] neg_lo:[0,1] neg_hi:[0,1]
	v_mov_b32_e32 v41, v44
	v_sub_f32_e32 v39, v42, v46
	v_pk_add_f32 v[40:41], v[40:41], v[46:47] neg_lo:[0,1] neg_hi:[0,1]
	v_sub_f32_e32 v39, v48, v39
	v_add_f32_e32 v39, v40, v39
	v_add_f32_e32 v39, v39, v41
	;; [unrolled: 1-line block ×3, first 2 shown]
	v_cndmask_b32_e32 v38, v52, v38, vcc
	v_cmp_lt_f32_e64 vcc, |v37|, s33
	s_nop 1
	v_cndmask_b32_e32 v37, v38, v37, vcc
	v_add_f32_e32 v38, v36, v37
.LBB455_61:
	s_or_b64 exec, exec, s[0:1]
	v_bfe_u32 v36, v38, 16, 1
	s_movk_i32 s0, 0x7fff
	v_add3_u32 v36, v38, v36, s0
	v_cmp_o_f32_e32 vcc, v38, v38
	v_mov_b32_e32 v37, 0x7fc0
	s_nop 0
	v_cndmask_b32_sdwa v36, v37, v36, vcc dst_sel:DWORD dst_unused:UNUSED_PAD src0_sel:DWORD src1_sel:WORD_1
	v_and_b32_e32 v37, 0xffff, v36
.LBB455_62:
	s_or_b64 exec, exec, s[62:63]
	s_nop 0
	v_mov_b32_dpp v38, v37 row_shr:4 row_mask:0xf bank_mask:0xf
	v_cmp_lt_u32_e32 vcc, 3, v35
	s_and_saveexec_b64 s[62:63], vcc
	s_cbranch_execz .LBB455_66
; %bb.63:
	v_lshlrev_b32_e32 v38, 16, v38
	v_lshlrev_b32_e32 v36, 16, v37
	v_max_f32_e32 v39, v36, v36
	v_max_f32_e32 v40, v38, v38
	v_min_f32_e32 v37, v40, v39
	v_cmp_u_f32_e32 vcc, v38, v38
	v_max_f32_e32 v39, v40, v39
	v_cmp_u_f32_e64 s[0:1], v36, v36
	v_cndmask_b32_e32 v37, v37, v38, vcc
	v_cndmask_b32_e32 v39, v39, v38, vcc
	v_cndmask_b32_e64 v37, v37, v36, s[0:1]
	v_cndmask_b32_e64 v36, v39, v36, s[0:1]
	s_movk_i32 s0, 0x1f8
	v_cmp_neq_f32_e32 vcc, v37, v36
	v_cmp_class_f32_e64 s[0:1], v37, s0
	s_or_b64 s[64:65], vcc, s[0:1]
	s_and_saveexec_b64 s[0:1], s[64:65]
	s_cbranch_execz .LBB455_65
; %bb.64:
	v_sub_f32_e32 v37, v37, v36
	s_mov_b32 s33, 0x3fb8aa3b
	v_mul_f32_e32 v38, 0x3fb8aa3b, v37
	v_fma_f32 v39, v37, s33, -v38
	v_rndne_f32_e32 v40, v38
	v_fmamk_f32 v39, v37, 0x32a5705f, v39
	v_sub_f32_e32 v38, v38, v40
	v_add_f32_e32 v38, v38, v39
	v_exp_f32_e32 v38, v38
	v_cvt_i32_f32_e32 v39, v40
	s_mov_b32 s33, 0xc2ce8ed0
	v_cmp_ngt_f32_e32 vcc, s33, v37
	s_mov_b32 s33, 0x42b17218
	v_ldexp_f32 v38, v38, v39
	v_cndmask_b32_e32 v38, 0, v38, vcc
	v_mov_b32_e32 v52, 0x7f800000
	v_cmp_nlt_f32_e32 vcc, s33, v37
	s_mov_b32 s33, 0x3f2aaaab
	s_mov_b32 s64, 0x7f800000
	v_cndmask_b32_e32 v37, v52, v38, vcc
	v_add_f32_e32 v40, 1.0, v37
	v_add_f32_e32 v38, -1.0, v40
	v_sub_f32_e32 v39, v38, v40
	v_add_f32_e32 v39, 1.0, v39
	v_sub_f32_e32 v38, v37, v38
	v_add_f32_e32 v41, v38, v39
	v_frexp_mant_f32_e32 v42, v40
	v_cvt_f64_f32_e32 v[38:39], v40
	v_frexp_exp_i32_f64_e32 v38, v[38:39]
	v_cmp_gt_f32_e32 vcc, s33, v42
	s_mov_b32 s33, 0x3f317218
	s_nop 0
	v_subbrev_co_u32_e32 v46, vcc, 0, v38, vcc
	v_sub_u32_e32 v38, 0, v46
	v_ldexp_f32 v39, v40, v38
	v_add_f32_e32 v40, -1.0, v39
	v_add_f32_e32 v42, 1.0, v39
	v_ldexp_f32 v38, v41, v38
	v_add_f32_e32 v41, 1.0, v40
	v_add_f32_e32 v43, -1.0, v42
	v_sub_f32_e32 v41, v39, v41
	v_sub_f32_e32 v39, v39, v43
	v_add_f32_e32 v41, v38, v41
	v_add_f32_e32 v38, v38, v39
	;; [unrolled: 1-line block ×3, first 2 shown]
	v_rcp_f32_e32 v49, v47
	v_sub_f32_e32 v39, v42, v47
	v_add_f32_e32 v48, v38, v39
	v_add_f32_e32 v39, v40, v41
	v_mul_f32_e32 v51, v39, v49
	v_sub_f32_e32 v38, v40, v39
	v_mul_f32_e32 v40, v47, v51
	v_fma_f32 v42, v51, v47, -v40
	v_fmac_f32_e32 v42, v51, v48
	v_add_f32_e32 v50, v41, v38
	v_add_f32_e32 v38, v40, v42
	v_sub_f32_e32 v41, v39, v38
	v_pk_add_f32 v[44:45], v[38:39], v[40:41] neg_lo:[0,1] neg_hi:[0,1]
	v_mov_b32_e32 v43, v38
	v_pk_add_f32 v[38:39], v[44:45], v[42:43] neg_lo:[0,1] neg_hi:[0,1]
	v_cmp_neq_f32_e32 vcc, s64, v37
	v_add_f32_e32 v39, v50, v39
	v_add_f32_e32 v38, v38, v39
	;; [unrolled: 1-line block ×3, first 2 shown]
	v_mul_f32_e32 v50, v49, v39
	v_mul_f32_e32 v40, v47, v50
	v_fma_f32 v42, v50, v47, -v40
	v_fmac_f32_e32 v42, v50, v48
	v_sub_f32_e32 v41, v41, v39
	v_add_f32_e32 v47, v38, v41
	v_add_f32_e32 v38, v40, v42
	v_sub_f32_e32 v41, v39, v38
	v_pk_add_f32 v[44:45], v[38:39], v[40:41] neg_lo:[0,1] neg_hi:[0,1]
	v_mov_b32_e32 v43, v38
	v_pk_add_f32 v[38:39], v[44:45], v[42:43] neg_lo:[0,1] neg_hi:[0,1]
	v_cvt_f32_i32_e32 v40, v46
	v_add_f32_e32 v39, v47, v39
	v_add_f32_e32 v38, v38, v39
	;; [unrolled: 1-line block ×4, first 2 shown]
	v_sub_f32_e32 v39, v41, v51
	v_mul_f32_e32 v38, v49, v38
	v_sub_f32_e32 v39, v50, v39
	v_add_f32_e32 v38, v39, v38
	v_add_f32_e32 v42, v41, v38
	v_mul_f32_e32 v44, v42, v42
	v_mov_b32_e32 v39, 0x3ecc95a3
	v_sub_f32_e32 v41, v42, v41
	v_fmac_f32_e32 v39, 0x3e9b6dac, v44
	v_sub_f32_e32 v38, v38, v41
	v_fmaak_f32 v39, v44, v39, 0x3f2aaada
	v_ldexp_f32 v45, v38, 1
	v_mul_f32_e32 v41, v42, v44
	v_mov_b32_e32 v38, 0x3f317218
	v_pk_mul_f32 v[38:39], v[40:41], v[38:39]
	v_ldexp_f32 v43, v42, 1
	v_fma_f32 v41, v40, s33, -v38
	v_fmamk_f32 v42, v40, 0xb102e308, v41
	v_pk_add_f32 v[40:41], v[38:39], v[42:43]
	v_mov_b32_e32 v44, v38
	v_sub_f32_e32 v43, v41, v43
	v_sub_f32_e32 v43, v39, v43
	v_add_f32_e32 v45, v45, v43
	v_pk_add_f32 v[38:39], v[40:41], v[38:39] neg_lo:[0,1] neg_hi:[0,1]
	v_pk_add_f32 v[46:47], v[40:41], v[44:45]
	v_mov_b32_e32 v43, v40
	v_mov_b32_e32 v39, v47
	v_pk_add_f32 v[48:49], v[42:43], v[38:39] neg_lo:[0,1] neg_hi:[0,1]
	v_pk_add_f32 v[38:39], v[42:43], v[38:39]
	v_mov_b32_e32 v44, v45
	v_pk_add_f32 v[42:43], v[38:39], v[40:41] op_sel:[1,0] op_sel_hi:[0,1] neg_lo:[0,1] neg_hi:[0,1]
	v_pk_add_f32 v[50:51], v[46:47], v[42:43] op_sel_hi:[1,0] neg_lo:[0,1] neg_hi:[0,1]
	v_mov_b32_e32 v46, v47
	v_mov_b32_e32 v47, v39
	v_pk_mov_b32 v[42:43], v[40:41], v[42:43] op_sel:[1,0]
	v_mov_b32_e32 v45, v40
	v_pk_add_f32 v[42:43], v[46:47], v[42:43] neg_lo:[0,1] neg_hi:[0,1]
	v_mov_b32_e32 v50, v48
	v_pk_add_f32 v[40:41], v[44:45], v[42:43] neg_lo:[0,1] neg_hi:[0,1]
	v_mov_b32_e32 v49, v39
	v_pk_add_f32 v[42:43], v[50:51], v[40:41]
	s_mov_b32 s33, 0x33800000
	v_pk_add_f32 v[44:45], v[42:43], v[42:43] op_sel:[0,1] op_sel_hi:[1,0]
	s_nop 0
	v_pk_add_f32 v[38:39], v[38:39], v[44:45] op_sel:[1,0] op_sel_hi:[0,1]
	v_mov_b32_e32 v43, v38
	v_pk_add_f32 v[46:47], v[42:43], v[48:49] neg_lo:[0,1] neg_hi:[0,1]
	v_mov_b32_e32 v41, v44
	v_sub_f32_e32 v39, v42, v46
	v_pk_add_f32 v[40:41], v[40:41], v[46:47] neg_lo:[0,1] neg_hi:[0,1]
	v_sub_f32_e32 v39, v48, v39
	v_add_f32_e32 v39, v40, v39
	v_add_f32_e32 v39, v39, v41
	;; [unrolled: 1-line block ×3, first 2 shown]
	v_cndmask_b32_e32 v38, v52, v38, vcc
	v_cmp_lt_f32_e64 vcc, |v37|, s33
	s_nop 1
	v_cndmask_b32_e32 v37, v38, v37, vcc
	v_add_f32_e32 v38, v36, v37
.LBB455_65:
	s_or_b64 exec, exec, s[0:1]
	v_bfe_u32 v36, v38, 16, 1
	s_movk_i32 s0, 0x7fff
	v_add3_u32 v36, v38, v36, s0
	v_cmp_o_f32_e32 vcc, v38, v38
	v_mov_b32_e32 v37, 0x7fc0
	s_nop 0
	v_cndmask_b32_sdwa v36, v37, v36, vcc dst_sel:DWORD dst_unused:UNUSED_PAD src0_sel:DWORD src1_sel:WORD_1
	v_and_b32_e32 v37, 0xffff, v36
.LBB455_66:
	s_or_b64 exec, exec, s[62:63]
	s_nop 0
	v_mov_b32_dpp v38, v37 row_shr:8 row_mask:0xf bank_mask:0xf
	v_cmp_lt_u32_e32 vcc, 7, v35
	s_and_saveexec_b64 s[62:63], vcc
	s_cbranch_execz .LBB455_70
; %bb.67:
	v_lshlrev_b32_e32 v36, 16, v38
	v_lshlrev_b32_e32 v35, 16, v37
	v_max_f32_e32 v38, v35, v35
	v_max_f32_e32 v39, v36, v36
	v_min_f32_e32 v37, v39, v38
	v_cmp_u_f32_e32 vcc, v36, v36
	v_max_f32_e32 v38, v39, v38
	v_cmp_u_f32_e64 s[0:1], v35, v35
	v_cndmask_b32_e32 v37, v37, v36, vcc
	v_cndmask_b32_e32 v38, v38, v36, vcc
	v_cndmask_b32_e64 v37, v37, v35, s[0:1]
	v_cndmask_b32_e64 v35, v38, v35, s[0:1]
	s_movk_i32 s0, 0x1f8
	v_cmp_neq_f32_e32 vcc, v37, v35
	v_cmp_class_f32_e64 s[0:1], v37, s0
	s_or_b64 s[64:65], vcc, s[0:1]
	s_and_saveexec_b64 s[0:1], s[64:65]
	s_cbranch_execz .LBB455_69
; %bb.68:
	v_sub_f32_e32 v36, v37, v35
	s_mov_b32 s33, 0x3fb8aa3b
	v_mul_f32_e32 v37, 0x3fb8aa3b, v36
	v_fma_f32 v38, v36, s33, -v37
	v_rndne_f32_e32 v39, v37
	v_fmamk_f32 v38, v36, 0x32a5705f, v38
	v_sub_f32_e32 v37, v37, v39
	v_add_f32_e32 v37, v37, v38
	v_exp_f32_e32 v37, v37
	v_cvt_i32_f32_e32 v38, v39
	s_mov_b32 s33, 0xc2ce8ed0
	v_cmp_ngt_f32_e32 vcc, s33, v36
	s_mov_b32 s33, 0x42b17218
	v_ldexp_f32 v37, v37, v38
	v_cndmask_b32_e32 v37, 0, v37, vcc
	v_mov_b32_e32 v50, 0x7f800000
	v_cmp_nlt_f32_e32 vcc, s33, v36
	s_mov_b32 s33, 0x3f2aaaab
	s_mov_b32 s64, 0x7f800000
	v_cndmask_b32_e32 v51, v50, v37, vcc
	v_add_f32_e32 v38, 1.0, v51
	v_add_f32_e32 v36, -1.0, v38
	v_sub_f32_e32 v37, v36, v38
	v_add_f32_e32 v37, 1.0, v37
	v_sub_f32_e32 v36, v51, v36
	v_add_f32_e32 v39, v36, v37
	v_frexp_mant_f32_e32 v40, v38
	v_cvt_f64_f32_e32 v[36:37], v38
	v_frexp_exp_i32_f64_e32 v36, v[36:37]
	v_cmp_gt_f32_e32 vcc, s33, v40
	s_mov_b32 s33, 0x3f317218
	s_nop 0
	v_subbrev_co_u32_e32 v44, vcc, 0, v36, vcc
	v_sub_u32_e32 v36, 0, v44
	v_ldexp_f32 v37, v38, v36
	v_add_f32_e32 v38, -1.0, v37
	v_add_f32_e32 v40, 1.0, v37
	v_ldexp_f32 v36, v39, v36
	v_add_f32_e32 v39, 1.0, v38
	v_add_f32_e32 v41, -1.0, v40
	v_sub_f32_e32 v39, v37, v39
	v_sub_f32_e32 v37, v37, v41
	v_add_f32_e32 v39, v36, v39
	v_add_f32_e32 v36, v36, v37
	;; [unrolled: 1-line block ×3, first 2 shown]
	v_rcp_f32_e32 v47, v45
	v_sub_f32_e32 v37, v40, v45
	v_add_f32_e32 v46, v36, v37
	v_add_f32_e32 v37, v38, v39
	v_mul_f32_e32 v49, v37, v47
	v_sub_f32_e32 v36, v38, v37
	v_mul_f32_e32 v38, v45, v49
	v_fma_f32 v40, v49, v45, -v38
	v_fmac_f32_e32 v40, v49, v46
	v_add_f32_e32 v48, v39, v36
	v_add_f32_e32 v36, v38, v40
	v_sub_f32_e32 v39, v37, v36
	v_pk_add_f32 v[42:43], v[36:37], v[38:39] neg_lo:[0,1] neg_hi:[0,1]
	v_mov_b32_e32 v41, v36
	v_pk_add_f32 v[36:37], v[42:43], v[40:41] neg_lo:[0,1] neg_hi:[0,1]
	v_cmp_neq_f32_e32 vcc, s64, v51
	v_add_f32_e32 v37, v48, v37
	v_add_f32_e32 v36, v36, v37
	;; [unrolled: 1-line block ×3, first 2 shown]
	v_mul_f32_e32 v48, v47, v37
	v_mul_f32_e32 v38, v45, v48
	v_fma_f32 v40, v48, v45, -v38
	v_fmac_f32_e32 v40, v48, v46
	v_sub_f32_e32 v39, v39, v37
	v_add_f32_e32 v45, v36, v39
	v_add_f32_e32 v36, v38, v40
	v_sub_f32_e32 v39, v37, v36
	v_pk_add_f32 v[42:43], v[36:37], v[38:39] neg_lo:[0,1] neg_hi:[0,1]
	v_mov_b32_e32 v41, v36
	v_pk_add_f32 v[36:37], v[42:43], v[40:41] neg_lo:[0,1] neg_hi:[0,1]
	v_cvt_f32_i32_e32 v38, v44
	v_add_f32_e32 v37, v45, v37
	v_add_f32_e32 v36, v36, v37
	;; [unrolled: 1-line block ×4, first 2 shown]
	v_sub_f32_e32 v37, v39, v49
	v_mul_f32_e32 v36, v47, v36
	v_sub_f32_e32 v37, v48, v37
	v_add_f32_e32 v36, v37, v36
	v_add_f32_e32 v40, v39, v36
	v_mul_f32_e32 v42, v40, v40
	v_mov_b32_e32 v37, 0x3ecc95a3
	v_sub_f32_e32 v39, v40, v39
	v_fmac_f32_e32 v37, 0x3e9b6dac, v42
	v_sub_f32_e32 v36, v36, v39
	v_fmaak_f32 v37, v42, v37, 0x3f2aaada
	v_ldexp_f32 v43, v36, 1
	v_mul_f32_e32 v39, v40, v42
	v_mov_b32_e32 v36, 0x3f317218
	v_pk_mul_f32 v[36:37], v[38:39], v[36:37]
	v_ldexp_f32 v41, v40, 1
	v_fma_f32 v39, v38, s33, -v36
	v_fmamk_f32 v40, v38, 0xb102e308, v39
	v_pk_add_f32 v[38:39], v[36:37], v[40:41]
	v_mov_b32_e32 v42, v36
	v_sub_f32_e32 v41, v39, v41
	v_sub_f32_e32 v41, v37, v41
	v_add_f32_e32 v43, v43, v41
	v_pk_add_f32 v[36:37], v[38:39], v[36:37] neg_lo:[0,1] neg_hi:[0,1]
	v_pk_add_f32 v[44:45], v[38:39], v[42:43]
	v_mov_b32_e32 v41, v38
	v_mov_b32_e32 v37, v45
	v_pk_add_f32 v[46:47], v[40:41], v[36:37] neg_lo:[0,1] neg_hi:[0,1]
	v_pk_add_f32 v[36:37], v[40:41], v[36:37]
	v_mov_b32_e32 v42, v43
	v_pk_add_f32 v[40:41], v[36:37], v[38:39] op_sel:[1,0] op_sel_hi:[0,1] neg_lo:[0,1] neg_hi:[0,1]
	v_pk_add_f32 v[48:49], v[44:45], v[40:41] op_sel_hi:[1,0] neg_lo:[0,1] neg_hi:[0,1]
	v_mov_b32_e32 v44, v45
	v_mov_b32_e32 v45, v37
	v_pk_mov_b32 v[40:41], v[38:39], v[40:41] op_sel:[1,0]
	v_mov_b32_e32 v43, v38
	v_pk_add_f32 v[40:41], v[44:45], v[40:41] neg_lo:[0,1] neg_hi:[0,1]
	v_mov_b32_e32 v48, v46
	v_pk_add_f32 v[38:39], v[42:43], v[40:41] neg_lo:[0,1] neg_hi:[0,1]
	v_mov_b32_e32 v47, v37
	v_pk_add_f32 v[40:41], v[48:49], v[38:39]
	s_mov_b32 s33, 0x33800000
	v_pk_add_f32 v[42:43], v[40:41], v[40:41] op_sel:[0,1] op_sel_hi:[1,0]
	s_nop 0
	v_pk_add_f32 v[36:37], v[36:37], v[42:43] op_sel:[1,0] op_sel_hi:[0,1]
	v_mov_b32_e32 v41, v36
	v_pk_add_f32 v[44:45], v[40:41], v[46:47] neg_lo:[0,1] neg_hi:[0,1]
	v_mov_b32_e32 v39, v42
	v_sub_f32_e32 v37, v40, v44
	v_pk_add_f32 v[38:39], v[38:39], v[44:45] neg_lo:[0,1] neg_hi:[0,1]
	v_sub_f32_e32 v37, v46, v37
	v_add_f32_e32 v37, v38, v37
	v_add_f32_e32 v37, v37, v39
	;; [unrolled: 1-line block ×3, first 2 shown]
	v_cndmask_b32_e32 v36, v50, v36, vcc
	v_cmp_lt_f32_e64 vcc, |v51|, s33
	s_nop 1
	v_cndmask_b32_e32 v36, v36, v51, vcc
	v_add_f32_e32 v36, v35, v36
.LBB455_69:
	s_or_b64 exec, exec, s[0:1]
	v_bfe_u32 v35, v36, 16, 1
	s_movk_i32 s0, 0x7fff
	v_add3_u32 v35, v36, v35, s0
	v_cmp_o_f32_e32 vcc, v36, v36
	v_mov_b32_e32 v36, 0x7fc0
	s_nop 0
	v_cndmask_b32_sdwa v36, v36, v35, vcc dst_sel:DWORD dst_unused:UNUSED_PAD src0_sel:DWORD src1_sel:WORD_1
	v_and_b32_e32 v37, 0xffff, v36
.LBB455_70:
	s_or_b64 exec, exec, s[62:63]
	v_and_b32_e32 v38, 16, v34
	v_mov_b32_dpp v35, v37 row_bcast:15 row_mask:0xf bank_mask:0xf
	v_cmp_ne_u32_e32 vcc, 0, v38
	s_and_saveexec_b64 s[62:63], vcc
	s_cbranch_execz .LBB455_74
; %bb.71:
	v_lshlrev_b32_e32 v36, 16, v35
	v_lshlrev_b32_e32 v35, 16, v37
	v_max_f32_e32 v38, v35, v35
	v_max_f32_e32 v39, v36, v36
	v_min_f32_e32 v37, v39, v38
	v_cmp_u_f32_e32 vcc, v36, v36
	v_max_f32_e32 v38, v39, v38
	v_cmp_u_f32_e64 s[0:1], v35, v35
	v_cndmask_b32_e32 v37, v37, v36, vcc
	v_cndmask_b32_e32 v38, v38, v36, vcc
	v_cndmask_b32_e64 v37, v37, v35, s[0:1]
	v_cndmask_b32_e64 v35, v38, v35, s[0:1]
	s_movk_i32 s0, 0x1f8
	v_cmp_neq_f32_e32 vcc, v37, v35
	v_cmp_class_f32_e64 s[0:1], v37, s0
	s_or_b64 s[64:65], vcc, s[0:1]
	s_and_saveexec_b64 s[0:1], s[64:65]
	s_cbranch_execz .LBB455_73
; %bb.72:
	v_sub_f32_e32 v36, v37, v35
	s_mov_b32 s33, 0x3fb8aa3b
	v_mul_f32_e32 v37, 0x3fb8aa3b, v36
	v_fma_f32 v38, v36, s33, -v37
	v_rndne_f32_e32 v39, v37
	v_fmamk_f32 v38, v36, 0x32a5705f, v38
	v_sub_f32_e32 v37, v37, v39
	v_add_f32_e32 v37, v37, v38
	v_exp_f32_e32 v37, v37
	v_cvt_i32_f32_e32 v38, v39
	s_mov_b32 s33, 0xc2ce8ed0
	v_cmp_ngt_f32_e32 vcc, s33, v36
	s_mov_b32 s33, 0x42b17218
	v_ldexp_f32 v37, v37, v38
	v_cndmask_b32_e32 v37, 0, v37, vcc
	v_mov_b32_e32 v50, 0x7f800000
	v_cmp_nlt_f32_e32 vcc, s33, v36
	s_mov_b32 s33, 0x3f2aaaab
	s_mov_b32 s64, 0x7f800000
	v_cndmask_b32_e32 v51, v50, v37, vcc
	v_add_f32_e32 v38, 1.0, v51
	v_add_f32_e32 v36, -1.0, v38
	v_sub_f32_e32 v37, v36, v38
	v_add_f32_e32 v37, 1.0, v37
	v_sub_f32_e32 v36, v51, v36
	v_add_f32_e32 v39, v36, v37
	v_frexp_mant_f32_e32 v40, v38
	v_cvt_f64_f32_e32 v[36:37], v38
	v_frexp_exp_i32_f64_e32 v36, v[36:37]
	v_cmp_gt_f32_e32 vcc, s33, v40
	s_mov_b32 s33, 0x3f317218
	s_nop 0
	v_subbrev_co_u32_e32 v44, vcc, 0, v36, vcc
	v_sub_u32_e32 v36, 0, v44
	v_ldexp_f32 v37, v38, v36
	v_add_f32_e32 v38, -1.0, v37
	v_add_f32_e32 v40, 1.0, v37
	v_ldexp_f32 v36, v39, v36
	v_add_f32_e32 v39, 1.0, v38
	v_add_f32_e32 v41, -1.0, v40
	v_sub_f32_e32 v39, v37, v39
	v_sub_f32_e32 v37, v37, v41
	v_add_f32_e32 v39, v36, v39
	v_add_f32_e32 v36, v36, v37
	;; [unrolled: 1-line block ×3, first 2 shown]
	v_rcp_f32_e32 v47, v45
	v_sub_f32_e32 v37, v40, v45
	v_add_f32_e32 v46, v36, v37
	v_add_f32_e32 v37, v38, v39
	v_mul_f32_e32 v49, v37, v47
	v_sub_f32_e32 v36, v38, v37
	v_mul_f32_e32 v38, v45, v49
	v_fma_f32 v40, v49, v45, -v38
	v_fmac_f32_e32 v40, v49, v46
	v_add_f32_e32 v48, v39, v36
	v_add_f32_e32 v36, v38, v40
	v_sub_f32_e32 v39, v37, v36
	v_pk_add_f32 v[42:43], v[36:37], v[38:39] neg_lo:[0,1] neg_hi:[0,1]
	v_mov_b32_e32 v41, v36
	v_pk_add_f32 v[36:37], v[42:43], v[40:41] neg_lo:[0,1] neg_hi:[0,1]
	v_cmp_neq_f32_e32 vcc, s64, v51
	v_add_f32_e32 v37, v48, v37
	v_add_f32_e32 v36, v36, v37
	;; [unrolled: 1-line block ×3, first 2 shown]
	v_mul_f32_e32 v48, v47, v37
	v_mul_f32_e32 v38, v45, v48
	v_fma_f32 v40, v48, v45, -v38
	v_fmac_f32_e32 v40, v48, v46
	v_sub_f32_e32 v39, v39, v37
	v_add_f32_e32 v45, v36, v39
	v_add_f32_e32 v36, v38, v40
	v_sub_f32_e32 v39, v37, v36
	v_pk_add_f32 v[42:43], v[36:37], v[38:39] neg_lo:[0,1] neg_hi:[0,1]
	v_mov_b32_e32 v41, v36
	v_pk_add_f32 v[36:37], v[42:43], v[40:41] neg_lo:[0,1] neg_hi:[0,1]
	v_cvt_f32_i32_e32 v38, v44
	v_add_f32_e32 v37, v45, v37
	v_add_f32_e32 v36, v36, v37
	;; [unrolled: 1-line block ×4, first 2 shown]
	v_sub_f32_e32 v37, v39, v49
	v_mul_f32_e32 v36, v47, v36
	v_sub_f32_e32 v37, v48, v37
	v_add_f32_e32 v36, v37, v36
	v_add_f32_e32 v40, v39, v36
	v_mul_f32_e32 v42, v40, v40
	v_mov_b32_e32 v37, 0x3ecc95a3
	v_sub_f32_e32 v39, v40, v39
	v_fmac_f32_e32 v37, 0x3e9b6dac, v42
	v_sub_f32_e32 v36, v36, v39
	v_fmaak_f32 v37, v42, v37, 0x3f2aaada
	v_ldexp_f32 v43, v36, 1
	v_mul_f32_e32 v39, v40, v42
	v_mov_b32_e32 v36, 0x3f317218
	v_pk_mul_f32 v[36:37], v[38:39], v[36:37]
	v_ldexp_f32 v41, v40, 1
	v_fma_f32 v39, v38, s33, -v36
	v_fmamk_f32 v40, v38, 0xb102e308, v39
	v_pk_add_f32 v[38:39], v[36:37], v[40:41]
	v_mov_b32_e32 v42, v36
	v_sub_f32_e32 v41, v39, v41
	v_sub_f32_e32 v41, v37, v41
	v_add_f32_e32 v43, v43, v41
	v_pk_add_f32 v[36:37], v[38:39], v[36:37] neg_lo:[0,1] neg_hi:[0,1]
	v_pk_add_f32 v[44:45], v[38:39], v[42:43]
	v_mov_b32_e32 v41, v38
	v_mov_b32_e32 v37, v45
	v_pk_add_f32 v[46:47], v[40:41], v[36:37] neg_lo:[0,1] neg_hi:[0,1]
	v_pk_add_f32 v[36:37], v[40:41], v[36:37]
	v_mov_b32_e32 v42, v43
	v_pk_add_f32 v[40:41], v[36:37], v[38:39] op_sel:[1,0] op_sel_hi:[0,1] neg_lo:[0,1] neg_hi:[0,1]
	v_pk_add_f32 v[48:49], v[44:45], v[40:41] op_sel_hi:[1,0] neg_lo:[0,1] neg_hi:[0,1]
	v_mov_b32_e32 v44, v45
	v_mov_b32_e32 v45, v37
	v_pk_mov_b32 v[40:41], v[38:39], v[40:41] op_sel:[1,0]
	v_mov_b32_e32 v43, v38
	v_pk_add_f32 v[40:41], v[44:45], v[40:41] neg_lo:[0,1] neg_hi:[0,1]
	v_mov_b32_e32 v48, v46
	v_pk_add_f32 v[38:39], v[42:43], v[40:41] neg_lo:[0,1] neg_hi:[0,1]
	v_mov_b32_e32 v47, v37
	v_pk_add_f32 v[40:41], v[48:49], v[38:39]
	s_mov_b32 s33, 0x33800000
	v_pk_add_f32 v[42:43], v[40:41], v[40:41] op_sel:[0,1] op_sel_hi:[1,0]
	s_nop 0
	v_pk_add_f32 v[36:37], v[36:37], v[42:43] op_sel:[1,0] op_sel_hi:[0,1]
	v_mov_b32_e32 v41, v36
	v_pk_add_f32 v[44:45], v[40:41], v[46:47] neg_lo:[0,1] neg_hi:[0,1]
	v_mov_b32_e32 v39, v42
	v_sub_f32_e32 v37, v40, v44
	v_pk_add_f32 v[38:39], v[38:39], v[44:45] neg_lo:[0,1] neg_hi:[0,1]
	v_sub_f32_e32 v37, v46, v37
	v_add_f32_e32 v37, v38, v37
	v_add_f32_e32 v37, v37, v39
	;; [unrolled: 1-line block ×3, first 2 shown]
	v_cndmask_b32_e32 v36, v50, v36, vcc
	v_cmp_lt_f32_e64 vcc, |v51|, s33
	s_nop 1
	v_cndmask_b32_e32 v36, v36, v51, vcc
	v_add_f32_e32 v36, v35, v36
.LBB455_73:
	s_or_b64 exec, exec, s[0:1]
	v_bfe_u32 v35, v36, 16, 1
	s_movk_i32 s0, 0x7fff
	v_add3_u32 v35, v36, v35, s0
	v_cmp_o_f32_e32 vcc, v36, v36
	v_mov_b32_e32 v36, 0x7fc0
	s_nop 0
	v_cndmask_b32_sdwa v36, v36, v35, vcc dst_sel:DWORD dst_unused:UNUSED_PAD src0_sel:DWORD src1_sel:WORD_1
	v_and_b32_e32 v37, 0xffff, v36
.LBB455_74:
	s_or_b64 exec, exec, s[62:63]
	s_nop 0
	v_mov_b32_dpp v35, v37 row_bcast:31 row_mask:0xf bank_mask:0xf
	v_cmp_lt_u32_e32 vcc, 31, v34
	s_and_saveexec_b64 s[62:63], vcc
	s_cbranch_execz .LBB455_78
; %bb.75:
	v_lshlrev_b32_e32 v36, 16, v35
	v_lshlrev_b32_e32 v35, 16, v37
	v_max_f32_e32 v38, v35, v35
	v_max_f32_e32 v39, v36, v36
	v_min_f32_e32 v37, v39, v38
	v_cmp_u_f32_e32 vcc, v36, v36
	v_max_f32_e32 v38, v39, v38
	v_cmp_u_f32_e64 s[0:1], v35, v35
	v_cndmask_b32_e32 v37, v37, v36, vcc
	v_cndmask_b32_e32 v38, v38, v36, vcc
	v_cndmask_b32_e64 v37, v37, v35, s[0:1]
	v_cndmask_b32_e64 v35, v38, v35, s[0:1]
	s_movk_i32 s0, 0x1f8
	v_cmp_neq_f32_e32 vcc, v37, v35
	v_cmp_class_f32_e64 s[0:1], v37, s0
	s_or_b64 s[64:65], vcc, s[0:1]
	s_and_saveexec_b64 s[0:1], s[64:65]
	s_cbranch_execz .LBB455_77
; %bb.76:
	v_sub_f32_e32 v36, v37, v35
	s_mov_b32 s33, 0x3fb8aa3b
	v_mul_f32_e32 v37, 0x3fb8aa3b, v36
	v_fma_f32 v38, v36, s33, -v37
	v_rndne_f32_e32 v39, v37
	v_fmamk_f32 v38, v36, 0x32a5705f, v38
	v_sub_f32_e32 v37, v37, v39
	v_add_f32_e32 v37, v37, v38
	v_exp_f32_e32 v37, v37
	v_cvt_i32_f32_e32 v38, v39
	s_mov_b32 s33, 0xc2ce8ed0
	v_cmp_ngt_f32_e32 vcc, s33, v36
	s_mov_b32 s33, 0x42b17218
	v_ldexp_f32 v37, v37, v38
	v_cndmask_b32_e32 v37, 0, v37, vcc
	v_mov_b32_e32 v50, 0x7f800000
	v_cmp_nlt_f32_e32 vcc, s33, v36
	s_mov_b32 s33, 0x3f2aaaab
	s_mov_b32 s64, 0x7f800000
	v_cndmask_b32_e32 v51, v50, v37, vcc
	v_add_f32_e32 v38, 1.0, v51
	v_add_f32_e32 v36, -1.0, v38
	v_sub_f32_e32 v37, v36, v38
	v_add_f32_e32 v37, 1.0, v37
	v_sub_f32_e32 v36, v51, v36
	v_add_f32_e32 v39, v36, v37
	v_frexp_mant_f32_e32 v40, v38
	v_cvt_f64_f32_e32 v[36:37], v38
	v_frexp_exp_i32_f64_e32 v36, v[36:37]
	v_cmp_gt_f32_e32 vcc, s33, v40
	s_mov_b32 s33, 0x3f317218
	s_nop 0
	v_subbrev_co_u32_e32 v44, vcc, 0, v36, vcc
	v_sub_u32_e32 v36, 0, v44
	v_ldexp_f32 v37, v38, v36
	v_add_f32_e32 v38, -1.0, v37
	v_add_f32_e32 v40, 1.0, v37
	v_ldexp_f32 v36, v39, v36
	v_add_f32_e32 v39, 1.0, v38
	v_add_f32_e32 v41, -1.0, v40
	v_sub_f32_e32 v39, v37, v39
	v_sub_f32_e32 v37, v37, v41
	v_add_f32_e32 v39, v36, v39
	v_add_f32_e32 v36, v36, v37
	v_add_f32_e32 v45, v40, v36
	v_rcp_f32_e32 v47, v45
	v_sub_f32_e32 v37, v40, v45
	v_add_f32_e32 v46, v36, v37
	v_add_f32_e32 v37, v38, v39
	v_mul_f32_e32 v49, v37, v47
	v_sub_f32_e32 v36, v38, v37
	v_mul_f32_e32 v38, v45, v49
	v_fma_f32 v40, v49, v45, -v38
	v_fmac_f32_e32 v40, v49, v46
	v_add_f32_e32 v48, v39, v36
	v_add_f32_e32 v36, v38, v40
	v_sub_f32_e32 v39, v37, v36
	v_pk_add_f32 v[42:43], v[36:37], v[38:39] neg_lo:[0,1] neg_hi:[0,1]
	v_mov_b32_e32 v41, v36
	v_pk_add_f32 v[36:37], v[42:43], v[40:41] neg_lo:[0,1] neg_hi:[0,1]
	v_cmp_neq_f32_e32 vcc, s64, v51
	v_add_f32_e32 v37, v48, v37
	v_add_f32_e32 v36, v36, v37
	;; [unrolled: 1-line block ×3, first 2 shown]
	v_mul_f32_e32 v48, v47, v37
	v_mul_f32_e32 v38, v45, v48
	v_fma_f32 v40, v48, v45, -v38
	v_fmac_f32_e32 v40, v48, v46
	v_sub_f32_e32 v39, v39, v37
	v_add_f32_e32 v45, v36, v39
	v_add_f32_e32 v36, v38, v40
	v_sub_f32_e32 v39, v37, v36
	v_pk_add_f32 v[42:43], v[36:37], v[38:39] neg_lo:[0,1] neg_hi:[0,1]
	v_mov_b32_e32 v41, v36
	v_pk_add_f32 v[36:37], v[42:43], v[40:41] neg_lo:[0,1] neg_hi:[0,1]
	v_cvt_f32_i32_e32 v38, v44
	v_add_f32_e32 v37, v45, v37
	v_add_f32_e32 v36, v36, v37
	;; [unrolled: 1-line block ×4, first 2 shown]
	v_sub_f32_e32 v37, v39, v49
	v_mul_f32_e32 v36, v47, v36
	v_sub_f32_e32 v37, v48, v37
	v_add_f32_e32 v36, v37, v36
	v_add_f32_e32 v40, v39, v36
	v_mul_f32_e32 v42, v40, v40
	v_mov_b32_e32 v37, 0x3ecc95a3
	v_sub_f32_e32 v39, v40, v39
	v_fmac_f32_e32 v37, 0x3e9b6dac, v42
	v_sub_f32_e32 v36, v36, v39
	v_fmaak_f32 v37, v42, v37, 0x3f2aaada
	v_ldexp_f32 v43, v36, 1
	v_mul_f32_e32 v39, v40, v42
	v_mov_b32_e32 v36, 0x3f317218
	v_pk_mul_f32 v[36:37], v[38:39], v[36:37]
	v_ldexp_f32 v41, v40, 1
	v_fma_f32 v39, v38, s33, -v36
	v_fmamk_f32 v40, v38, 0xb102e308, v39
	v_pk_add_f32 v[38:39], v[36:37], v[40:41]
	v_mov_b32_e32 v42, v36
	v_sub_f32_e32 v41, v39, v41
	v_sub_f32_e32 v41, v37, v41
	v_add_f32_e32 v43, v43, v41
	v_pk_add_f32 v[36:37], v[38:39], v[36:37] neg_lo:[0,1] neg_hi:[0,1]
	v_pk_add_f32 v[44:45], v[38:39], v[42:43]
	v_mov_b32_e32 v41, v38
	v_mov_b32_e32 v37, v45
	v_pk_add_f32 v[46:47], v[40:41], v[36:37] neg_lo:[0,1] neg_hi:[0,1]
	v_pk_add_f32 v[36:37], v[40:41], v[36:37]
	v_mov_b32_e32 v42, v43
	v_pk_add_f32 v[40:41], v[36:37], v[38:39] op_sel:[1,0] op_sel_hi:[0,1] neg_lo:[0,1] neg_hi:[0,1]
	v_pk_add_f32 v[48:49], v[44:45], v[40:41] op_sel_hi:[1,0] neg_lo:[0,1] neg_hi:[0,1]
	v_mov_b32_e32 v44, v45
	v_mov_b32_e32 v45, v37
	v_pk_mov_b32 v[40:41], v[38:39], v[40:41] op_sel:[1,0]
	v_mov_b32_e32 v43, v38
	v_pk_add_f32 v[40:41], v[44:45], v[40:41] neg_lo:[0,1] neg_hi:[0,1]
	v_mov_b32_e32 v48, v46
	v_pk_add_f32 v[38:39], v[42:43], v[40:41] neg_lo:[0,1] neg_hi:[0,1]
	v_mov_b32_e32 v47, v37
	v_pk_add_f32 v[40:41], v[48:49], v[38:39]
	s_mov_b32 s33, 0x33800000
	v_pk_add_f32 v[42:43], v[40:41], v[40:41] op_sel:[0,1] op_sel_hi:[1,0]
	s_nop 0
	v_pk_add_f32 v[36:37], v[36:37], v[42:43] op_sel:[1,0] op_sel_hi:[0,1]
	v_mov_b32_e32 v41, v36
	v_pk_add_f32 v[44:45], v[40:41], v[46:47] neg_lo:[0,1] neg_hi:[0,1]
	v_mov_b32_e32 v39, v42
	v_sub_f32_e32 v37, v40, v44
	v_pk_add_f32 v[38:39], v[38:39], v[44:45] neg_lo:[0,1] neg_hi:[0,1]
	v_sub_f32_e32 v37, v46, v37
	v_add_f32_e32 v37, v38, v37
	v_add_f32_e32 v37, v37, v39
	;; [unrolled: 1-line block ×3, first 2 shown]
	v_cndmask_b32_e32 v36, v50, v36, vcc
	v_cmp_lt_f32_e64 vcc, |v51|, s33
	s_nop 1
	v_cndmask_b32_e32 v36, v36, v51, vcc
	v_add_f32_e32 v36, v35, v36
.LBB455_77:
	s_or_b64 exec, exec, s[0:1]
	v_bfe_u32 v35, v36, 16, 1
	s_movk_i32 s0, 0x7fff
	v_add3_u32 v35, v36, v35, s0
	v_cmp_o_f32_e32 vcc, v36, v36
	v_mov_b32_e32 v36, 0x7fc0
	s_nop 0
	v_cndmask_b32_sdwa v36, v36, v35, vcc dst_sel:DWORD dst_unused:UNUSED_PAD src0_sel:DWORD src1_sel:WORD_1
.LBB455_78:
	s_or_b64 exec, exec, s[62:63]
	v_or_b32_e32 v37, 63, v0
	v_lshrrev_b32_e32 v35, 6, v0
	v_cmp_eq_u32_e32 vcc, v0, v37
	s_and_saveexec_b64 s[0:1], vcc
; %bb.79:
	v_lshlrev_b32_e32 v37, 1, v35
	ds_write_b16 v37, v36
; %bb.80:
	s_or_b64 exec, exec, s[0:1]
	v_cmp_gt_u32_e32 vcc, 2, v0
	s_waitcnt lgkmcnt(0)
	s_barrier
	s_and_saveexec_b64 s[62:63], vcc
	s_cbranch_execz .LBB455_86
; %bb.81:
	ds_read_u16 v37, v8
	v_and_b32_e32 v40, 1, v34
	v_cmp_eq_u32_e32 vcc, 1, v40
	s_waitcnt lgkmcnt(0)
	v_and_b32_e32 v39, 0xffff, v37
	s_nop 1
	v_mov_b32_dpp v38, v39 row_shr:1 row_mask:0xf bank_mask:0xf
	s_and_saveexec_b64 s[64:65], vcc
	s_cbranch_execz .LBB455_85
; %bb.82:
	v_lshlrev_b32_e32 v38, 16, v38
	v_lshlrev_b32_e32 v37, 16, v39
	v_max_f32_e32 v40, v37, v37
	v_max_f32_e32 v41, v38, v38
	v_min_f32_e32 v39, v41, v40
	v_cmp_u_f32_e32 vcc, v38, v38
	v_max_f32_e32 v40, v41, v40
	v_cmp_u_f32_e64 s[0:1], v37, v37
	v_cndmask_b32_e32 v39, v39, v38, vcc
	v_cndmask_b32_e32 v40, v40, v38, vcc
	v_cndmask_b32_e64 v39, v39, v37, s[0:1]
	v_cndmask_b32_e64 v37, v40, v37, s[0:1]
	s_movk_i32 s0, 0x1f8
	v_cmp_neq_f32_e32 vcc, v39, v37
	v_cmp_class_f32_e64 s[0:1], v39, s0
	s_or_b64 s[66:67], vcc, s[0:1]
	s_and_saveexec_b64 s[0:1], s[66:67]
	s_cbranch_execz .LBB455_84
; %bb.83:
	v_sub_f32_e32 v38, v39, v37
	s_mov_b32 s33, 0x3fb8aa3b
	v_mul_f32_e32 v39, 0x3fb8aa3b, v38
	v_fma_f32 v40, v38, s33, -v39
	v_rndne_f32_e32 v41, v39
	v_fmamk_f32 v40, v38, 0x32a5705f, v40
	v_sub_f32_e32 v39, v39, v41
	v_add_f32_e32 v39, v39, v40
	v_exp_f32_e32 v39, v39
	v_cvt_i32_f32_e32 v40, v41
	s_mov_b32 s33, 0xc2ce8ed0
	v_cmp_ngt_f32_e32 vcc, s33, v38
	s_mov_b32 s33, 0x42b17218
	v_ldexp_f32 v39, v39, v40
	v_cndmask_b32_e32 v39, 0, v39, vcc
	v_mov_b32_e32 v52, 0x7f800000
	v_cmp_nlt_f32_e32 vcc, s33, v38
	s_mov_b32 s33, 0x3f2aaaab
	s_mov_b32 s66, 0x7f800000
	v_cndmask_b32_e32 v53, v52, v39, vcc
	v_add_f32_e32 v40, 1.0, v53
	v_add_f32_e32 v38, -1.0, v40
	v_sub_f32_e32 v39, v38, v40
	v_add_f32_e32 v39, 1.0, v39
	v_sub_f32_e32 v38, v53, v38
	v_add_f32_e32 v41, v38, v39
	v_frexp_mant_f32_e32 v42, v40
	v_cvt_f64_f32_e32 v[38:39], v40
	v_frexp_exp_i32_f64_e32 v38, v[38:39]
	v_cmp_gt_f32_e32 vcc, s33, v42
	s_mov_b32 s33, 0x3f317218
	s_nop 0
	v_subbrev_co_u32_e32 v46, vcc, 0, v38, vcc
	v_sub_u32_e32 v38, 0, v46
	v_ldexp_f32 v39, v40, v38
	v_add_f32_e32 v40, -1.0, v39
	v_add_f32_e32 v42, 1.0, v39
	v_ldexp_f32 v38, v41, v38
	v_add_f32_e32 v41, 1.0, v40
	v_add_f32_e32 v43, -1.0, v42
	v_sub_f32_e32 v41, v39, v41
	v_sub_f32_e32 v39, v39, v43
	v_add_f32_e32 v41, v38, v41
	v_add_f32_e32 v38, v38, v39
	v_add_f32_e32 v47, v42, v38
	v_rcp_f32_e32 v49, v47
	v_sub_f32_e32 v39, v42, v47
	v_add_f32_e32 v48, v38, v39
	v_add_f32_e32 v39, v40, v41
	v_mul_f32_e32 v51, v39, v49
	v_sub_f32_e32 v38, v40, v39
	v_mul_f32_e32 v40, v47, v51
	v_fma_f32 v42, v51, v47, -v40
	v_fmac_f32_e32 v42, v51, v48
	v_add_f32_e32 v50, v41, v38
	v_add_f32_e32 v38, v40, v42
	v_sub_f32_e32 v41, v39, v38
	v_pk_add_f32 v[44:45], v[38:39], v[40:41] neg_lo:[0,1] neg_hi:[0,1]
	v_mov_b32_e32 v43, v38
	v_pk_add_f32 v[38:39], v[44:45], v[42:43] neg_lo:[0,1] neg_hi:[0,1]
	v_cmp_neq_f32_e32 vcc, s66, v53
	v_add_f32_e32 v39, v50, v39
	v_add_f32_e32 v38, v38, v39
	;; [unrolled: 1-line block ×3, first 2 shown]
	v_mul_f32_e32 v50, v49, v39
	v_mul_f32_e32 v40, v47, v50
	v_fma_f32 v42, v50, v47, -v40
	v_fmac_f32_e32 v42, v50, v48
	v_sub_f32_e32 v41, v41, v39
	v_add_f32_e32 v47, v38, v41
	v_add_f32_e32 v38, v40, v42
	v_sub_f32_e32 v41, v39, v38
	v_pk_add_f32 v[44:45], v[38:39], v[40:41] neg_lo:[0,1] neg_hi:[0,1]
	v_mov_b32_e32 v43, v38
	v_pk_add_f32 v[38:39], v[44:45], v[42:43] neg_lo:[0,1] neg_hi:[0,1]
	v_cvt_f32_i32_e32 v40, v46
	v_add_f32_e32 v39, v47, v39
	v_add_f32_e32 v38, v38, v39
	v_add_f32_e32 v38, v41, v38
	v_add_f32_e32 v41, v51, v50
	v_sub_f32_e32 v39, v41, v51
	v_mul_f32_e32 v38, v49, v38
	v_sub_f32_e32 v39, v50, v39
	v_add_f32_e32 v38, v39, v38
	v_add_f32_e32 v42, v41, v38
	v_mul_f32_e32 v44, v42, v42
	v_mov_b32_e32 v39, 0x3ecc95a3
	v_sub_f32_e32 v41, v42, v41
	v_fmac_f32_e32 v39, 0x3e9b6dac, v44
	v_sub_f32_e32 v38, v38, v41
	v_fmaak_f32 v39, v44, v39, 0x3f2aaada
	v_ldexp_f32 v45, v38, 1
	v_mul_f32_e32 v41, v42, v44
	v_mov_b32_e32 v38, 0x3f317218
	v_pk_mul_f32 v[38:39], v[40:41], v[38:39]
	v_ldexp_f32 v43, v42, 1
	v_fma_f32 v41, v40, s33, -v38
	v_fmamk_f32 v42, v40, 0xb102e308, v41
	v_pk_add_f32 v[40:41], v[38:39], v[42:43]
	v_mov_b32_e32 v44, v38
	v_sub_f32_e32 v43, v41, v43
	v_sub_f32_e32 v43, v39, v43
	v_add_f32_e32 v45, v45, v43
	v_pk_add_f32 v[38:39], v[40:41], v[38:39] neg_lo:[0,1] neg_hi:[0,1]
	v_pk_add_f32 v[46:47], v[40:41], v[44:45]
	v_mov_b32_e32 v43, v40
	v_mov_b32_e32 v39, v47
	v_pk_add_f32 v[48:49], v[42:43], v[38:39] neg_lo:[0,1] neg_hi:[0,1]
	v_pk_add_f32 v[38:39], v[42:43], v[38:39]
	v_mov_b32_e32 v44, v45
	v_pk_add_f32 v[42:43], v[38:39], v[40:41] op_sel:[1,0] op_sel_hi:[0,1] neg_lo:[0,1] neg_hi:[0,1]
	v_pk_add_f32 v[50:51], v[46:47], v[42:43] op_sel_hi:[1,0] neg_lo:[0,1] neg_hi:[0,1]
	v_mov_b32_e32 v46, v47
	v_mov_b32_e32 v47, v39
	v_pk_mov_b32 v[42:43], v[40:41], v[42:43] op_sel:[1,0]
	v_mov_b32_e32 v45, v40
	v_pk_add_f32 v[42:43], v[46:47], v[42:43] neg_lo:[0,1] neg_hi:[0,1]
	v_mov_b32_e32 v50, v48
	v_pk_add_f32 v[40:41], v[44:45], v[42:43] neg_lo:[0,1] neg_hi:[0,1]
	v_mov_b32_e32 v49, v39
	v_pk_add_f32 v[42:43], v[50:51], v[40:41]
	s_mov_b32 s33, 0x33800000
	v_pk_add_f32 v[44:45], v[42:43], v[42:43] op_sel:[0,1] op_sel_hi:[1,0]
	s_nop 0
	v_pk_add_f32 v[38:39], v[38:39], v[44:45] op_sel:[1,0] op_sel_hi:[0,1]
	v_mov_b32_e32 v43, v38
	v_pk_add_f32 v[46:47], v[42:43], v[48:49] neg_lo:[0,1] neg_hi:[0,1]
	v_mov_b32_e32 v41, v44
	v_sub_f32_e32 v39, v42, v46
	v_pk_add_f32 v[40:41], v[40:41], v[46:47] neg_lo:[0,1] neg_hi:[0,1]
	v_sub_f32_e32 v39, v48, v39
	v_add_f32_e32 v39, v40, v39
	v_add_f32_e32 v39, v39, v41
	;; [unrolled: 1-line block ×3, first 2 shown]
	v_cndmask_b32_e32 v38, v52, v38, vcc
	v_cmp_lt_f32_e64 vcc, |v53|, s33
	s_nop 1
	v_cndmask_b32_e32 v38, v38, v53, vcc
	v_add_f32_e32 v38, v37, v38
.LBB455_84:
	s_or_b64 exec, exec, s[0:1]
	v_bfe_u32 v37, v38, 16, 1
	s_movk_i32 s0, 0x7fff
	v_add3_u32 v37, v38, v37, s0
	v_cmp_o_f32_e32 vcc, v38, v38
	v_mov_b32_e32 v38, 0x7fc0
	s_nop 0
	v_cndmask_b32_sdwa v37, v38, v37, vcc dst_sel:DWORD dst_unused:UNUSED_PAD src0_sel:DWORD src1_sel:WORD_1
.LBB455_85:
	s_or_b64 exec, exec, s[64:65]
	ds_write_b16 v8, v37
.LBB455_86:
	s_or_b64 exec, exec, s[62:63]
	v_cmp_lt_u32_e32 vcc, 63, v0
	s_waitcnt lgkmcnt(0)
	s_barrier
                                        ; implicit-def: $vgpr37
	s_and_saveexec_b64 s[62:63], vcc
	s_cbranch_execz .LBB455_90
; %bb.87:
	v_lshl_add_u32 v35, v35, 1, -2
	ds_read_u16 v37, v35
	v_lshlrev_b32_e32 v35, 16, v36
	v_max_f32_e32 v39, v35, v35
	v_cmp_u_f32_e64 s[0:1], v35, v35
	s_waitcnt lgkmcnt(0)
	v_lshlrev_b32_e32 v36, 16, v37
	v_max_f32_e32 v40, v36, v36
	v_min_f32_e32 v38, v40, v39
	v_cmp_u_f32_e32 vcc, v36, v36
	v_max_f32_e32 v39, v40, v39
	s_nop 0
	v_cndmask_b32_e32 v38, v38, v36, vcc
	v_cndmask_b32_e32 v39, v39, v36, vcc
	v_cndmask_b32_e64 v38, v38, v35, s[0:1]
	v_cndmask_b32_e64 v35, v39, v35, s[0:1]
	s_movk_i32 s0, 0x1f8
	v_cmp_neq_f32_e32 vcc, v38, v35
	v_cmp_class_f32_e64 s[0:1], v38, s0
	s_or_b64 s[64:65], vcc, s[0:1]
	s_and_saveexec_b64 s[0:1], s[64:65]
	s_cbranch_execz .LBB455_89
; %bb.88:
	v_sub_f32_e32 v36, v38, v35
	s_mov_b32 s33, 0x3fb8aa3b
	v_mul_f32_e32 v38, 0x3fb8aa3b, v36
	v_fma_f32 v39, v36, s33, -v38
	v_rndne_f32_e32 v40, v38
	v_fmamk_f32 v39, v36, 0x32a5705f, v39
	v_sub_f32_e32 v38, v38, v40
	v_add_f32_e32 v38, v38, v39
	v_exp_f32_e32 v38, v38
	v_cvt_i32_f32_e32 v39, v40
	s_mov_b32 s33, 0xc2ce8ed0
	v_cmp_ngt_f32_e32 vcc, s33, v36
	s_mov_b32 s33, 0x42b17218
	v_ldexp_f32 v38, v38, v39
	v_cndmask_b32_e32 v38, 0, v38, vcc
	v_mov_b32_e32 v52, 0x7f800000
	v_cmp_nlt_f32_e32 vcc, s33, v36
	s_mov_b32 s33, 0x3f2aaaab
	s_mov_b32 s64, 0x7f800000
	v_cndmask_b32_e32 v36, v52, v38, vcc
	v_add_f32_e32 v40, 1.0, v36
	v_add_f32_e32 v38, -1.0, v40
	v_sub_f32_e32 v39, v38, v40
	v_add_f32_e32 v39, 1.0, v39
	v_sub_f32_e32 v38, v36, v38
	v_add_f32_e32 v41, v38, v39
	v_frexp_mant_f32_e32 v42, v40
	v_cvt_f64_f32_e32 v[38:39], v40
	v_frexp_exp_i32_f64_e32 v38, v[38:39]
	v_cmp_gt_f32_e32 vcc, s33, v42
	s_mov_b32 s33, 0x3f317218
	s_nop 0
	v_subbrev_co_u32_e32 v46, vcc, 0, v38, vcc
	v_sub_u32_e32 v38, 0, v46
	v_ldexp_f32 v39, v40, v38
	v_add_f32_e32 v40, -1.0, v39
	v_add_f32_e32 v42, 1.0, v39
	v_ldexp_f32 v38, v41, v38
	v_add_f32_e32 v41, 1.0, v40
	v_add_f32_e32 v43, -1.0, v42
	v_sub_f32_e32 v41, v39, v41
	v_sub_f32_e32 v39, v39, v43
	v_add_f32_e32 v41, v38, v41
	v_add_f32_e32 v38, v38, v39
	v_add_f32_e32 v47, v42, v38
	v_rcp_f32_e32 v49, v47
	v_sub_f32_e32 v39, v42, v47
	v_add_f32_e32 v48, v38, v39
	v_add_f32_e32 v39, v40, v41
	v_mul_f32_e32 v51, v39, v49
	v_sub_f32_e32 v38, v40, v39
	v_mul_f32_e32 v40, v47, v51
	v_fma_f32 v42, v51, v47, -v40
	v_fmac_f32_e32 v42, v51, v48
	v_add_f32_e32 v50, v41, v38
	v_add_f32_e32 v38, v40, v42
	v_sub_f32_e32 v41, v39, v38
	v_pk_add_f32 v[44:45], v[38:39], v[40:41] neg_lo:[0,1] neg_hi:[0,1]
	v_mov_b32_e32 v43, v38
	v_pk_add_f32 v[38:39], v[44:45], v[42:43] neg_lo:[0,1] neg_hi:[0,1]
	v_cmp_neq_f32_e32 vcc, s64, v36
	v_add_f32_e32 v39, v50, v39
	v_add_f32_e32 v38, v38, v39
	;; [unrolled: 1-line block ×3, first 2 shown]
	v_mul_f32_e32 v50, v49, v39
	v_mul_f32_e32 v40, v47, v50
	v_fma_f32 v42, v50, v47, -v40
	v_fmac_f32_e32 v42, v50, v48
	v_sub_f32_e32 v41, v41, v39
	v_add_f32_e32 v47, v38, v41
	v_add_f32_e32 v38, v40, v42
	v_sub_f32_e32 v41, v39, v38
	v_pk_add_f32 v[44:45], v[38:39], v[40:41] neg_lo:[0,1] neg_hi:[0,1]
	v_mov_b32_e32 v43, v38
	v_pk_add_f32 v[38:39], v[44:45], v[42:43] neg_lo:[0,1] neg_hi:[0,1]
	v_cvt_f32_i32_e32 v40, v46
	v_add_f32_e32 v39, v47, v39
	v_add_f32_e32 v38, v38, v39
	v_add_f32_e32 v38, v41, v38
	v_add_f32_e32 v41, v51, v50
	v_sub_f32_e32 v39, v41, v51
	v_mul_f32_e32 v38, v49, v38
	v_sub_f32_e32 v39, v50, v39
	v_add_f32_e32 v38, v39, v38
	v_add_f32_e32 v42, v41, v38
	v_mul_f32_e32 v44, v42, v42
	v_mov_b32_e32 v39, 0x3ecc95a3
	v_sub_f32_e32 v41, v42, v41
	v_fmac_f32_e32 v39, 0x3e9b6dac, v44
	v_sub_f32_e32 v38, v38, v41
	v_fmaak_f32 v39, v44, v39, 0x3f2aaada
	v_ldexp_f32 v45, v38, 1
	v_mul_f32_e32 v41, v42, v44
	v_mov_b32_e32 v38, 0x3f317218
	v_pk_mul_f32 v[38:39], v[40:41], v[38:39]
	v_ldexp_f32 v43, v42, 1
	v_fma_f32 v41, v40, s33, -v38
	v_fmamk_f32 v42, v40, 0xb102e308, v41
	v_pk_add_f32 v[40:41], v[38:39], v[42:43]
	v_mov_b32_e32 v44, v38
	v_sub_f32_e32 v43, v41, v43
	v_sub_f32_e32 v43, v39, v43
	v_add_f32_e32 v45, v45, v43
	v_pk_add_f32 v[38:39], v[40:41], v[38:39] neg_lo:[0,1] neg_hi:[0,1]
	v_pk_add_f32 v[46:47], v[40:41], v[44:45]
	v_mov_b32_e32 v43, v40
	v_mov_b32_e32 v39, v47
	v_pk_add_f32 v[48:49], v[42:43], v[38:39] neg_lo:[0,1] neg_hi:[0,1]
	v_pk_add_f32 v[38:39], v[42:43], v[38:39]
	v_mov_b32_e32 v44, v45
	v_pk_add_f32 v[42:43], v[38:39], v[40:41] op_sel:[1,0] op_sel_hi:[0,1] neg_lo:[0,1] neg_hi:[0,1]
	v_pk_add_f32 v[50:51], v[46:47], v[42:43] op_sel_hi:[1,0] neg_lo:[0,1] neg_hi:[0,1]
	v_mov_b32_e32 v46, v47
	v_mov_b32_e32 v47, v39
	v_pk_mov_b32 v[42:43], v[40:41], v[42:43] op_sel:[1,0]
	v_mov_b32_e32 v45, v40
	v_pk_add_f32 v[42:43], v[46:47], v[42:43] neg_lo:[0,1] neg_hi:[0,1]
	v_mov_b32_e32 v50, v48
	v_pk_add_f32 v[40:41], v[44:45], v[42:43] neg_lo:[0,1] neg_hi:[0,1]
	v_mov_b32_e32 v49, v39
	v_pk_add_f32 v[42:43], v[50:51], v[40:41]
	s_mov_b32 s33, 0x33800000
	v_pk_add_f32 v[44:45], v[42:43], v[42:43] op_sel:[0,1] op_sel_hi:[1,0]
	s_nop 0
	v_pk_add_f32 v[38:39], v[38:39], v[44:45] op_sel:[1,0] op_sel_hi:[0,1]
	v_mov_b32_e32 v43, v38
	v_pk_add_f32 v[46:47], v[42:43], v[48:49] neg_lo:[0,1] neg_hi:[0,1]
	v_mov_b32_e32 v41, v44
	v_sub_f32_e32 v39, v42, v46
	v_pk_add_f32 v[40:41], v[40:41], v[46:47] neg_lo:[0,1] neg_hi:[0,1]
	v_sub_f32_e32 v39, v48, v39
	v_add_f32_e32 v39, v40, v39
	v_add_f32_e32 v39, v39, v41
	;; [unrolled: 1-line block ×3, first 2 shown]
	v_cndmask_b32_e32 v38, v52, v38, vcc
	v_cmp_lt_f32_e64 vcc, |v36|, s33
	s_nop 1
	v_cndmask_b32_e32 v36, v38, v36, vcc
	v_add_f32_e32 v36, v35, v36
.LBB455_89:
	s_or_b64 exec, exec, s[0:1]
	v_bfe_u32 v35, v36, 16, 1
	s_movk_i32 s0, 0x7fff
	v_add3_u32 v35, v36, v35, s0
	v_cmp_o_f32_e32 vcc, v36, v36
	v_mov_b32_e32 v36, 0x7fc0
	s_nop 0
	v_cndmask_b32_sdwa v36, v36, v35, vcc dst_sel:DWORD dst_unused:UNUSED_PAD src0_sel:DWORD src1_sel:WORD_1
.LBB455_90:
	s_or_b64 exec, exec, s[62:63]
	v_add_u32_e32 v35, -1, v34
	v_and_b32_e32 v38, 64, v34
	v_cmp_lt_i32_e32 vcc, v35, v38
	v_and_b32_e32 v36, 0xffff, v36
	s_nop 0
	v_cndmask_b32_e32 v35, v35, v34, vcc
	v_lshlrev_b32_e32 v35, 2, v35
	ds_bpermute_b32 v35, v35, v36
	v_cmp_ne_u32_e32 vcc, 0, v0
	s_and_saveexec_b64 s[0:1], vcc
	s_cbranch_execz .LBB455_94
; %bb.91:
	v_cmp_eq_u32_e32 vcc, 0, v34
	s_movk_i32 s33, 0x1f8
	s_waitcnt lgkmcnt(0)
	v_cndmask_b32_sdwa v30, v35, v37, vcc dst_sel:WORD_1 dst_unused:UNUSED_PAD src0_sel:DWORD src1_sel:DWORD
	s_nop 0
	v_max_f32_e32 v2, v30, v30
	v_min_f32_e32 v32, v2, v31
	v_cmp_u_f32_e32 vcc, v30, v30
	v_max_f32_e32 v2, v2, v31
	s_nop 0
	v_cndmask_b32_e32 v32, v32, v30, vcc
	v_cndmask_b32_e32 v2, v2, v30, vcc
	v_cndmask_b32_e64 v32, v32, v29, s[56:57]
	v_cndmask_b32_e64 v2, v2, v29, s[56:57]
	v_cmp_neq_f32_e32 vcc, v32, v2
	v_cmp_class_f32_e64 s[56:57], v32, s33
	s_or_b64 s[62:63], vcc, s[56:57]
	s_and_saveexec_b64 s[56:57], s[62:63]
	s_cbranch_execz .LBB455_93
; %bb.92:
	v_sub_f32_e32 v29, v32, v2
	s_mov_b32 s33, 0x3fb8aa3b
	v_mul_f32_e32 v30, 0x3fb8aa3b, v29
	v_fma_f32 v31, v29, s33, -v30
	v_rndne_f32_e32 v32, v30
	v_fmamk_f32 v31, v29, 0x32a5705f, v31
	v_sub_f32_e32 v30, v30, v32
	v_add_f32_e32 v30, v30, v31
	v_exp_f32_e32 v30, v30
	v_cvt_i32_f32_e32 v31, v32
	s_mov_b32 s33, 0xc2ce8ed0
	v_cmp_ngt_f32_e32 vcc, s33, v29
	s_mov_b32 s33, 0x42b17218
	v_ldexp_f32 v30, v30, v31
	v_cndmask_b32_e32 v30, 0, v30, vcc
	v_mov_b32_e32 v32, 0x7f800000
	v_cmp_nlt_f32_e32 vcc, s33, v29
	s_mov_b32 s33, 0x3f2aaaab
	s_mov_b32 s62, 0x7f800000
	v_cndmask_b32_e32 v29, v32, v30, vcc
	v_add_f32_e32 v34, 1.0, v29
	v_add_f32_e32 v30, -1.0, v34
	v_sub_f32_e32 v31, v30, v34
	v_add_f32_e32 v31, 1.0, v31
	v_sub_f32_e32 v30, v29, v30
	v_add_f32_e32 v35, v30, v31
	v_frexp_mant_f32_e32 v36, v34
	v_cvt_f64_f32_e32 v[30:31], v34
	v_frexp_exp_i32_f64_e32 v30, v[30:31]
	v_cmp_gt_f32_e32 vcc, s33, v36
	s_mov_b32 s33, 0x3f317218
	s_nop 0
	v_subbrev_co_u32_e32 v40, vcc, 0, v30, vcc
	v_sub_u32_e32 v30, 0, v40
	v_ldexp_f32 v31, v34, v30
	v_add_f32_e32 v34, -1.0, v31
	v_add_f32_e32 v36, 1.0, v31
	v_ldexp_f32 v30, v35, v30
	v_add_f32_e32 v35, 1.0, v34
	v_add_f32_e32 v37, -1.0, v36
	v_sub_f32_e32 v35, v31, v35
	v_sub_f32_e32 v31, v31, v37
	v_add_f32_e32 v35, v30, v35
	v_add_f32_e32 v30, v30, v31
	;; [unrolled: 1-line block ×3, first 2 shown]
	v_rcp_f32_e32 v43, v41
	v_sub_f32_e32 v31, v36, v41
	v_add_f32_e32 v42, v30, v31
	v_add_f32_e32 v31, v34, v35
	v_mul_f32_e32 v45, v31, v43
	v_sub_f32_e32 v30, v34, v31
	v_mul_f32_e32 v34, v41, v45
	v_fma_f32 v36, v45, v41, -v34
	v_fmac_f32_e32 v36, v45, v42
	v_add_f32_e32 v44, v35, v30
	v_add_f32_e32 v30, v34, v36
	v_sub_f32_e32 v35, v31, v30
	v_pk_add_f32 v[38:39], v[30:31], v[34:35] neg_lo:[0,1] neg_hi:[0,1]
	v_mov_b32_e32 v37, v30
	v_pk_add_f32 v[30:31], v[38:39], v[36:37] neg_lo:[0,1] neg_hi:[0,1]
	v_cmp_neq_f32_e32 vcc, s62, v29
	v_add_f32_e32 v31, v44, v31
	v_add_f32_e32 v30, v30, v31
	;; [unrolled: 1-line block ×3, first 2 shown]
	v_mul_f32_e32 v44, v43, v31
	v_mul_f32_e32 v34, v41, v44
	v_fma_f32 v36, v44, v41, -v34
	v_fmac_f32_e32 v36, v44, v42
	v_sub_f32_e32 v35, v35, v31
	v_add_f32_e32 v41, v30, v35
	v_add_f32_e32 v30, v34, v36
	v_sub_f32_e32 v35, v31, v30
	v_pk_add_f32 v[38:39], v[30:31], v[34:35] neg_lo:[0,1] neg_hi:[0,1]
	v_mov_b32_e32 v37, v30
	v_pk_add_f32 v[30:31], v[38:39], v[36:37] neg_lo:[0,1] neg_hi:[0,1]
	v_cvt_f32_i32_e32 v34, v40
	v_add_f32_e32 v31, v41, v31
	v_add_f32_e32 v30, v30, v31
	;; [unrolled: 1-line block ×4, first 2 shown]
	v_sub_f32_e32 v31, v35, v45
	v_mul_f32_e32 v30, v43, v30
	v_sub_f32_e32 v31, v44, v31
	v_add_f32_e32 v30, v31, v30
	v_add_f32_e32 v36, v35, v30
	v_mul_f32_e32 v38, v36, v36
	v_mov_b32_e32 v31, 0x3ecc95a3
	v_sub_f32_e32 v35, v36, v35
	v_fmac_f32_e32 v31, 0x3e9b6dac, v38
	v_sub_f32_e32 v30, v30, v35
	v_fmaak_f32 v31, v38, v31, 0x3f2aaada
	v_ldexp_f32 v39, v30, 1
	v_mul_f32_e32 v35, v36, v38
	v_mov_b32_e32 v30, 0x3f317218
	v_pk_mul_f32 v[30:31], v[34:35], v[30:31]
	v_ldexp_f32 v37, v36, 1
	v_fma_f32 v35, v34, s33, -v30
	v_fmamk_f32 v36, v34, 0xb102e308, v35
	v_pk_add_f32 v[34:35], v[30:31], v[36:37]
	v_mov_b32_e32 v38, v30
	v_sub_f32_e32 v37, v35, v37
	v_sub_f32_e32 v37, v31, v37
	v_add_f32_e32 v39, v39, v37
	v_pk_add_f32 v[30:31], v[34:35], v[30:31] neg_lo:[0,1] neg_hi:[0,1]
	v_pk_add_f32 v[40:41], v[34:35], v[38:39]
	v_mov_b32_e32 v37, v34
	v_mov_b32_e32 v31, v41
	v_pk_add_f32 v[42:43], v[36:37], v[30:31] neg_lo:[0,1] neg_hi:[0,1]
	v_pk_add_f32 v[30:31], v[36:37], v[30:31]
	v_mov_b32_e32 v38, v39
	v_pk_add_f32 v[36:37], v[30:31], v[34:35] op_sel:[1,0] op_sel_hi:[0,1] neg_lo:[0,1] neg_hi:[0,1]
	v_pk_add_f32 v[44:45], v[40:41], v[36:37] op_sel_hi:[1,0] neg_lo:[0,1] neg_hi:[0,1]
	v_mov_b32_e32 v40, v41
	v_mov_b32_e32 v41, v31
	v_pk_mov_b32 v[36:37], v[34:35], v[36:37] op_sel:[1,0]
	v_mov_b32_e32 v39, v34
	v_pk_add_f32 v[36:37], v[40:41], v[36:37] neg_lo:[0,1] neg_hi:[0,1]
	v_mov_b32_e32 v44, v42
	v_pk_add_f32 v[34:35], v[38:39], v[36:37] neg_lo:[0,1] neg_hi:[0,1]
	v_mov_b32_e32 v43, v31
	v_pk_add_f32 v[36:37], v[44:45], v[34:35]
	s_mov_b32 s33, 0x33800000
	v_pk_add_f32 v[38:39], v[36:37], v[36:37] op_sel:[0,1] op_sel_hi:[1,0]
	s_nop 0
	v_pk_add_f32 v[30:31], v[30:31], v[38:39] op_sel:[1,0] op_sel_hi:[0,1]
	v_mov_b32_e32 v37, v30
	v_pk_add_f32 v[40:41], v[36:37], v[42:43] neg_lo:[0,1] neg_hi:[0,1]
	v_mov_b32_e32 v35, v38
	v_sub_f32_e32 v31, v36, v40
	v_pk_add_f32 v[34:35], v[34:35], v[40:41] neg_lo:[0,1] neg_hi:[0,1]
	v_sub_f32_e32 v31, v42, v31
	v_add_f32_e32 v31, v34, v31
	v_add_f32_e32 v31, v31, v35
	;; [unrolled: 1-line block ×3, first 2 shown]
	v_cndmask_b32_e32 v30, v32, v30, vcc
	v_cmp_lt_f32_e64 vcc, |v29|, s33
	s_nop 1
	v_cndmask_b32_e32 v29, v30, v29, vcc
	v_add_f32_e32 v30, v2, v29
.LBB455_93:
	s_or_b64 exec, exec, s[56:57]
	v_bfe_u32 v2, v30, 16, 1
	s_movk_i32 s33, 0x7fff
	v_add3_u32 v2, v30, v2, s33
	v_cmp_o_f32_e32 vcc, v30, v30
	v_mov_b32_e32 v29, 0x7fc0
	;;#ASMSTART
	;;#ASMEND
	s_nop 0
	v_cndmask_b32_sdwa v2, v29, v2, vcc dst_sel:DWORD dst_unused:UNUSED_PAD src0_sel:DWORD src1_sel:WORD_1
	v_lshlrev_b32_e32 v29, 16, v2
	v_max_f32_e32 v31, v29, v29
	v_min_f32_e32 v30, v31, v16
	v_max_f32_e32 v32, v31, v16
.LBB455_94:
	s_or_b64 exec, exec, s[0:1]
	v_cmp_u_f32_e32 vcc, v29, v29
	s_nop 1
	v_cndmask_b32_e32 v16, v30, v29, vcc
	v_cndmask_b32_e32 v30, v32, v29, vcc
	v_cndmask_b32_e64 v16, v16, v1, s[28:29]
	v_cndmask_b32_e64 v1, v30, v1, s[28:29]
	s_movk_i32 s28, 0x1f8
	v_cmp_neq_f32_e32 vcc, v16, v1
	v_cmp_class_f32_e64 s[0:1], v16, s28
	s_or_b64 s[56:57], vcc, s[0:1]
	s_and_saveexec_b64 s[0:1], s[56:57]
	s_cbranch_execz .LBB455_96
; %bb.95:
	v_sub_f32_e32 v16, v16, v1
	s_mov_b32 s29, 0x3fb8aa3b
	v_mul_f32_e32 v29, 0x3fb8aa3b, v16
	v_fma_f32 v30, v16, s29, -v29
	v_rndne_f32_e32 v31, v29
	v_fmamk_f32 v30, v16, 0x32a5705f, v30
	v_sub_f32_e32 v29, v29, v31
	v_add_f32_e32 v29, v29, v30
	v_exp_f32_e32 v29, v29
	v_cvt_i32_f32_e32 v30, v31
	s_mov_b32 s29, 0xc2ce8ed0
	v_cmp_ngt_f32_e32 vcc, s29, v16
	s_mov_b32 s29, 0x42b17218
	v_ldexp_f32 v29, v29, v30
	v_cndmask_b32_e32 v29, 0, v29, vcc
	v_mov_b32_e32 v32, 0x7f800000
	v_cmp_nlt_f32_e32 vcc, s29, v16
	s_mov_b32 s29, 0x3f2aaaab
	s_mov_b32 s33, 0x7f800000
	v_cndmask_b32_e32 v16, v32, v29, vcc
	v_add_f32_e32 v29, 1.0, v16
	v_add_f32_e32 v30, -1.0, v29
	v_sub_f32_e32 v31, v30, v29
	v_add_f32_e32 v31, 1.0, v31
	v_sub_f32_e32 v30, v16, v30
	v_add_f32_e32 v34, v30, v31
	s_waitcnt lgkmcnt(0)
	v_frexp_mant_f32_e32 v35, v29
	v_cvt_f64_f32_e32 v[30:31], v29
	v_frexp_exp_i32_f64_e32 v30, v[30:31]
	v_cmp_gt_f32_e32 vcc, s29, v35
	s_mov_b32 s29, 0x3f317218
	s_nop 0
	v_subbrev_co_u32_e32 v40, vcc, 0, v30, vcc
	v_sub_u32_e32 v30, 0, v40
	v_ldexp_f32 v29, v29, v30
	v_ldexp_f32 v30, v34, v30
	v_add_f32_e32 v34, -1.0, v29
	v_add_f32_e32 v31, 1.0, v34
	v_sub_f32_e32 v31, v29, v31
	v_add_f32_e32 v35, v30, v31
	v_add_f32_e32 v31, 1.0, v29
	v_add_f32_e32 v36, -1.0, v31
	v_sub_f32_e32 v29, v29, v36
	v_add_f32_e32 v29, v30, v29
	v_add_f32_e32 v41, v31, v29
	v_rcp_f32_e32 v42, v41
	v_sub_f32_e32 v30, v31, v41
	v_add_f32_e32 v31, v34, v35
	v_add_f32_e32 v29, v29, v30
	v_mul_f32_e32 v44, v31, v42
	v_sub_f32_e32 v30, v34, v31
	v_mul_f32_e32 v34, v41, v44
	v_fma_f32 v36, v44, v41, -v34
	v_fmac_f32_e32 v36, v44, v29
	v_add_f32_e32 v43, v35, v30
	v_add_f32_e32 v30, v34, v36
	v_sub_f32_e32 v35, v31, v30
	v_pk_add_f32 v[38:39], v[30:31], v[34:35] neg_lo:[0,1] neg_hi:[0,1]
	v_mov_b32_e32 v37, v30
	v_pk_add_f32 v[30:31], v[38:39], v[36:37] neg_lo:[0,1] neg_hi:[0,1]
	v_cmp_neq_f32_e32 vcc, s33, v16
	v_add_f32_e32 v31, v43, v31
	v_add_f32_e32 v30, v30, v31
	;; [unrolled: 1-line block ×3, first 2 shown]
	v_mul_f32_e32 v43, v42, v31
	v_mul_f32_e32 v34, v41, v43
	v_fma_f32 v36, v43, v41, -v34
	v_fmac_f32_e32 v36, v43, v29
	v_sub_f32_e32 v29, v35, v31
	v_add_f32_e32 v29, v30, v29
	v_add_f32_e32 v30, v34, v36
	v_sub_f32_e32 v35, v31, v30
	v_pk_add_f32 v[38:39], v[30:31], v[34:35] neg_lo:[0,1] neg_hi:[0,1]
	v_mov_b32_e32 v37, v30
	v_pk_add_f32 v[30:31], v[38:39], v[36:37] neg_lo:[0,1] neg_hi:[0,1]
	v_cvt_f32_i32_e32 v34, v40
	v_add_f32_e32 v29, v29, v31
	v_add_f32_e32 v29, v30, v29
	;; [unrolled: 1-line block ×4, first 2 shown]
	v_sub_f32_e32 v31, v30, v44
	v_mul_f32_e32 v29, v42, v29
	v_sub_f32_e32 v31, v43, v31
	v_add_f32_e32 v29, v31, v29
	v_add_f32_e32 v35, v30, v29
	v_mul_f32_e32 v36, v35, v35
	v_mov_b32_e32 v31, 0x3ecc95a3
	v_fmac_f32_e32 v31, 0x3e9b6dac, v36
	v_sub_f32_e32 v30, v35, v30
	v_fmaak_f32 v31, v36, v31, 0x3f2aaada
	v_sub_f32_e32 v29, v29, v30
	v_ldexp_f32 v37, v35, 1
	v_mul_f32_e32 v35, v35, v36
	v_mov_b32_e32 v30, 0x3f317218
	v_pk_mul_f32 v[30:31], v[34:35], v[30:31]
	v_ldexp_f32 v29, v29, 1
	v_fma_f32 v35, v34, s29, -v30
	v_fmamk_f32 v36, v34, 0xb102e308, v35
	v_pk_add_f32 v[34:35], v[30:31], v[36:37]
	v_mov_b32_e32 v38, v30
	v_sub_f32_e32 v37, v35, v37
	v_sub_f32_e32 v37, v31, v37
	v_add_f32_e32 v39, v29, v37
	v_pk_add_f32 v[30:31], v[34:35], v[30:31] neg_lo:[0,1] neg_hi:[0,1]
	v_pk_add_f32 v[40:41], v[34:35], v[38:39]
	v_mov_b32_e32 v37, v34
	v_mov_b32_e32 v31, v41
	v_pk_add_f32 v[42:43], v[36:37], v[30:31] neg_lo:[0,1] neg_hi:[0,1]
	v_pk_add_f32 v[30:31], v[36:37], v[30:31]
	v_mov_b32_e32 v38, v39
	v_pk_add_f32 v[36:37], v[30:31], v[34:35] op_sel:[1,0] op_sel_hi:[0,1] neg_lo:[0,1] neg_hi:[0,1]
	v_pk_add_f32 v[44:45], v[40:41], v[36:37] op_sel_hi:[1,0] neg_lo:[0,1] neg_hi:[0,1]
	v_mov_b32_e32 v40, v41
	v_mov_b32_e32 v41, v31
	v_pk_mov_b32 v[36:37], v[34:35], v[36:37] op_sel:[1,0]
	v_mov_b32_e32 v39, v34
	v_pk_add_f32 v[36:37], v[40:41], v[36:37] neg_lo:[0,1] neg_hi:[0,1]
	v_mov_b32_e32 v44, v42
	v_pk_add_f32 v[34:35], v[38:39], v[36:37] neg_lo:[0,1] neg_hi:[0,1]
	v_mov_b32_e32 v43, v31
	v_pk_add_f32 v[36:37], v[44:45], v[34:35]
	s_mov_b32 s29, 0x33800000
	v_pk_add_f32 v[38:39], v[36:37], v[36:37] op_sel:[0,1] op_sel_hi:[1,0]
	s_nop 0
	v_pk_add_f32 v[30:31], v[30:31], v[38:39] op_sel:[1,0] op_sel_hi:[0,1]
	v_mov_b32_e32 v37, v30
	v_pk_add_f32 v[40:41], v[36:37], v[42:43] neg_lo:[0,1] neg_hi:[0,1]
	v_mov_b32_e32 v35, v38
	v_sub_f32_e32 v29, v36, v40
	v_pk_add_f32 v[34:35], v[34:35], v[40:41] neg_lo:[0,1] neg_hi:[0,1]
	v_sub_f32_e32 v29, v42, v29
	v_add_f32_e32 v29, v34, v29
	v_add_f32_e32 v29, v29, v35
	;; [unrolled: 1-line block ×3, first 2 shown]
	v_cndmask_b32_e32 v29, v32, v29, vcc
	v_cmp_lt_f32_e64 vcc, |v16|, s29
	s_nop 1
	v_cndmask_b32_e32 v16, v29, v16, vcc
	v_add_f32_e32 v29, v1, v16
.LBB455_96:
	s_or_b64 exec, exec, s[0:1]
	v_bfe_u32 v1, v29, 16, 1
	s_movk_i32 s29, 0x7fff
	v_add3_u32 v1, v29, v1, s29
	v_cmp_o_f32_e32 vcc, v29, v29
	v_mov_b32_e32 v16, 0x7fc0
	s_nop 0
	v_cndmask_b32_sdwa v1, v16, v1, vcc dst_sel:DWORD dst_unused:UNUSED_PAD src0_sel:DWORD src1_sel:WORD_1
	v_lshlrev_b32_e32 v29, 16, v1
	v_max_f32_e32 v31, v29, v29
	v_min_f32_e32 v30, v31, v10
	v_cmp_u_f32_e32 vcc, v29, v29
	v_max_f32_e32 v10, v31, v10
	s_nop 0
	v_cndmask_b32_e32 v30, v30, v29, vcc
	v_cndmask_b32_e32 v10, v10, v29, vcc
	v_cndmask_b32_e64 v30, v30, v9, s[30:31]
	v_cndmask_b32_e64 v9, v10, v9, s[30:31]
	v_cmp_neq_f32_e32 vcc, v30, v9
	v_cmp_class_f32_e64 s[0:1], v30, s28
	s_or_b64 s[30:31], vcc, s[0:1]
	s_and_saveexec_b64 s[0:1], s[30:31]
	s_cbranch_execz .LBB455_98
; %bb.97:
	v_sub_f32_e32 v10, v30, v9
	s_mov_b32 s28, 0x3fb8aa3b
	v_mul_f32_e32 v29, 0x3fb8aa3b, v10
	v_fma_f32 v30, v10, s28, -v29
	v_rndne_f32_e32 v31, v29
	v_fmamk_f32 v30, v10, 0x32a5705f, v30
	v_sub_f32_e32 v29, v29, v31
	v_add_f32_e32 v29, v29, v30
	v_exp_f32_e32 v29, v29
	v_cvt_i32_f32_e32 v30, v31
	s_mov_b32 s28, 0xc2ce8ed0
	v_cmp_ngt_f32_e32 vcc, s28, v10
	s_mov_b32 s28, 0x42b17218
	v_ldexp_f32 v29, v29, v30
	v_cndmask_b32_e32 v29, 0, v29, vcc
	v_mov_b32_e32 v32, 0x7f800000
	v_cmp_nlt_f32_e32 vcc, s28, v10
	s_mov_b32 s28, 0x3f2aaaab
	s_mov_b32 s30, 0x7f800000
	v_cndmask_b32_e32 v10, v32, v29, vcc
	v_add_f32_e32 v29, 1.0, v10
	v_add_f32_e32 v30, -1.0, v29
	v_sub_f32_e32 v31, v30, v29
	v_add_f32_e32 v31, 1.0, v31
	v_sub_f32_e32 v30, v10, v30
	v_add_f32_e32 v34, v30, v31
	s_waitcnt lgkmcnt(0)
	v_frexp_mant_f32_e32 v35, v29
	v_cvt_f64_f32_e32 v[30:31], v29
	v_frexp_exp_i32_f64_e32 v30, v[30:31]
	v_cmp_gt_f32_e32 vcc, s28, v35
	s_mov_b32 s28, 0x3f317218
	s_nop 0
	v_subbrev_co_u32_e32 v40, vcc, 0, v30, vcc
	v_sub_u32_e32 v30, 0, v40
	v_ldexp_f32 v29, v29, v30
	v_ldexp_f32 v30, v34, v30
	v_add_f32_e32 v34, -1.0, v29
	v_add_f32_e32 v31, 1.0, v34
	v_sub_f32_e32 v31, v29, v31
	v_add_f32_e32 v35, v30, v31
	v_add_f32_e32 v31, 1.0, v29
	v_add_f32_e32 v36, -1.0, v31
	v_sub_f32_e32 v29, v29, v36
	v_add_f32_e32 v29, v30, v29
	v_add_f32_e32 v41, v31, v29
	v_rcp_f32_e32 v42, v41
	v_sub_f32_e32 v30, v31, v41
	v_add_f32_e32 v31, v34, v35
	v_add_f32_e32 v29, v29, v30
	v_mul_f32_e32 v44, v31, v42
	v_sub_f32_e32 v30, v34, v31
	v_mul_f32_e32 v34, v41, v44
	v_fma_f32 v36, v44, v41, -v34
	v_fmac_f32_e32 v36, v44, v29
	v_add_f32_e32 v43, v35, v30
	v_add_f32_e32 v30, v34, v36
	v_sub_f32_e32 v35, v31, v30
	v_pk_add_f32 v[38:39], v[30:31], v[34:35] neg_lo:[0,1] neg_hi:[0,1]
	v_mov_b32_e32 v37, v30
	v_pk_add_f32 v[30:31], v[38:39], v[36:37] neg_lo:[0,1] neg_hi:[0,1]
	v_cmp_neq_f32_e32 vcc, s30, v10
	v_add_f32_e32 v31, v43, v31
	v_add_f32_e32 v30, v30, v31
	;; [unrolled: 1-line block ×3, first 2 shown]
	v_mul_f32_e32 v43, v42, v31
	v_mul_f32_e32 v34, v41, v43
	v_fma_f32 v36, v43, v41, -v34
	v_fmac_f32_e32 v36, v43, v29
	v_sub_f32_e32 v29, v35, v31
	v_add_f32_e32 v29, v30, v29
	v_add_f32_e32 v30, v34, v36
	v_sub_f32_e32 v35, v31, v30
	v_pk_add_f32 v[38:39], v[30:31], v[34:35] neg_lo:[0,1] neg_hi:[0,1]
	v_mov_b32_e32 v37, v30
	v_pk_add_f32 v[30:31], v[38:39], v[36:37] neg_lo:[0,1] neg_hi:[0,1]
	v_cvt_f32_i32_e32 v34, v40
	v_add_f32_e32 v29, v29, v31
	v_add_f32_e32 v29, v30, v29
	;; [unrolled: 1-line block ×4, first 2 shown]
	v_sub_f32_e32 v31, v30, v44
	v_mul_f32_e32 v29, v42, v29
	v_sub_f32_e32 v31, v43, v31
	v_add_f32_e32 v29, v31, v29
	v_add_f32_e32 v35, v30, v29
	v_mul_f32_e32 v36, v35, v35
	v_mov_b32_e32 v31, 0x3ecc95a3
	v_fmac_f32_e32 v31, 0x3e9b6dac, v36
	v_sub_f32_e32 v30, v35, v30
	v_fmaak_f32 v31, v36, v31, 0x3f2aaada
	v_sub_f32_e32 v29, v29, v30
	v_ldexp_f32 v37, v35, 1
	v_mul_f32_e32 v35, v35, v36
	v_mov_b32_e32 v30, 0x3f317218
	v_pk_mul_f32 v[30:31], v[34:35], v[30:31]
	v_ldexp_f32 v29, v29, 1
	v_fma_f32 v35, v34, s28, -v30
	v_fmamk_f32 v36, v34, 0xb102e308, v35
	v_pk_add_f32 v[34:35], v[30:31], v[36:37]
	v_mov_b32_e32 v38, v30
	v_sub_f32_e32 v37, v35, v37
	v_sub_f32_e32 v37, v31, v37
	v_add_f32_e32 v39, v29, v37
	v_pk_add_f32 v[30:31], v[34:35], v[30:31] neg_lo:[0,1] neg_hi:[0,1]
	v_pk_add_f32 v[40:41], v[34:35], v[38:39]
	v_mov_b32_e32 v37, v34
	v_mov_b32_e32 v31, v41
	v_pk_add_f32 v[42:43], v[36:37], v[30:31] neg_lo:[0,1] neg_hi:[0,1]
	v_pk_add_f32 v[30:31], v[36:37], v[30:31]
	v_mov_b32_e32 v38, v39
	v_pk_add_f32 v[36:37], v[30:31], v[34:35] op_sel:[1,0] op_sel_hi:[0,1] neg_lo:[0,1] neg_hi:[0,1]
	v_pk_add_f32 v[44:45], v[40:41], v[36:37] op_sel_hi:[1,0] neg_lo:[0,1] neg_hi:[0,1]
	v_mov_b32_e32 v40, v41
	v_mov_b32_e32 v41, v31
	v_pk_mov_b32 v[36:37], v[34:35], v[36:37] op_sel:[1,0]
	v_mov_b32_e32 v39, v34
	v_pk_add_f32 v[36:37], v[40:41], v[36:37] neg_lo:[0,1] neg_hi:[0,1]
	v_mov_b32_e32 v44, v42
	v_pk_add_f32 v[34:35], v[38:39], v[36:37] neg_lo:[0,1] neg_hi:[0,1]
	v_mov_b32_e32 v43, v31
	v_pk_add_f32 v[36:37], v[44:45], v[34:35]
	s_mov_b32 s28, 0x33800000
	v_pk_add_f32 v[38:39], v[36:37], v[36:37] op_sel:[0,1] op_sel_hi:[1,0]
	s_nop 0
	v_pk_add_f32 v[30:31], v[30:31], v[38:39] op_sel:[1,0] op_sel_hi:[0,1]
	v_mov_b32_e32 v37, v30
	v_pk_add_f32 v[40:41], v[36:37], v[42:43] neg_lo:[0,1] neg_hi:[0,1]
	v_mov_b32_e32 v35, v38
	v_sub_f32_e32 v29, v36, v40
	v_pk_add_f32 v[34:35], v[34:35], v[40:41] neg_lo:[0,1] neg_hi:[0,1]
	v_sub_f32_e32 v29, v42, v29
	v_add_f32_e32 v29, v34, v29
	v_add_f32_e32 v29, v29, v35
	;; [unrolled: 1-line block ×3, first 2 shown]
	v_cndmask_b32_e32 v29, v32, v29, vcc
	v_cmp_lt_f32_e64 vcc, |v10|, s28
	s_nop 1
	v_cndmask_b32_e32 v10, v29, v10, vcc
	v_add_f32_e32 v29, v9, v10
.LBB455_98:
	s_or_b64 exec, exec, s[0:1]
	v_bfe_u32 v9, v29, 16, 1
	v_add3_u32 v9, v29, v9, s29
	v_cmp_o_f32_e32 vcc, v29, v29
	s_movk_i32 s28, 0x1f8
	s_nop 0
	v_cndmask_b32_sdwa v9, v16, v9, vcc dst_sel:DWORD dst_unused:UNUSED_PAD src0_sel:DWORD src1_sel:WORD_1
	v_lshlrev_b32_e32 v10, 16, v9
	v_max_f32_e32 v29, v10, v10
	v_min_f32_e32 v16, v29, v12
	v_cmp_u_f32_e32 vcc, v10, v10
	v_max_f32_e32 v12, v29, v12
	s_nop 0
	v_cndmask_b32_e32 v16, v16, v10, vcc
	v_cndmask_b32_e32 v12, v12, v10, vcc
	v_cndmask_b32_e64 v16, v16, v3, s[34:35]
	v_cndmask_b32_e64 v3, v12, v3, s[34:35]
	v_cmp_neq_f32_e32 vcc, v16, v3
	v_cmp_class_f32_e64 s[0:1], v16, s28
	s_or_b64 s[30:31], vcc, s[0:1]
	s_and_saveexec_b64 s[0:1], s[30:31]
	s_cbranch_execz .LBB455_100
; %bb.99:
	v_sub_f32_e32 v10, v16, v3
	s_mov_b32 s29, 0x3fb8aa3b
	v_mul_f32_e32 v12, 0x3fb8aa3b, v10
	v_fma_f32 v16, v10, s29, -v12
	v_rndne_f32_e32 v29, v12
	v_fmamk_f32 v16, v10, 0x32a5705f, v16
	v_sub_f32_e32 v12, v12, v29
	v_add_f32_e32 v12, v12, v16
	v_exp_f32_e32 v12, v12
	v_cvt_i32_f32_e32 v16, v29
	s_mov_b32 s29, 0xc2ce8ed0
	v_cmp_ngt_f32_e32 vcc, s29, v10
	s_mov_b32 s29, 0x42b17218
	v_ldexp_f32 v12, v12, v16
	v_cndmask_b32_e32 v12, 0, v12, vcc
	v_mov_b32_e32 v16, 0x7f800000
	v_cmp_nlt_f32_e32 vcc, s29, v10
	s_mov_b32 s29, 0x3f2aaaab
	s_mov_b32 s30, 0x7f800000
	v_cndmask_b32_e32 v10, v16, v12, vcc
	v_add_f32_e32 v12, 1.0, v10
	v_add_f32_e32 v29, -1.0, v12
	v_sub_f32_e32 v30, v29, v12
	v_add_f32_e32 v30, 1.0, v30
	v_sub_f32_e32 v29, v10, v29
	v_add_f32_e32 v29, v29, v30
	v_frexp_mant_f32_e32 v32, v12
	v_cvt_f64_f32_e32 v[30:31], v12
	v_frexp_exp_i32_f64_e32 v30, v[30:31]
	v_cmp_gt_f32_e32 vcc, s29, v32
	s_mov_b32 s29, 0x3f317218
	s_nop 0
	v_subbrev_co_u32_e32 v32, vcc, 0, v30, vcc
	v_sub_u32_e32 v30, 0, v32
	v_ldexp_f32 v12, v12, v30
	v_ldexp_f32 v29, v29, v30
	v_add_f32_e32 v30, -1.0, v12
	v_add_f32_e32 v31, 1.0, v30
	v_sub_f32_e32 v31, v12, v31
	v_add_f32_e32 v34, v29, v31
	v_add_f32_e32 v31, 1.0, v12
	s_waitcnt lgkmcnt(0)
	v_add_f32_e32 v35, -1.0, v31
	v_sub_f32_e32 v12, v12, v35
	v_add_f32_e32 v12, v29, v12
	v_add_f32_e32 v29, v31, v12
	v_rcp_f32_e32 v40, v29
	v_sub_f32_e32 v31, v31, v29
	v_add_f32_e32 v12, v12, v31
	v_add_f32_e32 v31, v30, v34
	v_sub_f32_e32 v30, v30, v31
	v_mul_f32_e32 v42, v31, v40
	v_add_f32_e32 v41, v34, v30
	v_mul_f32_e32 v34, v29, v42
	v_fma_f32 v36, v42, v29, -v34
	v_fmac_f32_e32 v36, v42, v12
	v_add_f32_e32 v30, v34, v36
	v_sub_f32_e32 v35, v31, v30
	v_pk_add_f32 v[38:39], v[30:31], v[34:35] neg_lo:[0,1] neg_hi:[0,1]
	v_mov_b32_e32 v37, v30
	v_pk_add_f32 v[30:31], v[38:39], v[36:37] neg_lo:[0,1] neg_hi:[0,1]
	v_cmp_neq_f32_e32 vcc, s30, v10
	v_add_f32_e32 v31, v41, v31
	v_add_f32_e32 v30, v30, v31
	;; [unrolled: 1-line block ×3, first 2 shown]
	v_mul_f32_e32 v41, v40, v31
	v_mul_f32_e32 v34, v29, v41
	v_fma_f32 v36, v41, v29, -v34
	v_fmac_f32_e32 v36, v41, v12
	v_sub_f32_e32 v12, v35, v31
	v_add_f32_e32 v12, v30, v12
	v_add_f32_e32 v30, v34, v36
	v_sub_f32_e32 v35, v31, v30
	v_pk_add_f32 v[38:39], v[30:31], v[34:35] neg_lo:[0,1] neg_hi:[0,1]
	v_mov_b32_e32 v37, v30
	v_pk_add_f32 v[30:31], v[38:39], v[36:37] neg_lo:[0,1] neg_hi:[0,1]
	v_add_f32_e32 v29, v42, v41
	v_add_f32_e32 v12, v12, v31
	;; [unrolled: 1-line block ×4, first 2 shown]
	v_sub_f32_e32 v30, v29, v42
	v_mul_f32_e32 v12, v40, v12
	v_sub_f32_e32 v30, v41, v30
	v_add_f32_e32 v12, v30, v12
	v_add_f32_e32 v30, v29, v12
	v_cvt_f32_i32_e32 v34, v32
	v_mul_f32_e32 v35, v30, v30
	v_mov_b32_e32 v31, 0x3ecc95a3
	v_fmac_f32_e32 v31, 0x3e9b6dac, v35
	v_fmaak_f32 v31, v35, v31, 0x3f2aaada
	v_sub_f32_e32 v29, v30, v29
	v_ldexp_f32 v37, v30, 1
	v_mul_f32_e32 v35, v30, v35
	v_mov_b32_e32 v30, 0x3f317218
	v_pk_mul_f32 v[30:31], v[34:35], v[30:31]
	v_sub_f32_e32 v12, v12, v29
	v_fma_f32 v29, v34, s29, -v30
	v_fmamk_f32 v36, v34, 0xb102e308, v29
	v_pk_add_f32 v[34:35], v[30:31], v[36:37]
	v_ldexp_f32 v12, v12, 1
	v_sub_f32_e32 v29, v35, v37
	v_sub_f32_e32 v29, v31, v29
	v_add_f32_e32 v39, v12, v29
	v_mov_b32_e32 v38, v30
	v_pk_add_f32 v[30:31], v[34:35], v[30:31] neg_lo:[0,1] neg_hi:[0,1]
	v_pk_add_f32 v[40:41], v[34:35], v[38:39]
	v_mov_b32_e32 v37, v34
	v_mov_b32_e32 v31, v41
	v_pk_add_f32 v[42:43], v[36:37], v[30:31] neg_lo:[0,1] neg_hi:[0,1]
	v_pk_add_f32 v[30:31], v[36:37], v[30:31]
	v_mov_b32_e32 v38, v39
	v_pk_add_f32 v[36:37], v[30:31], v[34:35] op_sel:[1,0] op_sel_hi:[0,1] neg_lo:[0,1] neg_hi:[0,1]
	v_pk_add_f32 v[44:45], v[40:41], v[36:37] op_sel_hi:[1,0] neg_lo:[0,1] neg_hi:[0,1]
	v_mov_b32_e32 v40, v41
	v_mov_b32_e32 v41, v31
	v_pk_mov_b32 v[36:37], v[34:35], v[36:37] op_sel:[1,0]
	v_mov_b32_e32 v39, v34
	v_pk_add_f32 v[36:37], v[40:41], v[36:37] neg_lo:[0,1] neg_hi:[0,1]
	v_mov_b32_e32 v44, v42
	v_pk_add_f32 v[34:35], v[38:39], v[36:37] neg_lo:[0,1] neg_hi:[0,1]
	v_mov_b32_e32 v43, v31
	v_pk_add_f32 v[36:37], v[44:45], v[34:35]
	s_mov_b32 s29, 0x33800000
	v_pk_add_f32 v[38:39], v[36:37], v[36:37] op_sel:[0,1] op_sel_hi:[1,0]
	s_nop 0
	v_pk_add_f32 v[30:31], v[30:31], v[38:39] op_sel:[1,0] op_sel_hi:[0,1]
	v_mov_b32_e32 v37, v30
	v_pk_add_f32 v[40:41], v[36:37], v[42:43] neg_lo:[0,1] neg_hi:[0,1]
	v_mov_b32_e32 v35, v38
	v_sub_f32_e32 v12, v36, v40
	v_pk_add_f32 v[34:35], v[34:35], v[40:41] neg_lo:[0,1] neg_hi:[0,1]
	v_sub_f32_e32 v12, v42, v12
	v_add_f32_e32 v12, v34, v12
	v_add_f32_e32 v12, v12, v35
	;; [unrolled: 1-line block ×3, first 2 shown]
	v_cndmask_b32_e32 v12, v16, v12, vcc
	v_cmp_lt_f32_e64 vcc, |v10|, s29
	s_nop 1
	v_cndmask_b32_e32 v10, v12, v10, vcc
	v_add_f32_e32 v10, v3, v10
.LBB455_100:
	s_or_b64 exec, exec, s[0:1]
	v_bfe_u32 v3, v10, 16, 1
	s_movk_i32 s29, 0x7fff
	v_add3_u32 v3, v10, v3, s29
	v_cmp_o_f32_e32 vcc, v10, v10
	v_mov_b32_e32 v10, 0x7fc0
	s_nop 0
	v_cndmask_b32_sdwa v3, v10, v3, vcc dst_sel:DWORD dst_unused:UNUSED_PAD src0_sel:DWORD src1_sel:WORD_1
	v_lshlrev_b32_e32 v12, 16, v3
	v_max_f32_e32 v29, v12, v12
	v_min_f32_e32 v16, v29, v13
	v_cmp_u_f32_e32 vcc, v12, v12
	v_max_f32_e32 v13, v29, v13
	s_nop 0
	v_cndmask_b32_e32 v16, v16, v12, vcc
	v_cndmask_b32_e32 v13, v13, v12, vcc
	v_cndmask_b32_e64 v16, v16, v11, s[36:37]
	v_cndmask_b32_e64 v11, v13, v11, s[36:37]
	v_cmp_neq_f32_e32 vcc, v16, v11
	v_cmp_class_f32_e64 s[0:1], v16, s28
	s_or_b64 s[30:31], vcc, s[0:1]
	s_and_saveexec_b64 s[0:1], s[30:31]
	s_cbranch_execz .LBB455_102
; %bb.101:
	v_sub_f32_e32 v12, v16, v11
	s_mov_b32 s28, 0x3fb8aa3b
	v_mul_f32_e32 v13, 0x3fb8aa3b, v12
	v_fma_f32 v16, v12, s28, -v13
	v_rndne_f32_e32 v29, v13
	v_fmamk_f32 v16, v12, 0x32a5705f, v16
	v_sub_f32_e32 v13, v13, v29
	v_add_f32_e32 v13, v13, v16
	v_exp_f32_e32 v13, v13
	v_cvt_i32_f32_e32 v16, v29
	s_mov_b32 s28, 0xc2ce8ed0
	v_cmp_ngt_f32_e32 vcc, s28, v12
	s_mov_b32 s28, 0x42b17218
	v_ldexp_f32 v13, v13, v16
	v_cndmask_b32_e32 v13, 0, v13, vcc
	v_mov_b32_e32 v16, 0x7f800000
	v_cmp_nlt_f32_e32 vcc, s28, v12
	s_mov_b32 s28, 0x3f2aaaab
	s_mov_b32 s30, 0x7f800000
	v_cndmask_b32_e32 v29, v16, v13, vcc
	v_add_f32_e32 v30, 1.0, v29
	v_add_f32_e32 v12, -1.0, v30
	v_sub_f32_e32 v13, v12, v30
	v_add_f32_e32 v13, 1.0, v13
	v_sub_f32_e32 v12, v29, v12
	v_add_f32_e32 v31, v12, v13
	v_frexp_mant_f32_e32 v32, v30
	v_cvt_f64_f32_e32 v[12:13], v30
	v_frexp_exp_i32_f64_e32 v12, v[12:13]
	v_cmp_gt_f32_e32 vcc, s28, v32
	s_mov_b32 s28, 0x3f317218
	s_nop 0
	v_subbrev_co_u32_e32 v32, vcc, 0, v12, vcc
	v_sub_u32_e32 v12, 0, v32
	v_ldexp_f32 v13, v30, v12
	v_add_f32_e32 v30, -1.0, v13
	v_add_f32_e32 v34, 1.0, v13
	v_ldexp_f32 v12, v31, v12
	v_add_f32_e32 v31, 1.0, v30
	s_waitcnt lgkmcnt(0)
	v_add_f32_e32 v35, -1.0, v34
	v_sub_f32_e32 v31, v13, v31
	v_sub_f32_e32 v13, v13, v35
	v_add_f32_e32 v31, v12, v31
	v_add_f32_e32 v12, v12, v13
	;; [unrolled: 1-line block ×3, first 2 shown]
	v_rcp_f32_e32 v40, v38
	v_sub_f32_e32 v13, v34, v38
	v_add_f32_e32 v39, v12, v13
	v_add_f32_e32 v13, v30, v31
	v_mul_f32_e32 v42, v13, v40
	v_sub_f32_e32 v12, v30, v13
	v_mul_f32_e32 v30, v38, v42
	v_fma_f32 v34, v42, v38, -v30
	v_fmac_f32_e32 v34, v42, v39
	v_add_f32_e32 v41, v31, v12
	v_add_f32_e32 v12, v30, v34
	v_sub_f32_e32 v31, v13, v12
	v_pk_add_f32 v[36:37], v[12:13], v[30:31] neg_lo:[0,1] neg_hi:[0,1]
	v_mov_b32_e32 v35, v12
	v_pk_add_f32 v[12:13], v[36:37], v[34:35] neg_lo:[0,1] neg_hi:[0,1]
	v_cmp_neq_f32_e32 vcc, s30, v29
	v_add_f32_e32 v13, v41, v13
	v_add_f32_e32 v12, v12, v13
	;; [unrolled: 1-line block ×3, first 2 shown]
	v_mul_f32_e32 v41, v40, v13
	v_mul_f32_e32 v30, v38, v41
	v_fma_f32 v34, v41, v38, -v30
	v_fmac_f32_e32 v34, v41, v39
	v_sub_f32_e32 v31, v31, v13
	v_add_f32_e32 v38, v12, v31
	v_add_f32_e32 v12, v30, v34
	v_sub_f32_e32 v31, v13, v12
	v_pk_add_f32 v[36:37], v[12:13], v[30:31] neg_lo:[0,1] neg_hi:[0,1]
	v_mov_b32_e32 v35, v12
	v_pk_add_f32 v[12:13], v[36:37], v[34:35] neg_lo:[0,1] neg_hi:[0,1]
	v_cvt_f32_i32_e32 v30, v32
	v_add_f32_e32 v13, v38, v13
	v_add_f32_e32 v12, v12, v13
	v_add_f32_e32 v12, v31, v12
	v_add_f32_e32 v31, v42, v41
	v_sub_f32_e32 v13, v31, v42
	v_mul_f32_e32 v12, v40, v12
	v_sub_f32_e32 v13, v41, v13
	v_add_f32_e32 v12, v13, v12
	v_add_f32_e32 v34, v31, v12
	v_mul_f32_e32 v36, v34, v34
	v_mov_b32_e32 v13, 0x3ecc95a3
	v_sub_f32_e32 v31, v34, v31
	v_fmac_f32_e32 v13, 0x3e9b6dac, v36
	v_sub_f32_e32 v12, v12, v31
	v_fmaak_f32 v13, v36, v13, 0x3f2aaada
	v_ldexp_f32 v32, v12, 1
	v_mul_f32_e32 v31, v34, v36
	v_mov_b32_e32 v12, 0x3f317218
	v_pk_mul_f32 v[12:13], v[30:31], v[12:13]
	v_ldexp_f32 v35, v34, 1
	v_fma_f32 v31, v30, s28, -v12
	v_fmamk_f32 v34, v30, 0xb102e308, v31
	v_pk_add_f32 v[30:31], v[12:13], v[34:35]
	v_mov_b32_e32 v36, v12
	v_sub_f32_e32 v35, v31, v35
	v_sub_f32_e32 v35, v13, v35
	v_add_f32_e32 v37, v32, v35
	v_pk_add_f32 v[12:13], v[30:31], v[12:13] neg_lo:[0,1] neg_hi:[0,1]
	v_pk_add_f32 v[38:39], v[30:31], v[36:37]
	v_mov_b32_e32 v35, v30
	v_mov_b32_e32 v13, v39
	v_pk_add_f32 v[40:41], v[34:35], v[12:13] neg_lo:[0,1] neg_hi:[0,1]
	v_pk_add_f32 v[12:13], v[34:35], v[12:13]
	v_mov_b32_e32 v36, v37
	v_pk_add_f32 v[34:35], v[12:13], v[30:31] op_sel:[1,0] op_sel_hi:[0,1] neg_lo:[0,1] neg_hi:[0,1]
	v_pk_add_f32 v[42:43], v[38:39], v[34:35] op_sel_hi:[1,0] neg_lo:[0,1] neg_hi:[0,1]
	v_mov_b32_e32 v38, v39
	v_mov_b32_e32 v39, v13
	v_pk_mov_b32 v[34:35], v[30:31], v[34:35] op_sel:[1,0]
	v_mov_b32_e32 v37, v30
	v_pk_add_f32 v[34:35], v[38:39], v[34:35] neg_lo:[0,1] neg_hi:[0,1]
	v_mov_b32_e32 v42, v40
	v_pk_add_f32 v[30:31], v[36:37], v[34:35] neg_lo:[0,1] neg_hi:[0,1]
	v_mov_b32_e32 v41, v13
	v_pk_add_f32 v[34:35], v[42:43], v[30:31]
	s_mov_b32 s28, 0x33800000
	v_pk_add_f32 v[36:37], v[34:35], v[34:35] op_sel:[0,1] op_sel_hi:[1,0]
	s_nop 0
	v_pk_add_f32 v[12:13], v[12:13], v[36:37] op_sel:[1,0] op_sel_hi:[0,1]
	v_mov_b32_e32 v35, v12
	v_pk_add_f32 v[38:39], v[34:35], v[40:41] neg_lo:[0,1] neg_hi:[0,1]
	v_mov_b32_e32 v31, v36
	v_sub_f32_e32 v13, v34, v38
	v_pk_add_f32 v[30:31], v[30:31], v[38:39] neg_lo:[0,1] neg_hi:[0,1]
	v_sub_f32_e32 v13, v40, v13
	v_add_f32_e32 v13, v30, v13
	v_add_f32_e32 v13, v13, v31
	;; [unrolled: 1-line block ×3, first 2 shown]
	v_cndmask_b32_e32 v12, v16, v12, vcc
	v_cmp_lt_f32_e64 vcc, |v29|, s28
	s_nop 1
	v_cndmask_b32_e32 v12, v12, v29, vcc
	v_add_f32_e32 v12, v11, v12
.LBB455_102:
	s_or_b64 exec, exec, s[0:1]
	v_bfe_u32 v11, v12, 16, 1
	v_add3_u32 v11, v12, v11, s29
	v_cmp_o_f32_e32 vcc, v12, v12
	s_movk_i32 s28, 0x1f8
	s_nop 0
	v_cndmask_b32_sdwa v10, v10, v11, vcc dst_sel:DWORD dst_unused:UNUSED_PAD src0_sel:DWORD src1_sel:WORD_1
	v_lshlrev_b32_e32 v11, 16, v10
	v_max_f32_e32 v13, v11, v11
	v_min_f32_e32 v12, v13, v15
	v_cmp_u_f32_e32 vcc, v11, v11
	v_max_f32_e32 v13, v13, v15
	s_nop 0
	v_cndmask_b32_e32 v12, v12, v11, vcc
	v_cndmask_b32_e32 v13, v13, v11, vcc
	v_cndmask_b32_e64 v12, v12, v6, s[38:39]
	v_cndmask_b32_e64 v6, v13, v6, s[38:39]
	v_cmp_neq_f32_e32 vcc, v12, v6
	v_cmp_class_f32_e64 s[0:1], v12, s28
	s_or_b64 s[30:31], vcc, s[0:1]
	s_and_saveexec_b64 s[0:1], s[30:31]
	s_cbranch_execz .LBB455_104
; %bb.103:
	v_sub_f32_e32 v11, v12, v6
	s_mov_b32 s29, 0x3fb8aa3b
	v_mul_f32_e32 v12, 0x3fb8aa3b, v11
	v_fma_f32 v13, v11, s29, -v12
	v_rndne_f32_e32 v15, v12
	v_fmamk_f32 v13, v11, 0x32a5705f, v13
	v_sub_f32_e32 v12, v12, v15
	v_add_f32_e32 v12, v12, v13
	v_exp_f32_e32 v12, v12
	v_cvt_i32_f32_e32 v13, v15
	s_mov_b32 s29, 0xc2ce8ed0
	v_cmp_ngt_f32_e32 vcc, s29, v11
	s_mov_b32 s29, 0x42b17218
	v_ldexp_f32 v12, v12, v13
	v_cndmask_b32_e32 v12, 0, v12, vcc
	v_mov_b32_e32 v15, 0x7f800000
	v_cmp_nlt_f32_e32 vcc, s29, v11
	s_mov_b32 s29, 0x3f2aaaab
	s_mov_b32 s30, 0x7f800000
	v_cndmask_b32_e32 v11, v15, v12, vcc
	v_add_f32_e32 v16, 1.0, v11
	v_add_f32_e32 v12, -1.0, v16
	v_sub_f32_e32 v13, v12, v16
	v_add_f32_e32 v13, 1.0, v13
	v_sub_f32_e32 v12, v11, v12
	v_add_f32_e32 v29, v12, v13
	v_frexp_mant_f32_e32 v30, v16
	v_cvt_f64_f32_e32 v[12:13], v16
	v_frexp_exp_i32_f64_e32 v12, v[12:13]
	v_cmp_gt_f32_e32 vcc, s29, v30
	s_mov_b32 s29, 0x3f317218
	s_nop 0
	v_subbrev_co_u32_e32 v32, vcc, 0, v12, vcc
	v_sub_u32_e32 v12, 0, v32
	v_ldexp_f32 v13, v16, v12
	v_add_f32_e32 v16, -1.0, v13
	v_add_f32_e32 v30, 1.0, v13
	v_ldexp_f32 v12, v29, v12
	v_add_f32_e32 v29, 1.0, v16
	v_add_f32_e32 v31, -1.0, v30
	v_sub_f32_e32 v29, v13, v29
	v_sub_f32_e32 v13, v13, v31
	v_add_f32_e32 v29, v12, v29
	v_add_f32_e32 v12, v12, v13
	;; [unrolled: 1-line block ×3, first 2 shown]
	v_rcp_f32_e32 v40, v38
	v_sub_f32_e32 v13, v30, v38
	v_add_f32_e32 v39, v12, v13
	v_add_f32_e32 v13, v16, v29
	v_sub_f32_e32 v12, v16, v13
	v_add_f32_e32 v16, v29, v12
	v_mul_f32_e32 v29, v13, v40
	v_mul_f32_e32 v30, v38, v29
	v_fma_f32 v34, v29, v38, -v30
	v_fmac_f32_e32 v34, v29, v39
	v_add_f32_e32 v12, v30, v34
	v_sub_f32_e32 v31, v13, v12
	v_pk_add_f32 v[36:37], v[12:13], v[30:31] neg_lo:[0,1] neg_hi:[0,1]
	s_waitcnt lgkmcnt(0)
	v_mov_b32_e32 v35, v12
	v_pk_add_f32 v[12:13], v[36:37], v[34:35] neg_lo:[0,1] neg_hi:[0,1]
	v_cmp_neq_f32_e32 vcc, s30, v11
	v_add_f32_e32 v13, v16, v13
	v_add_f32_e32 v12, v12, v13
	;; [unrolled: 1-line block ×3, first 2 shown]
	v_mul_f32_e32 v16, v40, v13
	v_mul_f32_e32 v30, v38, v16
	v_fma_f32 v34, v16, v38, -v30
	v_fmac_f32_e32 v34, v16, v39
	v_sub_f32_e32 v31, v31, v13
	v_add_f32_e32 v38, v12, v31
	v_add_f32_e32 v12, v30, v34
	v_sub_f32_e32 v31, v13, v12
	v_pk_add_f32 v[36:37], v[12:13], v[30:31] neg_lo:[0,1] neg_hi:[0,1]
	v_mov_b32_e32 v35, v12
	v_pk_add_f32 v[12:13], v[36:37], v[34:35] neg_lo:[0,1] neg_hi:[0,1]
	v_cvt_f32_i32_e32 v30, v32
	v_add_f32_e32 v13, v38, v13
	v_add_f32_e32 v12, v12, v13
	v_add_f32_e32 v12, v31, v12
	v_add_f32_e32 v31, v29, v16
	v_sub_f32_e32 v13, v31, v29
	v_mul_f32_e32 v12, v40, v12
	v_sub_f32_e32 v13, v16, v13
	v_add_f32_e32 v12, v13, v12
	v_add_f32_e32 v16, v31, v12
	v_mul_f32_e32 v29, v16, v16
	v_mov_b32_e32 v13, 0x3ecc95a3
	v_sub_f32_e32 v31, v16, v31
	v_fmac_f32_e32 v13, 0x3e9b6dac, v29
	v_sub_f32_e32 v12, v12, v31
	v_fmaak_f32 v13, v29, v13, 0x3f2aaada
	v_ldexp_f32 v32, v12, 1
	v_mul_f32_e32 v31, v16, v29
	v_mov_b32_e32 v12, 0x3f317218
	v_pk_mul_f32 v[12:13], v[30:31], v[12:13]
	v_ldexp_f32 v35, v16, 1
	v_fma_f32 v16, v30, s29, -v12
	v_fmamk_f32 v34, v30, 0xb102e308, v16
	v_pk_add_f32 v[30:31], v[12:13], v[34:35]
	v_mov_b32_e32 v36, v12
	v_sub_f32_e32 v16, v31, v35
	v_sub_f32_e32 v16, v13, v16
	v_add_f32_e32 v37, v32, v16
	v_pk_add_f32 v[12:13], v[30:31], v[12:13] neg_lo:[0,1] neg_hi:[0,1]
	v_pk_add_f32 v[38:39], v[30:31], v[36:37]
	v_mov_b32_e32 v35, v30
	v_mov_b32_e32 v13, v39
	v_pk_add_f32 v[40:41], v[34:35], v[12:13] neg_lo:[0,1] neg_hi:[0,1]
	v_pk_add_f32 v[12:13], v[34:35], v[12:13]
	v_mov_b32_e32 v36, v37
	v_pk_add_f32 v[34:35], v[12:13], v[30:31] op_sel:[1,0] op_sel_hi:[0,1] neg_lo:[0,1] neg_hi:[0,1]
	v_pk_add_f32 v[42:43], v[38:39], v[34:35] op_sel_hi:[1,0] neg_lo:[0,1] neg_hi:[0,1]
	v_mov_b32_e32 v38, v39
	v_mov_b32_e32 v39, v13
	v_pk_mov_b32 v[34:35], v[30:31], v[34:35] op_sel:[1,0]
	v_mov_b32_e32 v37, v30
	v_pk_add_f32 v[34:35], v[38:39], v[34:35] neg_lo:[0,1] neg_hi:[0,1]
	v_mov_b32_e32 v42, v40
	v_pk_add_f32 v[30:31], v[36:37], v[34:35] neg_lo:[0,1] neg_hi:[0,1]
	v_mov_b32_e32 v41, v13
	v_pk_add_f32 v[34:35], v[42:43], v[30:31]
	s_mov_b32 s29, 0x33800000
	v_pk_add_f32 v[36:37], v[34:35], v[34:35] op_sel:[0,1] op_sel_hi:[1,0]
	s_nop 0
	v_pk_add_f32 v[12:13], v[12:13], v[36:37] op_sel:[1,0] op_sel_hi:[0,1]
	v_mov_b32_e32 v35, v12
	v_pk_add_f32 v[38:39], v[34:35], v[40:41] neg_lo:[0,1] neg_hi:[0,1]
	v_mov_b32_e32 v31, v36
	v_sub_f32_e32 v13, v34, v38
	v_pk_add_f32 v[30:31], v[30:31], v[38:39] neg_lo:[0,1] neg_hi:[0,1]
	v_sub_f32_e32 v13, v40, v13
	v_add_f32_e32 v13, v30, v13
	v_add_f32_e32 v13, v13, v31
	v_add_f32_e32 v12, v12, v13
	v_cndmask_b32_e32 v12, v15, v12, vcc
	v_cmp_lt_f32_e64 vcc, |v11|, s29
	s_nop 1
	v_cndmask_b32_e32 v11, v12, v11, vcc
	v_add_f32_e32 v11, v6, v11
.LBB455_104:
	s_or_b64 exec, exec, s[0:1]
	v_bfe_u32 v6, v11, 16, 1
	s_movk_i32 s29, 0x7fff
	v_add3_u32 v6, v11, v6, s29
	v_cmp_o_f32_e32 vcc, v11, v11
	v_mov_b32_e32 v11, 0x7fc0
	s_nop 0
	v_cndmask_b32_sdwa v6, v11, v6, vcc dst_sel:DWORD dst_unused:UNUSED_PAD src0_sel:DWORD src1_sel:WORD_1
	v_lshlrev_b32_e32 v13, 16, v6
	v_max_f32_e32 v12, v13, v13
	v_min_f32_e32 v15, v12, v17
	v_cmp_u_f32_e32 vcc, v13, v13
	v_max_f32_e32 v12, v12, v17
	s_nop 0
	v_cndmask_b32_e32 v15, v15, v13, vcc
	v_cndmask_b32_e32 v12, v12, v13, vcc
	v_cndmask_b32_e64 v15, v15, v14, s[40:41]
	v_cndmask_b32_e64 v12, v12, v14, s[40:41]
	v_cmp_neq_f32_e32 vcc, v15, v12
	v_cmp_class_f32_e64 s[0:1], v15, s28
	s_or_b64 s[30:31], vcc, s[0:1]
	s_and_saveexec_b64 s[0:1], s[30:31]
	s_cbranch_execz .LBB455_106
; %bb.105:
	v_sub_f32_e32 v13, v15, v12
	s_mov_b32 s28, 0x3fb8aa3b
	v_mul_f32_e32 v14, 0x3fb8aa3b, v13
	v_fma_f32 v15, v13, s28, -v14
	v_rndne_f32_e32 v16, v14
	v_fmamk_f32 v15, v13, 0x32a5705f, v15
	v_sub_f32_e32 v14, v14, v16
	v_add_f32_e32 v14, v14, v15
	v_exp_f32_e32 v14, v14
	v_cvt_i32_f32_e32 v15, v16
	s_mov_b32 s28, 0xc2ce8ed0
	v_cmp_ngt_f32_e32 vcc, s28, v13
	s_mov_b32 s28, 0x42b17218
	v_ldexp_f32 v14, v14, v15
	v_cndmask_b32_e32 v14, 0, v14, vcc
	v_mov_b32_e32 v29, 0x7f800000
	v_cmp_nlt_f32_e32 vcc, s28, v13
	s_mov_b32 s28, 0x3f2aaaab
	s_mov_b32 s30, 0x7f800000
	v_cndmask_b32_e32 v13, v29, v14, vcc
	v_add_f32_e32 v16, 1.0, v13
	v_add_f32_e32 v14, -1.0, v16
	v_sub_f32_e32 v15, v14, v16
	v_add_f32_e32 v15, 1.0, v15
	v_sub_f32_e32 v14, v13, v14
	v_add_f32_e32 v17, v14, v15
	v_frexp_mant_f32_e32 v30, v16
	v_cvt_f64_f32_e32 v[14:15], v16
	v_frexp_exp_i32_f64_e32 v14, v[14:15]
	v_cmp_gt_f32_e32 vcc, s28, v30
	s_mov_b32 s28, 0x3f317218
	s_nop 0
	v_subbrev_co_u32_e32 v32, vcc, 0, v14, vcc
	v_sub_u32_e32 v14, 0, v32
	v_ldexp_f32 v15, v16, v14
	v_add_f32_e32 v16, -1.0, v15
	v_add_f32_e32 v30, 1.0, v15
	v_ldexp_f32 v14, v17, v14
	v_add_f32_e32 v17, 1.0, v16
	v_add_f32_e32 v31, -1.0, v30
	v_sub_f32_e32 v17, v15, v17
	v_sub_f32_e32 v15, v15, v31
	v_add_f32_e32 v17, v14, v17
	v_add_f32_e32 v14, v14, v15
	;; [unrolled: 1-line block ×3, first 2 shown]
	v_rcp_f32_e32 v38, v36
	v_sub_f32_e32 v15, v30, v36
	v_add_f32_e32 v37, v14, v15
	v_add_f32_e32 v15, v16, v17
	v_mul_f32_e32 v40, v15, v38
	v_sub_f32_e32 v14, v16, v15
	v_mul_f32_e32 v16, v36, v40
	v_fma_f32 v30, v40, v36, -v16
	v_fmac_f32_e32 v30, v40, v37
	v_add_f32_e32 v39, v17, v14
	v_add_f32_e32 v14, v16, v30
	v_sub_f32_e32 v17, v15, v14
	s_waitcnt lgkmcnt(0)
	v_pk_add_f32 v[34:35], v[14:15], v[16:17] neg_lo:[0,1] neg_hi:[0,1]
	v_mov_b32_e32 v31, v14
	v_pk_add_f32 v[14:15], v[34:35], v[30:31] neg_lo:[0,1] neg_hi:[0,1]
	v_cmp_neq_f32_e32 vcc, s30, v13
	v_add_f32_e32 v15, v39, v15
	v_add_f32_e32 v14, v14, v15
	;; [unrolled: 1-line block ×3, first 2 shown]
	v_mul_f32_e32 v39, v38, v15
	v_mul_f32_e32 v16, v36, v39
	v_fma_f32 v30, v39, v36, -v16
	v_fmac_f32_e32 v30, v39, v37
	v_sub_f32_e32 v17, v17, v15
	v_add_f32_e32 v36, v14, v17
	v_add_f32_e32 v14, v16, v30
	v_sub_f32_e32 v17, v15, v14
	v_pk_add_f32 v[34:35], v[14:15], v[16:17] neg_lo:[0,1] neg_hi:[0,1]
	v_mov_b32_e32 v31, v14
	v_pk_add_f32 v[14:15], v[34:35], v[30:31] neg_lo:[0,1] neg_hi:[0,1]
	v_cvt_f32_i32_e32 v16, v32
	v_add_f32_e32 v15, v36, v15
	v_add_f32_e32 v14, v14, v15
	;; [unrolled: 1-line block ×4, first 2 shown]
	v_sub_f32_e32 v15, v17, v40
	v_mul_f32_e32 v14, v38, v14
	v_sub_f32_e32 v15, v39, v15
	v_add_f32_e32 v14, v15, v14
	v_add_f32_e32 v30, v17, v14
	v_mul_f32_e32 v34, v30, v30
	v_mov_b32_e32 v15, 0x3ecc95a3
	v_sub_f32_e32 v17, v30, v17
	v_fmac_f32_e32 v15, 0x3e9b6dac, v34
	v_sub_f32_e32 v14, v14, v17
	v_fmaak_f32 v15, v34, v15, 0x3f2aaada
	v_ldexp_f32 v32, v14, 1
	v_mul_f32_e32 v17, v30, v34
	v_mov_b32_e32 v14, 0x3f317218
	v_pk_mul_f32 v[14:15], v[16:17], v[14:15]
	v_ldexp_f32 v31, v30, 1
	v_fma_f32 v17, v16, s28, -v14
	v_fmamk_f32 v30, v16, 0xb102e308, v17
	v_pk_add_f32 v[16:17], v[14:15], v[30:31]
	v_mov_b32_e32 v34, v14
	v_sub_f32_e32 v31, v17, v31
	v_sub_f32_e32 v31, v15, v31
	v_add_f32_e32 v35, v32, v31
	v_pk_add_f32 v[14:15], v[16:17], v[14:15] neg_lo:[0,1] neg_hi:[0,1]
	v_pk_add_f32 v[36:37], v[16:17], v[34:35]
	v_mov_b32_e32 v31, v16
	v_mov_b32_e32 v15, v37
	v_pk_add_f32 v[38:39], v[30:31], v[14:15] neg_lo:[0,1] neg_hi:[0,1]
	v_pk_add_f32 v[14:15], v[30:31], v[14:15]
	v_mov_b32_e32 v34, v35
	v_pk_add_f32 v[30:31], v[14:15], v[16:17] op_sel:[1,0] op_sel_hi:[0,1] neg_lo:[0,1] neg_hi:[0,1]
	v_pk_add_f32 v[40:41], v[36:37], v[30:31] op_sel_hi:[1,0] neg_lo:[0,1] neg_hi:[0,1]
	v_mov_b32_e32 v36, v37
	v_mov_b32_e32 v37, v15
	v_pk_mov_b32 v[30:31], v[16:17], v[30:31] op_sel:[1,0]
	v_mov_b32_e32 v35, v16
	v_pk_add_f32 v[30:31], v[36:37], v[30:31] neg_lo:[0,1] neg_hi:[0,1]
	v_mov_b32_e32 v40, v38
	v_pk_add_f32 v[16:17], v[34:35], v[30:31] neg_lo:[0,1] neg_hi:[0,1]
	v_mov_b32_e32 v39, v15
	v_pk_add_f32 v[30:31], v[40:41], v[16:17]
	s_mov_b32 s28, 0x33800000
	v_pk_add_f32 v[34:35], v[30:31], v[30:31] op_sel:[0,1] op_sel_hi:[1,0]
	s_nop 0
	v_pk_add_f32 v[14:15], v[14:15], v[34:35] op_sel:[1,0] op_sel_hi:[0,1]
	v_mov_b32_e32 v31, v14
	v_pk_add_f32 v[36:37], v[30:31], v[38:39] neg_lo:[0,1] neg_hi:[0,1]
	v_mov_b32_e32 v17, v34
	v_sub_f32_e32 v15, v30, v36
	v_pk_add_f32 v[16:17], v[16:17], v[36:37] neg_lo:[0,1] neg_hi:[0,1]
	v_sub_f32_e32 v15, v38, v15
	v_add_f32_e32 v15, v16, v15
	v_add_f32_e32 v15, v15, v17
	;; [unrolled: 1-line block ×3, first 2 shown]
	v_cndmask_b32_e32 v14, v29, v14, vcc
	v_cmp_lt_f32_e64 vcc, |v13|, s28
	s_nop 1
	v_cndmask_b32_e32 v13, v14, v13, vcc
	v_add_f32_e32 v13, v12, v13
.LBB455_106:
	s_or_b64 exec, exec, s[0:1]
	v_bfe_u32 v12, v13, 16, 1
	v_add3_u32 v12, v13, v12, s29
	v_cmp_o_f32_e32 vcc, v13, v13
	s_movk_i32 s28, 0x1f8
	s_nop 0
	v_cndmask_b32_sdwa v11, v11, v12, vcc dst_sel:DWORD dst_unused:UNUSED_PAD src0_sel:DWORD src1_sel:WORD_1
	v_lshlrev_b32_e32 v12, 16, v11
	v_max_f32_e32 v14, v12, v12
	v_min_f32_e32 v13, v14, v19
	v_cmp_u_f32_e32 vcc, v12, v12
	v_max_f32_e32 v14, v14, v19
	s_nop 0
	v_cndmask_b32_e32 v13, v13, v12, vcc
	v_cndmask_b32_e32 v14, v14, v12, vcc
	v_cndmask_b32_e64 v13, v13, v7, s[42:43]
	v_cndmask_b32_e64 v7, v14, v7, s[42:43]
	v_cmp_neq_f32_e32 vcc, v13, v7
	v_cmp_class_f32_e64 s[0:1], v13, s28
	s_or_b64 s[30:31], vcc, s[0:1]
	s_and_saveexec_b64 s[0:1], s[30:31]
	s_cbranch_execz .LBB455_108
; %bb.107:
	v_sub_f32_e32 v12, v13, v7
	s_mov_b32 s29, 0x3fb8aa3b
	v_mul_f32_e32 v13, 0x3fb8aa3b, v12
	v_fma_f32 v14, v12, s29, -v13
	v_rndne_f32_e32 v15, v13
	v_fmamk_f32 v14, v12, 0x32a5705f, v14
	v_sub_f32_e32 v13, v13, v15
	v_add_f32_e32 v13, v13, v14
	v_exp_f32_e32 v13, v13
	v_cvt_i32_f32_e32 v14, v15
	s_mov_b32 s29, 0xc2ce8ed0
	v_cmp_ngt_f32_e32 vcc, s29, v12
	s_mov_b32 s29, 0x42b17218
	v_ldexp_f32 v13, v13, v14
	v_cndmask_b32_e32 v13, 0, v13, vcc
	v_mov_b32_e32 v19, 0x7f800000
	v_cmp_nlt_f32_e32 vcc, s29, v12
	s_mov_b32 s29, 0x3f2aaaab
	s_mov_b32 s30, 0x7f800000
	v_cndmask_b32_e32 v29, v19, v13, vcc
	v_add_f32_e32 v14, 1.0, v29
	v_add_f32_e32 v12, -1.0, v14
	v_sub_f32_e32 v13, v12, v14
	v_add_f32_e32 v13, 1.0, v13
	v_sub_f32_e32 v12, v29, v12
	v_add_f32_e32 v15, v12, v13
	v_frexp_mant_f32_e32 v16, v14
	v_cvt_f64_f32_e32 v[12:13], v14
	v_frexp_exp_i32_f64_e32 v12, v[12:13]
	v_cmp_gt_f32_e32 vcc, s29, v16
	s_mov_b32 s29, 0x3f317218
	s_nop 0
	v_subbrev_co_u32_e32 v32, vcc, 0, v12, vcc
	v_sub_u32_e32 v12, 0, v32
	v_ldexp_f32 v13, v14, v12
	v_add_f32_e32 v14, -1.0, v13
	v_add_f32_e32 v16, 1.0, v13
	v_ldexp_f32 v12, v15, v12
	v_add_f32_e32 v15, 1.0, v14
	v_add_f32_e32 v17, -1.0, v16
	v_sub_f32_e32 v15, v13, v15
	v_sub_f32_e32 v13, v13, v17
	v_add_f32_e32 v15, v12, v15
	v_add_f32_e32 v12, v12, v13
	;; [unrolled: 1-line block ×3, first 2 shown]
	v_rcp_f32_e32 v36, v34
	v_sub_f32_e32 v13, v16, v34
	s_waitcnt lgkmcnt(0)
	v_add_f32_e32 v35, v12, v13
	v_add_f32_e32 v13, v14, v15
	v_mul_f32_e32 v38, v13, v36
	v_sub_f32_e32 v12, v14, v13
	v_mul_f32_e32 v14, v34, v38
	v_fma_f32 v16, v38, v34, -v14
	v_fmac_f32_e32 v16, v38, v35
	v_add_f32_e32 v37, v15, v12
	v_add_f32_e32 v12, v14, v16
	v_sub_f32_e32 v15, v13, v12
	v_pk_add_f32 v[30:31], v[12:13], v[14:15] neg_lo:[0,1] neg_hi:[0,1]
	v_mov_b32_e32 v17, v12
	v_pk_add_f32 v[12:13], v[30:31], v[16:17] neg_lo:[0,1] neg_hi:[0,1]
	v_cmp_neq_f32_e32 vcc, s30, v29
	v_add_f32_e32 v13, v37, v13
	v_add_f32_e32 v12, v12, v13
	;; [unrolled: 1-line block ×3, first 2 shown]
	v_mul_f32_e32 v37, v36, v13
	v_mul_f32_e32 v14, v34, v37
	v_fma_f32 v16, v37, v34, -v14
	v_fmac_f32_e32 v16, v37, v35
	v_sub_f32_e32 v15, v15, v13
	v_add_f32_e32 v34, v12, v15
	v_add_f32_e32 v12, v14, v16
	v_sub_f32_e32 v15, v13, v12
	v_pk_add_f32 v[30:31], v[12:13], v[14:15] neg_lo:[0,1] neg_hi:[0,1]
	v_mov_b32_e32 v17, v12
	v_pk_add_f32 v[12:13], v[30:31], v[16:17] neg_lo:[0,1] neg_hi:[0,1]
	v_cvt_f32_i32_e32 v14, v32
	v_add_f32_e32 v13, v34, v13
	v_add_f32_e32 v12, v12, v13
	v_add_f32_e32 v12, v15, v12
	v_add_f32_e32 v15, v38, v37
	v_sub_f32_e32 v13, v15, v38
	v_mul_f32_e32 v12, v36, v12
	v_sub_f32_e32 v13, v37, v13
	v_add_f32_e32 v12, v13, v12
	v_add_f32_e32 v16, v15, v12
	v_mul_f32_e32 v30, v16, v16
	v_mov_b32_e32 v13, 0x3ecc95a3
	v_sub_f32_e32 v15, v16, v15
	v_fmac_f32_e32 v13, 0x3e9b6dac, v30
	v_sub_f32_e32 v12, v12, v15
	v_fmaak_f32 v13, v30, v13, 0x3f2aaada
	v_ldexp_f32 v31, v12, 1
	v_mul_f32_e32 v15, v16, v30
	v_mov_b32_e32 v12, 0x3f317218
	v_pk_mul_f32 v[12:13], v[14:15], v[12:13]
	v_ldexp_f32 v17, v16, 1
	v_fma_f32 v15, v14, s29, -v12
	v_fmamk_f32 v16, v14, 0xb102e308, v15
	v_pk_add_f32 v[14:15], v[12:13], v[16:17]
	v_mov_b32_e32 v30, v12
	v_sub_f32_e32 v17, v15, v17
	v_sub_f32_e32 v17, v13, v17
	v_add_f32_e32 v31, v31, v17
	v_pk_add_f32 v[12:13], v[14:15], v[12:13] neg_lo:[0,1] neg_hi:[0,1]
	v_pk_add_f32 v[34:35], v[14:15], v[30:31]
	v_mov_b32_e32 v17, v14
	v_mov_b32_e32 v13, v35
	v_pk_add_f32 v[36:37], v[16:17], v[12:13] neg_lo:[0,1] neg_hi:[0,1]
	v_pk_add_f32 v[12:13], v[16:17], v[12:13]
	v_mov_b32_e32 v30, v31
	v_pk_add_f32 v[16:17], v[12:13], v[14:15] op_sel:[1,0] op_sel_hi:[0,1] neg_lo:[0,1] neg_hi:[0,1]
	v_pk_add_f32 v[38:39], v[34:35], v[16:17] op_sel_hi:[1,0] neg_lo:[0,1] neg_hi:[0,1]
	v_mov_b32_e32 v34, v35
	v_mov_b32_e32 v35, v13
	v_pk_mov_b32 v[16:17], v[14:15], v[16:17] op_sel:[1,0]
	v_mov_b32_e32 v31, v14
	v_pk_add_f32 v[16:17], v[34:35], v[16:17] neg_lo:[0,1] neg_hi:[0,1]
	v_mov_b32_e32 v38, v36
	v_pk_add_f32 v[14:15], v[30:31], v[16:17] neg_lo:[0,1] neg_hi:[0,1]
	v_mov_b32_e32 v37, v13
	v_pk_add_f32 v[16:17], v[38:39], v[14:15]
	s_mov_b32 s29, 0x33800000
	v_pk_add_f32 v[30:31], v[16:17], v[16:17] op_sel:[0,1] op_sel_hi:[1,0]
	s_nop 0
	v_pk_add_f32 v[12:13], v[12:13], v[30:31] op_sel:[1,0] op_sel_hi:[0,1]
	v_mov_b32_e32 v17, v12
	v_pk_add_f32 v[34:35], v[16:17], v[36:37] neg_lo:[0,1] neg_hi:[0,1]
	v_mov_b32_e32 v15, v30
	v_sub_f32_e32 v13, v16, v34
	v_pk_add_f32 v[14:15], v[14:15], v[34:35] neg_lo:[0,1] neg_hi:[0,1]
	v_sub_f32_e32 v13, v36, v13
	v_add_f32_e32 v13, v14, v13
	v_add_f32_e32 v13, v13, v15
	v_add_f32_e32 v12, v12, v13
	v_cndmask_b32_e32 v12, v19, v12, vcc
	v_cmp_lt_f32_e64 vcc, |v29|, s29
	s_nop 1
	v_cndmask_b32_e32 v12, v12, v29, vcc
	v_add_f32_e32 v12, v7, v12
.LBB455_108:
	s_or_b64 exec, exec, s[0:1]
	v_bfe_u32 v7, v12, 16, 1
	s_movk_i32 s29, 0x7fff
	v_add3_u32 v7, v12, v7, s29
	v_cmp_o_f32_e32 vcc, v12, v12
	v_mov_b32_e32 v12, 0x7fc0
	s_nop 0
	v_cndmask_b32_sdwa v7, v12, v7, vcc dst_sel:DWORD dst_unused:UNUSED_PAD src0_sel:DWORD src1_sel:WORD_1
	v_lshlrev_b32_e32 v14, 16, v7
	v_max_f32_e32 v13, v14, v14
	v_min_f32_e32 v15, v13, v20
	v_cmp_u_f32_e32 vcc, v14, v14
	v_max_f32_e32 v13, v13, v20
	s_nop 0
	v_cndmask_b32_e32 v15, v15, v14, vcc
	v_cndmask_b32_e32 v13, v13, v14, vcc
	v_cndmask_b32_e64 v15, v15, v18, s[44:45]
	v_cndmask_b32_e64 v13, v13, v18, s[44:45]
	v_cmp_neq_f32_e32 vcc, v15, v13
	v_cmp_class_f32_e64 s[0:1], v15, s28
	s_or_b64 s[30:31], vcc, s[0:1]
	s_and_saveexec_b64 s[0:1], s[30:31]
	s_cbranch_execz .LBB455_110
; %bb.109:
	v_sub_f32_e32 v14, v15, v13
	s_mov_b32 s28, 0x3fb8aa3b
	v_mul_f32_e32 v15, 0x3fb8aa3b, v14
	v_fma_f32 v16, v14, s28, -v15
	v_rndne_f32_e32 v17, v15
	v_fmamk_f32 v16, v14, 0x32a5705f, v16
	v_sub_f32_e32 v15, v15, v17
	v_add_f32_e32 v15, v15, v16
	v_exp_f32_e32 v15, v15
	v_cvt_i32_f32_e32 v16, v17
	s_mov_b32 s28, 0xc2ce8ed0
	v_cmp_ngt_f32_e32 vcc, s28, v14
	s_mov_b32 s28, 0x42b17218
	v_ldexp_f32 v15, v15, v16
	v_cndmask_b32_e32 v15, 0, v15, vcc
	v_mov_b32_e32 v20, 0x7f800000
	v_cmp_nlt_f32_e32 vcc, s28, v14
	s_mov_b32 s28, 0x3f2aaaab
	s_mov_b32 s30, 0x7f800000
	v_cndmask_b32_e32 v29, v20, v15, vcc
	v_add_f32_e32 v16, 1.0, v29
	v_add_f32_e32 v14, -1.0, v16
	v_sub_f32_e32 v15, v14, v16
	v_add_f32_e32 v15, 1.0, v15
	v_sub_f32_e32 v14, v29, v14
	v_add_f32_e32 v17, v14, v15
	v_frexp_mant_f32_e32 v18, v16
	v_cvt_f64_f32_e32 v[14:15], v16
	v_frexp_exp_i32_f64_e32 v14, v[14:15]
	v_cmp_gt_f32_e32 vcc, s28, v18
	s_mov_b32 s28, 0x3f317218
	s_nop 0
	v_subbrev_co_u32_e32 v32, vcc, 0, v14, vcc
	v_sub_u32_e32 v14, 0, v32
	v_ldexp_f32 v15, v16, v14
	v_add_f32_e32 v16, -1.0, v15
	v_add_f32_e32 v18, 1.0, v15
	v_ldexp_f32 v14, v17, v14
	v_add_f32_e32 v17, 1.0, v16
	v_add_f32_e32 v19, -1.0, v18
	v_sub_f32_e32 v17, v15, v17
	v_sub_f32_e32 v15, v15, v19
	v_add_f32_e32 v17, v14, v17
	v_add_f32_e32 v14, v14, v15
	;; [unrolled: 1-line block ×3, first 2 shown]
	v_rcp_f32_e32 v36, v34
	v_sub_f32_e32 v15, v18, v34
	s_waitcnt lgkmcnt(0)
	v_add_f32_e32 v35, v14, v15
	v_add_f32_e32 v15, v16, v17
	v_mul_f32_e32 v38, v15, v36
	v_sub_f32_e32 v14, v16, v15
	v_mul_f32_e32 v16, v34, v38
	v_fma_f32 v18, v38, v34, -v16
	v_fmac_f32_e32 v18, v38, v35
	v_add_f32_e32 v37, v17, v14
	v_add_f32_e32 v14, v16, v18
	v_sub_f32_e32 v17, v15, v14
	v_pk_add_f32 v[30:31], v[14:15], v[16:17] neg_lo:[0,1] neg_hi:[0,1]
	v_mov_b32_e32 v19, v14
	v_pk_add_f32 v[14:15], v[30:31], v[18:19] neg_lo:[0,1] neg_hi:[0,1]
	v_cmp_neq_f32_e32 vcc, s30, v29
	v_add_f32_e32 v15, v37, v15
	v_add_f32_e32 v14, v14, v15
	;; [unrolled: 1-line block ×3, first 2 shown]
	v_mul_f32_e32 v37, v36, v15
	v_mul_f32_e32 v16, v34, v37
	v_fma_f32 v18, v37, v34, -v16
	v_fmac_f32_e32 v18, v37, v35
	v_sub_f32_e32 v17, v17, v15
	v_add_f32_e32 v34, v14, v17
	v_add_f32_e32 v14, v16, v18
	v_sub_f32_e32 v17, v15, v14
	v_pk_add_f32 v[30:31], v[14:15], v[16:17] neg_lo:[0,1] neg_hi:[0,1]
	v_mov_b32_e32 v19, v14
	v_pk_add_f32 v[14:15], v[30:31], v[18:19] neg_lo:[0,1] neg_hi:[0,1]
	v_cvt_f32_i32_e32 v16, v32
	v_add_f32_e32 v15, v34, v15
	v_add_f32_e32 v14, v14, v15
	;; [unrolled: 1-line block ×4, first 2 shown]
	v_sub_f32_e32 v15, v17, v38
	v_mul_f32_e32 v14, v36, v14
	v_sub_f32_e32 v15, v37, v15
	v_add_f32_e32 v14, v15, v14
	v_add_f32_e32 v18, v17, v14
	v_mul_f32_e32 v30, v18, v18
	v_mov_b32_e32 v15, 0x3ecc95a3
	v_sub_f32_e32 v17, v18, v17
	v_fmac_f32_e32 v15, 0x3e9b6dac, v30
	v_sub_f32_e32 v14, v14, v17
	v_fmaak_f32 v15, v30, v15, 0x3f2aaada
	v_ldexp_f32 v31, v14, 1
	v_mul_f32_e32 v17, v18, v30
	v_mov_b32_e32 v14, 0x3f317218
	v_pk_mul_f32 v[14:15], v[16:17], v[14:15]
	v_ldexp_f32 v19, v18, 1
	v_fma_f32 v17, v16, s28, -v14
	v_fmamk_f32 v18, v16, 0xb102e308, v17
	v_pk_add_f32 v[16:17], v[14:15], v[18:19]
	v_mov_b32_e32 v30, v14
	v_sub_f32_e32 v19, v17, v19
	v_sub_f32_e32 v19, v15, v19
	v_add_f32_e32 v31, v31, v19
	v_pk_add_f32 v[14:15], v[16:17], v[14:15] neg_lo:[0,1] neg_hi:[0,1]
	v_pk_add_f32 v[34:35], v[16:17], v[30:31]
	v_mov_b32_e32 v19, v16
	v_mov_b32_e32 v15, v35
	v_pk_add_f32 v[36:37], v[18:19], v[14:15] neg_lo:[0,1] neg_hi:[0,1]
	v_pk_add_f32 v[14:15], v[18:19], v[14:15]
	v_mov_b32_e32 v30, v31
	v_pk_add_f32 v[18:19], v[14:15], v[16:17] op_sel:[1,0] op_sel_hi:[0,1] neg_lo:[0,1] neg_hi:[0,1]
	v_pk_add_f32 v[38:39], v[34:35], v[18:19] op_sel_hi:[1,0] neg_lo:[0,1] neg_hi:[0,1]
	v_mov_b32_e32 v34, v35
	v_mov_b32_e32 v35, v15
	v_pk_mov_b32 v[18:19], v[16:17], v[18:19] op_sel:[1,0]
	v_mov_b32_e32 v31, v16
	v_pk_add_f32 v[18:19], v[34:35], v[18:19] neg_lo:[0,1] neg_hi:[0,1]
	v_mov_b32_e32 v38, v36
	v_pk_add_f32 v[16:17], v[30:31], v[18:19] neg_lo:[0,1] neg_hi:[0,1]
	v_mov_b32_e32 v37, v15
	v_pk_add_f32 v[18:19], v[38:39], v[16:17]
	s_mov_b32 s28, 0x33800000
	v_pk_add_f32 v[30:31], v[18:19], v[18:19] op_sel:[0,1] op_sel_hi:[1,0]
	s_nop 0
	v_pk_add_f32 v[14:15], v[14:15], v[30:31] op_sel:[1,0] op_sel_hi:[0,1]
	v_mov_b32_e32 v19, v14
	v_pk_add_f32 v[34:35], v[18:19], v[36:37] neg_lo:[0,1] neg_hi:[0,1]
	v_mov_b32_e32 v17, v30
	v_sub_f32_e32 v15, v18, v34
	v_pk_add_f32 v[16:17], v[16:17], v[34:35] neg_lo:[0,1] neg_hi:[0,1]
	v_sub_f32_e32 v15, v36, v15
	v_add_f32_e32 v15, v16, v15
	v_add_f32_e32 v15, v15, v17
	;; [unrolled: 1-line block ×3, first 2 shown]
	v_cndmask_b32_e32 v14, v20, v14, vcc
	v_cmp_lt_f32_e64 vcc, |v29|, s28
	s_nop 1
	v_cndmask_b32_e32 v14, v14, v29, vcc
	v_add_f32_e32 v14, v13, v14
.LBB455_110:
	s_or_b64 exec, exec, s[0:1]
	v_bfe_u32 v13, v14, 16, 1
	v_add3_u32 v13, v14, v13, s29
	v_cmp_o_f32_e32 vcc, v14, v14
	s_movk_i32 s28, 0x1f8
	s_nop 0
	v_cndmask_b32_sdwa v12, v12, v13, vcc dst_sel:DWORD dst_unused:UNUSED_PAD src0_sel:DWORD src1_sel:WORD_1
	v_lshlrev_b32_e32 v13, 16, v12
	v_max_f32_e32 v15, v13, v13
	v_min_f32_e32 v14, v15, v22
	v_cmp_u_f32_e32 vcc, v13, v13
	v_max_f32_e32 v15, v15, v22
	s_nop 0
	v_cndmask_b32_e32 v14, v14, v13, vcc
	v_cndmask_b32_e32 v15, v15, v13, vcc
	v_cndmask_b32_e64 v14, v14, v4, s[46:47]
	v_cndmask_b32_e64 v4, v15, v4, s[46:47]
	v_cmp_neq_f32_e32 vcc, v14, v4
	v_cmp_class_f32_e64 s[0:1], v14, s28
	s_or_b64 s[30:31], vcc, s[0:1]
	s_and_saveexec_b64 s[0:1], s[30:31]
	s_cbranch_execz .LBB455_112
; %bb.111:
	v_sub_f32_e32 v13, v14, v4
	s_mov_b32 s29, 0x3fb8aa3b
	v_mul_f32_e32 v14, 0x3fb8aa3b, v13
	v_fma_f32 v15, v13, s29, -v14
	v_rndne_f32_e32 v16, v14
	v_fmamk_f32 v15, v13, 0x32a5705f, v15
	v_sub_f32_e32 v14, v14, v16
	v_add_f32_e32 v14, v14, v15
	v_exp_f32_e32 v14, v14
	v_cvt_i32_f32_e32 v15, v16
	s_mov_b32 s29, 0xc2ce8ed0
	v_cmp_ngt_f32_e32 vcc, s29, v13
	s_mov_b32 s29, 0x42b17218
	v_ldexp_f32 v14, v14, v15
	v_cndmask_b32_e32 v14, 0, v14, vcc
	v_mov_b32_e32 v20, 0x7f800000
	v_cmp_nlt_f32_e32 vcc, s29, v13
	s_mov_b32 s29, 0x3f2aaaab
	s_mov_b32 s30, 0x7f800000
	v_cndmask_b32_e32 v13, v20, v14, vcc
	v_add_f32_e32 v16, 1.0, v13
	v_add_f32_e32 v14, -1.0, v16
	v_sub_f32_e32 v15, v14, v16
	v_add_f32_e32 v15, 1.0, v15
	v_sub_f32_e32 v14, v13, v14
	v_add_f32_e32 v17, v14, v15
	v_frexp_mant_f32_e32 v18, v16
	v_cvt_f64_f32_e32 v[14:15], v16
	v_frexp_exp_i32_f64_e32 v14, v[14:15]
	v_cmp_gt_f32_e32 vcc, s29, v18
	s_mov_b32 s29, 0x3f317218
	s_nop 0
	v_subbrev_co_u32_e32 v22, vcc, 0, v14, vcc
	v_sub_u32_e32 v14, 0, v22
	v_ldexp_f32 v15, v16, v14
	v_add_f32_e32 v16, -1.0, v15
	v_add_f32_e32 v18, 1.0, v15
	v_ldexp_f32 v14, v17, v14
	v_add_f32_e32 v17, 1.0, v16
	v_add_f32_e32 v19, -1.0, v18
	v_sub_f32_e32 v17, v15, v17
	v_sub_f32_e32 v15, v15, v19
	v_add_f32_e32 v17, v14, v17
	v_add_f32_e32 v14, v14, v15
	;; [unrolled: 1-line block ×3, first 2 shown]
	v_rcp_f32_e32 v34, v29
	v_sub_f32_e32 v15, v18, v29
	v_add_f32_e32 v32, v14, v15
	v_add_f32_e32 v15, v16, v17
	v_mul_f32_e32 v36, v15, v34
	v_sub_f32_e32 v14, v16, v15
	v_mul_f32_e32 v16, v29, v36
	v_fma_f32 v18, v36, v29, -v16
	v_fmac_f32_e32 v18, v36, v32
	s_waitcnt lgkmcnt(0)
	v_add_f32_e32 v35, v17, v14
	v_add_f32_e32 v14, v16, v18
	v_sub_f32_e32 v17, v15, v14
	v_pk_add_f32 v[30:31], v[14:15], v[16:17] neg_lo:[0,1] neg_hi:[0,1]
	v_mov_b32_e32 v19, v14
	v_pk_add_f32 v[14:15], v[30:31], v[18:19] neg_lo:[0,1] neg_hi:[0,1]
	v_cmp_neq_f32_e32 vcc, s30, v13
	v_add_f32_e32 v15, v35, v15
	v_add_f32_e32 v14, v14, v15
	;; [unrolled: 1-line block ×3, first 2 shown]
	v_mul_f32_e32 v35, v34, v15
	v_mul_f32_e32 v16, v29, v35
	v_fma_f32 v18, v35, v29, -v16
	v_fmac_f32_e32 v18, v35, v32
	v_sub_f32_e32 v17, v17, v15
	v_add_f32_e32 v29, v14, v17
	v_add_f32_e32 v14, v16, v18
	v_sub_f32_e32 v17, v15, v14
	v_pk_add_f32 v[30:31], v[14:15], v[16:17] neg_lo:[0,1] neg_hi:[0,1]
	v_mov_b32_e32 v19, v14
	v_pk_add_f32 v[14:15], v[30:31], v[18:19] neg_lo:[0,1] neg_hi:[0,1]
	v_cvt_f32_i32_e32 v16, v22
	v_add_f32_e32 v15, v29, v15
	v_add_f32_e32 v14, v14, v15
	;; [unrolled: 1-line block ×4, first 2 shown]
	v_sub_f32_e32 v15, v17, v36
	v_mul_f32_e32 v14, v34, v14
	v_sub_f32_e32 v15, v35, v15
	v_add_f32_e32 v14, v15, v14
	v_add_f32_e32 v18, v17, v14
	v_mul_f32_e32 v29, v18, v18
	v_mov_b32_e32 v15, 0x3ecc95a3
	v_sub_f32_e32 v17, v18, v17
	v_fmac_f32_e32 v15, 0x3e9b6dac, v29
	v_sub_f32_e32 v14, v14, v17
	v_fmaak_f32 v15, v29, v15, 0x3f2aaada
	v_ldexp_f32 v22, v14, 1
	v_mul_f32_e32 v17, v18, v29
	v_mov_b32_e32 v14, 0x3f317218
	v_pk_mul_f32 v[14:15], v[16:17], v[14:15]
	v_ldexp_f32 v19, v18, 1
	v_fma_f32 v17, v16, s29, -v14
	v_fmamk_f32 v18, v16, 0xb102e308, v17
	v_pk_add_f32 v[16:17], v[14:15], v[18:19]
	v_mov_b32_e32 v30, v14
	v_sub_f32_e32 v19, v17, v19
	v_sub_f32_e32 v19, v15, v19
	v_add_f32_e32 v31, v22, v19
	v_pk_add_f32 v[14:15], v[16:17], v[14:15] neg_lo:[0,1] neg_hi:[0,1]
	v_pk_add_f32 v[34:35], v[16:17], v[30:31]
	v_mov_b32_e32 v19, v16
	v_mov_b32_e32 v15, v35
	v_pk_add_f32 v[36:37], v[18:19], v[14:15] neg_lo:[0,1] neg_hi:[0,1]
	v_pk_add_f32 v[14:15], v[18:19], v[14:15]
	v_mov_b32_e32 v30, v31
	v_pk_add_f32 v[18:19], v[14:15], v[16:17] op_sel:[1,0] op_sel_hi:[0,1] neg_lo:[0,1] neg_hi:[0,1]
	v_pk_add_f32 v[38:39], v[34:35], v[18:19] op_sel_hi:[1,0] neg_lo:[0,1] neg_hi:[0,1]
	v_mov_b32_e32 v34, v35
	v_mov_b32_e32 v35, v15
	v_pk_mov_b32 v[18:19], v[16:17], v[18:19] op_sel:[1,0]
	v_mov_b32_e32 v31, v16
	v_pk_add_f32 v[18:19], v[34:35], v[18:19] neg_lo:[0,1] neg_hi:[0,1]
	v_mov_b32_e32 v38, v36
	v_pk_add_f32 v[16:17], v[30:31], v[18:19] neg_lo:[0,1] neg_hi:[0,1]
	v_mov_b32_e32 v37, v15
	v_pk_add_f32 v[18:19], v[38:39], v[16:17]
	s_mov_b32 s29, 0x33800000
	v_pk_add_f32 v[30:31], v[18:19], v[18:19] op_sel:[0,1] op_sel_hi:[1,0]
	s_nop 0
	v_pk_add_f32 v[14:15], v[14:15], v[30:31] op_sel:[1,0] op_sel_hi:[0,1]
	v_mov_b32_e32 v19, v14
	v_pk_add_f32 v[34:35], v[18:19], v[36:37] neg_lo:[0,1] neg_hi:[0,1]
	v_mov_b32_e32 v17, v30
	v_sub_f32_e32 v15, v18, v34
	v_pk_add_f32 v[16:17], v[16:17], v[34:35] neg_lo:[0,1] neg_hi:[0,1]
	v_sub_f32_e32 v15, v36, v15
	v_add_f32_e32 v15, v16, v15
	v_add_f32_e32 v15, v15, v17
	;; [unrolled: 1-line block ×3, first 2 shown]
	v_cndmask_b32_e32 v14, v20, v14, vcc
	v_cmp_lt_f32_e64 vcc, |v13|, s29
	s_nop 1
	v_cndmask_b32_e32 v13, v14, v13, vcc
	v_add_f32_e32 v13, v4, v13
.LBB455_112:
	s_or_b64 exec, exec, s[0:1]
	v_bfe_u32 v4, v13, 16, 1
	s_movk_i32 s29, 0x7fff
	v_add3_u32 v4, v13, v4, s29
	v_cmp_o_f32_e32 vcc, v13, v13
	v_mov_b32_e32 v13, 0x7fc0
	s_nop 0
	v_cndmask_b32_sdwa v4, v13, v4, vcc dst_sel:DWORD dst_unused:UNUSED_PAD src0_sel:DWORD src1_sel:WORD_1
	v_lshlrev_b32_e32 v15, 16, v4
	v_max_f32_e32 v14, v15, v15
	v_min_f32_e32 v16, v14, v23
	v_cmp_u_f32_e32 vcc, v15, v15
	v_max_f32_e32 v14, v14, v23
	s_nop 0
	v_cndmask_b32_e32 v16, v16, v15, vcc
	v_cndmask_b32_e32 v14, v14, v15, vcc
	v_cndmask_b32_e64 v16, v16, v21, s[48:49]
	v_cndmask_b32_e64 v14, v14, v21, s[48:49]
	v_cmp_neq_f32_e32 vcc, v16, v14
	v_cmp_class_f32_e64 s[0:1], v16, s28
	s_or_b64 s[30:31], vcc, s[0:1]
	s_and_saveexec_b64 s[0:1], s[30:31]
	s_cbranch_execz .LBB455_114
; %bb.113:
	v_sub_f32_e32 v15, v16, v14
	s_mov_b32 s28, 0x3fb8aa3b
	v_mul_f32_e32 v16, 0x3fb8aa3b, v15
	v_fma_f32 v17, v15, s28, -v16
	v_rndne_f32_e32 v18, v16
	v_fmamk_f32 v17, v15, 0x32a5705f, v17
	v_sub_f32_e32 v16, v16, v18
	v_add_f32_e32 v16, v16, v17
	v_exp_f32_e32 v16, v16
	v_cvt_i32_f32_e32 v17, v18
	s_mov_b32 s28, 0xc2ce8ed0
	v_cmp_ngt_f32_e32 vcc, s28, v15
	s_mov_b32 s28, 0x42b17218
	v_ldexp_f32 v16, v16, v17
	v_cndmask_b32_e32 v16, 0, v16, vcc
	v_mov_b32_e32 v29, 0x7f800000
	v_cmp_nlt_f32_e32 vcc, s28, v15
	s_mov_b32 s28, 0x3f2aaaab
	s_mov_b32 s30, 0x7f800000
	v_cndmask_b32_e32 v15, v29, v16, vcc
	v_add_f32_e32 v18, 1.0, v15
	v_add_f32_e32 v16, -1.0, v18
	v_sub_f32_e32 v17, v16, v18
	v_add_f32_e32 v17, 1.0, v17
	v_sub_f32_e32 v16, v15, v16
	v_add_f32_e32 v19, v16, v17
	v_frexp_mant_f32_e32 v20, v18
	v_cvt_f64_f32_e32 v[16:17], v18
	v_frexp_exp_i32_f64_e32 v16, v[16:17]
	v_cmp_gt_f32_e32 vcc, s28, v20
	s_mov_b32 s28, 0x3f317218
	s_nop 0
	v_subbrev_co_u32_e32 v30, vcc, 0, v16, vcc
	v_sub_u32_e32 v16, 0, v30
	v_ldexp_f32 v17, v18, v16
	v_add_f32_e32 v18, -1.0, v17
	v_add_f32_e32 v20, 1.0, v17
	v_ldexp_f32 v16, v19, v16
	v_add_f32_e32 v19, 1.0, v18
	v_add_f32_e32 v21, -1.0, v20
	v_sub_f32_e32 v19, v17, v19
	v_sub_f32_e32 v17, v17, v21
	v_add_f32_e32 v19, v16, v19
	v_add_f32_e32 v16, v16, v17
	;; [unrolled: 1-line block ×3, first 2 shown]
	v_rcp_f32_e32 v34, v31
	v_sub_f32_e32 v17, v20, v31
	v_add_f32_e32 v32, v16, v17
	v_add_f32_e32 v17, v18, v19
	v_mul_f32_e32 v36, v17, v34
	v_sub_f32_e32 v16, v18, v17
	v_mul_f32_e32 v18, v31, v36
	v_fma_f32 v20, v36, v31, -v18
	v_fmac_f32_e32 v20, v36, v32
	s_waitcnt lgkmcnt(0)
	v_add_f32_e32 v35, v19, v16
	v_add_f32_e32 v16, v18, v20
	v_sub_f32_e32 v19, v17, v16
	v_pk_add_f32 v[22:23], v[16:17], v[18:19] neg_lo:[0,1] neg_hi:[0,1]
	v_mov_b32_e32 v21, v16
	v_pk_add_f32 v[16:17], v[22:23], v[20:21] neg_lo:[0,1] neg_hi:[0,1]
	v_cmp_neq_f32_e32 vcc, s30, v15
	v_add_f32_e32 v17, v35, v17
	v_add_f32_e32 v16, v16, v17
	;; [unrolled: 1-line block ×3, first 2 shown]
	v_mul_f32_e32 v35, v34, v17
	v_mul_f32_e32 v18, v31, v35
	v_fma_f32 v20, v35, v31, -v18
	v_fmac_f32_e32 v20, v35, v32
	v_sub_f32_e32 v19, v19, v17
	v_add_f32_e32 v31, v16, v19
	v_add_f32_e32 v16, v18, v20
	v_sub_f32_e32 v19, v17, v16
	v_pk_add_f32 v[22:23], v[16:17], v[18:19] neg_lo:[0,1] neg_hi:[0,1]
	v_mov_b32_e32 v21, v16
	v_pk_add_f32 v[16:17], v[22:23], v[20:21] neg_lo:[0,1] neg_hi:[0,1]
	v_cvt_f32_i32_e32 v18, v30
	v_add_f32_e32 v17, v31, v17
	v_add_f32_e32 v16, v16, v17
	;; [unrolled: 1-line block ×4, first 2 shown]
	v_sub_f32_e32 v17, v19, v36
	v_mul_f32_e32 v16, v34, v16
	v_sub_f32_e32 v17, v35, v17
	v_add_f32_e32 v16, v17, v16
	v_add_f32_e32 v20, v19, v16
	v_mul_f32_e32 v22, v20, v20
	v_mov_b32_e32 v17, 0x3ecc95a3
	v_sub_f32_e32 v19, v20, v19
	v_fmac_f32_e32 v17, 0x3e9b6dac, v22
	v_sub_f32_e32 v16, v16, v19
	v_fmaak_f32 v17, v22, v17, 0x3f2aaada
	v_ldexp_f32 v23, v16, 1
	v_mul_f32_e32 v19, v20, v22
	v_mov_b32_e32 v16, 0x3f317218
	v_pk_mul_f32 v[16:17], v[18:19], v[16:17]
	v_ldexp_f32 v21, v20, 1
	v_fma_f32 v19, v18, s28, -v16
	v_fmamk_f32 v20, v18, 0xb102e308, v19
	v_pk_add_f32 v[18:19], v[16:17], v[20:21]
	v_mov_b32_e32 v22, v16
	v_sub_f32_e32 v21, v19, v21
	v_sub_f32_e32 v21, v17, v21
	v_add_f32_e32 v23, v23, v21
	v_pk_add_f32 v[16:17], v[18:19], v[16:17] neg_lo:[0,1] neg_hi:[0,1]
	v_pk_add_f32 v[30:31], v[18:19], v[22:23]
	v_mov_b32_e32 v21, v18
	v_mov_b32_e32 v17, v31
	v_pk_add_f32 v[34:35], v[20:21], v[16:17] neg_lo:[0,1] neg_hi:[0,1]
	v_pk_add_f32 v[16:17], v[20:21], v[16:17]
	v_mov_b32_e32 v22, v23
	v_pk_add_f32 v[20:21], v[16:17], v[18:19] op_sel:[1,0] op_sel_hi:[0,1] neg_lo:[0,1] neg_hi:[0,1]
	v_pk_add_f32 v[36:37], v[30:31], v[20:21] op_sel_hi:[1,0] neg_lo:[0,1] neg_hi:[0,1]
	v_mov_b32_e32 v30, v31
	v_mov_b32_e32 v31, v17
	v_pk_mov_b32 v[20:21], v[18:19], v[20:21] op_sel:[1,0]
	v_mov_b32_e32 v23, v18
	v_pk_add_f32 v[20:21], v[30:31], v[20:21] neg_lo:[0,1] neg_hi:[0,1]
	v_mov_b32_e32 v36, v34
	v_pk_add_f32 v[18:19], v[22:23], v[20:21] neg_lo:[0,1] neg_hi:[0,1]
	v_mov_b32_e32 v35, v17
	v_pk_add_f32 v[20:21], v[36:37], v[18:19]
	s_mov_b32 s28, 0x33800000
	v_pk_add_f32 v[22:23], v[20:21], v[20:21] op_sel:[0,1] op_sel_hi:[1,0]
	s_nop 0
	v_pk_add_f32 v[16:17], v[16:17], v[22:23] op_sel:[1,0] op_sel_hi:[0,1]
	v_mov_b32_e32 v21, v16
	v_pk_add_f32 v[30:31], v[20:21], v[34:35] neg_lo:[0,1] neg_hi:[0,1]
	v_mov_b32_e32 v19, v22
	v_sub_f32_e32 v17, v20, v30
	v_pk_add_f32 v[18:19], v[18:19], v[30:31] neg_lo:[0,1] neg_hi:[0,1]
	v_sub_f32_e32 v17, v34, v17
	v_add_f32_e32 v17, v18, v17
	v_add_f32_e32 v17, v17, v19
	;; [unrolled: 1-line block ×3, first 2 shown]
	v_cndmask_b32_e32 v16, v29, v16, vcc
	v_cmp_lt_f32_e64 vcc, |v15|, s28
	s_nop 1
	v_cndmask_b32_e32 v15, v16, v15, vcc
	v_add_f32_e32 v15, v14, v15
.LBB455_114:
	s_or_b64 exec, exec, s[0:1]
	v_bfe_u32 v14, v15, 16, 1
	v_add3_u32 v14, v15, v14, s29
	v_cmp_o_f32_e32 vcc, v15, v15
	s_movk_i32 s28, 0x1f8
	s_nop 0
	v_cndmask_b32_sdwa v13, v13, v14, vcc dst_sel:DWORD dst_unused:UNUSED_PAD src0_sel:DWORD src1_sel:WORD_1
	v_lshlrev_b32_e32 v14, 16, v13
	v_max_f32_e32 v16, v14, v14
	v_min_f32_e32 v15, v16, v25
	v_cmp_u_f32_e32 vcc, v14, v14
	v_max_f32_e32 v16, v16, v25
	s_nop 0
	v_cndmask_b32_e32 v15, v15, v14, vcc
	v_cndmask_b32_e32 v16, v16, v14, vcc
	v_cndmask_b32_e64 v15, v15, v5, s[50:51]
	v_cndmask_b32_e64 v5, v16, v5, s[50:51]
	v_cmp_neq_f32_e32 vcc, v15, v5
	v_cmp_class_f32_e64 s[0:1], v15, s28
	s_or_b64 s[30:31], vcc, s[0:1]
	s_and_saveexec_b64 s[0:1], s[30:31]
	s_cbranch_execz .LBB455_116
; %bb.115:
	v_sub_f32_e32 v14, v15, v5
	s_mov_b32 s29, 0x3fb8aa3b
	v_mul_f32_e32 v15, 0x3fb8aa3b, v14
	v_fma_f32 v16, v14, s29, -v15
	v_rndne_f32_e32 v17, v15
	v_fmamk_f32 v16, v14, 0x32a5705f, v16
	v_sub_f32_e32 v15, v15, v17
	v_add_f32_e32 v15, v15, v16
	v_exp_f32_e32 v15, v15
	v_cvt_i32_f32_e32 v16, v17
	s_mov_b32 s29, 0xc2ce8ed0
	v_cmp_ngt_f32_e32 vcc, s29, v14
	s_mov_b32 s29, 0x42b17218
	v_ldexp_f32 v15, v15, v16
	v_cndmask_b32_e32 v15, 0, v15, vcc
	v_mov_b32_e32 v25, 0x7f800000
	v_cmp_nlt_f32_e32 vcc, s29, v14
	s_mov_b32 s29, 0x3f2aaaab
	s_mov_b32 s30, 0x7f800000
	v_cndmask_b32_e32 v29, v25, v15, vcc
	v_add_f32_e32 v16, 1.0, v29
	v_add_f32_e32 v14, -1.0, v16
	v_sub_f32_e32 v15, v14, v16
	v_add_f32_e32 v15, 1.0, v15
	v_sub_f32_e32 v14, v29, v14
	v_add_f32_e32 v17, v14, v15
	v_frexp_mant_f32_e32 v18, v16
	v_cvt_f64_f32_e32 v[14:15], v16
	v_frexp_exp_i32_f64_e32 v14, v[14:15]
	v_cmp_gt_f32_e32 vcc, s29, v18
	s_mov_b32 s29, 0x3f317218
	s_nop 0
	v_subbrev_co_u32_e32 v22, vcc, 0, v14, vcc
	v_sub_u32_e32 v14, 0, v22
	v_ldexp_f32 v15, v16, v14
	v_add_f32_e32 v16, -1.0, v15
	v_add_f32_e32 v18, 1.0, v15
	v_ldexp_f32 v14, v17, v14
	v_add_f32_e32 v17, 1.0, v16
	v_add_f32_e32 v19, -1.0, v18
	v_sub_f32_e32 v17, v15, v17
	v_sub_f32_e32 v15, v15, v19
	v_add_f32_e32 v17, v14, v17
	v_add_f32_e32 v14, v14, v15
	;; [unrolled: 1-line block ×3, first 2 shown]
	v_rcp_f32_e32 v31, v23
	v_sub_f32_e32 v15, v18, v23
	v_add_f32_e32 v30, v14, v15
	v_add_f32_e32 v15, v16, v17
	v_mul_f32_e32 v34, v15, v31
	v_sub_f32_e32 v14, v16, v15
	v_mul_f32_e32 v16, v23, v34
	v_fma_f32 v18, v34, v23, -v16
	v_fmac_f32_e32 v18, v34, v30
	v_add_f32_e32 v32, v17, v14
	v_add_f32_e32 v14, v16, v18
	v_sub_f32_e32 v17, v15, v14
	v_pk_add_f32 v[20:21], v[14:15], v[16:17] neg_lo:[0,1] neg_hi:[0,1]
	v_mov_b32_e32 v19, v14
	v_pk_add_f32 v[14:15], v[20:21], v[18:19] neg_lo:[0,1] neg_hi:[0,1]
	v_cmp_neq_f32_e32 vcc, s30, v29
	v_add_f32_e32 v15, v32, v15
	v_add_f32_e32 v14, v14, v15
	;; [unrolled: 1-line block ×3, first 2 shown]
	v_mul_f32_e32 v32, v31, v15
	v_mul_f32_e32 v16, v23, v32
	v_fma_f32 v18, v32, v23, -v16
	v_fmac_f32_e32 v18, v32, v30
	v_sub_f32_e32 v17, v17, v15
	v_add_f32_e32 v23, v14, v17
	v_add_f32_e32 v14, v16, v18
	v_sub_f32_e32 v17, v15, v14
	v_pk_add_f32 v[20:21], v[14:15], v[16:17] neg_lo:[0,1] neg_hi:[0,1]
	v_mov_b32_e32 v19, v14
	v_pk_add_f32 v[14:15], v[20:21], v[18:19] neg_lo:[0,1] neg_hi:[0,1]
	v_cvt_f32_i32_e32 v16, v22
	v_add_f32_e32 v15, v23, v15
	v_add_f32_e32 v14, v14, v15
	v_add_f32_e32 v14, v17, v14
	v_add_f32_e32 v17, v34, v32
	v_sub_f32_e32 v15, v17, v34
	v_mul_f32_e32 v14, v31, v14
	v_sub_f32_e32 v15, v32, v15
	v_add_f32_e32 v14, v15, v14
	v_add_f32_e32 v18, v17, v14
	v_mul_f32_e32 v20, v18, v18
	v_mov_b32_e32 v15, 0x3ecc95a3
	v_sub_f32_e32 v17, v18, v17
	v_fmac_f32_e32 v15, 0x3e9b6dac, v20
	v_sub_f32_e32 v14, v14, v17
	v_fmaak_f32 v15, v20, v15, 0x3f2aaada
	v_ldexp_f32 v21, v14, 1
	v_mul_f32_e32 v17, v18, v20
	v_mov_b32_e32 v14, 0x3f317218
	v_pk_mul_f32 v[14:15], v[16:17], v[14:15]
	v_ldexp_f32 v19, v18, 1
	v_fma_f32 v17, v16, s29, -v14
	v_fmamk_f32 v18, v16, 0xb102e308, v17
	v_pk_add_f32 v[16:17], v[14:15], v[18:19]
	v_mov_b32_e32 v20, v14
	v_sub_f32_e32 v19, v17, v19
	v_sub_f32_e32 v19, v15, v19
	v_add_f32_e32 v21, v21, v19
	v_pk_add_f32 v[14:15], v[16:17], v[14:15] neg_lo:[0,1] neg_hi:[0,1]
	v_pk_add_f32 v[22:23], v[16:17], v[20:21]
	v_mov_b32_e32 v19, v16
	v_mov_b32_e32 v15, v23
	v_pk_add_f32 v[30:31], v[18:19], v[14:15] neg_lo:[0,1] neg_hi:[0,1]
	v_pk_add_f32 v[14:15], v[18:19], v[14:15]
	v_mov_b32_e32 v20, v21
	v_pk_add_f32 v[18:19], v[14:15], v[16:17] op_sel:[1,0] op_sel_hi:[0,1] neg_lo:[0,1] neg_hi:[0,1]
	s_waitcnt lgkmcnt(0)
	v_pk_add_f32 v[34:35], v[22:23], v[18:19] op_sel_hi:[1,0] neg_lo:[0,1] neg_hi:[0,1]
	v_mov_b32_e32 v22, v23
	v_mov_b32_e32 v23, v15
	v_pk_mov_b32 v[18:19], v[16:17], v[18:19] op_sel:[1,0]
	v_mov_b32_e32 v21, v16
	v_pk_add_f32 v[18:19], v[22:23], v[18:19] neg_lo:[0,1] neg_hi:[0,1]
	v_mov_b32_e32 v34, v30
	v_pk_add_f32 v[16:17], v[20:21], v[18:19] neg_lo:[0,1] neg_hi:[0,1]
	v_mov_b32_e32 v31, v15
	v_pk_add_f32 v[18:19], v[34:35], v[16:17]
	s_mov_b32 s29, 0x33800000
	v_pk_add_f32 v[20:21], v[18:19], v[18:19] op_sel:[0,1] op_sel_hi:[1,0]
	s_nop 0
	v_pk_add_f32 v[14:15], v[14:15], v[20:21] op_sel:[1,0] op_sel_hi:[0,1]
	v_mov_b32_e32 v19, v14
	v_pk_add_f32 v[22:23], v[18:19], v[30:31] neg_lo:[0,1] neg_hi:[0,1]
	v_mov_b32_e32 v17, v20
	v_sub_f32_e32 v15, v18, v22
	v_pk_add_f32 v[16:17], v[16:17], v[22:23] neg_lo:[0,1] neg_hi:[0,1]
	v_sub_f32_e32 v15, v30, v15
	v_add_f32_e32 v15, v16, v15
	v_add_f32_e32 v15, v15, v17
	;; [unrolled: 1-line block ×3, first 2 shown]
	v_cndmask_b32_e32 v14, v25, v14, vcc
	v_cmp_lt_f32_e64 vcc, |v29|, s29
	s_nop 1
	v_cndmask_b32_e32 v14, v14, v29, vcc
	v_add_f32_e32 v14, v5, v14
.LBB455_116:
	s_or_b64 exec, exec, s[0:1]
	v_bfe_u32 v5, v14, 16, 1
	s_movk_i32 s29, 0x7fff
	v_add3_u32 v5, v14, v5, s29
	v_cmp_o_f32_e32 vcc, v14, v14
	v_mov_b32_e32 v14, 0x7fc0
	s_nop 0
	v_cndmask_b32_sdwa v5, v14, v5, vcc dst_sel:DWORD dst_unused:UNUSED_PAD src0_sel:DWORD src1_sel:WORD_1
	v_lshlrev_b32_e32 v16, 16, v5
	v_max_f32_e32 v15, v16, v16
	v_min_f32_e32 v17, v15, v27
	v_cmp_u_f32_e32 vcc, v16, v16
	v_max_f32_e32 v15, v15, v27
	s_nop 0
	v_cndmask_b32_e32 v17, v17, v16, vcc
	v_cndmask_b32_e32 v15, v15, v16, vcc
	v_cndmask_b32_e64 v17, v17, v24, s[52:53]
	v_cndmask_b32_e64 v15, v15, v24, s[52:53]
	v_cmp_neq_f32_e32 vcc, v17, v15
	v_cmp_class_f32_e64 s[0:1], v17, s28
	s_or_b64 s[30:31], vcc, s[0:1]
	s_and_saveexec_b64 s[0:1], s[30:31]
	s_cbranch_execz .LBB455_118
; %bb.117:
	v_sub_f32_e32 v16, v17, v15
	s_mov_b32 s28, 0x3fb8aa3b
	v_mul_f32_e32 v17, 0x3fb8aa3b, v16
	v_fma_f32 v18, v16, s28, -v17
	v_rndne_f32_e32 v19, v17
	v_fmamk_f32 v18, v16, 0x32a5705f, v18
	v_sub_f32_e32 v17, v17, v19
	v_add_f32_e32 v17, v17, v18
	v_exp_f32_e32 v17, v17
	v_cvt_i32_f32_e32 v18, v19
	s_mov_b32 s28, 0xc2ce8ed0
	v_cmp_ngt_f32_e32 vcc, s28, v16
	s_mov_b32 s28, 0x42b17218
	v_ldexp_f32 v17, v17, v18
	v_cndmask_b32_e32 v17, 0, v17, vcc
	v_mov_b32_e32 v27, 0x7f800000
	v_cmp_nlt_f32_e32 vcc, s28, v16
	s_mov_b32 s28, 0x3f2aaaab
	s_mov_b32 s30, 0x7f800000
	v_cndmask_b32_e32 v29, v27, v17, vcc
	v_add_f32_e32 v18, 1.0, v29
	v_add_f32_e32 v16, -1.0, v18
	v_sub_f32_e32 v17, v16, v18
	v_add_f32_e32 v17, 1.0, v17
	v_sub_f32_e32 v16, v29, v16
	v_add_f32_e32 v19, v16, v17
	v_frexp_mant_f32_e32 v20, v18
	v_cvt_f64_f32_e32 v[16:17], v18
	v_frexp_exp_i32_f64_e32 v16, v[16:17]
	v_cmp_gt_f32_e32 vcc, s28, v20
	s_mov_b32 s28, 0x3f317218
	s_nop 0
	v_subbrev_co_u32_e32 v24, vcc, 0, v16, vcc
	v_sub_u32_e32 v16, 0, v24
	v_ldexp_f32 v17, v18, v16
	v_add_f32_e32 v18, -1.0, v17
	v_add_f32_e32 v20, 1.0, v17
	v_ldexp_f32 v16, v19, v16
	v_add_f32_e32 v19, 1.0, v18
	v_add_f32_e32 v21, -1.0, v20
	v_sub_f32_e32 v19, v17, v19
	v_sub_f32_e32 v17, v17, v21
	v_add_f32_e32 v19, v16, v19
	v_add_f32_e32 v16, v16, v17
	;; [unrolled: 1-line block ×3, first 2 shown]
	v_rcp_f32_e32 v31, v25
	v_sub_f32_e32 v17, v20, v25
	v_add_f32_e32 v30, v16, v17
	v_add_f32_e32 v17, v18, v19
	v_mul_f32_e32 v34, v17, v31
	v_sub_f32_e32 v16, v18, v17
	v_mul_f32_e32 v18, v25, v34
	v_fma_f32 v20, v34, v25, -v18
	v_fmac_f32_e32 v20, v34, v30
	v_add_f32_e32 v32, v19, v16
	v_add_f32_e32 v16, v18, v20
	v_sub_f32_e32 v19, v17, v16
	v_pk_add_f32 v[22:23], v[16:17], v[18:19] neg_lo:[0,1] neg_hi:[0,1]
	v_mov_b32_e32 v21, v16
	v_pk_add_f32 v[16:17], v[22:23], v[20:21] neg_lo:[0,1] neg_hi:[0,1]
	v_cmp_neq_f32_e32 vcc, s30, v29
	v_add_f32_e32 v17, v32, v17
	v_add_f32_e32 v16, v16, v17
	;; [unrolled: 1-line block ×3, first 2 shown]
	v_mul_f32_e32 v32, v31, v17
	v_mul_f32_e32 v18, v25, v32
	v_fma_f32 v20, v32, v25, -v18
	v_fmac_f32_e32 v20, v32, v30
	v_sub_f32_e32 v19, v19, v17
	v_add_f32_e32 v25, v16, v19
	v_add_f32_e32 v16, v18, v20
	v_sub_f32_e32 v19, v17, v16
	v_pk_add_f32 v[22:23], v[16:17], v[18:19] neg_lo:[0,1] neg_hi:[0,1]
	v_mov_b32_e32 v21, v16
	v_pk_add_f32 v[16:17], v[22:23], v[20:21] neg_lo:[0,1] neg_hi:[0,1]
	v_cvt_f32_i32_e32 v18, v24
	v_add_f32_e32 v17, v25, v17
	v_add_f32_e32 v16, v16, v17
	;; [unrolled: 1-line block ×4, first 2 shown]
	v_sub_f32_e32 v17, v19, v34
	v_mul_f32_e32 v16, v31, v16
	v_sub_f32_e32 v17, v32, v17
	v_add_f32_e32 v16, v17, v16
	v_add_f32_e32 v20, v19, v16
	v_mul_f32_e32 v22, v20, v20
	v_mov_b32_e32 v17, 0x3ecc95a3
	v_sub_f32_e32 v19, v20, v19
	v_fmac_f32_e32 v17, 0x3e9b6dac, v22
	v_sub_f32_e32 v16, v16, v19
	v_fmaak_f32 v17, v22, v17, 0x3f2aaada
	v_ldexp_f32 v23, v16, 1
	v_mul_f32_e32 v19, v20, v22
	v_mov_b32_e32 v16, 0x3f317218
	v_pk_mul_f32 v[16:17], v[18:19], v[16:17]
	v_ldexp_f32 v21, v20, 1
	v_fma_f32 v19, v18, s28, -v16
	v_fmamk_f32 v20, v18, 0xb102e308, v19
	v_pk_add_f32 v[18:19], v[16:17], v[20:21]
	v_mov_b32_e32 v22, v16
	v_sub_f32_e32 v21, v19, v21
	v_sub_f32_e32 v21, v17, v21
	v_add_f32_e32 v23, v23, v21
	v_pk_add_f32 v[16:17], v[18:19], v[16:17] neg_lo:[0,1] neg_hi:[0,1]
	v_pk_add_f32 v[24:25], v[18:19], v[22:23]
	v_mov_b32_e32 v21, v18
	v_mov_b32_e32 v17, v25
	v_pk_add_f32 v[30:31], v[20:21], v[16:17] neg_lo:[0,1] neg_hi:[0,1]
	v_pk_add_f32 v[16:17], v[20:21], v[16:17]
	v_mov_b32_e32 v22, v23
	v_pk_add_f32 v[20:21], v[16:17], v[18:19] op_sel:[1,0] op_sel_hi:[0,1] neg_lo:[0,1] neg_hi:[0,1]
	s_waitcnt lgkmcnt(0)
	v_pk_add_f32 v[34:35], v[24:25], v[20:21] op_sel_hi:[1,0] neg_lo:[0,1] neg_hi:[0,1]
	v_mov_b32_e32 v24, v25
	v_mov_b32_e32 v25, v17
	v_pk_mov_b32 v[20:21], v[18:19], v[20:21] op_sel:[1,0]
	v_mov_b32_e32 v23, v18
	v_pk_add_f32 v[20:21], v[24:25], v[20:21] neg_lo:[0,1] neg_hi:[0,1]
	v_mov_b32_e32 v34, v30
	v_pk_add_f32 v[18:19], v[22:23], v[20:21] neg_lo:[0,1] neg_hi:[0,1]
	v_mov_b32_e32 v31, v17
	v_pk_add_f32 v[20:21], v[34:35], v[18:19]
	s_mov_b32 s28, 0x33800000
	v_pk_add_f32 v[22:23], v[20:21], v[20:21] op_sel:[0,1] op_sel_hi:[1,0]
	s_nop 0
	v_pk_add_f32 v[16:17], v[16:17], v[22:23] op_sel:[1,0] op_sel_hi:[0,1]
	v_mov_b32_e32 v21, v16
	v_pk_add_f32 v[24:25], v[20:21], v[30:31] neg_lo:[0,1] neg_hi:[0,1]
	v_mov_b32_e32 v19, v22
	v_sub_f32_e32 v17, v20, v24
	v_pk_add_f32 v[18:19], v[18:19], v[24:25] neg_lo:[0,1] neg_hi:[0,1]
	v_sub_f32_e32 v17, v30, v17
	v_add_f32_e32 v17, v18, v17
	v_add_f32_e32 v17, v17, v19
	;; [unrolled: 1-line block ×3, first 2 shown]
	v_cndmask_b32_e32 v16, v27, v16, vcc
	v_cmp_lt_f32_e64 vcc, |v29|, s28
	s_nop 1
	v_cndmask_b32_e32 v16, v16, v29, vcc
	v_add_f32_e32 v16, v15, v16
.LBB455_118:
	s_or_b64 exec, exec, s[0:1]
	v_bfe_u32 v15, v16, 16, 1
	v_add3_u32 v15, v16, v15, s29
	v_cmp_o_f32_e32 vcc, v16, v16
	s_movk_i32 s0, 0x1f8
	s_nop 0
	v_cndmask_b32_sdwa v14, v14, v15, vcc dst_sel:DWORD dst_unused:UNUSED_PAD src0_sel:DWORD src1_sel:WORD_1
	v_lshlrev_b32_e32 v16, 16, v14
	v_max_f32_e32 v15, v16, v16
	v_min_f32_e32 v17, v15, v28
	v_cmp_u_f32_e32 vcc, v16, v16
	v_max_f32_e32 v15, v15, v28
	s_nop 0
	v_cndmask_b32_e32 v17, v17, v16, vcc
	v_cndmask_b32_e32 v15, v15, v16, vcc
	v_cndmask_b32_e64 v17, v17, v26, s[54:55]
	v_cndmask_b32_e64 v15, v15, v26, s[54:55]
	v_cmp_neq_f32_e32 vcc, v17, v15
	v_cmp_class_f32_e64 s[0:1], v17, s0
	s_or_b64 s[28:29], vcc, s[0:1]
	s_and_saveexec_b64 s[0:1], s[28:29]
	s_cbranch_execz .LBB455_120
; %bb.119:
	v_sub_f32_e32 v16, v17, v15
	s_mov_b32 s28, 0x3fb8aa3b
	v_mul_f32_e32 v17, 0x3fb8aa3b, v16
	v_fma_f32 v18, v16, s28, -v17
	v_rndne_f32_e32 v19, v17
	v_fmamk_f32 v18, v16, 0x32a5705f, v18
	v_sub_f32_e32 v17, v17, v19
	v_add_f32_e32 v17, v17, v18
	v_exp_f32_e32 v17, v17
	v_cvt_i32_f32_e32 v18, v19
	s_mov_b32 s28, 0xc2ce8ed0
	v_cmp_ngt_f32_e32 vcc, s28, v16
	s_mov_b32 s28, 0x42b17218
	v_ldexp_f32 v17, v17, v18
	v_cndmask_b32_e32 v17, 0, v17, vcc
	v_mov_b32_e32 v30, 0x7f800000
	v_cmp_nlt_f32_e32 vcc, s28, v16
	s_mov_b32 s28, 0x3f2aaaab
	s_mov_b32 s29, 0x7f800000
	v_cndmask_b32_e32 v31, v30, v17, vcc
	v_add_f32_e32 v18, 1.0, v31
	v_add_f32_e32 v16, -1.0, v18
	v_sub_f32_e32 v17, v16, v18
	v_add_f32_e32 v17, 1.0, v17
	v_sub_f32_e32 v16, v31, v16
	v_add_f32_e32 v19, v16, v17
	v_frexp_mant_f32_e32 v20, v18
	v_cvt_f64_f32_e32 v[16:17], v18
	v_frexp_exp_i32_f64_e32 v16, v[16:17]
	v_cmp_gt_f32_e32 vcc, s28, v20
	s_mov_b32 s28, 0x3f317218
	s_nop 0
	v_subbrev_co_u32_e32 v24, vcc, 0, v16, vcc
	v_sub_u32_e32 v16, 0, v24
	v_ldexp_f32 v17, v18, v16
	v_add_f32_e32 v18, -1.0, v17
	v_add_f32_e32 v20, 1.0, v17
	v_ldexp_f32 v16, v19, v16
	v_add_f32_e32 v19, 1.0, v18
	v_add_f32_e32 v21, -1.0, v20
	v_sub_f32_e32 v19, v17, v19
	v_sub_f32_e32 v17, v17, v21
	v_add_f32_e32 v19, v16, v19
	v_add_f32_e32 v16, v16, v17
	;; [unrolled: 1-line block ×3, first 2 shown]
	v_rcp_f32_e32 v27, v25
	v_sub_f32_e32 v17, v20, v25
	v_add_f32_e32 v26, v16, v17
	v_add_f32_e32 v17, v18, v19
	v_mul_f32_e32 v29, v17, v27
	v_sub_f32_e32 v16, v18, v17
	v_mul_f32_e32 v18, v25, v29
	v_fma_f32 v20, v29, v25, -v18
	v_fmac_f32_e32 v20, v29, v26
	v_add_f32_e32 v28, v19, v16
	v_add_f32_e32 v16, v18, v20
	v_sub_f32_e32 v19, v17, v16
	v_pk_add_f32 v[22:23], v[16:17], v[18:19] neg_lo:[0,1] neg_hi:[0,1]
	v_mov_b32_e32 v21, v16
	v_pk_add_f32 v[16:17], v[22:23], v[20:21] neg_lo:[0,1] neg_hi:[0,1]
	v_cmp_neq_f32_e32 vcc, s29, v31
	v_add_f32_e32 v17, v28, v17
	v_add_f32_e32 v16, v16, v17
	;; [unrolled: 1-line block ×3, first 2 shown]
	v_mul_f32_e32 v28, v27, v17
	v_mul_f32_e32 v18, v25, v28
	v_fma_f32 v20, v28, v25, -v18
	v_fmac_f32_e32 v20, v28, v26
	v_sub_f32_e32 v19, v19, v17
	v_add_f32_e32 v25, v16, v19
	v_add_f32_e32 v16, v18, v20
	v_sub_f32_e32 v19, v17, v16
	v_pk_add_f32 v[22:23], v[16:17], v[18:19] neg_lo:[0,1] neg_hi:[0,1]
	v_mov_b32_e32 v21, v16
	v_pk_add_f32 v[16:17], v[22:23], v[20:21] neg_lo:[0,1] neg_hi:[0,1]
	v_cvt_f32_i32_e32 v18, v24
	v_add_f32_e32 v17, v25, v17
	v_add_f32_e32 v16, v16, v17
	;; [unrolled: 1-line block ×4, first 2 shown]
	v_sub_f32_e32 v17, v19, v29
	v_mul_f32_e32 v16, v27, v16
	v_sub_f32_e32 v17, v28, v17
	v_add_f32_e32 v16, v17, v16
	v_add_f32_e32 v20, v19, v16
	v_mul_f32_e32 v22, v20, v20
	v_mov_b32_e32 v17, 0x3ecc95a3
	v_sub_f32_e32 v19, v20, v19
	v_fmac_f32_e32 v17, 0x3e9b6dac, v22
	v_sub_f32_e32 v16, v16, v19
	v_fmaak_f32 v17, v22, v17, 0x3f2aaada
	v_ldexp_f32 v23, v16, 1
	v_mul_f32_e32 v19, v20, v22
	v_mov_b32_e32 v16, 0x3f317218
	v_pk_mul_f32 v[16:17], v[18:19], v[16:17]
	v_ldexp_f32 v21, v20, 1
	v_fma_f32 v19, v18, s28, -v16
	v_fmamk_f32 v20, v18, 0xb102e308, v19
	v_pk_add_f32 v[18:19], v[16:17], v[20:21]
	v_mov_b32_e32 v22, v16
	v_sub_f32_e32 v21, v19, v21
	v_sub_f32_e32 v21, v17, v21
	v_add_f32_e32 v23, v23, v21
	v_pk_add_f32 v[16:17], v[18:19], v[16:17] neg_lo:[0,1] neg_hi:[0,1]
	v_pk_add_f32 v[24:25], v[18:19], v[22:23]
	v_mov_b32_e32 v21, v18
	v_mov_b32_e32 v17, v25
	v_pk_add_f32 v[26:27], v[20:21], v[16:17] neg_lo:[0,1] neg_hi:[0,1]
	v_pk_add_f32 v[16:17], v[20:21], v[16:17]
	v_mov_b32_e32 v22, v23
	v_pk_add_f32 v[20:21], v[16:17], v[18:19] op_sel:[1,0] op_sel_hi:[0,1] neg_lo:[0,1] neg_hi:[0,1]
	v_pk_add_f32 v[28:29], v[24:25], v[20:21] op_sel_hi:[1,0] neg_lo:[0,1] neg_hi:[0,1]
	v_mov_b32_e32 v24, v25
	v_mov_b32_e32 v25, v17
	v_pk_mov_b32 v[20:21], v[18:19], v[20:21] op_sel:[1,0]
	v_mov_b32_e32 v23, v18
	v_pk_add_f32 v[20:21], v[24:25], v[20:21] neg_lo:[0,1] neg_hi:[0,1]
	v_mov_b32_e32 v28, v26
	v_pk_add_f32 v[18:19], v[22:23], v[20:21] neg_lo:[0,1] neg_hi:[0,1]
	v_mov_b32_e32 v27, v17
	v_pk_add_f32 v[20:21], v[28:29], v[18:19]
	s_mov_b32 s28, 0x33800000
	v_pk_add_f32 v[22:23], v[20:21], v[20:21] op_sel:[0,1] op_sel_hi:[1,0]
	s_nop 0
	v_pk_add_f32 v[16:17], v[16:17], v[22:23] op_sel:[1,0] op_sel_hi:[0,1]
	v_mov_b32_e32 v21, v16
	v_pk_add_f32 v[24:25], v[20:21], v[26:27] neg_lo:[0,1] neg_hi:[0,1]
	v_mov_b32_e32 v19, v22
	v_sub_f32_e32 v17, v20, v24
	v_pk_add_f32 v[18:19], v[18:19], v[24:25] neg_lo:[0,1] neg_hi:[0,1]
	v_sub_f32_e32 v17, v26, v17
	v_add_f32_e32 v17, v18, v17
	v_add_f32_e32 v17, v17, v19
	;; [unrolled: 1-line block ×3, first 2 shown]
	v_cndmask_b32_e32 v16, v30, v16, vcc
	v_cmp_lt_f32_e64 vcc, |v31|, s28
	s_nop 1
	v_cndmask_b32_e32 v16, v16, v31, vcc
	v_add_f32_e32 v16, v15, v16
.LBB455_120:
	s_or_b64 exec, exec, s[0:1]
	v_bfe_u32 v15, v16, 16, 1
	s_movk_i32 s0, 0x7fff
	v_add3_u32 v15, v16, v15, s0
	v_cmp_o_f32_e32 vcc, v16, v16
	v_mov_b32_e32 v16, 0x7fc0
	s_mov_b32 s0, 0x5040100
	v_cndmask_b32_sdwa v15, v16, v15, vcc dst_sel:DWORD dst_unused:UNUSED_PAD src0_sel:DWORD src1_sel:WORD_1
	v_add_u32_e32 v16, v8, v33
	v_perm_b32 v3, v3, v9, s0
	v_perm_b32 v1, v1, v2, s0
	s_waitcnt lgkmcnt(0)
	s_barrier
	ds_write2_b32 v16, v1, v3 offset1:1
	v_perm_b32 v1, v7, v11, s0
	v_perm_b32 v2, v6, v10, s0
	ds_write2_b32 v16, v2, v1 offset0:2 offset1:3
	v_perm_b32 v1, v5, v13, s0
	v_perm_b32 v2, v4, v12, s0
	ds_write2_b32 v16, v2, v1 offset0:4 offset1:5
	v_perm_b32 v1, v15, v14, s0
	ds_write_b32 v16, v1 offset:24
	s_waitcnt lgkmcnt(0)
	s_barrier
	ds_read_u16 v15, v8 offset:256
	ds_read_u16 v14, v8 offset:512
	;; [unrolled: 1-line block ×13, first 2 shown]
	v_lshlrev_b32_e32 v0, 1, v0
	v_mov_b32_e32 v1, 0
	v_lshl_add_u64 v[0:1], s[60:61], 0, v[0:1]
	s_and_saveexec_b64 s[0:1], s[58:59]
	s_cbranch_execnz .LBB455_135
; %bb.121:
	s_or_b64 exec, exec, s[0:1]
	s_and_saveexec_b64 s[0:1], s[2:3]
	s_cbranch_execnz .LBB455_136
.LBB455_122:
	s_or_b64 exec, exec, s[0:1]
	s_and_saveexec_b64 s[0:1], s[4:5]
	s_cbranch_execnz .LBB455_137
.LBB455_123:
	s_or_b64 exec, exec, s[0:1]
	s_and_saveexec_b64 s[0:1], s[6:7]
	s_cbranch_execnz .LBB455_138
.LBB455_124:
	s_or_b64 exec, exec, s[0:1]
	s_and_saveexec_b64 s[0:1], s[8:9]
	s_cbranch_execnz .LBB455_139
.LBB455_125:
	s_or_b64 exec, exec, s[0:1]
	s_and_saveexec_b64 s[0:1], s[10:11]
	s_cbranch_execnz .LBB455_140
.LBB455_126:
	s_or_b64 exec, exec, s[0:1]
	s_and_saveexec_b64 s[0:1], s[12:13]
	s_cbranch_execnz .LBB455_141
.LBB455_127:
	s_or_b64 exec, exec, s[0:1]
	s_and_saveexec_b64 s[0:1], s[14:15]
	s_cbranch_execnz .LBB455_142
.LBB455_128:
	s_or_b64 exec, exec, s[0:1]
	s_and_saveexec_b64 s[0:1], s[16:17]
	s_cbranch_execnz .LBB455_143
.LBB455_129:
	s_or_b64 exec, exec, s[0:1]
	s_and_saveexec_b64 s[0:1], s[18:19]
	s_cbranch_execnz .LBB455_144
.LBB455_130:
	s_or_b64 exec, exec, s[0:1]
	s_and_saveexec_b64 s[0:1], s[20:21]
	s_cbranch_execnz .LBB455_145
.LBB455_131:
	s_or_b64 exec, exec, s[0:1]
	s_and_saveexec_b64 s[0:1], s[22:23]
	s_cbranch_execnz .LBB455_146
.LBB455_132:
	s_or_b64 exec, exec, s[0:1]
	s_and_saveexec_b64 s[0:1], s[24:25]
	s_cbranch_execnz .LBB455_147
.LBB455_133:
	s_or_b64 exec, exec, s[0:1]
	s_and_saveexec_b64 s[0:1], s[26:27]
	s_cbranch_execnz .LBB455_148
.LBB455_134:
	s_endpgm
.LBB455_135:
	ds_read_u16 v8, v8
	s_waitcnt lgkmcnt(0)
	global_store_short v[0:1], v8, off
	s_or_b64 exec, exec, s[0:1]
	s_and_saveexec_b64 s[0:1], s[2:3]
	s_cbranch_execz .LBB455_122
.LBB455_136:
	s_waitcnt lgkmcnt(12)
	global_store_short v[0:1], v15, off offset:256
	s_or_b64 exec, exec, s[0:1]
	s_and_saveexec_b64 s[0:1], s[4:5]
	s_cbranch_execz .LBB455_123
.LBB455_137:
	s_waitcnt lgkmcnt(11)
	global_store_short v[0:1], v14, off offset:512
	s_or_b64 exec, exec, s[0:1]
	s_and_saveexec_b64 s[0:1], s[6:7]
	s_cbranch_execz .LBB455_124
.LBB455_138:
	s_waitcnt lgkmcnt(10)
	global_store_short v[0:1], v13, off offset:768
	s_or_b64 exec, exec, s[0:1]
	s_and_saveexec_b64 s[0:1], s[8:9]
	s_cbranch_execz .LBB455_125
.LBB455_139:
	s_waitcnt lgkmcnt(9)
	global_store_short v[0:1], v12, off offset:1024
	s_or_b64 exec, exec, s[0:1]
	s_and_saveexec_b64 s[0:1], s[10:11]
	s_cbranch_execz .LBB455_126
.LBB455_140:
	s_waitcnt lgkmcnt(8)
	global_store_short v[0:1], v11, off offset:1280
	s_or_b64 exec, exec, s[0:1]
	s_and_saveexec_b64 s[0:1], s[12:13]
	s_cbranch_execz .LBB455_127
.LBB455_141:
	s_waitcnt lgkmcnt(7)
	global_store_short v[0:1], v10, off offset:1536
	s_or_b64 exec, exec, s[0:1]
	s_and_saveexec_b64 s[0:1], s[14:15]
	s_cbranch_execz .LBB455_128
.LBB455_142:
	s_waitcnt lgkmcnt(6)
	global_store_short v[0:1], v9, off offset:1792
	s_or_b64 exec, exec, s[0:1]
	s_and_saveexec_b64 s[0:1], s[16:17]
	s_cbranch_execz .LBB455_129
.LBB455_143:
	s_waitcnt lgkmcnt(5)
	global_store_short v[0:1], v7, off offset:2048
	s_or_b64 exec, exec, s[0:1]
	s_and_saveexec_b64 s[0:1], s[18:19]
	s_cbranch_execz .LBB455_130
.LBB455_144:
	s_waitcnt lgkmcnt(4)
	global_store_short v[0:1], v6, off offset:2304
	s_or_b64 exec, exec, s[0:1]
	s_and_saveexec_b64 s[0:1], s[20:21]
	s_cbranch_execz .LBB455_131
.LBB455_145:
	s_waitcnt lgkmcnt(3)
	global_store_short v[0:1], v5, off offset:2560
	s_or_b64 exec, exec, s[0:1]
	s_and_saveexec_b64 s[0:1], s[22:23]
	s_cbranch_execz .LBB455_132
.LBB455_146:
	s_waitcnt lgkmcnt(2)
	global_store_short v[0:1], v4, off offset:2816
	s_or_b64 exec, exec, s[0:1]
	s_and_saveexec_b64 s[0:1], s[24:25]
	s_cbranch_execz .LBB455_133
.LBB455_147:
	s_waitcnt lgkmcnt(1)
	global_store_short v[0:1], v3, off offset:3072
	s_or_b64 exec, exec, s[0:1]
	s_and_saveexec_b64 s[0:1], s[26:27]
	s_cbranch_execz .LBB455_134
.LBB455_148:
	s_waitcnt lgkmcnt(0)
	global_store_short v[0:1], v2, off offset:3328
	s_endpgm
	.section	.rodata,"a",@progbits
	.p2align	6, 0x0
	.amdhsa_kernel _ZN7rocprim17ROCPRIM_400000_NS6detail17trampoline_kernelINS0_14default_configENS1_20scan_config_selectorIN3c108BFloat16EEEZZNS1_9scan_implILNS1_25lookback_scan_determinismE0ELb0ELb0ES3_PKS6_PS6_S6_ZZZN2at6native31launch_logcumsumexp_cuda_kernelERKNSD_10TensorBaseESH_lENKUlvE_clEvENKUlvE4_clEvEUlS6_S6_E_S6_EEDaPvRmT3_T4_T5_mT6_P12ihipStream_tbENKUlT_T0_E_clISt17integral_constantIbLb0EESY_EEDaST_SU_EUlST_E0_NS1_11comp_targetILNS1_3genE0ELNS1_11target_archE4294967295ELNS1_3gpuE0ELNS1_3repE0EEENS1_30default_config_static_selectorELNS0_4arch9wavefront6targetE1EEEvT1_
		.amdhsa_group_segment_fixed_size 3584
		.amdhsa_private_segment_fixed_size 0
		.amdhsa_kernarg_size 32
		.amdhsa_user_sgpr_count 2
		.amdhsa_user_sgpr_dispatch_ptr 0
		.amdhsa_user_sgpr_queue_ptr 0
		.amdhsa_user_sgpr_kernarg_segment_ptr 1
		.amdhsa_user_sgpr_dispatch_id 0
		.amdhsa_user_sgpr_kernarg_preload_length 0
		.amdhsa_user_sgpr_kernarg_preload_offset 0
		.amdhsa_user_sgpr_private_segment_size 0
		.amdhsa_uses_dynamic_stack 0
		.amdhsa_enable_private_segment 0
		.amdhsa_system_sgpr_workgroup_id_x 1
		.amdhsa_system_sgpr_workgroup_id_y 0
		.amdhsa_system_sgpr_workgroup_id_z 0
		.amdhsa_system_sgpr_workgroup_info 0
		.amdhsa_system_vgpr_workitem_id 0
		.amdhsa_next_free_vgpr 54
		.amdhsa_next_free_sgpr 68
		.amdhsa_accum_offset 56
		.amdhsa_reserve_vcc 1
		.amdhsa_float_round_mode_32 0
		.amdhsa_float_round_mode_16_64 0
		.amdhsa_float_denorm_mode_32 3
		.amdhsa_float_denorm_mode_16_64 3
		.amdhsa_dx10_clamp 1
		.amdhsa_ieee_mode 1
		.amdhsa_fp16_overflow 0
		.amdhsa_tg_split 0
		.amdhsa_exception_fp_ieee_invalid_op 0
		.amdhsa_exception_fp_denorm_src 0
		.amdhsa_exception_fp_ieee_div_zero 0
		.amdhsa_exception_fp_ieee_overflow 0
		.amdhsa_exception_fp_ieee_underflow 0
		.amdhsa_exception_fp_ieee_inexact 0
		.amdhsa_exception_int_div_zero 0
	.end_amdhsa_kernel
	.section	.text._ZN7rocprim17ROCPRIM_400000_NS6detail17trampoline_kernelINS0_14default_configENS1_20scan_config_selectorIN3c108BFloat16EEEZZNS1_9scan_implILNS1_25lookback_scan_determinismE0ELb0ELb0ES3_PKS6_PS6_S6_ZZZN2at6native31launch_logcumsumexp_cuda_kernelERKNSD_10TensorBaseESH_lENKUlvE_clEvENKUlvE4_clEvEUlS6_S6_E_S6_EEDaPvRmT3_T4_T5_mT6_P12ihipStream_tbENKUlT_T0_E_clISt17integral_constantIbLb0EESY_EEDaST_SU_EUlST_E0_NS1_11comp_targetILNS1_3genE0ELNS1_11target_archE4294967295ELNS1_3gpuE0ELNS1_3repE0EEENS1_30default_config_static_selectorELNS0_4arch9wavefront6targetE1EEEvT1_,"axG",@progbits,_ZN7rocprim17ROCPRIM_400000_NS6detail17trampoline_kernelINS0_14default_configENS1_20scan_config_selectorIN3c108BFloat16EEEZZNS1_9scan_implILNS1_25lookback_scan_determinismE0ELb0ELb0ES3_PKS6_PS6_S6_ZZZN2at6native31launch_logcumsumexp_cuda_kernelERKNSD_10TensorBaseESH_lENKUlvE_clEvENKUlvE4_clEvEUlS6_S6_E_S6_EEDaPvRmT3_T4_T5_mT6_P12ihipStream_tbENKUlT_T0_E_clISt17integral_constantIbLb0EESY_EEDaST_SU_EUlST_E0_NS1_11comp_targetILNS1_3genE0ELNS1_11target_archE4294967295ELNS1_3gpuE0ELNS1_3repE0EEENS1_30default_config_static_selectorELNS0_4arch9wavefront6targetE1EEEvT1_,comdat
.Lfunc_end455:
	.size	_ZN7rocprim17ROCPRIM_400000_NS6detail17trampoline_kernelINS0_14default_configENS1_20scan_config_selectorIN3c108BFloat16EEEZZNS1_9scan_implILNS1_25lookback_scan_determinismE0ELb0ELb0ES3_PKS6_PS6_S6_ZZZN2at6native31launch_logcumsumexp_cuda_kernelERKNSD_10TensorBaseESH_lENKUlvE_clEvENKUlvE4_clEvEUlS6_S6_E_S6_EEDaPvRmT3_T4_T5_mT6_P12ihipStream_tbENKUlT_T0_E_clISt17integral_constantIbLb0EESY_EEDaST_SU_EUlST_E0_NS1_11comp_targetILNS1_3genE0ELNS1_11target_archE4294967295ELNS1_3gpuE0ELNS1_3repE0EEENS1_30default_config_static_selectorELNS0_4arch9wavefront6targetE1EEEvT1_, .Lfunc_end455-_ZN7rocprim17ROCPRIM_400000_NS6detail17trampoline_kernelINS0_14default_configENS1_20scan_config_selectorIN3c108BFloat16EEEZZNS1_9scan_implILNS1_25lookback_scan_determinismE0ELb0ELb0ES3_PKS6_PS6_S6_ZZZN2at6native31launch_logcumsumexp_cuda_kernelERKNSD_10TensorBaseESH_lENKUlvE_clEvENKUlvE4_clEvEUlS6_S6_E_S6_EEDaPvRmT3_T4_T5_mT6_P12ihipStream_tbENKUlT_T0_E_clISt17integral_constantIbLb0EESY_EEDaST_SU_EUlST_E0_NS1_11comp_targetILNS1_3genE0ELNS1_11target_archE4294967295ELNS1_3gpuE0ELNS1_3repE0EEENS1_30default_config_static_selectorELNS0_4arch9wavefront6targetE1EEEvT1_
                                        ; -- End function
	.set _ZN7rocprim17ROCPRIM_400000_NS6detail17trampoline_kernelINS0_14default_configENS1_20scan_config_selectorIN3c108BFloat16EEEZZNS1_9scan_implILNS1_25lookback_scan_determinismE0ELb0ELb0ES3_PKS6_PS6_S6_ZZZN2at6native31launch_logcumsumexp_cuda_kernelERKNSD_10TensorBaseESH_lENKUlvE_clEvENKUlvE4_clEvEUlS6_S6_E_S6_EEDaPvRmT3_T4_T5_mT6_P12ihipStream_tbENKUlT_T0_E_clISt17integral_constantIbLb0EESY_EEDaST_SU_EUlST_E0_NS1_11comp_targetILNS1_3genE0ELNS1_11target_archE4294967295ELNS1_3gpuE0ELNS1_3repE0EEENS1_30default_config_static_selectorELNS0_4arch9wavefront6targetE1EEEvT1_.num_vgpr, 54
	.set _ZN7rocprim17ROCPRIM_400000_NS6detail17trampoline_kernelINS0_14default_configENS1_20scan_config_selectorIN3c108BFloat16EEEZZNS1_9scan_implILNS1_25lookback_scan_determinismE0ELb0ELb0ES3_PKS6_PS6_S6_ZZZN2at6native31launch_logcumsumexp_cuda_kernelERKNSD_10TensorBaseESH_lENKUlvE_clEvENKUlvE4_clEvEUlS6_S6_E_S6_EEDaPvRmT3_T4_T5_mT6_P12ihipStream_tbENKUlT_T0_E_clISt17integral_constantIbLb0EESY_EEDaST_SU_EUlST_E0_NS1_11comp_targetILNS1_3genE0ELNS1_11target_archE4294967295ELNS1_3gpuE0ELNS1_3repE0EEENS1_30default_config_static_selectorELNS0_4arch9wavefront6targetE1EEEvT1_.num_agpr, 0
	.set _ZN7rocprim17ROCPRIM_400000_NS6detail17trampoline_kernelINS0_14default_configENS1_20scan_config_selectorIN3c108BFloat16EEEZZNS1_9scan_implILNS1_25lookback_scan_determinismE0ELb0ELb0ES3_PKS6_PS6_S6_ZZZN2at6native31launch_logcumsumexp_cuda_kernelERKNSD_10TensorBaseESH_lENKUlvE_clEvENKUlvE4_clEvEUlS6_S6_E_S6_EEDaPvRmT3_T4_T5_mT6_P12ihipStream_tbENKUlT_T0_E_clISt17integral_constantIbLb0EESY_EEDaST_SU_EUlST_E0_NS1_11comp_targetILNS1_3genE0ELNS1_11target_archE4294967295ELNS1_3gpuE0ELNS1_3repE0EEENS1_30default_config_static_selectorELNS0_4arch9wavefront6targetE1EEEvT1_.numbered_sgpr, 68
	.set _ZN7rocprim17ROCPRIM_400000_NS6detail17trampoline_kernelINS0_14default_configENS1_20scan_config_selectorIN3c108BFloat16EEEZZNS1_9scan_implILNS1_25lookback_scan_determinismE0ELb0ELb0ES3_PKS6_PS6_S6_ZZZN2at6native31launch_logcumsumexp_cuda_kernelERKNSD_10TensorBaseESH_lENKUlvE_clEvENKUlvE4_clEvEUlS6_S6_E_S6_EEDaPvRmT3_T4_T5_mT6_P12ihipStream_tbENKUlT_T0_E_clISt17integral_constantIbLb0EESY_EEDaST_SU_EUlST_E0_NS1_11comp_targetILNS1_3genE0ELNS1_11target_archE4294967295ELNS1_3gpuE0ELNS1_3repE0EEENS1_30default_config_static_selectorELNS0_4arch9wavefront6targetE1EEEvT1_.num_named_barrier, 0
	.set _ZN7rocprim17ROCPRIM_400000_NS6detail17trampoline_kernelINS0_14default_configENS1_20scan_config_selectorIN3c108BFloat16EEEZZNS1_9scan_implILNS1_25lookback_scan_determinismE0ELb0ELb0ES3_PKS6_PS6_S6_ZZZN2at6native31launch_logcumsumexp_cuda_kernelERKNSD_10TensorBaseESH_lENKUlvE_clEvENKUlvE4_clEvEUlS6_S6_E_S6_EEDaPvRmT3_T4_T5_mT6_P12ihipStream_tbENKUlT_T0_E_clISt17integral_constantIbLb0EESY_EEDaST_SU_EUlST_E0_NS1_11comp_targetILNS1_3genE0ELNS1_11target_archE4294967295ELNS1_3gpuE0ELNS1_3repE0EEENS1_30default_config_static_selectorELNS0_4arch9wavefront6targetE1EEEvT1_.private_seg_size, 0
	.set _ZN7rocprim17ROCPRIM_400000_NS6detail17trampoline_kernelINS0_14default_configENS1_20scan_config_selectorIN3c108BFloat16EEEZZNS1_9scan_implILNS1_25lookback_scan_determinismE0ELb0ELb0ES3_PKS6_PS6_S6_ZZZN2at6native31launch_logcumsumexp_cuda_kernelERKNSD_10TensorBaseESH_lENKUlvE_clEvENKUlvE4_clEvEUlS6_S6_E_S6_EEDaPvRmT3_T4_T5_mT6_P12ihipStream_tbENKUlT_T0_E_clISt17integral_constantIbLb0EESY_EEDaST_SU_EUlST_E0_NS1_11comp_targetILNS1_3genE0ELNS1_11target_archE4294967295ELNS1_3gpuE0ELNS1_3repE0EEENS1_30default_config_static_selectorELNS0_4arch9wavefront6targetE1EEEvT1_.uses_vcc, 1
	.set _ZN7rocprim17ROCPRIM_400000_NS6detail17trampoline_kernelINS0_14default_configENS1_20scan_config_selectorIN3c108BFloat16EEEZZNS1_9scan_implILNS1_25lookback_scan_determinismE0ELb0ELb0ES3_PKS6_PS6_S6_ZZZN2at6native31launch_logcumsumexp_cuda_kernelERKNSD_10TensorBaseESH_lENKUlvE_clEvENKUlvE4_clEvEUlS6_S6_E_S6_EEDaPvRmT3_T4_T5_mT6_P12ihipStream_tbENKUlT_T0_E_clISt17integral_constantIbLb0EESY_EEDaST_SU_EUlST_E0_NS1_11comp_targetILNS1_3genE0ELNS1_11target_archE4294967295ELNS1_3gpuE0ELNS1_3repE0EEENS1_30default_config_static_selectorELNS0_4arch9wavefront6targetE1EEEvT1_.uses_flat_scratch, 0
	.set _ZN7rocprim17ROCPRIM_400000_NS6detail17trampoline_kernelINS0_14default_configENS1_20scan_config_selectorIN3c108BFloat16EEEZZNS1_9scan_implILNS1_25lookback_scan_determinismE0ELb0ELb0ES3_PKS6_PS6_S6_ZZZN2at6native31launch_logcumsumexp_cuda_kernelERKNSD_10TensorBaseESH_lENKUlvE_clEvENKUlvE4_clEvEUlS6_S6_E_S6_EEDaPvRmT3_T4_T5_mT6_P12ihipStream_tbENKUlT_T0_E_clISt17integral_constantIbLb0EESY_EEDaST_SU_EUlST_E0_NS1_11comp_targetILNS1_3genE0ELNS1_11target_archE4294967295ELNS1_3gpuE0ELNS1_3repE0EEENS1_30default_config_static_selectorELNS0_4arch9wavefront6targetE1EEEvT1_.has_dyn_sized_stack, 0
	.set _ZN7rocprim17ROCPRIM_400000_NS6detail17trampoline_kernelINS0_14default_configENS1_20scan_config_selectorIN3c108BFloat16EEEZZNS1_9scan_implILNS1_25lookback_scan_determinismE0ELb0ELb0ES3_PKS6_PS6_S6_ZZZN2at6native31launch_logcumsumexp_cuda_kernelERKNSD_10TensorBaseESH_lENKUlvE_clEvENKUlvE4_clEvEUlS6_S6_E_S6_EEDaPvRmT3_T4_T5_mT6_P12ihipStream_tbENKUlT_T0_E_clISt17integral_constantIbLb0EESY_EEDaST_SU_EUlST_E0_NS1_11comp_targetILNS1_3genE0ELNS1_11target_archE4294967295ELNS1_3gpuE0ELNS1_3repE0EEENS1_30default_config_static_selectorELNS0_4arch9wavefront6targetE1EEEvT1_.has_recursion, 0
	.set _ZN7rocprim17ROCPRIM_400000_NS6detail17trampoline_kernelINS0_14default_configENS1_20scan_config_selectorIN3c108BFloat16EEEZZNS1_9scan_implILNS1_25lookback_scan_determinismE0ELb0ELb0ES3_PKS6_PS6_S6_ZZZN2at6native31launch_logcumsumexp_cuda_kernelERKNSD_10TensorBaseESH_lENKUlvE_clEvENKUlvE4_clEvEUlS6_S6_E_S6_EEDaPvRmT3_T4_T5_mT6_P12ihipStream_tbENKUlT_T0_E_clISt17integral_constantIbLb0EESY_EEDaST_SU_EUlST_E0_NS1_11comp_targetILNS1_3genE0ELNS1_11target_archE4294967295ELNS1_3gpuE0ELNS1_3repE0EEENS1_30default_config_static_selectorELNS0_4arch9wavefront6targetE1EEEvT1_.has_indirect_call, 0
	.section	.AMDGPU.csdata,"",@progbits
; Kernel info:
; codeLenInByte = 32224
; TotalNumSgprs: 74
; NumVgprs: 54
; NumAgprs: 0
; TotalNumVgprs: 54
; ScratchSize: 0
; MemoryBound: 0
; FloatMode: 240
; IeeeMode: 1
; LDSByteSize: 3584 bytes/workgroup (compile time only)
; SGPRBlocks: 9
; VGPRBlocks: 6
; NumSGPRsForWavesPerEU: 74
; NumVGPRsForWavesPerEU: 54
; AccumOffset: 56
; Occupancy: 8
; WaveLimiterHint : 0
; COMPUTE_PGM_RSRC2:SCRATCH_EN: 0
; COMPUTE_PGM_RSRC2:USER_SGPR: 2
; COMPUTE_PGM_RSRC2:TRAP_HANDLER: 0
; COMPUTE_PGM_RSRC2:TGID_X_EN: 1
; COMPUTE_PGM_RSRC2:TGID_Y_EN: 0
; COMPUTE_PGM_RSRC2:TGID_Z_EN: 0
; COMPUTE_PGM_RSRC2:TIDIG_COMP_CNT: 0
; COMPUTE_PGM_RSRC3_GFX90A:ACCUM_OFFSET: 13
; COMPUTE_PGM_RSRC3_GFX90A:TG_SPLIT: 0
	.section	.text._ZN7rocprim17ROCPRIM_400000_NS6detail17trampoline_kernelINS0_14default_configENS1_20scan_config_selectorIN3c108BFloat16EEEZZNS1_9scan_implILNS1_25lookback_scan_determinismE0ELb0ELb0ES3_PKS6_PS6_S6_ZZZN2at6native31launch_logcumsumexp_cuda_kernelERKNSD_10TensorBaseESH_lENKUlvE_clEvENKUlvE4_clEvEUlS6_S6_E_S6_EEDaPvRmT3_T4_T5_mT6_P12ihipStream_tbENKUlT_T0_E_clISt17integral_constantIbLb0EESY_EEDaST_SU_EUlST_E0_NS1_11comp_targetILNS1_3genE5ELNS1_11target_archE942ELNS1_3gpuE9ELNS1_3repE0EEENS1_30default_config_static_selectorELNS0_4arch9wavefront6targetE1EEEvT1_,"axG",@progbits,_ZN7rocprim17ROCPRIM_400000_NS6detail17trampoline_kernelINS0_14default_configENS1_20scan_config_selectorIN3c108BFloat16EEEZZNS1_9scan_implILNS1_25lookback_scan_determinismE0ELb0ELb0ES3_PKS6_PS6_S6_ZZZN2at6native31launch_logcumsumexp_cuda_kernelERKNSD_10TensorBaseESH_lENKUlvE_clEvENKUlvE4_clEvEUlS6_S6_E_S6_EEDaPvRmT3_T4_T5_mT6_P12ihipStream_tbENKUlT_T0_E_clISt17integral_constantIbLb0EESY_EEDaST_SU_EUlST_E0_NS1_11comp_targetILNS1_3genE5ELNS1_11target_archE942ELNS1_3gpuE9ELNS1_3repE0EEENS1_30default_config_static_selectorELNS0_4arch9wavefront6targetE1EEEvT1_,comdat
	.globl	_ZN7rocprim17ROCPRIM_400000_NS6detail17trampoline_kernelINS0_14default_configENS1_20scan_config_selectorIN3c108BFloat16EEEZZNS1_9scan_implILNS1_25lookback_scan_determinismE0ELb0ELb0ES3_PKS6_PS6_S6_ZZZN2at6native31launch_logcumsumexp_cuda_kernelERKNSD_10TensorBaseESH_lENKUlvE_clEvENKUlvE4_clEvEUlS6_S6_E_S6_EEDaPvRmT3_T4_T5_mT6_P12ihipStream_tbENKUlT_T0_E_clISt17integral_constantIbLb0EESY_EEDaST_SU_EUlST_E0_NS1_11comp_targetILNS1_3genE5ELNS1_11target_archE942ELNS1_3gpuE9ELNS1_3repE0EEENS1_30default_config_static_selectorELNS0_4arch9wavefront6targetE1EEEvT1_ ; -- Begin function _ZN7rocprim17ROCPRIM_400000_NS6detail17trampoline_kernelINS0_14default_configENS1_20scan_config_selectorIN3c108BFloat16EEEZZNS1_9scan_implILNS1_25lookback_scan_determinismE0ELb0ELb0ES3_PKS6_PS6_S6_ZZZN2at6native31launch_logcumsumexp_cuda_kernelERKNSD_10TensorBaseESH_lENKUlvE_clEvENKUlvE4_clEvEUlS6_S6_E_S6_EEDaPvRmT3_T4_T5_mT6_P12ihipStream_tbENKUlT_T0_E_clISt17integral_constantIbLb0EESY_EEDaST_SU_EUlST_E0_NS1_11comp_targetILNS1_3genE5ELNS1_11target_archE942ELNS1_3gpuE9ELNS1_3repE0EEENS1_30default_config_static_selectorELNS0_4arch9wavefront6targetE1EEEvT1_
	.p2align	8
	.type	_ZN7rocprim17ROCPRIM_400000_NS6detail17trampoline_kernelINS0_14default_configENS1_20scan_config_selectorIN3c108BFloat16EEEZZNS1_9scan_implILNS1_25lookback_scan_determinismE0ELb0ELb0ES3_PKS6_PS6_S6_ZZZN2at6native31launch_logcumsumexp_cuda_kernelERKNSD_10TensorBaseESH_lENKUlvE_clEvENKUlvE4_clEvEUlS6_S6_E_S6_EEDaPvRmT3_T4_T5_mT6_P12ihipStream_tbENKUlT_T0_E_clISt17integral_constantIbLb0EESY_EEDaST_SU_EUlST_E0_NS1_11comp_targetILNS1_3genE5ELNS1_11target_archE942ELNS1_3gpuE9ELNS1_3repE0EEENS1_30default_config_static_selectorELNS0_4arch9wavefront6targetE1EEEvT1_,@function
_ZN7rocprim17ROCPRIM_400000_NS6detail17trampoline_kernelINS0_14default_configENS1_20scan_config_selectorIN3c108BFloat16EEEZZNS1_9scan_implILNS1_25lookback_scan_determinismE0ELb0ELb0ES3_PKS6_PS6_S6_ZZZN2at6native31launch_logcumsumexp_cuda_kernelERKNSD_10TensorBaseESH_lENKUlvE_clEvENKUlvE4_clEvEUlS6_S6_E_S6_EEDaPvRmT3_T4_T5_mT6_P12ihipStream_tbENKUlT_T0_E_clISt17integral_constantIbLb0EESY_EEDaST_SU_EUlST_E0_NS1_11comp_targetILNS1_3genE5ELNS1_11target_archE942ELNS1_3gpuE9ELNS1_3repE0EEENS1_30default_config_static_selectorELNS0_4arch9wavefront6targetE1EEEvT1_: ; @_ZN7rocprim17ROCPRIM_400000_NS6detail17trampoline_kernelINS0_14default_configENS1_20scan_config_selectorIN3c108BFloat16EEEZZNS1_9scan_implILNS1_25lookback_scan_determinismE0ELb0ELb0ES3_PKS6_PS6_S6_ZZZN2at6native31launch_logcumsumexp_cuda_kernelERKNSD_10TensorBaseESH_lENKUlvE_clEvENKUlvE4_clEvEUlS6_S6_E_S6_EEDaPvRmT3_T4_T5_mT6_P12ihipStream_tbENKUlT_T0_E_clISt17integral_constantIbLb0EESY_EEDaST_SU_EUlST_E0_NS1_11comp_targetILNS1_3genE5ELNS1_11target_archE942ELNS1_3gpuE9ELNS1_3repE0EEENS1_30default_config_static_selectorELNS0_4arch9wavefront6targetE1EEEvT1_
; %bb.0:
	.section	.rodata,"a",@progbits
	.p2align	6, 0x0
	.amdhsa_kernel _ZN7rocprim17ROCPRIM_400000_NS6detail17trampoline_kernelINS0_14default_configENS1_20scan_config_selectorIN3c108BFloat16EEEZZNS1_9scan_implILNS1_25lookback_scan_determinismE0ELb0ELb0ES3_PKS6_PS6_S6_ZZZN2at6native31launch_logcumsumexp_cuda_kernelERKNSD_10TensorBaseESH_lENKUlvE_clEvENKUlvE4_clEvEUlS6_S6_E_S6_EEDaPvRmT3_T4_T5_mT6_P12ihipStream_tbENKUlT_T0_E_clISt17integral_constantIbLb0EESY_EEDaST_SU_EUlST_E0_NS1_11comp_targetILNS1_3genE5ELNS1_11target_archE942ELNS1_3gpuE9ELNS1_3repE0EEENS1_30default_config_static_selectorELNS0_4arch9wavefront6targetE1EEEvT1_
		.amdhsa_group_segment_fixed_size 0
		.amdhsa_private_segment_fixed_size 0
		.amdhsa_kernarg_size 32
		.amdhsa_user_sgpr_count 2
		.amdhsa_user_sgpr_dispatch_ptr 0
		.amdhsa_user_sgpr_queue_ptr 0
		.amdhsa_user_sgpr_kernarg_segment_ptr 1
		.amdhsa_user_sgpr_dispatch_id 0
		.amdhsa_user_sgpr_kernarg_preload_length 0
		.amdhsa_user_sgpr_kernarg_preload_offset 0
		.amdhsa_user_sgpr_private_segment_size 0
		.amdhsa_uses_dynamic_stack 0
		.amdhsa_enable_private_segment 0
		.amdhsa_system_sgpr_workgroup_id_x 1
		.amdhsa_system_sgpr_workgroup_id_y 0
		.amdhsa_system_sgpr_workgroup_id_z 0
		.amdhsa_system_sgpr_workgroup_info 0
		.amdhsa_system_vgpr_workitem_id 0
		.amdhsa_next_free_vgpr 1
		.amdhsa_next_free_sgpr 0
		.amdhsa_accum_offset 4
		.amdhsa_reserve_vcc 0
		.amdhsa_float_round_mode_32 0
		.amdhsa_float_round_mode_16_64 0
		.amdhsa_float_denorm_mode_32 3
		.amdhsa_float_denorm_mode_16_64 3
		.amdhsa_dx10_clamp 1
		.amdhsa_ieee_mode 1
		.amdhsa_fp16_overflow 0
		.amdhsa_tg_split 0
		.amdhsa_exception_fp_ieee_invalid_op 0
		.amdhsa_exception_fp_denorm_src 0
		.amdhsa_exception_fp_ieee_div_zero 0
		.amdhsa_exception_fp_ieee_overflow 0
		.amdhsa_exception_fp_ieee_underflow 0
		.amdhsa_exception_fp_ieee_inexact 0
		.amdhsa_exception_int_div_zero 0
	.end_amdhsa_kernel
	.section	.text._ZN7rocprim17ROCPRIM_400000_NS6detail17trampoline_kernelINS0_14default_configENS1_20scan_config_selectorIN3c108BFloat16EEEZZNS1_9scan_implILNS1_25lookback_scan_determinismE0ELb0ELb0ES3_PKS6_PS6_S6_ZZZN2at6native31launch_logcumsumexp_cuda_kernelERKNSD_10TensorBaseESH_lENKUlvE_clEvENKUlvE4_clEvEUlS6_S6_E_S6_EEDaPvRmT3_T4_T5_mT6_P12ihipStream_tbENKUlT_T0_E_clISt17integral_constantIbLb0EESY_EEDaST_SU_EUlST_E0_NS1_11comp_targetILNS1_3genE5ELNS1_11target_archE942ELNS1_3gpuE9ELNS1_3repE0EEENS1_30default_config_static_selectorELNS0_4arch9wavefront6targetE1EEEvT1_,"axG",@progbits,_ZN7rocprim17ROCPRIM_400000_NS6detail17trampoline_kernelINS0_14default_configENS1_20scan_config_selectorIN3c108BFloat16EEEZZNS1_9scan_implILNS1_25lookback_scan_determinismE0ELb0ELb0ES3_PKS6_PS6_S6_ZZZN2at6native31launch_logcumsumexp_cuda_kernelERKNSD_10TensorBaseESH_lENKUlvE_clEvENKUlvE4_clEvEUlS6_S6_E_S6_EEDaPvRmT3_T4_T5_mT6_P12ihipStream_tbENKUlT_T0_E_clISt17integral_constantIbLb0EESY_EEDaST_SU_EUlST_E0_NS1_11comp_targetILNS1_3genE5ELNS1_11target_archE942ELNS1_3gpuE9ELNS1_3repE0EEENS1_30default_config_static_selectorELNS0_4arch9wavefront6targetE1EEEvT1_,comdat
.Lfunc_end456:
	.size	_ZN7rocprim17ROCPRIM_400000_NS6detail17trampoline_kernelINS0_14default_configENS1_20scan_config_selectorIN3c108BFloat16EEEZZNS1_9scan_implILNS1_25lookback_scan_determinismE0ELb0ELb0ES3_PKS6_PS6_S6_ZZZN2at6native31launch_logcumsumexp_cuda_kernelERKNSD_10TensorBaseESH_lENKUlvE_clEvENKUlvE4_clEvEUlS6_S6_E_S6_EEDaPvRmT3_T4_T5_mT6_P12ihipStream_tbENKUlT_T0_E_clISt17integral_constantIbLb0EESY_EEDaST_SU_EUlST_E0_NS1_11comp_targetILNS1_3genE5ELNS1_11target_archE942ELNS1_3gpuE9ELNS1_3repE0EEENS1_30default_config_static_selectorELNS0_4arch9wavefront6targetE1EEEvT1_, .Lfunc_end456-_ZN7rocprim17ROCPRIM_400000_NS6detail17trampoline_kernelINS0_14default_configENS1_20scan_config_selectorIN3c108BFloat16EEEZZNS1_9scan_implILNS1_25lookback_scan_determinismE0ELb0ELb0ES3_PKS6_PS6_S6_ZZZN2at6native31launch_logcumsumexp_cuda_kernelERKNSD_10TensorBaseESH_lENKUlvE_clEvENKUlvE4_clEvEUlS6_S6_E_S6_EEDaPvRmT3_T4_T5_mT6_P12ihipStream_tbENKUlT_T0_E_clISt17integral_constantIbLb0EESY_EEDaST_SU_EUlST_E0_NS1_11comp_targetILNS1_3genE5ELNS1_11target_archE942ELNS1_3gpuE9ELNS1_3repE0EEENS1_30default_config_static_selectorELNS0_4arch9wavefront6targetE1EEEvT1_
                                        ; -- End function
	.set _ZN7rocprim17ROCPRIM_400000_NS6detail17trampoline_kernelINS0_14default_configENS1_20scan_config_selectorIN3c108BFloat16EEEZZNS1_9scan_implILNS1_25lookback_scan_determinismE0ELb0ELb0ES3_PKS6_PS6_S6_ZZZN2at6native31launch_logcumsumexp_cuda_kernelERKNSD_10TensorBaseESH_lENKUlvE_clEvENKUlvE4_clEvEUlS6_S6_E_S6_EEDaPvRmT3_T4_T5_mT6_P12ihipStream_tbENKUlT_T0_E_clISt17integral_constantIbLb0EESY_EEDaST_SU_EUlST_E0_NS1_11comp_targetILNS1_3genE5ELNS1_11target_archE942ELNS1_3gpuE9ELNS1_3repE0EEENS1_30default_config_static_selectorELNS0_4arch9wavefront6targetE1EEEvT1_.num_vgpr, 0
	.set _ZN7rocprim17ROCPRIM_400000_NS6detail17trampoline_kernelINS0_14default_configENS1_20scan_config_selectorIN3c108BFloat16EEEZZNS1_9scan_implILNS1_25lookback_scan_determinismE0ELb0ELb0ES3_PKS6_PS6_S6_ZZZN2at6native31launch_logcumsumexp_cuda_kernelERKNSD_10TensorBaseESH_lENKUlvE_clEvENKUlvE4_clEvEUlS6_S6_E_S6_EEDaPvRmT3_T4_T5_mT6_P12ihipStream_tbENKUlT_T0_E_clISt17integral_constantIbLb0EESY_EEDaST_SU_EUlST_E0_NS1_11comp_targetILNS1_3genE5ELNS1_11target_archE942ELNS1_3gpuE9ELNS1_3repE0EEENS1_30default_config_static_selectorELNS0_4arch9wavefront6targetE1EEEvT1_.num_agpr, 0
	.set _ZN7rocprim17ROCPRIM_400000_NS6detail17trampoline_kernelINS0_14default_configENS1_20scan_config_selectorIN3c108BFloat16EEEZZNS1_9scan_implILNS1_25lookback_scan_determinismE0ELb0ELb0ES3_PKS6_PS6_S6_ZZZN2at6native31launch_logcumsumexp_cuda_kernelERKNSD_10TensorBaseESH_lENKUlvE_clEvENKUlvE4_clEvEUlS6_S6_E_S6_EEDaPvRmT3_T4_T5_mT6_P12ihipStream_tbENKUlT_T0_E_clISt17integral_constantIbLb0EESY_EEDaST_SU_EUlST_E0_NS1_11comp_targetILNS1_3genE5ELNS1_11target_archE942ELNS1_3gpuE9ELNS1_3repE0EEENS1_30default_config_static_selectorELNS0_4arch9wavefront6targetE1EEEvT1_.numbered_sgpr, 0
	.set _ZN7rocprim17ROCPRIM_400000_NS6detail17trampoline_kernelINS0_14default_configENS1_20scan_config_selectorIN3c108BFloat16EEEZZNS1_9scan_implILNS1_25lookback_scan_determinismE0ELb0ELb0ES3_PKS6_PS6_S6_ZZZN2at6native31launch_logcumsumexp_cuda_kernelERKNSD_10TensorBaseESH_lENKUlvE_clEvENKUlvE4_clEvEUlS6_S6_E_S6_EEDaPvRmT3_T4_T5_mT6_P12ihipStream_tbENKUlT_T0_E_clISt17integral_constantIbLb0EESY_EEDaST_SU_EUlST_E0_NS1_11comp_targetILNS1_3genE5ELNS1_11target_archE942ELNS1_3gpuE9ELNS1_3repE0EEENS1_30default_config_static_selectorELNS0_4arch9wavefront6targetE1EEEvT1_.num_named_barrier, 0
	.set _ZN7rocprim17ROCPRIM_400000_NS6detail17trampoline_kernelINS0_14default_configENS1_20scan_config_selectorIN3c108BFloat16EEEZZNS1_9scan_implILNS1_25lookback_scan_determinismE0ELb0ELb0ES3_PKS6_PS6_S6_ZZZN2at6native31launch_logcumsumexp_cuda_kernelERKNSD_10TensorBaseESH_lENKUlvE_clEvENKUlvE4_clEvEUlS6_S6_E_S6_EEDaPvRmT3_T4_T5_mT6_P12ihipStream_tbENKUlT_T0_E_clISt17integral_constantIbLb0EESY_EEDaST_SU_EUlST_E0_NS1_11comp_targetILNS1_3genE5ELNS1_11target_archE942ELNS1_3gpuE9ELNS1_3repE0EEENS1_30default_config_static_selectorELNS0_4arch9wavefront6targetE1EEEvT1_.private_seg_size, 0
	.set _ZN7rocprim17ROCPRIM_400000_NS6detail17trampoline_kernelINS0_14default_configENS1_20scan_config_selectorIN3c108BFloat16EEEZZNS1_9scan_implILNS1_25lookback_scan_determinismE0ELb0ELb0ES3_PKS6_PS6_S6_ZZZN2at6native31launch_logcumsumexp_cuda_kernelERKNSD_10TensorBaseESH_lENKUlvE_clEvENKUlvE4_clEvEUlS6_S6_E_S6_EEDaPvRmT3_T4_T5_mT6_P12ihipStream_tbENKUlT_T0_E_clISt17integral_constantIbLb0EESY_EEDaST_SU_EUlST_E0_NS1_11comp_targetILNS1_3genE5ELNS1_11target_archE942ELNS1_3gpuE9ELNS1_3repE0EEENS1_30default_config_static_selectorELNS0_4arch9wavefront6targetE1EEEvT1_.uses_vcc, 0
	.set _ZN7rocprim17ROCPRIM_400000_NS6detail17trampoline_kernelINS0_14default_configENS1_20scan_config_selectorIN3c108BFloat16EEEZZNS1_9scan_implILNS1_25lookback_scan_determinismE0ELb0ELb0ES3_PKS6_PS6_S6_ZZZN2at6native31launch_logcumsumexp_cuda_kernelERKNSD_10TensorBaseESH_lENKUlvE_clEvENKUlvE4_clEvEUlS6_S6_E_S6_EEDaPvRmT3_T4_T5_mT6_P12ihipStream_tbENKUlT_T0_E_clISt17integral_constantIbLb0EESY_EEDaST_SU_EUlST_E0_NS1_11comp_targetILNS1_3genE5ELNS1_11target_archE942ELNS1_3gpuE9ELNS1_3repE0EEENS1_30default_config_static_selectorELNS0_4arch9wavefront6targetE1EEEvT1_.uses_flat_scratch, 0
	.set _ZN7rocprim17ROCPRIM_400000_NS6detail17trampoline_kernelINS0_14default_configENS1_20scan_config_selectorIN3c108BFloat16EEEZZNS1_9scan_implILNS1_25lookback_scan_determinismE0ELb0ELb0ES3_PKS6_PS6_S6_ZZZN2at6native31launch_logcumsumexp_cuda_kernelERKNSD_10TensorBaseESH_lENKUlvE_clEvENKUlvE4_clEvEUlS6_S6_E_S6_EEDaPvRmT3_T4_T5_mT6_P12ihipStream_tbENKUlT_T0_E_clISt17integral_constantIbLb0EESY_EEDaST_SU_EUlST_E0_NS1_11comp_targetILNS1_3genE5ELNS1_11target_archE942ELNS1_3gpuE9ELNS1_3repE0EEENS1_30default_config_static_selectorELNS0_4arch9wavefront6targetE1EEEvT1_.has_dyn_sized_stack, 0
	.set _ZN7rocprim17ROCPRIM_400000_NS6detail17trampoline_kernelINS0_14default_configENS1_20scan_config_selectorIN3c108BFloat16EEEZZNS1_9scan_implILNS1_25lookback_scan_determinismE0ELb0ELb0ES3_PKS6_PS6_S6_ZZZN2at6native31launch_logcumsumexp_cuda_kernelERKNSD_10TensorBaseESH_lENKUlvE_clEvENKUlvE4_clEvEUlS6_S6_E_S6_EEDaPvRmT3_T4_T5_mT6_P12ihipStream_tbENKUlT_T0_E_clISt17integral_constantIbLb0EESY_EEDaST_SU_EUlST_E0_NS1_11comp_targetILNS1_3genE5ELNS1_11target_archE942ELNS1_3gpuE9ELNS1_3repE0EEENS1_30default_config_static_selectorELNS0_4arch9wavefront6targetE1EEEvT1_.has_recursion, 0
	.set _ZN7rocprim17ROCPRIM_400000_NS6detail17trampoline_kernelINS0_14default_configENS1_20scan_config_selectorIN3c108BFloat16EEEZZNS1_9scan_implILNS1_25lookback_scan_determinismE0ELb0ELb0ES3_PKS6_PS6_S6_ZZZN2at6native31launch_logcumsumexp_cuda_kernelERKNSD_10TensorBaseESH_lENKUlvE_clEvENKUlvE4_clEvEUlS6_S6_E_S6_EEDaPvRmT3_T4_T5_mT6_P12ihipStream_tbENKUlT_T0_E_clISt17integral_constantIbLb0EESY_EEDaST_SU_EUlST_E0_NS1_11comp_targetILNS1_3genE5ELNS1_11target_archE942ELNS1_3gpuE9ELNS1_3repE0EEENS1_30default_config_static_selectorELNS0_4arch9wavefront6targetE1EEEvT1_.has_indirect_call, 0
	.section	.AMDGPU.csdata,"",@progbits
; Kernel info:
; codeLenInByte = 0
; TotalNumSgprs: 6
; NumVgprs: 0
; NumAgprs: 0
; TotalNumVgprs: 0
; ScratchSize: 0
; MemoryBound: 0
; FloatMode: 240
; IeeeMode: 1
; LDSByteSize: 0 bytes/workgroup (compile time only)
; SGPRBlocks: 0
; VGPRBlocks: 0
; NumSGPRsForWavesPerEU: 6
; NumVGPRsForWavesPerEU: 1
; AccumOffset: 4
; Occupancy: 8
; WaveLimiterHint : 0
; COMPUTE_PGM_RSRC2:SCRATCH_EN: 0
; COMPUTE_PGM_RSRC2:USER_SGPR: 2
; COMPUTE_PGM_RSRC2:TRAP_HANDLER: 0
; COMPUTE_PGM_RSRC2:TGID_X_EN: 1
; COMPUTE_PGM_RSRC2:TGID_Y_EN: 0
; COMPUTE_PGM_RSRC2:TGID_Z_EN: 0
; COMPUTE_PGM_RSRC2:TIDIG_COMP_CNT: 0
; COMPUTE_PGM_RSRC3_GFX90A:ACCUM_OFFSET: 0
; COMPUTE_PGM_RSRC3_GFX90A:TG_SPLIT: 0
	.section	.text._ZN7rocprim17ROCPRIM_400000_NS6detail17trampoline_kernelINS0_14default_configENS1_20scan_config_selectorIN3c108BFloat16EEEZZNS1_9scan_implILNS1_25lookback_scan_determinismE0ELb0ELb0ES3_PKS6_PS6_S6_ZZZN2at6native31launch_logcumsumexp_cuda_kernelERKNSD_10TensorBaseESH_lENKUlvE_clEvENKUlvE4_clEvEUlS6_S6_E_S6_EEDaPvRmT3_T4_T5_mT6_P12ihipStream_tbENKUlT_T0_E_clISt17integral_constantIbLb0EESY_EEDaST_SU_EUlST_E0_NS1_11comp_targetILNS1_3genE4ELNS1_11target_archE910ELNS1_3gpuE8ELNS1_3repE0EEENS1_30default_config_static_selectorELNS0_4arch9wavefront6targetE1EEEvT1_,"axG",@progbits,_ZN7rocprim17ROCPRIM_400000_NS6detail17trampoline_kernelINS0_14default_configENS1_20scan_config_selectorIN3c108BFloat16EEEZZNS1_9scan_implILNS1_25lookback_scan_determinismE0ELb0ELb0ES3_PKS6_PS6_S6_ZZZN2at6native31launch_logcumsumexp_cuda_kernelERKNSD_10TensorBaseESH_lENKUlvE_clEvENKUlvE4_clEvEUlS6_S6_E_S6_EEDaPvRmT3_T4_T5_mT6_P12ihipStream_tbENKUlT_T0_E_clISt17integral_constantIbLb0EESY_EEDaST_SU_EUlST_E0_NS1_11comp_targetILNS1_3genE4ELNS1_11target_archE910ELNS1_3gpuE8ELNS1_3repE0EEENS1_30default_config_static_selectorELNS0_4arch9wavefront6targetE1EEEvT1_,comdat
	.globl	_ZN7rocprim17ROCPRIM_400000_NS6detail17trampoline_kernelINS0_14default_configENS1_20scan_config_selectorIN3c108BFloat16EEEZZNS1_9scan_implILNS1_25lookback_scan_determinismE0ELb0ELb0ES3_PKS6_PS6_S6_ZZZN2at6native31launch_logcumsumexp_cuda_kernelERKNSD_10TensorBaseESH_lENKUlvE_clEvENKUlvE4_clEvEUlS6_S6_E_S6_EEDaPvRmT3_T4_T5_mT6_P12ihipStream_tbENKUlT_T0_E_clISt17integral_constantIbLb0EESY_EEDaST_SU_EUlST_E0_NS1_11comp_targetILNS1_3genE4ELNS1_11target_archE910ELNS1_3gpuE8ELNS1_3repE0EEENS1_30default_config_static_selectorELNS0_4arch9wavefront6targetE1EEEvT1_ ; -- Begin function _ZN7rocprim17ROCPRIM_400000_NS6detail17trampoline_kernelINS0_14default_configENS1_20scan_config_selectorIN3c108BFloat16EEEZZNS1_9scan_implILNS1_25lookback_scan_determinismE0ELb0ELb0ES3_PKS6_PS6_S6_ZZZN2at6native31launch_logcumsumexp_cuda_kernelERKNSD_10TensorBaseESH_lENKUlvE_clEvENKUlvE4_clEvEUlS6_S6_E_S6_EEDaPvRmT3_T4_T5_mT6_P12ihipStream_tbENKUlT_T0_E_clISt17integral_constantIbLb0EESY_EEDaST_SU_EUlST_E0_NS1_11comp_targetILNS1_3genE4ELNS1_11target_archE910ELNS1_3gpuE8ELNS1_3repE0EEENS1_30default_config_static_selectorELNS0_4arch9wavefront6targetE1EEEvT1_
	.p2align	8
	.type	_ZN7rocprim17ROCPRIM_400000_NS6detail17trampoline_kernelINS0_14default_configENS1_20scan_config_selectorIN3c108BFloat16EEEZZNS1_9scan_implILNS1_25lookback_scan_determinismE0ELb0ELb0ES3_PKS6_PS6_S6_ZZZN2at6native31launch_logcumsumexp_cuda_kernelERKNSD_10TensorBaseESH_lENKUlvE_clEvENKUlvE4_clEvEUlS6_S6_E_S6_EEDaPvRmT3_T4_T5_mT6_P12ihipStream_tbENKUlT_T0_E_clISt17integral_constantIbLb0EESY_EEDaST_SU_EUlST_E0_NS1_11comp_targetILNS1_3genE4ELNS1_11target_archE910ELNS1_3gpuE8ELNS1_3repE0EEENS1_30default_config_static_selectorELNS0_4arch9wavefront6targetE1EEEvT1_,@function
_ZN7rocprim17ROCPRIM_400000_NS6detail17trampoline_kernelINS0_14default_configENS1_20scan_config_selectorIN3c108BFloat16EEEZZNS1_9scan_implILNS1_25lookback_scan_determinismE0ELb0ELb0ES3_PKS6_PS6_S6_ZZZN2at6native31launch_logcumsumexp_cuda_kernelERKNSD_10TensorBaseESH_lENKUlvE_clEvENKUlvE4_clEvEUlS6_S6_E_S6_EEDaPvRmT3_T4_T5_mT6_P12ihipStream_tbENKUlT_T0_E_clISt17integral_constantIbLb0EESY_EEDaST_SU_EUlST_E0_NS1_11comp_targetILNS1_3genE4ELNS1_11target_archE910ELNS1_3gpuE8ELNS1_3repE0EEENS1_30default_config_static_selectorELNS0_4arch9wavefront6targetE1EEEvT1_: ; @_ZN7rocprim17ROCPRIM_400000_NS6detail17trampoline_kernelINS0_14default_configENS1_20scan_config_selectorIN3c108BFloat16EEEZZNS1_9scan_implILNS1_25lookback_scan_determinismE0ELb0ELb0ES3_PKS6_PS6_S6_ZZZN2at6native31launch_logcumsumexp_cuda_kernelERKNSD_10TensorBaseESH_lENKUlvE_clEvENKUlvE4_clEvEUlS6_S6_E_S6_EEDaPvRmT3_T4_T5_mT6_P12ihipStream_tbENKUlT_T0_E_clISt17integral_constantIbLb0EESY_EEDaST_SU_EUlST_E0_NS1_11comp_targetILNS1_3genE4ELNS1_11target_archE910ELNS1_3gpuE8ELNS1_3repE0EEENS1_30default_config_static_selectorELNS0_4arch9wavefront6targetE1EEEvT1_
; %bb.0:
	.section	.rodata,"a",@progbits
	.p2align	6, 0x0
	.amdhsa_kernel _ZN7rocprim17ROCPRIM_400000_NS6detail17trampoline_kernelINS0_14default_configENS1_20scan_config_selectorIN3c108BFloat16EEEZZNS1_9scan_implILNS1_25lookback_scan_determinismE0ELb0ELb0ES3_PKS6_PS6_S6_ZZZN2at6native31launch_logcumsumexp_cuda_kernelERKNSD_10TensorBaseESH_lENKUlvE_clEvENKUlvE4_clEvEUlS6_S6_E_S6_EEDaPvRmT3_T4_T5_mT6_P12ihipStream_tbENKUlT_T0_E_clISt17integral_constantIbLb0EESY_EEDaST_SU_EUlST_E0_NS1_11comp_targetILNS1_3genE4ELNS1_11target_archE910ELNS1_3gpuE8ELNS1_3repE0EEENS1_30default_config_static_selectorELNS0_4arch9wavefront6targetE1EEEvT1_
		.amdhsa_group_segment_fixed_size 0
		.amdhsa_private_segment_fixed_size 0
		.amdhsa_kernarg_size 32
		.amdhsa_user_sgpr_count 2
		.amdhsa_user_sgpr_dispatch_ptr 0
		.amdhsa_user_sgpr_queue_ptr 0
		.amdhsa_user_sgpr_kernarg_segment_ptr 1
		.amdhsa_user_sgpr_dispatch_id 0
		.amdhsa_user_sgpr_kernarg_preload_length 0
		.amdhsa_user_sgpr_kernarg_preload_offset 0
		.amdhsa_user_sgpr_private_segment_size 0
		.amdhsa_uses_dynamic_stack 0
		.amdhsa_enable_private_segment 0
		.amdhsa_system_sgpr_workgroup_id_x 1
		.amdhsa_system_sgpr_workgroup_id_y 0
		.amdhsa_system_sgpr_workgroup_id_z 0
		.amdhsa_system_sgpr_workgroup_info 0
		.amdhsa_system_vgpr_workitem_id 0
		.amdhsa_next_free_vgpr 1
		.amdhsa_next_free_sgpr 0
		.amdhsa_accum_offset 4
		.amdhsa_reserve_vcc 0
		.amdhsa_float_round_mode_32 0
		.amdhsa_float_round_mode_16_64 0
		.amdhsa_float_denorm_mode_32 3
		.amdhsa_float_denorm_mode_16_64 3
		.amdhsa_dx10_clamp 1
		.amdhsa_ieee_mode 1
		.amdhsa_fp16_overflow 0
		.amdhsa_tg_split 0
		.amdhsa_exception_fp_ieee_invalid_op 0
		.amdhsa_exception_fp_denorm_src 0
		.amdhsa_exception_fp_ieee_div_zero 0
		.amdhsa_exception_fp_ieee_overflow 0
		.amdhsa_exception_fp_ieee_underflow 0
		.amdhsa_exception_fp_ieee_inexact 0
		.amdhsa_exception_int_div_zero 0
	.end_amdhsa_kernel
	.section	.text._ZN7rocprim17ROCPRIM_400000_NS6detail17trampoline_kernelINS0_14default_configENS1_20scan_config_selectorIN3c108BFloat16EEEZZNS1_9scan_implILNS1_25lookback_scan_determinismE0ELb0ELb0ES3_PKS6_PS6_S6_ZZZN2at6native31launch_logcumsumexp_cuda_kernelERKNSD_10TensorBaseESH_lENKUlvE_clEvENKUlvE4_clEvEUlS6_S6_E_S6_EEDaPvRmT3_T4_T5_mT6_P12ihipStream_tbENKUlT_T0_E_clISt17integral_constantIbLb0EESY_EEDaST_SU_EUlST_E0_NS1_11comp_targetILNS1_3genE4ELNS1_11target_archE910ELNS1_3gpuE8ELNS1_3repE0EEENS1_30default_config_static_selectorELNS0_4arch9wavefront6targetE1EEEvT1_,"axG",@progbits,_ZN7rocprim17ROCPRIM_400000_NS6detail17trampoline_kernelINS0_14default_configENS1_20scan_config_selectorIN3c108BFloat16EEEZZNS1_9scan_implILNS1_25lookback_scan_determinismE0ELb0ELb0ES3_PKS6_PS6_S6_ZZZN2at6native31launch_logcumsumexp_cuda_kernelERKNSD_10TensorBaseESH_lENKUlvE_clEvENKUlvE4_clEvEUlS6_S6_E_S6_EEDaPvRmT3_T4_T5_mT6_P12ihipStream_tbENKUlT_T0_E_clISt17integral_constantIbLb0EESY_EEDaST_SU_EUlST_E0_NS1_11comp_targetILNS1_3genE4ELNS1_11target_archE910ELNS1_3gpuE8ELNS1_3repE0EEENS1_30default_config_static_selectorELNS0_4arch9wavefront6targetE1EEEvT1_,comdat
.Lfunc_end457:
	.size	_ZN7rocprim17ROCPRIM_400000_NS6detail17trampoline_kernelINS0_14default_configENS1_20scan_config_selectorIN3c108BFloat16EEEZZNS1_9scan_implILNS1_25lookback_scan_determinismE0ELb0ELb0ES3_PKS6_PS6_S6_ZZZN2at6native31launch_logcumsumexp_cuda_kernelERKNSD_10TensorBaseESH_lENKUlvE_clEvENKUlvE4_clEvEUlS6_S6_E_S6_EEDaPvRmT3_T4_T5_mT6_P12ihipStream_tbENKUlT_T0_E_clISt17integral_constantIbLb0EESY_EEDaST_SU_EUlST_E0_NS1_11comp_targetILNS1_3genE4ELNS1_11target_archE910ELNS1_3gpuE8ELNS1_3repE0EEENS1_30default_config_static_selectorELNS0_4arch9wavefront6targetE1EEEvT1_, .Lfunc_end457-_ZN7rocprim17ROCPRIM_400000_NS6detail17trampoline_kernelINS0_14default_configENS1_20scan_config_selectorIN3c108BFloat16EEEZZNS1_9scan_implILNS1_25lookback_scan_determinismE0ELb0ELb0ES3_PKS6_PS6_S6_ZZZN2at6native31launch_logcumsumexp_cuda_kernelERKNSD_10TensorBaseESH_lENKUlvE_clEvENKUlvE4_clEvEUlS6_S6_E_S6_EEDaPvRmT3_T4_T5_mT6_P12ihipStream_tbENKUlT_T0_E_clISt17integral_constantIbLb0EESY_EEDaST_SU_EUlST_E0_NS1_11comp_targetILNS1_3genE4ELNS1_11target_archE910ELNS1_3gpuE8ELNS1_3repE0EEENS1_30default_config_static_selectorELNS0_4arch9wavefront6targetE1EEEvT1_
                                        ; -- End function
	.set _ZN7rocprim17ROCPRIM_400000_NS6detail17trampoline_kernelINS0_14default_configENS1_20scan_config_selectorIN3c108BFloat16EEEZZNS1_9scan_implILNS1_25lookback_scan_determinismE0ELb0ELb0ES3_PKS6_PS6_S6_ZZZN2at6native31launch_logcumsumexp_cuda_kernelERKNSD_10TensorBaseESH_lENKUlvE_clEvENKUlvE4_clEvEUlS6_S6_E_S6_EEDaPvRmT3_T4_T5_mT6_P12ihipStream_tbENKUlT_T0_E_clISt17integral_constantIbLb0EESY_EEDaST_SU_EUlST_E0_NS1_11comp_targetILNS1_3genE4ELNS1_11target_archE910ELNS1_3gpuE8ELNS1_3repE0EEENS1_30default_config_static_selectorELNS0_4arch9wavefront6targetE1EEEvT1_.num_vgpr, 0
	.set _ZN7rocprim17ROCPRIM_400000_NS6detail17trampoline_kernelINS0_14default_configENS1_20scan_config_selectorIN3c108BFloat16EEEZZNS1_9scan_implILNS1_25lookback_scan_determinismE0ELb0ELb0ES3_PKS6_PS6_S6_ZZZN2at6native31launch_logcumsumexp_cuda_kernelERKNSD_10TensorBaseESH_lENKUlvE_clEvENKUlvE4_clEvEUlS6_S6_E_S6_EEDaPvRmT3_T4_T5_mT6_P12ihipStream_tbENKUlT_T0_E_clISt17integral_constantIbLb0EESY_EEDaST_SU_EUlST_E0_NS1_11comp_targetILNS1_3genE4ELNS1_11target_archE910ELNS1_3gpuE8ELNS1_3repE0EEENS1_30default_config_static_selectorELNS0_4arch9wavefront6targetE1EEEvT1_.num_agpr, 0
	.set _ZN7rocprim17ROCPRIM_400000_NS6detail17trampoline_kernelINS0_14default_configENS1_20scan_config_selectorIN3c108BFloat16EEEZZNS1_9scan_implILNS1_25lookback_scan_determinismE0ELb0ELb0ES3_PKS6_PS6_S6_ZZZN2at6native31launch_logcumsumexp_cuda_kernelERKNSD_10TensorBaseESH_lENKUlvE_clEvENKUlvE4_clEvEUlS6_S6_E_S6_EEDaPvRmT3_T4_T5_mT6_P12ihipStream_tbENKUlT_T0_E_clISt17integral_constantIbLb0EESY_EEDaST_SU_EUlST_E0_NS1_11comp_targetILNS1_3genE4ELNS1_11target_archE910ELNS1_3gpuE8ELNS1_3repE0EEENS1_30default_config_static_selectorELNS0_4arch9wavefront6targetE1EEEvT1_.numbered_sgpr, 0
	.set _ZN7rocprim17ROCPRIM_400000_NS6detail17trampoline_kernelINS0_14default_configENS1_20scan_config_selectorIN3c108BFloat16EEEZZNS1_9scan_implILNS1_25lookback_scan_determinismE0ELb0ELb0ES3_PKS6_PS6_S6_ZZZN2at6native31launch_logcumsumexp_cuda_kernelERKNSD_10TensorBaseESH_lENKUlvE_clEvENKUlvE4_clEvEUlS6_S6_E_S6_EEDaPvRmT3_T4_T5_mT6_P12ihipStream_tbENKUlT_T0_E_clISt17integral_constantIbLb0EESY_EEDaST_SU_EUlST_E0_NS1_11comp_targetILNS1_3genE4ELNS1_11target_archE910ELNS1_3gpuE8ELNS1_3repE0EEENS1_30default_config_static_selectorELNS0_4arch9wavefront6targetE1EEEvT1_.num_named_barrier, 0
	.set _ZN7rocprim17ROCPRIM_400000_NS6detail17trampoline_kernelINS0_14default_configENS1_20scan_config_selectorIN3c108BFloat16EEEZZNS1_9scan_implILNS1_25lookback_scan_determinismE0ELb0ELb0ES3_PKS6_PS6_S6_ZZZN2at6native31launch_logcumsumexp_cuda_kernelERKNSD_10TensorBaseESH_lENKUlvE_clEvENKUlvE4_clEvEUlS6_S6_E_S6_EEDaPvRmT3_T4_T5_mT6_P12ihipStream_tbENKUlT_T0_E_clISt17integral_constantIbLb0EESY_EEDaST_SU_EUlST_E0_NS1_11comp_targetILNS1_3genE4ELNS1_11target_archE910ELNS1_3gpuE8ELNS1_3repE0EEENS1_30default_config_static_selectorELNS0_4arch9wavefront6targetE1EEEvT1_.private_seg_size, 0
	.set _ZN7rocprim17ROCPRIM_400000_NS6detail17trampoline_kernelINS0_14default_configENS1_20scan_config_selectorIN3c108BFloat16EEEZZNS1_9scan_implILNS1_25lookback_scan_determinismE0ELb0ELb0ES3_PKS6_PS6_S6_ZZZN2at6native31launch_logcumsumexp_cuda_kernelERKNSD_10TensorBaseESH_lENKUlvE_clEvENKUlvE4_clEvEUlS6_S6_E_S6_EEDaPvRmT3_T4_T5_mT6_P12ihipStream_tbENKUlT_T0_E_clISt17integral_constantIbLb0EESY_EEDaST_SU_EUlST_E0_NS1_11comp_targetILNS1_3genE4ELNS1_11target_archE910ELNS1_3gpuE8ELNS1_3repE0EEENS1_30default_config_static_selectorELNS0_4arch9wavefront6targetE1EEEvT1_.uses_vcc, 0
	.set _ZN7rocprim17ROCPRIM_400000_NS6detail17trampoline_kernelINS0_14default_configENS1_20scan_config_selectorIN3c108BFloat16EEEZZNS1_9scan_implILNS1_25lookback_scan_determinismE0ELb0ELb0ES3_PKS6_PS6_S6_ZZZN2at6native31launch_logcumsumexp_cuda_kernelERKNSD_10TensorBaseESH_lENKUlvE_clEvENKUlvE4_clEvEUlS6_S6_E_S6_EEDaPvRmT3_T4_T5_mT6_P12ihipStream_tbENKUlT_T0_E_clISt17integral_constantIbLb0EESY_EEDaST_SU_EUlST_E0_NS1_11comp_targetILNS1_3genE4ELNS1_11target_archE910ELNS1_3gpuE8ELNS1_3repE0EEENS1_30default_config_static_selectorELNS0_4arch9wavefront6targetE1EEEvT1_.uses_flat_scratch, 0
	.set _ZN7rocprim17ROCPRIM_400000_NS6detail17trampoline_kernelINS0_14default_configENS1_20scan_config_selectorIN3c108BFloat16EEEZZNS1_9scan_implILNS1_25lookback_scan_determinismE0ELb0ELb0ES3_PKS6_PS6_S6_ZZZN2at6native31launch_logcumsumexp_cuda_kernelERKNSD_10TensorBaseESH_lENKUlvE_clEvENKUlvE4_clEvEUlS6_S6_E_S6_EEDaPvRmT3_T4_T5_mT6_P12ihipStream_tbENKUlT_T0_E_clISt17integral_constantIbLb0EESY_EEDaST_SU_EUlST_E0_NS1_11comp_targetILNS1_3genE4ELNS1_11target_archE910ELNS1_3gpuE8ELNS1_3repE0EEENS1_30default_config_static_selectorELNS0_4arch9wavefront6targetE1EEEvT1_.has_dyn_sized_stack, 0
	.set _ZN7rocprim17ROCPRIM_400000_NS6detail17trampoline_kernelINS0_14default_configENS1_20scan_config_selectorIN3c108BFloat16EEEZZNS1_9scan_implILNS1_25lookback_scan_determinismE0ELb0ELb0ES3_PKS6_PS6_S6_ZZZN2at6native31launch_logcumsumexp_cuda_kernelERKNSD_10TensorBaseESH_lENKUlvE_clEvENKUlvE4_clEvEUlS6_S6_E_S6_EEDaPvRmT3_T4_T5_mT6_P12ihipStream_tbENKUlT_T0_E_clISt17integral_constantIbLb0EESY_EEDaST_SU_EUlST_E0_NS1_11comp_targetILNS1_3genE4ELNS1_11target_archE910ELNS1_3gpuE8ELNS1_3repE0EEENS1_30default_config_static_selectorELNS0_4arch9wavefront6targetE1EEEvT1_.has_recursion, 0
	.set _ZN7rocprim17ROCPRIM_400000_NS6detail17trampoline_kernelINS0_14default_configENS1_20scan_config_selectorIN3c108BFloat16EEEZZNS1_9scan_implILNS1_25lookback_scan_determinismE0ELb0ELb0ES3_PKS6_PS6_S6_ZZZN2at6native31launch_logcumsumexp_cuda_kernelERKNSD_10TensorBaseESH_lENKUlvE_clEvENKUlvE4_clEvEUlS6_S6_E_S6_EEDaPvRmT3_T4_T5_mT6_P12ihipStream_tbENKUlT_T0_E_clISt17integral_constantIbLb0EESY_EEDaST_SU_EUlST_E0_NS1_11comp_targetILNS1_3genE4ELNS1_11target_archE910ELNS1_3gpuE8ELNS1_3repE0EEENS1_30default_config_static_selectorELNS0_4arch9wavefront6targetE1EEEvT1_.has_indirect_call, 0
	.section	.AMDGPU.csdata,"",@progbits
; Kernel info:
; codeLenInByte = 0
; TotalNumSgprs: 6
; NumVgprs: 0
; NumAgprs: 0
; TotalNumVgprs: 0
; ScratchSize: 0
; MemoryBound: 0
; FloatMode: 240
; IeeeMode: 1
; LDSByteSize: 0 bytes/workgroup (compile time only)
; SGPRBlocks: 0
; VGPRBlocks: 0
; NumSGPRsForWavesPerEU: 6
; NumVGPRsForWavesPerEU: 1
; AccumOffset: 4
; Occupancy: 8
; WaveLimiterHint : 0
; COMPUTE_PGM_RSRC2:SCRATCH_EN: 0
; COMPUTE_PGM_RSRC2:USER_SGPR: 2
; COMPUTE_PGM_RSRC2:TRAP_HANDLER: 0
; COMPUTE_PGM_RSRC2:TGID_X_EN: 1
; COMPUTE_PGM_RSRC2:TGID_Y_EN: 0
; COMPUTE_PGM_RSRC2:TGID_Z_EN: 0
; COMPUTE_PGM_RSRC2:TIDIG_COMP_CNT: 0
; COMPUTE_PGM_RSRC3_GFX90A:ACCUM_OFFSET: 0
; COMPUTE_PGM_RSRC3_GFX90A:TG_SPLIT: 0
	.section	.text._ZN7rocprim17ROCPRIM_400000_NS6detail17trampoline_kernelINS0_14default_configENS1_20scan_config_selectorIN3c108BFloat16EEEZZNS1_9scan_implILNS1_25lookback_scan_determinismE0ELb0ELb0ES3_PKS6_PS6_S6_ZZZN2at6native31launch_logcumsumexp_cuda_kernelERKNSD_10TensorBaseESH_lENKUlvE_clEvENKUlvE4_clEvEUlS6_S6_E_S6_EEDaPvRmT3_T4_T5_mT6_P12ihipStream_tbENKUlT_T0_E_clISt17integral_constantIbLb0EESY_EEDaST_SU_EUlST_E0_NS1_11comp_targetILNS1_3genE3ELNS1_11target_archE908ELNS1_3gpuE7ELNS1_3repE0EEENS1_30default_config_static_selectorELNS0_4arch9wavefront6targetE1EEEvT1_,"axG",@progbits,_ZN7rocprim17ROCPRIM_400000_NS6detail17trampoline_kernelINS0_14default_configENS1_20scan_config_selectorIN3c108BFloat16EEEZZNS1_9scan_implILNS1_25lookback_scan_determinismE0ELb0ELb0ES3_PKS6_PS6_S6_ZZZN2at6native31launch_logcumsumexp_cuda_kernelERKNSD_10TensorBaseESH_lENKUlvE_clEvENKUlvE4_clEvEUlS6_S6_E_S6_EEDaPvRmT3_T4_T5_mT6_P12ihipStream_tbENKUlT_T0_E_clISt17integral_constantIbLb0EESY_EEDaST_SU_EUlST_E0_NS1_11comp_targetILNS1_3genE3ELNS1_11target_archE908ELNS1_3gpuE7ELNS1_3repE0EEENS1_30default_config_static_selectorELNS0_4arch9wavefront6targetE1EEEvT1_,comdat
	.globl	_ZN7rocprim17ROCPRIM_400000_NS6detail17trampoline_kernelINS0_14default_configENS1_20scan_config_selectorIN3c108BFloat16EEEZZNS1_9scan_implILNS1_25lookback_scan_determinismE0ELb0ELb0ES3_PKS6_PS6_S6_ZZZN2at6native31launch_logcumsumexp_cuda_kernelERKNSD_10TensorBaseESH_lENKUlvE_clEvENKUlvE4_clEvEUlS6_S6_E_S6_EEDaPvRmT3_T4_T5_mT6_P12ihipStream_tbENKUlT_T0_E_clISt17integral_constantIbLb0EESY_EEDaST_SU_EUlST_E0_NS1_11comp_targetILNS1_3genE3ELNS1_11target_archE908ELNS1_3gpuE7ELNS1_3repE0EEENS1_30default_config_static_selectorELNS0_4arch9wavefront6targetE1EEEvT1_ ; -- Begin function _ZN7rocprim17ROCPRIM_400000_NS6detail17trampoline_kernelINS0_14default_configENS1_20scan_config_selectorIN3c108BFloat16EEEZZNS1_9scan_implILNS1_25lookback_scan_determinismE0ELb0ELb0ES3_PKS6_PS6_S6_ZZZN2at6native31launch_logcumsumexp_cuda_kernelERKNSD_10TensorBaseESH_lENKUlvE_clEvENKUlvE4_clEvEUlS6_S6_E_S6_EEDaPvRmT3_T4_T5_mT6_P12ihipStream_tbENKUlT_T0_E_clISt17integral_constantIbLb0EESY_EEDaST_SU_EUlST_E0_NS1_11comp_targetILNS1_3genE3ELNS1_11target_archE908ELNS1_3gpuE7ELNS1_3repE0EEENS1_30default_config_static_selectorELNS0_4arch9wavefront6targetE1EEEvT1_
	.p2align	8
	.type	_ZN7rocprim17ROCPRIM_400000_NS6detail17trampoline_kernelINS0_14default_configENS1_20scan_config_selectorIN3c108BFloat16EEEZZNS1_9scan_implILNS1_25lookback_scan_determinismE0ELb0ELb0ES3_PKS6_PS6_S6_ZZZN2at6native31launch_logcumsumexp_cuda_kernelERKNSD_10TensorBaseESH_lENKUlvE_clEvENKUlvE4_clEvEUlS6_S6_E_S6_EEDaPvRmT3_T4_T5_mT6_P12ihipStream_tbENKUlT_T0_E_clISt17integral_constantIbLb0EESY_EEDaST_SU_EUlST_E0_NS1_11comp_targetILNS1_3genE3ELNS1_11target_archE908ELNS1_3gpuE7ELNS1_3repE0EEENS1_30default_config_static_selectorELNS0_4arch9wavefront6targetE1EEEvT1_,@function
_ZN7rocprim17ROCPRIM_400000_NS6detail17trampoline_kernelINS0_14default_configENS1_20scan_config_selectorIN3c108BFloat16EEEZZNS1_9scan_implILNS1_25lookback_scan_determinismE0ELb0ELb0ES3_PKS6_PS6_S6_ZZZN2at6native31launch_logcumsumexp_cuda_kernelERKNSD_10TensorBaseESH_lENKUlvE_clEvENKUlvE4_clEvEUlS6_S6_E_S6_EEDaPvRmT3_T4_T5_mT6_P12ihipStream_tbENKUlT_T0_E_clISt17integral_constantIbLb0EESY_EEDaST_SU_EUlST_E0_NS1_11comp_targetILNS1_3genE3ELNS1_11target_archE908ELNS1_3gpuE7ELNS1_3repE0EEENS1_30default_config_static_selectorELNS0_4arch9wavefront6targetE1EEEvT1_: ; @_ZN7rocprim17ROCPRIM_400000_NS6detail17trampoline_kernelINS0_14default_configENS1_20scan_config_selectorIN3c108BFloat16EEEZZNS1_9scan_implILNS1_25lookback_scan_determinismE0ELb0ELb0ES3_PKS6_PS6_S6_ZZZN2at6native31launch_logcumsumexp_cuda_kernelERKNSD_10TensorBaseESH_lENKUlvE_clEvENKUlvE4_clEvEUlS6_S6_E_S6_EEDaPvRmT3_T4_T5_mT6_P12ihipStream_tbENKUlT_T0_E_clISt17integral_constantIbLb0EESY_EEDaST_SU_EUlST_E0_NS1_11comp_targetILNS1_3genE3ELNS1_11target_archE908ELNS1_3gpuE7ELNS1_3repE0EEENS1_30default_config_static_selectorELNS0_4arch9wavefront6targetE1EEEvT1_
; %bb.0:
	.section	.rodata,"a",@progbits
	.p2align	6, 0x0
	.amdhsa_kernel _ZN7rocprim17ROCPRIM_400000_NS6detail17trampoline_kernelINS0_14default_configENS1_20scan_config_selectorIN3c108BFloat16EEEZZNS1_9scan_implILNS1_25lookback_scan_determinismE0ELb0ELb0ES3_PKS6_PS6_S6_ZZZN2at6native31launch_logcumsumexp_cuda_kernelERKNSD_10TensorBaseESH_lENKUlvE_clEvENKUlvE4_clEvEUlS6_S6_E_S6_EEDaPvRmT3_T4_T5_mT6_P12ihipStream_tbENKUlT_T0_E_clISt17integral_constantIbLb0EESY_EEDaST_SU_EUlST_E0_NS1_11comp_targetILNS1_3genE3ELNS1_11target_archE908ELNS1_3gpuE7ELNS1_3repE0EEENS1_30default_config_static_selectorELNS0_4arch9wavefront6targetE1EEEvT1_
		.amdhsa_group_segment_fixed_size 0
		.amdhsa_private_segment_fixed_size 0
		.amdhsa_kernarg_size 32
		.amdhsa_user_sgpr_count 2
		.amdhsa_user_sgpr_dispatch_ptr 0
		.amdhsa_user_sgpr_queue_ptr 0
		.amdhsa_user_sgpr_kernarg_segment_ptr 1
		.amdhsa_user_sgpr_dispatch_id 0
		.amdhsa_user_sgpr_kernarg_preload_length 0
		.amdhsa_user_sgpr_kernarg_preload_offset 0
		.amdhsa_user_sgpr_private_segment_size 0
		.amdhsa_uses_dynamic_stack 0
		.amdhsa_enable_private_segment 0
		.amdhsa_system_sgpr_workgroup_id_x 1
		.amdhsa_system_sgpr_workgroup_id_y 0
		.amdhsa_system_sgpr_workgroup_id_z 0
		.amdhsa_system_sgpr_workgroup_info 0
		.amdhsa_system_vgpr_workitem_id 0
		.amdhsa_next_free_vgpr 1
		.amdhsa_next_free_sgpr 0
		.amdhsa_accum_offset 4
		.amdhsa_reserve_vcc 0
		.amdhsa_float_round_mode_32 0
		.amdhsa_float_round_mode_16_64 0
		.amdhsa_float_denorm_mode_32 3
		.amdhsa_float_denorm_mode_16_64 3
		.amdhsa_dx10_clamp 1
		.amdhsa_ieee_mode 1
		.amdhsa_fp16_overflow 0
		.amdhsa_tg_split 0
		.amdhsa_exception_fp_ieee_invalid_op 0
		.amdhsa_exception_fp_denorm_src 0
		.amdhsa_exception_fp_ieee_div_zero 0
		.amdhsa_exception_fp_ieee_overflow 0
		.amdhsa_exception_fp_ieee_underflow 0
		.amdhsa_exception_fp_ieee_inexact 0
		.amdhsa_exception_int_div_zero 0
	.end_amdhsa_kernel
	.section	.text._ZN7rocprim17ROCPRIM_400000_NS6detail17trampoline_kernelINS0_14default_configENS1_20scan_config_selectorIN3c108BFloat16EEEZZNS1_9scan_implILNS1_25lookback_scan_determinismE0ELb0ELb0ES3_PKS6_PS6_S6_ZZZN2at6native31launch_logcumsumexp_cuda_kernelERKNSD_10TensorBaseESH_lENKUlvE_clEvENKUlvE4_clEvEUlS6_S6_E_S6_EEDaPvRmT3_T4_T5_mT6_P12ihipStream_tbENKUlT_T0_E_clISt17integral_constantIbLb0EESY_EEDaST_SU_EUlST_E0_NS1_11comp_targetILNS1_3genE3ELNS1_11target_archE908ELNS1_3gpuE7ELNS1_3repE0EEENS1_30default_config_static_selectorELNS0_4arch9wavefront6targetE1EEEvT1_,"axG",@progbits,_ZN7rocprim17ROCPRIM_400000_NS6detail17trampoline_kernelINS0_14default_configENS1_20scan_config_selectorIN3c108BFloat16EEEZZNS1_9scan_implILNS1_25lookback_scan_determinismE0ELb0ELb0ES3_PKS6_PS6_S6_ZZZN2at6native31launch_logcumsumexp_cuda_kernelERKNSD_10TensorBaseESH_lENKUlvE_clEvENKUlvE4_clEvEUlS6_S6_E_S6_EEDaPvRmT3_T4_T5_mT6_P12ihipStream_tbENKUlT_T0_E_clISt17integral_constantIbLb0EESY_EEDaST_SU_EUlST_E0_NS1_11comp_targetILNS1_3genE3ELNS1_11target_archE908ELNS1_3gpuE7ELNS1_3repE0EEENS1_30default_config_static_selectorELNS0_4arch9wavefront6targetE1EEEvT1_,comdat
.Lfunc_end458:
	.size	_ZN7rocprim17ROCPRIM_400000_NS6detail17trampoline_kernelINS0_14default_configENS1_20scan_config_selectorIN3c108BFloat16EEEZZNS1_9scan_implILNS1_25lookback_scan_determinismE0ELb0ELb0ES3_PKS6_PS6_S6_ZZZN2at6native31launch_logcumsumexp_cuda_kernelERKNSD_10TensorBaseESH_lENKUlvE_clEvENKUlvE4_clEvEUlS6_S6_E_S6_EEDaPvRmT3_T4_T5_mT6_P12ihipStream_tbENKUlT_T0_E_clISt17integral_constantIbLb0EESY_EEDaST_SU_EUlST_E0_NS1_11comp_targetILNS1_3genE3ELNS1_11target_archE908ELNS1_3gpuE7ELNS1_3repE0EEENS1_30default_config_static_selectorELNS0_4arch9wavefront6targetE1EEEvT1_, .Lfunc_end458-_ZN7rocprim17ROCPRIM_400000_NS6detail17trampoline_kernelINS0_14default_configENS1_20scan_config_selectorIN3c108BFloat16EEEZZNS1_9scan_implILNS1_25lookback_scan_determinismE0ELb0ELb0ES3_PKS6_PS6_S6_ZZZN2at6native31launch_logcumsumexp_cuda_kernelERKNSD_10TensorBaseESH_lENKUlvE_clEvENKUlvE4_clEvEUlS6_S6_E_S6_EEDaPvRmT3_T4_T5_mT6_P12ihipStream_tbENKUlT_T0_E_clISt17integral_constantIbLb0EESY_EEDaST_SU_EUlST_E0_NS1_11comp_targetILNS1_3genE3ELNS1_11target_archE908ELNS1_3gpuE7ELNS1_3repE0EEENS1_30default_config_static_selectorELNS0_4arch9wavefront6targetE1EEEvT1_
                                        ; -- End function
	.set _ZN7rocprim17ROCPRIM_400000_NS6detail17trampoline_kernelINS0_14default_configENS1_20scan_config_selectorIN3c108BFloat16EEEZZNS1_9scan_implILNS1_25lookback_scan_determinismE0ELb0ELb0ES3_PKS6_PS6_S6_ZZZN2at6native31launch_logcumsumexp_cuda_kernelERKNSD_10TensorBaseESH_lENKUlvE_clEvENKUlvE4_clEvEUlS6_S6_E_S6_EEDaPvRmT3_T4_T5_mT6_P12ihipStream_tbENKUlT_T0_E_clISt17integral_constantIbLb0EESY_EEDaST_SU_EUlST_E0_NS1_11comp_targetILNS1_3genE3ELNS1_11target_archE908ELNS1_3gpuE7ELNS1_3repE0EEENS1_30default_config_static_selectorELNS0_4arch9wavefront6targetE1EEEvT1_.num_vgpr, 0
	.set _ZN7rocprim17ROCPRIM_400000_NS6detail17trampoline_kernelINS0_14default_configENS1_20scan_config_selectorIN3c108BFloat16EEEZZNS1_9scan_implILNS1_25lookback_scan_determinismE0ELb0ELb0ES3_PKS6_PS6_S6_ZZZN2at6native31launch_logcumsumexp_cuda_kernelERKNSD_10TensorBaseESH_lENKUlvE_clEvENKUlvE4_clEvEUlS6_S6_E_S6_EEDaPvRmT3_T4_T5_mT6_P12ihipStream_tbENKUlT_T0_E_clISt17integral_constantIbLb0EESY_EEDaST_SU_EUlST_E0_NS1_11comp_targetILNS1_3genE3ELNS1_11target_archE908ELNS1_3gpuE7ELNS1_3repE0EEENS1_30default_config_static_selectorELNS0_4arch9wavefront6targetE1EEEvT1_.num_agpr, 0
	.set _ZN7rocprim17ROCPRIM_400000_NS6detail17trampoline_kernelINS0_14default_configENS1_20scan_config_selectorIN3c108BFloat16EEEZZNS1_9scan_implILNS1_25lookback_scan_determinismE0ELb0ELb0ES3_PKS6_PS6_S6_ZZZN2at6native31launch_logcumsumexp_cuda_kernelERKNSD_10TensorBaseESH_lENKUlvE_clEvENKUlvE4_clEvEUlS6_S6_E_S6_EEDaPvRmT3_T4_T5_mT6_P12ihipStream_tbENKUlT_T0_E_clISt17integral_constantIbLb0EESY_EEDaST_SU_EUlST_E0_NS1_11comp_targetILNS1_3genE3ELNS1_11target_archE908ELNS1_3gpuE7ELNS1_3repE0EEENS1_30default_config_static_selectorELNS0_4arch9wavefront6targetE1EEEvT1_.numbered_sgpr, 0
	.set _ZN7rocprim17ROCPRIM_400000_NS6detail17trampoline_kernelINS0_14default_configENS1_20scan_config_selectorIN3c108BFloat16EEEZZNS1_9scan_implILNS1_25lookback_scan_determinismE0ELb0ELb0ES3_PKS6_PS6_S6_ZZZN2at6native31launch_logcumsumexp_cuda_kernelERKNSD_10TensorBaseESH_lENKUlvE_clEvENKUlvE4_clEvEUlS6_S6_E_S6_EEDaPvRmT3_T4_T5_mT6_P12ihipStream_tbENKUlT_T0_E_clISt17integral_constantIbLb0EESY_EEDaST_SU_EUlST_E0_NS1_11comp_targetILNS1_3genE3ELNS1_11target_archE908ELNS1_3gpuE7ELNS1_3repE0EEENS1_30default_config_static_selectorELNS0_4arch9wavefront6targetE1EEEvT1_.num_named_barrier, 0
	.set _ZN7rocprim17ROCPRIM_400000_NS6detail17trampoline_kernelINS0_14default_configENS1_20scan_config_selectorIN3c108BFloat16EEEZZNS1_9scan_implILNS1_25lookback_scan_determinismE0ELb0ELb0ES3_PKS6_PS6_S6_ZZZN2at6native31launch_logcumsumexp_cuda_kernelERKNSD_10TensorBaseESH_lENKUlvE_clEvENKUlvE4_clEvEUlS6_S6_E_S6_EEDaPvRmT3_T4_T5_mT6_P12ihipStream_tbENKUlT_T0_E_clISt17integral_constantIbLb0EESY_EEDaST_SU_EUlST_E0_NS1_11comp_targetILNS1_3genE3ELNS1_11target_archE908ELNS1_3gpuE7ELNS1_3repE0EEENS1_30default_config_static_selectorELNS0_4arch9wavefront6targetE1EEEvT1_.private_seg_size, 0
	.set _ZN7rocprim17ROCPRIM_400000_NS6detail17trampoline_kernelINS0_14default_configENS1_20scan_config_selectorIN3c108BFloat16EEEZZNS1_9scan_implILNS1_25lookback_scan_determinismE0ELb0ELb0ES3_PKS6_PS6_S6_ZZZN2at6native31launch_logcumsumexp_cuda_kernelERKNSD_10TensorBaseESH_lENKUlvE_clEvENKUlvE4_clEvEUlS6_S6_E_S6_EEDaPvRmT3_T4_T5_mT6_P12ihipStream_tbENKUlT_T0_E_clISt17integral_constantIbLb0EESY_EEDaST_SU_EUlST_E0_NS1_11comp_targetILNS1_3genE3ELNS1_11target_archE908ELNS1_3gpuE7ELNS1_3repE0EEENS1_30default_config_static_selectorELNS0_4arch9wavefront6targetE1EEEvT1_.uses_vcc, 0
	.set _ZN7rocprim17ROCPRIM_400000_NS6detail17trampoline_kernelINS0_14default_configENS1_20scan_config_selectorIN3c108BFloat16EEEZZNS1_9scan_implILNS1_25lookback_scan_determinismE0ELb0ELb0ES3_PKS6_PS6_S6_ZZZN2at6native31launch_logcumsumexp_cuda_kernelERKNSD_10TensorBaseESH_lENKUlvE_clEvENKUlvE4_clEvEUlS6_S6_E_S6_EEDaPvRmT3_T4_T5_mT6_P12ihipStream_tbENKUlT_T0_E_clISt17integral_constantIbLb0EESY_EEDaST_SU_EUlST_E0_NS1_11comp_targetILNS1_3genE3ELNS1_11target_archE908ELNS1_3gpuE7ELNS1_3repE0EEENS1_30default_config_static_selectorELNS0_4arch9wavefront6targetE1EEEvT1_.uses_flat_scratch, 0
	.set _ZN7rocprim17ROCPRIM_400000_NS6detail17trampoline_kernelINS0_14default_configENS1_20scan_config_selectorIN3c108BFloat16EEEZZNS1_9scan_implILNS1_25lookback_scan_determinismE0ELb0ELb0ES3_PKS6_PS6_S6_ZZZN2at6native31launch_logcumsumexp_cuda_kernelERKNSD_10TensorBaseESH_lENKUlvE_clEvENKUlvE4_clEvEUlS6_S6_E_S6_EEDaPvRmT3_T4_T5_mT6_P12ihipStream_tbENKUlT_T0_E_clISt17integral_constantIbLb0EESY_EEDaST_SU_EUlST_E0_NS1_11comp_targetILNS1_3genE3ELNS1_11target_archE908ELNS1_3gpuE7ELNS1_3repE0EEENS1_30default_config_static_selectorELNS0_4arch9wavefront6targetE1EEEvT1_.has_dyn_sized_stack, 0
	.set _ZN7rocprim17ROCPRIM_400000_NS6detail17trampoline_kernelINS0_14default_configENS1_20scan_config_selectorIN3c108BFloat16EEEZZNS1_9scan_implILNS1_25lookback_scan_determinismE0ELb0ELb0ES3_PKS6_PS6_S6_ZZZN2at6native31launch_logcumsumexp_cuda_kernelERKNSD_10TensorBaseESH_lENKUlvE_clEvENKUlvE4_clEvEUlS6_S6_E_S6_EEDaPvRmT3_T4_T5_mT6_P12ihipStream_tbENKUlT_T0_E_clISt17integral_constantIbLb0EESY_EEDaST_SU_EUlST_E0_NS1_11comp_targetILNS1_3genE3ELNS1_11target_archE908ELNS1_3gpuE7ELNS1_3repE0EEENS1_30default_config_static_selectorELNS0_4arch9wavefront6targetE1EEEvT1_.has_recursion, 0
	.set _ZN7rocprim17ROCPRIM_400000_NS6detail17trampoline_kernelINS0_14default_configENS1_20scan_config_selectorIN3c108BFloat16EEEZZNS1_9scan_implILNS1_25lookback_scan_determinismE0ELb0ELb0ES3_PKS6_PS6_S6_ZZZN2at6native31launch_logcumsumexp_cuda_kernelERKNSD_10TensorBaseESH_lENKUlvE_clEvENKUlvE4_clEvEUlS6_S6_E_S6_EEDaPvRmT3_T4_T5_mT6_P12ihipStream_tbENKUlT_T0_E_clISt17integral_constantIbLb0EESY_EEDaST_SU_EUlST_E0_NS1_11comp_targetILNS1_3genE3ELNS1_11target_archE908ELNS1_3gpuE7ELNS1_3repE0EEENS1_30default_config_static_selectorELNS0_4arch9wavefront6targetE1EEEvT1_.has_indirect_call, 0
	.section	.AMDGPU.csdata,"",@progbits
; Kernel info:
; codeLenInByte = 0
; TotalNumSgprs: 6
; NumVgprs: 0
; NumAgprs: 0
; TotalNumVgprs: 0
; ScratchSize: 0
; MemoryBound: 0
; FloatMode: 240
; IeeeMode: 1
; LDSByteSize: 0 bytes/workgroup (compile time only)
; SGPRBlocks: 0
; VGPRBlocks: 0
; NumSGPRsForWavesPerEU: 6
; NumVGPRsForWavesPerEU: 1
; AccumOffset: 4
; Occupancy: 8
; WaveLimiterHint : 0
; COMPUTE_PGM_RSRC2:SCRATCH_EN: 0
; COMPUTE_PGM_RSRC2:USER_SGPR: 2
; COMPUTE_PGM_RSRC2:TRAP_HANDLER: 0
; COMPUTE_PGM_RSRC2:TGID_X_EN: 1
; COMPUTE_PGM_RSRC2:TGID_Y_EN: 0
; COMPUTE_PGM_RSRC2:TGID_Z_EN: 0
; COMPUTE_PGM_RSRC2:TIDIG_COMP_CNT: 0
; COMPUTE_PGM_RSRC3_GFX90A:ACCUM_OFFSET: 0
; COMPUTE_PGM_RSRC3_GFX90A:TG_SPLIT: 0
	.section	.text._ZN7rocprim17ROCPRIM_400000_NS6detail17trampoline_kernelINS0_14default_configENS1_20scan_config_selectorIN3c108BFloat16EEEZZNS1_9scan_implILNS1_25lookback_scan_determinismE0ELb0ELb0ES3_PKS6_PS6_S6_ZZZN2at6native31launch_logcumsumexp_cuda_kernelERKNSD_10TensorBaseESH_lENKUlvE_clEvENKUlvE4_clEvEUlS6_S6_E_S6_EEDaPvRmT3_T4_T5_mT6_P12ihipStream_tbENKUlT_T0_E_clISt17integral_constantIbLb0EESY_EEDaST_SU_EUlST_E0_NS1_11comp_targetILNS1_3genE2ELNS1_11target_archE906ELNS1_3gpuE6ELNS1_3repE0EEENS1_30default_config_static_selectorELNS0_4arch9wavefront6targetE1EEEvT1_,"axG",@progbits,_ZN7rocprim17ROCPRIM_400000_NS6detail17trampoline_kernelINS0_14default_configENS1_20scan_config_selectorIN3c108BFloat16EEEZZNS1_9scan_implILNS1_25lookback_scan_determinismE0ELb0ELb0ES3_PKS6_PS6_S6_ZZZN2at6native31launch_logcumsumexp_cuda_kernelERKNSD_10TensorBaseESH_lENKUlvE_clEvENKUlvE4_clEvEUlS6_S6_E_S6_EEDaPvRmT3_T4_T5_mT6_P12ihipStream_tbENKUlT_T0_E_clISt17integral_constantIbLb0EESY_EEDaST_SU_EUlST_E0_NS1_11comp_targetILNS1_3genE2ELNS1_11target_archE906ELNS1_3gpuE6ELNS1_3repE0EEENS1_30default_config_static_selectorELNS0_4arch9wavefront6targetE1EEEvT1_,comdat
	.globl	_ZN7rocprim17ROCPRIM_400000_NS6detail17trampoline_kernelINS0_14default_configENS1_20scan_config_selectorIN3c108BFloat16EEEZZNS1_9scan_implILNS1_25lookback_scan_determinismE0ELb0ELb0ES3_PKS6_PS6_S6_ZZZN2at6native31launch_logcumsumexp_cuda_kernelERKNSD_10TensorBaseESH_lENKUlvE_clEvENKUlvE4_clEvEUlS6_S6_E_S6_EEDaPvRmT3_T4_T5_mT6_P12ihipStream_tbENKUlT_T0_E_clISt17integral_constantIbLb0EESY_EEDaST_SU_EUlST_E0_NS1_11comp_targetILNS1_3genE2ELNS1_11target_archE906ELNS1_3gpuE6ELNS1_3repE0EEENS1_30default_config_static_selectorELNS0_4arch9wavefront6targetE1EEEvT1_ ; -- Begin function _ZN7rocprim17ROCPRIM_400000_NS6detail17trampoline_kernelINS0_14default_configENS1_20scan_config_selectorIN3c108BFloat16EEEZZNS1_9scan_implILNS1_25lookback_scan_determinismE0ELb0ELb0ES3_PKS6_PS6_S6_ZZZN2at6native31launch_logcumsumexp_cuda_kernelERKNSD_10TensorBaseESH_lENKUlvE_clEvENKUlvE4_clEvEUlS6_S6_E_S6_EEDaPvRmT3_T4_T5_mT6_P12ihipStream_tbENKUlT_T0_E_clISt17integral_constantIbLb0EESY_EEDaST_SU_EUlST_E0_NS1_11comp_targetILNS1_3genE2ELNS1_11target_archE906ELNS1_3gpuE6ELNS1_3repE0EEENS1_30default_config_static_selectorELNS0_4arch9wavefront6targetE1EEEvT1_
	.p2align	8
	.type	_ZN7rocprim17ROCPRIM_400000_NS6detail17trampoline_kernelINS0_14default_configENS1_20scan_config_selectorIN3c108BFloat16EEEZZNS1_9scan_implILNS1_25lookback_scan_determinismE0ELb0ELb0ES3_PKS6_PS6_S6_ZZZN2at6native31launch_logcumsumexp_cuda_kernelERKNSD_10TensorBaseESH_lENKUlvE_clEvENKUlvE4_clEvEUlS6_S6_E_S6_EEDaPvRmT3_T4_T5_mT6_P12ihipStream_tbENKUlT_T0_E_clISt17integral_constantIbLb0EESY_EEDaST_SU_EUlST_E0_NS1_11comp_targetILNS1_3genE2ELNS1_11target_archE906ELNS1_3gpuE6ELNS1_3repE0EEENS1_30default_config_static_selectorELNS0_4arch9wavefront6targetE1EEEvT1_,@function
_ZN7rocprim17ROCPRIM_400000_NS6detail17trampoline_kernelINS0_14default_configENS1_20scan_config_selectorIN3c108BFloat16EEEZZNS1_9scan_implILNS1_25lookback_scan_determinismE0ELb0ELb0ES3_PKS6_PS6_S6_ZZZN2at6native31launch_logcumsumexp_cuda_kernelERKNSD_10TensorBaseESH_lENKUlvE_clEvENKUlvE4_clEvEUlS6_S6_E_S6_EEDaPvRmT3_T4_T5_mT6_P12ihipStream_tbENKUlT_T0_E_clISt17integral_constantIbLb0EESY_EEDaST_SU_EUlST_E0_NS1_11comp_targetILNS1_3genE2ELNS1_11target_archE906ELNS1_3gpuE6ELNS1_3repE0EEENS1_30default_config_static_selectorELNS0_4arch9wavefront6targetE1EEEvT1_: ; @_ZN7rocprim17ROCPRIM_400000_NS6detail17trampoline_kernelINS0_14default_configENS1_20scan_config_selectorIN3c108BFloat16EEEZZNS1_9scan_implILNS1_25lookback_scan_determinismE0ELb0ELb0ES3_PKS6_PS6_S6_ZZZN2at6native31launch_logcumsumexp_cuda_kernelERKNSD_10TensorBaseESH_lENKUlvE_clEvENKUlvE4_clEvEUlS6_S6_E_S6_EEDaPvRmT3_T4_T5_mT6_P12ihipStream_tbENKUlT_T0_E_clISt17integral_constantIbLb0EESY_EEDaST_SU_EUlST_E0_NS1_11comp_targetILNS1_3genE2ELNS1_11target_archE906ELNS1_3gpuE6ELNS1_3repE0EEENS1_30default_config_static_selectorELNS0_4arch9wavefront6targetE1EEEvT1_
; %bb.0:
	.section	.rodata,"a",@progbits
	.p2align	6, 0x0
	.amdhsa_kernel _ZN7rocprim17ROCPRIM_400000_NS6detail17trampoline_kernelINS0_14default_configENS1_20scan_config_selectorIN3c108BFloat16EEEZZNS1_9scan_implILNS1_25lookback_scan_determinismE0ELb0ELb0ES3_PKS6_PS6_S6_ZZZN2at6native31launch_logcumsumexp_cuda_kernelERKNSD_10TensorBaseESH_lENKUlvE_clEvENKUlvE4_clEvEUlS6_S6_E_S6_EEDaPvRmT3_T4_T5_mT6_P12ihipStream_tbENKUlT_T0_E_clISt17integral_constantIbLb0EESY_EEDaST_SU_EUlST_E0_NS1_11comp_targetILNS1_3genE2ELNS1_11target_archE906ELNS1_3gpuE6ELNS1_3repE0EEENS1_30default_config_static_selectorELNS0_4arch9wavefront6targetE1EEEvT1_
		.amdhsa_group_segment_fixed_size 0
		.amdhsa_private_segment_fixed_size 0
		.amdhsa_kernarg_size 32
		.amdhsa_user_sgpr_count 2
		.amdhsa_user_sgpr_dispatch_ptr 0
		.amdhsa_user_sgpr_queue_ptr 0
		.amdhsa_user_sgpr_kernarg_segment_ptr 1
		.amdhsa_user_sgpr_dispatch_id 0
		.amdhsa_user_sgpr_kernarg_preload_length 0
		.amdhsa_user_sgpr_kernarg_preload_offset 0
		.amdhsa_user_sgpr_private_segment_size 0
		.amdhsa_uses_dynamic_stack 0
		.amdhsa_enable_private_segment 0
		.amdhsa_system_sgpr_workgroup_id_x 1
		.amdhsa_system_sgpr_workgroup_id_y 0
		.amdhsa_system_sgpr_workgroup_id_z 0
		.amdhsa_system_sgpr_workgroup_info 0
		.amdhsa_system_vgpr_workitem_id 0
		.amdhsa_next_free_vgpr 1
		.amdhsa_next_free_sgpr 0
		.amdhsa_accum_offset 4
		.amdhsa_reserve_vcc 0
		.amdhsa_float_round_mode_32 0
		.amdhsa_float_round_mode_16_64 0
		.amdhsa_float_denorm_mode_32 3
		.amdhsa_float_denorm_mode_16_64 3
		.amdhsa_dx10_clamp 1
		.amdhsa_ieee_mode 1
		.amdhsa_fp16_overflow 0
		.amdhsa_tg_split 0
		.amdhsa_exception_fp_ieee_invalid_op 0
		.amdhsa_exception_fp_denorm_src 0
		.amdhsa_exception_fp_ieee_div_zero 0
		.amdhsa_exception_fp_ieee_overflow 0
		.amdhsa_exception_fp_ieee_underflow 0
		.amdhsa_exception_fp_ieee_inexact 0
		.amdhsa_exception_int_div_zero 0
	.end_amdhsa_kernel
	.section	.text._ZN7rocprim17ROCPRIM_400000_NS6detail17trampoline_kernelINS0_14default_configENS1_20scan_config_selectorIN3c108BFloat16EEEZZNS1_9scan_implILNS1_25lookback_scan_determinismE0ELb0ELb0ES3_PKS6_PS6_S6_ZZZN2at6native31launch_logcumsumexp_cuda_kernelERKNSD_10TensorBaseESH_lENKUlvE_clEvENKUlvE4_clEvEUlS6_S6_E_S6_EEDaPvRmT3_T4_T5_mT6_P12ihipStream_tbENKUlT_T0_E_clISt17integral_constantIbLb0EESY_EEDaST_SU_EUlST_E0_NS1_11comp_targetILNS1_3genE2ELNS1_11target_archE906ELNS1_3gpuE6ELNS1_3repE0EEENS1_30default_config_static_selectorELNS0_4arch9wavefront6targetE1EEEvT1_,"axG",@progbits,_ZN7rocprim17ROCPRIM_400000_NS6detail17trampoline_kernelINS0_14default_configENS1_20scan_config_selectorIN3c108BFloat16EEEZZNS1_9scan_implILNS1_25lookback_scan_determinismE0ELb0ELb0ES3_PKS6_PS6_S6_ZZZN2at6native31launch_logcumsumexp_cuda_kernelERKNSD_10TensorBaseESH_lENKUlvE_clEvENKUlvE4_clEvEUlS6_S6_E_S6_EEDaPvRmT3_T4_T5_mT6_P12ihipStream_tbENKUlT_T0_E_clISt17integral_constantIbLb0EESY_EEDaST_SU_EUlST_E0_NS1_11comp_targetILNS1_3genE2ELNS1_11target_archE906ELNS1_3gpuE6ELNS1_3repE0EEENS1_30default_config_static_selectorELNS0_4arch9wavefront6targetE1EEEvT1_,comdat
.Lfunc_end459:
	.size	_ZN7rocprim17ROCPRIM_400000_NS6detail17trampoline_kernelINS0_14default_configENS1_20scan_config_selectorIN3c108BFloat16EEEZZNS1_9scan_implILNS1_25lookback_scan_determinismE0ELb0ELb0ES3_PKS6_PS6_S6_ZZZN2at6native31launch_logcumsumexp_cuda_kernelERKNSD_10TensorBaseESH_lENKUlvE_clEvENKUlvE4_clEvEUlS6_S6_E_S6_EEDaPvRmT3_T4_T5_mT6_P12ihipStream_tbENKUlT_T0_E_clISt17integral_constantIbLb0EESY_EEDaST_SU_EUlST_E0_NS1_11comp_targetILNS1_3genE2ELNS1_11target_archE906ELNS1_3gpuE6ELNS1_3repE0EEENS1_30default_config_static_selectorELNS0_4arch9wavefront6targetE1EEEvT1_, .Lfunc_end459-_ZN7rocprim17ROCPRIM_400000_NS6detail17trampoline_kernelINS0_14default_configENS1_20scan_config_selectorIN3c108BFloat16EEEZZNS1_9scan_implILNS1_25lookback_scan_determinismE0ELb0ELb0ES3_PKS6_PS6_S6_ZZZN2at6native31launch_logcumsumexp_cuda_kernelERKNSD_10TensorBaseESH_lENKUlvE_clEvENKUlvE4_clEvEUlS6_S6_E_S6_EEDaPvRmT3_T4_T5_mT6_P12ihipStream_tbENKUlT_T0_E_clISt17integral_constantIbLb0EESY_EEDaST_SU_EUlST_E0_NS1_11comp_targetILNS1_3genE2ELNS1_11target_archE906ELNS1_3gpuE6ELNS1_3repE0EEENS1_30default_config_static_selectorELNS0_4arch9wavefront6targetE1EEEvT1_
                                        ; -- End function
	.set _ZN7rocprim17ROCPRIM_400000_NS6detail17trampoline_kernelINS0_14default_configENS1_20scan_config_selectorIN3c108BFloat16EEEZZNS1_9scan_implILNS1_25lookback_scan_determinismE0ELb0ELb0ES3_PKS6_PS6_S6_ZZZN2at6native31launch_logcumsumexp_cuda_kernelERKNSD_10TensorBaseESH_lENKUlvE_clEvENKUlvE4_clEvEUlS6_S6_E_S6_EEDaPvRmT3_T4_T5_mT6_P12ihipStream_tbENKUlT_T0_E_clISt17integral_constantIbLb0EESY_EEDaST_SU_EUlST_E0_NS1_11comp_targetILNS1_3genE2ELNS1_11target_archE906ELNS1_3gpuE6ELNS1_3repE0EEENS1_30default_config_static_selectorELNS0_4arch9wavefront6targetE1EEEvT1_.num_vgpr, 0
	.set _ZN7rocprim17ROCPRIM_400000_NS6detail17trampoline_kernelINS0_14default_configENS1_20scan_config_selectorIN3c108BFloat16EEEZZNS1_9scan_implILNS1_25lookback_scan_determinismE0ELb0ELb0ES3_PKS6_PS6_S6_ZZZN2at6native31launch_logcumsumexp_cuda_kernelERKNSD_10TensorBaseESH_lENKUlvE_clEvENKUlvE4_clEvEUlS6_S6_E_S6_EEDaPvRmT3_T4_T5_mT6_P12ihipStream_tbENKUlT_T0_E_clISt17integral_constantIbLb0EESY_EEDaST_SU_EUlST_E0_NS1_11comp_targetILNS1_3genE2ELNS1_11target_archE906ELNS1_3gpuE6ELNS1_3repE0EEENS1_30default_config_static_selectorELNS0_4arch9wavefront6targetE1EEEvT1_.num_agpr, 0
	.set _ZN7rocprim17ROCPRIM_400000_NS6detail17trampoline_kernelINS0_14default_configENS1_20scan_config_selectorIN3c108BFloat16EEEZZNS1_9scan_implILNS1_25lookback_scan_determinismE0ELb0ELb0ES3_PKS6_PS6_S6_ZZZN2at6native31launch_logcumsumexp_cuda_kernelERKNSD_10TensorBaseESH_lENKUlvE_clEvENKUlvE4_clEvEUlS6_S6_E_S6_EEDaPvRmT3_T4_T5_mT6_P12ihipStream_tbENKUlT_T0_E_clISt17integral_constantIbLb0EESY_EEDaST_SU_EUlST_E0_NS1_11comp_targetILNS1_3genE2ELNS1_11target_archE906ELNS1_3gpuE6ELNS1_3repE0EEENS1_30default_config_static_selectorELNS0_4arch9wavefront6targetE1EEEvT1_.numbered_sgpr, 0
	.set _ZN7rocprim17ROCPRIM_400000_NS6detail17trampoline_kernelINS0_14default_configENS1_20scan_config_selectorIN3c108BFloat16EEEZZNS1_9scan_implILNS1_25lookback_scan_determinismE0ELb0ELb0ES3_PKS6_PS6_S6_ZZZN2at6native31launch_logcumsumexp_cuda_kernelERKNSD_10TensorBaseESH_lENKUlvE_clEvENKUlvE4_clEvEUlS6_S6_E_S6_EEDaPvRmT3_T4_T5_mT6_P12ihipStream_tbENKUlT_T0_E_clISt17integral_constantIbLb0EESY_EEDaST_SU_EUlST_E0_NS1_11comp_targetILNS1_3genE2ELNS1_11target_archE906ELNS1_3gpuE6ELNS1_3repE0EEENS1_30default_config_static_selectorELNS0_4arch9wavefront6targetE1EEEvT1_.num_named_barrier, 0
	.set _ZN7rocprim17ROCPRIM_400000_NS6detail17trampoline_kernelINS0_14default_configENS1_20scan_config_selectorIN3c108BFloat16EEEZZNS1_9scan_implILNS1_25lookback_scan_determinismE0ELb0ELb0ES3_PKS6_PS6_S6_ZZZN2at6native31launch_logcumsumexp_cuda_kernelERKNSD_10TensorBaseESH_lENKUlvE_clEvENKUlvE4_clEvEUlS6_S6_E_S6_EEDaPvRmT3_T4_T5_mT6_P12ihipStream_tbENKUlT_T0_E_clISt17integral_constantIbLb0EESY_EEDaST_SU_EUlST_E0_NS1_11comp_targetILNS1_3genE2ELNS1_11target_archE906ELNS1_3gpuE6ELNS1_3repE0EEENS1_30default_config_static_selectorELNS0_4arch9wavefront6targetE1EEEvT1_.private_seg_size, 0
	.set _ZN7rocprim17ROCPRIM_400000_NS6detail17trampoline_kernelINS0_14default_configENS1_20scan_config_selectorIN3c108BFloat16EEEZZNS1_9scan_implILNS1_25lookback_scan_determinismE0ELb0ELb0ES3_PKS6_PS6_S6_ZZZN2at6native31launch_logcumsumexp_cuda_kernelERKNSD_10TensorBaseESH_lENKUlvE_clEvENKUlvE4_clEvEUlS6_S6_E_S6_EEDaPvRmT3_T4_T5_mT6_P12ihipStream_tbENKUlT_T0_E_clISt17integral_constantIbLb0EESY_EEDaST_SU_EUlST_E0_NS1_11comp_targetILNS1_3genE2ELNS1_11target_archE906ELNS1_3gpuE6ELNS1_3repE0EEENS1_30default_config_static_selectorELNS0_4arch9wavefront6targetE1EEEvT1_.uses_vcc, 0
	.set _ZN7rocprim17ROCPRIM_400000_NS6detail17trampoline_kernelINS0_14default_configENS1_20scan_config_selectorIN3c108BFloat16EEEZZNS1_9scan_implILNS1_25lookback_scan_determinismE0ELb0ELb0ES3_PKS6_PS6_S6_ZZZN2at6native31launch_logcumsumexp_cuda_kernelERKNSD_10TensorBaseESH_lENKUlvE_clEvENKUlvE4_clEvEUlS6_S6_E_S6_EEDaPvRmT3_T4_T5_mT6_P12ihipStream_tbENKUlT_T0_E_clISt17integral_constantIbLb0EESY_EEDaST_SU_EUlST_E0_NS1_11comp_targetILNS1_3genE2ELNS1_11target_archE906ELNS1_3gpuE6ELNS1_3repE0EEENS1_30default_config_static_selectorELNS0_4arch9wavefront6targetE1EEEvT1_.uses_flat_scratch, 0
	.set _ZN7rocprim17ROCPRIM_400000_NS6detail17trampoline_kernelINS0_14default_configENS1_20scan_config_selectorIN3c108BFloat16EEEZZNS1_9scan_implILNS1_25lookback_scan_determinismE0ELb0ELb0ES3_PKS6_PS6_S6_ZZZN2at6native31launch_logcumsumexp_cuda_kernelERKNSD_10TensorBaseESH_lENKUlvE_clEvENKUlvE4_clEvEUlS6_S6_E_S6_EEDaPvRmT3_T4_T5_mT6_P12ihipStream_tbENKUlT_T0_E_clISt17integral_constantIbLb0EESY_EEDaST_SU_EUlST_E0_NS1_11comp_targetILNS1_3genE2ELNS1_11target_archE906ELNS1_3gpuE6ELNS1_3repE0EEENS1_30default_config_static_selectorELNS0_4arch9wavefront6targetE1EEEvT1_.has_dyn_sized_stack, 0
	.set _ZN7rocprim17ROCPRIM_400000_NS6detail17trampoline_kernelINS0_14default_configENS1_20scan_config_selectorIN3c108BFloat16EEEZZNS1_9scan_implILNS1_25lookback_scan_determinismE0ELb0ELb0ES3_PKS6_PS6_S6_ZZZN2at6native31launch_logcumsumexp_cuda_kernelERKNSD_10TensorBaseESH_lENKUlvE_clEvENKUlvE4_clEvEUlS6_S6_E_S6_EEDaPvRmT3_T4_T5_mT6_P12ihipStream_tbENKUlT_T0_E_clISt17integral_constantIbLb0EESY_EEDaST_SU_EUlST_E0_NS1_11comp_targetILNS1_3genE2ELNS1_11target_archE906ELNS1_3gpuE6ELNS1_3repE0EEENS1_30default_config_static_selectorELNS0_4arch9wavefront6targetE1EEEvT1_.has_recursion, 0
	.set _ZN7rocprim17ROCPRIM_400000_NS6detail17trampoline_kernelINS0_14default_configENS1_20scan_config_selectorIN3c108BFloat16EEEZZNS1_9scan_implILNS1_25lookback_scan_determinismE0ELb0ELb0ES3_PKS6_PS6_S6_ZZZN2at6native31launch_logcumsumexp_cuda_kernelERKNSD_10TensorBaseESH_lENKUlvE_clEvENKUlvE4_clEvEUlS6_S6_E_S6_EEDaPvRmT3_T4_T5_mT6_P12ihipStream_tbENKUlT_T0_E_clISt17integral_constantIbLb0EESY_EEDaST_SU_EUlST_E0_NS1_11comp_targetILNS1_3genE2ELNS1_11target_archE906ELNS1_3gpuE6ELNS1_3repE0EEENS1_30default_config_static_selectorELNS0_4arch9wavefront6targetE1EEEvT1_.has_indirect_call, 0
	.section	.AMDGPU.csdata,"",@progbits
; Kernel info:
; codeLenInByte = 0
; TotalNumSgprs: 6
; NumVgprs: 0
; NumAgprs: 0
; TotalNumVgprs: 0
; ScratchSize: 0
; MemoryBound: 0
; FloatMode: 240
; IeeeMode: 1
; LDSByteSize: 0 bytes/workgroup (compile time only)
; SGPRBlocks: 0
; VGPRBlocks: 0
; NumSGPRsForWavesPerEU: 6
; NumVGPRsForWavesPerEU: 1
; AccumOffset: 4
; Occupancy: 8
; WaveLimiterHint : 0
; COMPUTE_PGM_RSRC2:SCRATCH_EN: 0
; COMPUTE_PGM_RSRC2:USER_SGPR: 2
; COMPUTE_PGM_RSRC2:TRAP_HANDLER: 0
; COMPUTE_PGM_RSRC2:TGID_X_EN: 1
; COMPUTE_PGM_RSRC2:TGID_Y_EN: 0
; COMPUTE_PGM_RSRC2:TGID_Z_EN: 0
; COMPUTE_PGM_RSRC2:TIDIG_COMP_CNT: 0
; COMPUTE_PGM_RSRC3_GFX90A:ACCUM_OFFSET: 0
; COMPUTE_PGM_RSRC3_GFX90A:TG_SPLIT: 0
	.section	.text._ZN7rocprim17ROCPRIM_400000_NS6detail17trampoline_kernelINS0_14default_configENS1_20scan_config_selectorIN3c108BFloat16EEEZZNS1_9scan_implILNS1_25lookback_scan_determinismE0ELb0ELb0ES3_PKS6_PS6_S6_ZZZN2at6native31launch_logcumsumexp_cuda_kernelERKNSD_10TensorBaseESH_lENKUlvE_clEvENKUlvE4_clEvEUlS6_S6_E_S6_EEDaPvRmT3_T4_T5_mT6_P12ihipStream_tbENKUlT_T0_E_clISt17integral_constantIbLb0EESY_EEDaST_SU_EUlST_E0_NS1_11comp_targetILNS1_3genE10ELNS1_11target_archE1201ELNS1_3gpuE5ELNS1_3repE0EEENS1_30default_config_static_selectorELNS0_4arch9wavefront6targetE1EEEvT1_,"axG",@progbits,_ZN7rocprim17ROCPRIM_400000_NS6detail17trampoline_kernelINS0_14default_configENS1_20scan_config_selectorIN3c108BFloat16EEEZZNS1_9scan_implILNS1_25lookback_scan_determinismE0ELb0ELb0ES3_PKS6_PS6_S6_ZZZN2at6native31launch_logcumsumexp_cuda_kernelERKNSD_10TensorBaseESH_lENKUlvE_clEvENKUlvE4_clEvEUlS6_S6_E_S6_EEDaPvRmT3_T4_T5_mT6_P12ihipStream_tbENKUlT_T0_E_clISt17integral_constantIbLb0EESY_EEDaST_SU_EUlST_E0_NS1_11comp_targetILNS1_3genE10ELNS1_11target_archE1201ELNS1_3gpuE5ELNS1_3repE0EEENS1_30default_config_static_selectorELNS0_4arch9wavefront6targetE1EEEvT1_,comdat
	.globl	_ZN7rocprim17ROCPRIM_400000_NS6detail17trampoline_kernelINS0_14default_configENS1_20scan_config_selectorIN3c108BFloat16EEEZZNS1_9scan_implILNS1_25lookback_scan_determinismE0ELb0ELb0ES3_PKS6_PS6_S6_ZZZN2at6native31launch_logcumsumexp_cuda_kernelERKNSD_10TensorBaseESH_lENKUlvE_clEvENKUlvE4_clEvEUlS6_S6_E_S6_EEDaPvRmT3_T4_T5_mT6_P12ihipStream_tbENKUlT_T0_E_clISt17integral_constantIbLb0EESY_EEDaST_SU_EUlST_E0_NS1_11comp_targetILNS1_3genE10ELNS1_11target_archE1201ELNS1_3gpuE5ELNS1_3repE0EEENS1_30default_config_static_selectorELNS0_4arch9wavefront6targetE1EEEvT1_ ; -- Begin function _ZN7rocprim17ROCPRIM_400000_NS6detail17trampoline_kernelINS0_14default_configENS1_20scan_config_selectorIN3c108BFloat16EEEZZNS1_9scan_implILNS1_25lookback_scan_determinismE0ELb0ELb0ES3_PKS6_PS6_S6_ZZZN2at6native31launch_logcumsumexp_cuda_kernelERKNSD_10TensorBaseESH_lENKUlvE_clEvENKUlvE4_clEvEUlS6_S6_E_S6_EEDaPvRmT3_T4_T5_mT6_P12ihipStream_tbENKUlT_T0_E_clISt17integral_constantIbLb0EESY_EEDaST_SU_EUlST_E0_NS1_11comp_targetILNS1_3genE10ELNS1_11target_archE1201ELNS1_3gpuE5ELNS1_3repE0EEENS1_30default_config_static_selectorELNS0_4arch9wavefront6targetE1EEEvT1_
	.p2align	8
	.type	_ZN7rocprim17ROCPRIM_400000_NS6detail17trampoline_kernelINS0_14default_configENS1_20scan_config_selectorIN3c108BFloat16EEEZZNS1_9scan_implILNS1_25lookback_scan_determinismE0ELb0ELb0ES3_PKS6_PS6_S6_ZZZN2at6native31launch_logcumsumexp_cuda_kernelERKNSD_10TensorBaseESH_lENKUlvE_clEvENKUlvE4_clEvEUlS6_S6_E_S6_EEDaPvRmT3_T4_T5_mT6_P12ihipStream_tbENKUlT_T0_E_clISt17integral_constantIbLb0EESY_EEDaST_SU_EUlST_E0_NS1_11comp_targetILNS1_3genE10ELNS1_11target_archE1201ELNS1_3gpuE5ELNS1_3repE0EEENS1_30default_config_static_selectorELNS0_4arch9wavefront6targetE1EEEvT1_,@function
_ZN7rocprim17ROCPRIM_400000_NS6detail17trampoline_kernelINS0_14default_configENS1_20scan_config_selectorIN3c108BFloat16EEEZZNS1_9scan_implILNS1_25lookback_scan_determinismE0ELb0ELb0ES3_PKS6_PS6_S6_ZZZN2at6native31launch_logcumsumexp_cuda_kernelERKNSD_10TensorBaseESH_lENKUlvE_clEvENKUlvE4_clEvEUlS6_S6_E_S6_EEDaPvRmT3_T4_T5_mT6_P12ihipStream_tbENKUlT_T0_E_clISt17integral_constantIbLb0EESY_EEDaST_SU_EUlST_E0_NS1_11comp_targetILNS1_3genE10ELNS1_11target_archE1201ELNS1_3gpuE5ELNS1_3repE0EEENS1_30default_config_static_selectorELNS0_4arch9wavefront6targetE1EEEvT1_: ; @_ZN7rocprim17ROCPRIM_400000_NS6detail17trampoline_kernelINS0_14default_configENS1_20scan_config_selectorIN3c108BFloat16EEEZZNS1_9scan_implILNS1_25lookback_scan_determinismE0ELb0ELb0ES3_PKS6_PS6_S6_ZZZN2at6native31launch_logcumsumexp_cuda_kernelERKNSD_10TensorBaseESH_lENKUlvE_clEvENKUlvE4_clEvEUlS6_S6_E_S6_EEDaPvRmT3_T4_T5_mT6_P12ihipStream_tbENKUlT_T0_E_clISt17integral_constantIbLb0EESY_EEDaST_SU_EUlST_E0_NS1_11comp_targetILNS1_3genE10ELNS1_11target_archE1201ELNS1_3gpuE5ELNS1_3repE0EEENS1_30default_config_static_selectorELNS0_4arch9wavefront6targetE1EEEvT1_
; %bb.0:
	.section	.rodata,"a",@progbits
	.p2align	6, 0x0
	.amdhsa_kernel _ZN7rocprim17ROCPRIM_400000_NS6detail17trampoline_kernelINS0_14default_configENS1_20scan_config_selectorIN3c108BFloat16EEEZZNS1_9scan_implILNS1_25lookback_scan_determinismE0ELb0ELb0ES3_PKS6_PS6_S6_ZZZN2at6native31launch_logcumsumexp_cuda_kernelERKNSD_10TensorBaseESH_lENKUlvE_clEvENKUlvE4_clEvEUlS6_S6_E_S6_EEDaPvRmT3_T4_T5_mT6_P12ihipStream_tbENKUlT_T0_E_clISt17integral_constantIbLb0EESY_EEDaST_SU_EUlST_E0_NS1_11comp_targetILNS1_3genE10ELNS1_11target_archE1201ELNS1_3gpuE5ELNS1_3repE0EEENS1_30default_config_static_selectorELNS0_4arch9wavefront6targetE1EEEvT1_
		.amdhsa_group_segment_fixed_size 0
		.amdhsa_private_segment_fixed_size 0
		.amdhsa_kernarg_size 32
		.amdhsa_user_sgpr_count 2
		.amdhsa_user_sgpr_dispatch_ptr 0
		.amdhsa_user_sgpr_queue_ptr 0
		.amdhsa_user_sgpr_kernarg_segment_ptr 1
		.amdhsa_user_sgpr_dispatch_id 0
		.amdhsa_user_sgpr_kernarg_preload_length 0
		.amdhsa_user_sgpr_kernarg_preload_offset 0
		.amdhsa_user_sgpr_private_segment_size 0
		.amdhsa_uses_dynamic_stack 0
		.amdhsa_enable_private_segment 0
		.amdhsa_system_sgpr_workgroup_id_x 1
		.amdhsa_system_sgpr_workgroup_id_y 0
		.amdhsa_system_sgpr_workgroup_id_z 0
		.amdhsa_system_sgpr_workgroup_info 0
		.amdhsa_system_vgpr_workitem_id 0
		.amdhsa_next_free_vgpr 1
		.amdhsa_next_free_sgpr 0
		.amdhsa_accum_offset 4
		.amdhsa_reserve_vcc 0
		.amdhsa_float_round_mode_32 0
		.amdhsa_float_round_mode_16_64 0
		.amdhsa_float_denorm_mode_32 3
		.amdhsa_float_denorm_mode_16_64 3
		.amdhsa_dx10_clamp 1
		.amdhsa_ieee_mode 1
		.amdhsa_fp16_overflow 0
		.amdhsa_tg_split 0
		.amdhsa_exception_fp_ieee_invalid_op 0
		.amdhsa_exception_fp_denorm_src 0
		.amdhsa_exception_fp_ieee_div_zero 0
		.amdhsa_exception_fp_ieee_overflow 0
		.amdhsa_exception_fp_ieee_underflow 0
		.amdhsa_exception_fp_ieee_inexact 0
		.amdhsa_exception_int_div_zero 0
	.end_amdhsa_kernel
	.section	.text._ZN7rocprim17ROCPRIM_400000_NS6detail17trampoline_kernelINS0_14default_configENS1_20scan_config_selectorIN3c108BFloat16EEEZZNS1_9scan_implILNS1_25lookback_scan_determinismE0ELb0ELb0ES3_PKS6_PS6_S6_ZZZN2at6native31launch_logcumsumexp_cuda_kernelERKNSD_10TensorBaseESH_lENKUlvE_clEvENKUlvE4_clEvEUlS6_S6_E_S6_EEDaPvRmT3_T4_T5_mT6_P12ihipStream_tbENKUlT_T0_E_clISt17integral_constantIbLb0EESY_EEDaST_SU_EUlST_E0_NS1_11comp_targetILNS1_3genE10ELNS1_11target_archE1201ELNS1_3gpuE5ELNS1_3repE0EEENS1_30default_config_static_selectorELNS0_4arch9wavefront6targetE1EEEvT1_,"axG",@progbits,_ZN7rocprim17ROCPRIM_400000_NS6detail17trampoline_kernelINS0_14default_configENS1_20scan_config_selectorIN3c108BFloat16EEEZZNS1_9scan_implILNS1_25lookback_scan_determinismE0ELb0ELb0ES3_PKS6_PS6_S6_ZZZN2at6native31launch_logcumsumexp_cuda_kernelERKNSD_10TensorBaseESH_lENKUlvE_clEvENKUlvE4_clEvEUlS6_S6_E_S6_EEDaPvRmT3_T4_T5_mT6_P12ihipStream_tbENKUlT_T0_E_clISt17integral_constantIbLb0EESY_EEDaST_SU_EUlST_E0_NS1_11comp_targetILNS1_3genE10ELNS1_11target_archE1201ELNS1_3gpuE5ELNS1_3repE0EEENS1_30default_config_static_selectorELNS0_4arch9wavefront6targetE1EEEvT1_,comdat
.Lfunc_end460:
	.size	_ZN7rocprim17ROCPRIM_400000_NS6detail17trampoline_kernelINS0_14default_configENS1_20scan_config_selectorIN3c108BFloat16EEEZZNS1_9scan_implILNS1_25lookback_scan_determinismE0ELb0ELb0ES3_PKS6_PS6_S6_ZZZN2at6native31launch_logcumsumexp_cuda_kernelERKNSD_10TensorBaseESH_lENKUlvE_clEvENKUlvE4_clEvEUlS6_S6_E_S6_EEDaPvRmT3_T4_T5_mT6_P12ihipStream_tbENKUlT_T0_E_clISt17integral_constantIbLb0EESY_EEDaST_SU_EUlST_E0_NS1_11comp_targetILNS1_3genE10ELNS1_11target_archE1201ELNS1_3gpuE5ELNS1_3repE0EEENS1_30default_config_static_selectorELNS0_4arch9wavefront6targetE1EEEvT1_, .Lfunc_end460-_ZN7rocprim17ROCPRIM_400000_NS6detail17trampoline_kernelINS0_14default_configENS1_20scan_config_selectorIN3c108BFloat16EEEZZNS1_9scan_implILNS1_25lookback_scan_determinismE0ELb0ELb0ES3_PKS6_PS6_S6_ZZZN2at6native31launch_logcumsumexp_cuda_kernelERKNSD_10TensorBaseESH_lENKUlvE_clEvENKUlvE4_clEvEUlS6_S6_E_S6_EEDaPvRmT3_T4_T5_mT6_P12ihipStream_tbENKUlT_T0_E_clISt17integral_constantIbLb0EESY_EEDaST_SU_EUlST_E0_NS1_11comp_targetILNS1_3genE10ELNS1_11target_archE1201ELNS1_3gpuE5ELNS1_3repE0EEENS1_30default_config_static_selectorELNS0_4arch9wavefront6targetE1EEEvT1_
                                        ; -- End function
	.set _ZN7rocprim17ROCPRIM_400000_NS6detail17trampoline_kernelINS0_14default_configENS1_20scan_config_selectorIN3c108BFloat16EEEZZNS1_9scan_implILNS1_25lookback_scan_determinismE0ELb0ELb0ES3_PKS6_PS6_S6_ZZZN2at6native31launch_logcumsumexp_cuda_kernelERKNSD_10TensorBaseESH_lENKUlvE_clEvENKUlvE4_clEvEUlS6_S6_E_S6_EEDaPvRmT3_T4_T5_mT6_P12ihipStream_tbENKUlT_T0_E_clISt17integral_constantIbLb0EESY_EEDaST_SU_EUlST_E0_NS1_11comp_targetILNS1_3genE10ELNS1_11target_archE1201ELNS1_3gpuE5ELNS1_3repE0EEENS1_30default_config_static_selectorELNS0_4arch9wavefront6targetE1EEEvT1_.num_vgpr, 0
	.set _ZN7rocprim17ROCPRIM_400000_NS6detail17trampoline_kernelINS0_14default_configENS1_20scan_config_selectorIN3c108BFloat16EEEZZNS1_9scan_implILNS1_25lookback_scan_determinismE0ELb0ELb0ES3_PKS6_PS6_S6_ZZZN2at6native31launch_logcumsumexp_cuda_kernelERKNSD_10TensorBaseESH_lENKUlvE_clEvENKUlvE4_clEvEUlS6_S6_E_S6_EEDaPvRmT3_T4_T5_mT6_P12ihipStream_tbENKUlT_T0_E_clISt17integral_constantIbLb0EESY_EEDaST_SU_EUlST_E0_NS1_11comp_targetILNS1_3genE10ELNS1_11target_archE1201ELNS1_3gpuE5ELNS1_3repE0EEENS1_30default_config_static_selectorELNS0_4arch9wavefront6targetE1EEEvT1_.num_agpr, 0
	.set _ZN7rocprim17ROCPRIM_400000_NS6detail17trampoline_kernelINS0_14default_configENS1_20scan_config_selectorIN3c108BFloat16EEEZZNS1_9scan_implILNS1_25lookback_scan_determinismE0ELb0ELb0ES3_PKS6_PS6_S6_ZZZN2at6native31launch_logcumsumexp_cuda_kernelERKNSD_10TensorBaseESH_lENKUlvE_clEvENKUlvE4_clEvEUlS6_S6_E_S6_EEDaPvRmT3_T4_T5_mT6_P12ihipStream_tbENKUlT_T0_E_clISt17integral_constantIbLb0EESY_EEDaST_SU_EUlST_E0_NS1_11comp_targetILNS1_3genE10ELNS1_11target_archE1201ELNS1_3gpuE5ELNS1_3repE0EEENS1_30default_config_static_selectorELNS0_4arch9wavefront6targetE1EEEvT1_.numbered_sgpr, 0
	.set _ZN7rocprim17ROCPRIM_400000_NS6detail17trampoline_kernelINS0_14default_configENS1_20scan_config_selectorIN3c108BFloat16EEEZZNS1_9scan_implILNS1_25lookback_scan_determinismE0ELb0ELb0ES3_PKS6_PS6_S6_ZZZN2at6native31launch_logcumsumexp_cuda_kernelERKNSD_10TensorBaseESH_lENKUlvE_clEvENKUlvE4_clEvEUlS6_S6_E_S6_EEDaPvRmT3_T4_T5_mT6_P12ihipStream_tbENKUlT_T0_E_clISt17integral_constantIbLb0EESY_EEDaST_SU_EUlST_E0_NS1_11comp_targetILNS1_3genE10ELNS1_11target_archE1201ELNS1_3gpuE5ELNS1_3repE0EEENS1_30default_config_static_selectorELNS0_4arch9wavefront6targetE1EEEvT1_.num_named_barrier, 0
	.set _ZN7rocprim17ROCPRIM_400000_NS6detail17trampoline_kernelINS0_14default_configENS1_20scan_config_selectorIN3c108BFloat16EEEZZNS1_9scan_implILNS1_25lookback_scan_determinismE0ELb0ELb0ES3_PKS6_PS6_S6_ZZZN2at6native31launch_logcumsumexp_cuda_kernelERKNSD_10TensorBaseESH_lENKUlvE_clEvENKUlvE4_clEvEUlS6_S6_E_S6_EEDaPvRmT3_T4_T5_mT6_P12ihipStream_tbENKUlT_T0_E_clISt17integral_constantIbLb0EESY_EEDaST_SU_EUlST_E0_NS1_11comp_targetILNS1_3genE10ELNS1_11target_archE1201ELNS1_3gpuE5ELNS1_3repE0EEENS1_30default_config_static_selectorELNS0_4arch9wavefront6targetE1EEEvT1_.private_seg_size, 0
	.set _ZN7rocprim17ROCPRIM_400000_NS6detail17trampoline_kernelINS0_14default_configENS1_20scan_config_selectorIN3c108BFloat16EEEZZNS1_9scan_implILNS1_25lookback_scan_determinismE0ELb0ELb0ES3_PKS6_PS6_S6_ZZZN2at6native31launch_logcumsumexp_cuda_kernelERKNSD_10TensorBaseESH_lENKUlvE_clEvENKUlvE4_clEvEUlS6_S6_E_S6_EEDaPvRmT3_T4_T5_mT6_P12ihipStream_tbENKUlT_T0_E_clISt17integral_constantIbLb0EESY_EEDaST_SU_EUlST_E0_NS1_11comp_targetILNS1_3genE10ELNS1_11target_archE1201ELNS1_3gpuE5ELNS1_3repE0EEENS1_30default_config_static_selectorELNS0_4arch9wavefront6targetE1EEEvT1_.uses_vcc, 0
	.set _ZN7rocprim17ROCPRIM_400000_NS6detail17trampoline_kernelINS0_14default_configENS1_20scan_config_selectorIN3c108BFloat16EEEZZNS1_9scan_implILNS1_25lookback_scan_determinismE0ELb0ELb0ES3_PKS6_PS6_S6_ZZZN2at6native31launch_logcumsumexp_cuda_kernelERKNSD_10TensorBaseESH_lENKUlvE_clEvENKUlvE4_clEvEUlS6_S6_E_S6_EEDaPvRmT3_T4_T5_mT6_P12ihipStream_tbENKUlT_T0_E_clISt17integral_constantIbLb0EESY_EEDaST_SU_EUlST_E0_NS1_11comp_targetILNS1_3genE10ELNS1_11target_archE1201ELNS1_3gpuE5ELNS1_3repE0EEENS1_30default_config_static_selectorELNS0_4arch9wavefront6targetE1EEEvT1_.uses_flat_scratch, 0
	.set _ZN7rocprim17ROCPRIM_400000_NS6detail17trampoline_kernelINS0_14default_configENS1_20scan_config_selectorIN3c108BFloat16EEEZZNS1_9scan_implILNS1_25lookback_scan_determinismE0ELb0ELb0ES3_PKS6_PS6_S6_ZZZN2at6native31launch_logcumsumexp_cuda_kernelERKNSD_10TensorBaseESH_lENKUlvE_clEvENKUlvE4_clEvEUlS6_S6_E_S6_EEDaPvRmT3_T4_T5_mT6_P12ihipStream_tbENKUlT_T0_E_clISt17integral_constantIbLb0EESY_EEDaST_SU_EUlST_E0_NS1_11comp_targetILNS1_3genE10ELNS1_11target_archE1201ELNS1_3gpuE5ELNS1_3repE0EEENS1_30default_config_static_selectorELNS0_4arch9wavefront6targetE1EEEvT1_.has_dyn_sized_stack, 0
	.set _ZN7rocprim17ROCPRIM_400000_NS6detail17trampoline_kernelINS0_14default_configENS1_20scan_config_selectorIN3c108BFloat16EEEZZNS1_9scan_implILNS1_25lookback_scan_determinismE0ELb0ELb0ES3_PKS6_PS6_S6_ZZZN2at6native31launch_logcumsumexp_cuda_kernelERKNSD_10TensorBaseESH_lENKUlvE_clEvENKUlvE4_clEvEUlS6_S6_E_S6_EEDaPvRmT3_T4_T5_mT6_P12ihipStream_tbENKUlT_T0_E_clISt17integral_constantIbLb0EESY_EEDaST_SU_EUlST_E0_NS1_11comp_targetILNS1_3genE10ELNS1_11target_archE1201ELNS1_3gpuE5ELNS1_3repE0EEENS1_30default_config_static_selectorELNS0_4arch9wavefront6targetE1EEEvT1_.has_recursion, 0
	.set _ZN7rocprim17ROCPRIM_400000_NS6detail17trampoline_kernelINS0_14default_configENS1_20scan_config_selectorIN3c108BFloat16EEEZZNS1_9scan_implILNS1_25lookback_scan_determinismE0ELb0ELb0ES3_PKS6_PS6_S6_ZZZN2at6native31launch_logcumsumexp_cuda_kernelERKNSD_10TensorBaseESH_lENKUlvE_clEvENKUlvE4_clEvEUlS6_S6_E_S6_EEDaPvRmT3_T4_T5_mT6_P12ihipStream_tbENKUlT_T0_E_clISt17integral_constantIbLb0EESY_EEDaST_SU_EUlST_E0_NS1_11comp_targetILNS1_3genE10ELNS1_11target_archE1201ELNS1_3gpuE5ELNS1_3repE0EEENS1_30default_config_static_selectorELNS0_4arch9wavefront6targetE1EEEvT1_.has_indirect_call, 0
	.section	.AMDGPU.csdata,"",@progbits
; Kernel info:
; codeLenInByte = 0
; TotalNumSgprs: 6
; NumVgprs: 0
; NumAgprs: 0
; TotalNumVgprs: 0
; ScratchSize: 0
; MemoryBound: 0
; FloatMode: 240
; IeeeMode: 1
; LDSByteSize: 0 bytes/workgroup (compile time only)
; SGPRBlocks: 0
; VGPRBlocks: 0
; NumSGPRsForWavesPerEU: 6
; NumVGPRsForWavesPerEU: 1
; AccumOffset: 4
; Occupancy: 8
; WaveLimiterHint : 0
; COMPUTE_PGM_RSRC2:SCRATCH_EN: 0
; COMPUTE_PGM_RSRC2:USER_SGPR: 2
; COMPUTE_PGM_RSRC2:TRAP_HANDLER: 0
; COMPUTE_PGM_RSRC2:TGID_X_EN: 1
; COMPUTE_PGM_RSRC2:TGID_Y_EN: 0
; COMPUTE_PGM_RSRC2:TGID_Z_EN: 0
; COMPUTE_PGM_RSRC2:TIDIG_COMP_CNT: 0
; COMPUTE_PGM_RSRC3_GFX90A:ACCUM_OFFSET: 0
; COMPUTE_PGM_RSRC3_GFX90A:TG_SPLIT: 0
	.section	.text._ZN7rocprim17ROCPRIM_400000_NS6detail17trampoline_kernelINS0_14default_configENS1_20scan_config_selectorIN3c108BFloat16EEEZZNS1_9scan_implILNS1_25lookback_scan_determinismE0ELb0ELb0ES3_PKS6_PS6_S6_ZZZN2at6native31launch_logcumsumexp_cuda_kernelERKNSD_10TensorBaseESH_lENKUlvE_clEvENKUlvE4_clEvEUlS6_S6_E_S6_EEDaPvRmT3_T4_T5_mT6_P12ihipStream_tbENKUlT_T0_E_clISt17integral_constantIbLb0EESY_EEDaST_SU_EUlST_E0_NS1_11comp_targetILNS1_3genE10ELNS1_11target_archE1200ELNS1_3gpuE4ELNS1_3repE0EEENS1_30default_config_static_selectorELNS0_4arch9wavefront6targetE1EEEvT1_,"axG",@progbits,_ZN7rocprim17ROCPRIM_400000_NS6detail17trampoline_kernelINS0_14default_configENS1_20scan_config_selectorIN3c108BFloat16EEEZZNS1_9scan_implILNS1_25lookback_scan_determinismE0ELb0ELb0ES3_PKS6_PS6_S6_ZZZN2at6native31launch_logcumsumexp_cuda_kernelERKNSD_10TensorBaseESH_lENKUlvE_clEvENKUlvE4_clEvEUlS6_S6_E_S6_EEDaPvRmT3_T4_T5_mT6_P12ihipStream_tbENKUlT_T0_E_clISt17integral_constantIbLb0EESY_EEDaST_SU_EUlST_E0_NS1_11comp_targetILNS1_3genE10ELNS1_11target_archE1200ELNS1_3gpuE4ELNS1_3repE0EEENS1_30default_config_static_selectorELNS0_4arch9wavefront6targetE1EEEvT1_,comdat
	.globl	_ZN7rocprim17ROCPRIM_400000_NS6detail17trampoline_kernelINS0_14default_configENS1_20scan_config_selectorIN3c108BFloat16EEEZZNS1_9scan_implILNS1_25lookback_scan_determinismE0ELb0ELb0ES3_PKS6_PS6_S6_ZZZN2at6native31launch_logcumsumexp_cuda_kernelERKNSD_10TensorBaseESH_lENKUlvE_clEvENKUlvE4_clEvEUlS6_S6_E_S6_EEDaPvRmT3_T4_T5_mT6_P12ihipStream_tbENKUlT_T0_E_clISt17integral_constantIbLb0EESY_EEDaST_SU_EUlST_E0_NS1_11comp_targetILNS1_3genE10ELNS1_11target_archE1200ELNS1_3gpuE4ELNS1_3repE0EEENS1_30default_config_static_selectorELNS0_4arch9wavefront6targetE1EEEvT1_ ; -- Begin function _ZN7rocprim17ROCPRIM_400000_NS6detail17trampoline_kernelINS0_14default_configENS1_20scan_config_selectorIN3c108BFloat16EEEZZNS1_9scan_implILNS1_25lookback_scan_determinismE0ELb0ELb0ES3_PKS6_PS6_S6_ZZZN2at6native31launch_logcumsumexp_cuda_kernelERKNSD_10TensorBaseESH_lENKUlvE_clEvENKUlvE4_clEvEUlS6_S6_E_S6_EEDaPvRmT3_T4_T5_mT6_P12ihipStream_tbENKUlT_T0_E_clISt17integral_constantIbLb0EESY_EEDaST_SU_EUlST_E0_NS1_11comp_targetILNS1_3genE10ELNS1_11target_archE1200ELNS1_3gpuE4ELNS1_3repE0EEENS1_30default_config_static_selectorELNS0_4arch9wavefront6targetE1EEEvT1_
	.p2align	8
	.type	_ZN7rocprim17ROCPRIM_400000_NS6detail17trampoline_kernelINS0_14default_configENS1_20scan_config_selectorIN3c108BFloat16EEEZZNS1_9scan_implILNS1_25lookback_scan_determinismE0ELb0ELb0ES3_PKS6_PS6_S6_ZZZN2at6native31launch_logcumsumexp_cuda_kernelERKNSD_10TensorBaseESH_lENKUlvE_clEvENKUlvE4_clEvEUlS6_S6_E_S6_EEDaPvRmT3_T4_T5_mT6_P12ihipStream_tbENKUlT_T0_E_clISt17integral_constantIbLb0EESY_EEDaST_SU_EUlST_E0_NS1_11comp_targetILNS1_3genE10ELNS1_11target_archE1200ELNS1_3gpuE4ELNS1_3repE0EEENS1_30default_config_static_selectorELNS0_4arch9wavefront6targetE1EEEvT1_,@function
_ZN7rocprim17ROCPRIM_400000_NS6detail17trampoline_kernelINS0_14default_configENS1_20scan_config_selectorIN3c108BFloat16EEEZZNS1_9scan_implILNS1_25lookback_scan_determinismE0ELb0ELb0ES3_PKS6_PS6_S6_ZZZN2at6native31launch_logcumsumexp_cuda_kernelERKNSD_10TensorBaseESH_lENKUlvE_clEvENKUlvE4_clEvEUlS6_S6_E_S6_EEDaPvRmT3_T4_T5_mT6_P12ihipStream_tbENKUlT_T0_E_clISt17integral_constantIbLb0EESY_EEDaST_SU_EUlST_E0_NS1_11comp_targetILNS1_3genE10ELNS1_11target_archE1200ELNS1_3gpuE4ELNS1_3repE0EEENS1_30default_config_static_selectorELNS0_4arch9wavefront6targetE1EEEvT1_: ; @_ZN7rocprim17ROCPRIM_400000_NS6detail17trampoline_kernelINS0_14default_configENS1_20scan_config_selectorIN3c108BFloat16EEEZZNS1_9scan_implILNS1_25lookback_scan_determinismE0ELb0ELb0ES3_PKS6_PS6_S6_ZZZN2at6native31launch_logcumsumexp_cuda_kernelERKNSD_10TensorBaseESH_lENKUlvE_clEvENKUlvE4_clEvEUlS6_S6_E_S6_EEDaPvRmT3_T4_T5_mT6_P12ihipStream_tbENKUlT_T0_E_clISt17integral_constantIbLb0EESY_EEDaST_SU_EUlST_E0_NS1_11comp_targetILNS1_3genE10ELNS1_11target_archE1200ELNS1_3gpuE4ELNS1_3repE0EEENS1_30default_config_static_selectorELNS0_4arch9wavefront6targetE1EEEvT1_
; %bb.0:
	.section	.rodata,"a",@progbits
	.p2align	6, 0x0
	.amdhsa_kernel _ZN7rocprim17ROCPRIM_400000_NS6detail17trampoline_kernelINS0_14default_configENS1_20scan_config_selectorIN3c108BFloat16EEEZZNS1_9scan_implILNS1_25lookback_scan_determinismE0ELb0ELb0ES3_PKS6_PS6_S6_ZZZN2at6native31launch_logcumsumexp_cuda_kernelERKNSD_10TensorBaseESH_lENKUlvE_clEvENKUlvE4_clEvEUlS6_S6_E_S6_EEDaPvRmT3_T4_T5_mT6_P12ihipStream_tbENKUlT_T0_E_clISt17integral_constantIbLb0EESY_EEDaST_SU_EUlST_E0_NS1_11comp_targetILNS1_3genE10ELNS1_11target_archE1200ELNS1_3gpuE4ELNS1_3repE0EEENS1_30default_config_static_selectorELNS0_4arch9wavefront6targetE1EEEvT1_
		.amdhsa_group_segment_fixed_size 0
		.amdhsa_private_segment_fixed_size 0
		.amdhsa_kernarg_size 32
		.amdhsa_user_sgpr_count 2
		.amdhsa_user_sgpr_dispatch_ptr 0
		.amdhsa_user_sgpr_queue_ptr 0
		.amdhsa_user_sgpr_kernarg_segment_ptr 1
		.amdhsa_user_sgpr_dispatch_id 0
		.amdhsa_user_sgpr_kernarg_preload_length 0
		.amdhsa_user_sgpr_kernarg_preload_offset 0
		.amdhsa_user_sgpr_private_segment_size 0
		.amdhsa_uses_dynamic_stack 0
		.amdhsa_enable_private_segment 0
		.amdhsa_system_sgpr_workgroup_id_x 1
		.amdhsa_system_sgpr_workgroup_id_y 0
		.amdhsa_system_sgpr_workgroup_id_z 0
		.amdhsa_system_sgpr_workgroup_info 0
		.amdhsa_system_vgpr_workitem_id 0
		.amdhsa_next_free_vgpr 1
		.amdhsa_next_free_sgpr 0
		.amdhsa_accum_offset 4
		.amdhsa_reserve_vcc 0
		.amdhsa_float_round_mode_32 0
		.amdhsa_float_round_mode_16_64 0
		.amdhsa_float_denorm_mode_32 3
		.amdhsa_float_denorm_mode_16_64 3
		.amdhsa_dx10_clamp 1
		.amdhsa_ieee_mode 1
		.amdhsa_fp16_overflow 0
		.amdhsa_tg_split 0
		.amdhsa_exception_fp_ieee_invalid_op 0
		.amdhsa_exception_fp_denorm_src 0
		.amdhsa_exception_fp_ieee_div_zero 0
		.amdhsa_exception_fp_ieee_overflow 0
		.amdhsa_exception_fp_ieee_underflow 0
		.amdhsa_exception_fp_ieee_inexact 0
		.amdhsa_exception_int_div_zero 0
	.end_amdhsa_kernel
	.section	.text._ZN7rocprim17ROCPRIM_400000_NS6detail17trampoline_kernelINS0_14default_configENS1_20scan_config_selectorIN3c108BFloat16EEEZZNS1_9scan_implILNS1_25lookback_scan_determinismE0ELb0ELb0ES3_PKS6_PS6_S6_ZZZN2at6native31launch_logcumsumexp_cuda_kernelERKNSD_10TensorBaseESH_lENKUlvE_clEvENKUlvE4_clEvEUlS6_S6_E_S6_EEDaPvRmT3_T4_T5_mT6_P12ihipStream_tbENKUlT_T0_E_clISt17integral_constantIbLb0EESY_EEDaST_SU_EUlST_E0_NS1_11comp_targetILNS1_3genE10ELNS1_11target_archE1200ELNS1_3gpuE4ELNS1_3repE0EEENS1_30default_config_static_selectorELNS0_4arch9wavefront6targetE1EEEvT1_,"axG",@progbits,_ZN7rocprim17ROCPRIM_400000_NS6detail17trampoline_kernelINS0_14default_configENS1_20scan_config_selectorIN3c108BFloat16EEEZZNS1_9scan_implILNS1_25lookback_scan_determinismE0ELb0ELb0ES3_PKS6_PS6_S6_ZZZN2at6native31launch_logcumsumexp_cuda_kernelERKNSD_10TensorBaseESH_lENKUlvE_clEvENKUlvE4_clEvEUlS6_S6_E_S6_EEDaPvRmT3_T4_T5_mT6_P12ihipStream_tbENKUlT_T0_E_clISt17integral_constantIbLb0EESY_EEDaST_SU_EUlST_E0_NS1_11comp_targetILNS1_3genE10ELNS1_11target_archE1200ELNS1_3gpuE4ELNS1_3repE0EEENS1_30default_config_static_selectorELNS0_4arch9wavefront6targetE1EEEvT1_,comdat
.Lfunc_end461:
	.size	_ZN7rocprim17ROCPRIM_400000_NS6detail17trampoline_kernelINS0_14default_configENS1_20scan_config_selectorIN3c108BFloat16EEEZZNS1_9scan_implILNS1_25lookback_scan_determinismE0ELb0ELb0ES3_PKS6_PS6_S6_ZZZN2at6native31launch_logcumsumexp_cuda_kernelERKNSD_10TensorBaseESH_lENKUlvE_clEvENKUlvE4_clEvEUlS6_S6_E_S6_EEDaPvRmT3_T4_T5_mT6_P12ihipStream_tbENKUlT_T0_E_clISt17integral_constantIbLb0EESY_EEDaST_SU_EUlST_E0_NS1_11comp_targetILNS1_3genE10ELNS1_11target_archE1200ELNS1_3gpuE4ELNS1_3repE0EEENS1_30default_config_static_selectorELNS0_4arch9wavefront6targetE1EEEvT1_, .Lfunc_end461-_ZN7rocprim17ROCPRIM_400000_NS6detail17trampoline_kernelINS0_14default_configENS1_20scan_config_selectorIN3c108BFloat16EEEZZNS1_9scan_implILNS1_25lookback_scan_determinismE0ELb0ELb0ES3_PKS6_PS6_S6_ZZZN2at6native31launch_logcumsumexp_cuda_kernelERKNSD_10TensorBaseESH_lENKUlvE_clEvENKUlvE4_clEvEUlS6_S6_E_S6_EEDaPvRmT3_T4_T5_mT6_P12ihipStream_tbENKUlT_T0_E_clISt17integral_constantIbLb0EESY_EEDaST_SU_EUlST_E0_NS1_11comp_targetILNS1_3genE10ELNS1_11target_archE1200ELNS1_3gpuE4ELNS1_3repE0EEENS1_30default_config_static_selectorELNS0_4arch9wavefront6targetE1EEEvT1_
                                        ; -- End function
	.set _ZN7rocprim17ROCPRIM_400000_NS6detail17trampoline_kernelINS0_14default_configENS1_20scan_config_selectorIN3c108BFloat16EEEZZNS1_9scan_implILNS1_25lookback_scan_determinismE0ELb0ELb0ES3_PKS6_PS6_S6_ZZZN2at6native31launch_logcumsumexp_cuda_kernelERKNSD_10TensorBaseESH_lENKUlvE_clEvENKUlvE4_clEvEUlS6_S6_E_S6_EEDaPvRmT3_T4_T5_mT6_P12ihipStream_tbENKUlT_T0_E_clISt17integral_constantIbLb0EESY_EEDaST_SU_EUlST_E0_NS1_11comp_targetILNS1_3genE10ELNS1_11target_archE1200ELNS1_3gpuE4ELNS1_3repE0EEENS1_30default_config_static_selectorELNS0_4arch9wavefront6targetE1EEEvT1_.num_vgpr, 0
	.set _ZN7rocprim17ROCPRIM_400000_NS6detail17trampoline_kernelINS0_14default_configENS1_20scan_config_selectorIN3c108BFloat16EEEZZNS1_9scan_implILNS1_25lookback_scan_determinismE0ELb0ELb0ES3_PKS6_PS6_S6_ZZZN2at6native31launch_logcumsumexp_cuda_kernelERKNSD_10TensorBaseESH_lENKUlvE_clEvENKUlvE4_clEvEUlS6_S6_E_S6_EEDaPvRmT3_T4_T5_mT6_P12ihipStream_tbENKUlT_T0_E_clISt17integral_constantIbLb0EESY_EEDaST_SU_EUlST_E0_NS1_11comp_targetILNS1_3genE10ELNS1_11target_archE1200ELNS1_3gpuE4ELNS1_3repE0EEENS1_30default_config_static_selectorELNS0_4arch9wavefront6targetE1EEEvT1_.num_agpr, 0
	.set _ZN7rocprim17ROCPRIM_400000_NS6detail17trampoline_kernelINS0_14default_configENS1_20scan_config_selectorIN3c108BFloat16EEEZZNS1_9scan_implILNS1_25lookback_scan_determinismE0ELb0ELb0ES3_PKS6_PS6_S6_ZZZN2at6native31launch_logcumsumexp_cuda_kernelERKNSD_10TensorBaseESH_lENKUlvE_clEvENKUlvE4_clEvEUlS6_S6_E_S6_EEDaPvRmT3_T4_T5_mT6_P12ihipStream_tbENKUlT_T0_E_clISt17integral_constantIbLb0EESY_EEDaST_SU_EUlST_E0_NS1_11comp_targetILNS1_3genE10ELNS1_11target_archE1200ELNS1_3gpuE4ELNS1_3repE0EEENS1_30default_config_static_selectorELNS0_4arch9wavefront6targetE1EEEvT1_.numbered_sgpr, 0
	.set _ZN7rocprim17ROCPRIM_400000_NS6detail17trampoline_kernelINS0_14default_configENS1_20scan_config_selectorIN3c108BFloat16EEEZZNS1_9scan_implILNS1_25lookback_scan_determinismE0ELb0ELb0ES3_PKS6_PS6_S6_ZZZN2at6native31launch_logcumsumexp_cuda_kernelERKNSD_10TensorBaseESH_lENKUlvE_clEvENKUlvE4_clEvEUlS6_S6_E_S6_EEDaPvRmT3_T4_T5_mT6_P12ihipStream_tbENKUlT_T0_E_clISt17integral_constantIbLb0EESY_EEDaST_SU_EUlST_E0_NS1_11comp_targetILNS1_3genE10ELNS1_11target_archE1200ELNS1_3gpuE4ELNS1_3repE0EEENS1_30default_config_static_selectorELNS0_4arch9wavefront6targetE1EEEvT1_.num_named_barrier, 0
	.set _ZN7rocprim17ROCPRIM_400000_NS6detail17trampoline_kernelINS0_14default_configENS1_20scan_config_selectorIN3c108BFloat16EEEZZNS1_9scan_implILNS1_25lookback_scan_determinismE0ELb0ELb0ES3_PKS6_PS6_S6_ZZZN2at6native31launch_logcumsumexp_cuda_kernelERKNSD_10TensorBaseESH_lENKUlvE_clEvENKUlvE4_clEvEUlS6_S6_E_S6_EEDaPvRmT3_T4_T5_mT6_P12ihipStream_tbENKUlT_T0_E_clISt17integral_constantIbLb0EESY_EEDaST_SU_EUlST_E0_NS1_11comp_targetILNS1_3genE10ELNS1_11target_archE1200ELNS1_3gpuE4ELNS1_3repE0EEENS1_30default_config_static_selectorELNS0_4arch9wavefront6targetE1EEEvT1_.private_seg_size, 0
	.set _ZN7rocprim17ROCPRIM_400000_NS6detail17trampoline_kernelINS0_14default_configENS1_20scan_config_selectorIN3c108BFloat16EEEZZNS1_9scan_implILNS1_25lookback_scan_determinismE0ELb0ELb0ES3_PKS6_PS6_S6_ZZZN2at6native31launch_logcumsumexp_cuda_kernelERKNSD_10TensorBaseESH_lENKUlvE_clEvENKUlvE4_clEvEUlS6_S6_E_S6_EEDaPvRmT3_T4_T5_mT6_P12ihipStream_tbENKUlT_T0_E_clISt17integral_constantIbLb0EESY_EEDaST_SU_EUlST_E0_NS1_11comp_targetILNS1_3genE10ELNS1_11target_archE1200ELNS1_3gpuE4ELNS1_3repE0EEENS1_30default_config_static_selectorELNS0_4arch9wavefront6targetE1EEEvT1_.uses_vcc, 0
	.set _ZN7rocprim17ROCPRIM_400000_NS6detail17trampoline_kernelINS0_14default_configENS1_20scan_config_selectorIN3c108BFloat16EEEZZNS1_9scan_implILNS1_25lookback_scan_determinismE0ELb0ELb0ES3_PKS6_PS6_S6_ZZZN2at6native31launch_logcumsumexp_cuda_kernelERKNSD_10TensorBaseESH_lENKUlvE_clEvENKUlvE4_clEvEUlS6_S6_E_S6_EEDaPvRmT3_T4_T5_mT6_P12ihipStream_tbENKUlT_T0_E_clISt17integral_constantIbLb0EESY_EEDaST_SU_EUlST_E0_NS1_11comp_targetILNS1_3genE10ELNS1_11target_archE1200ELNS1_3gpuE4ELNS1_3repE0EEENS1_30default_config_static_selectorELNS0_4arch9wavefront6targetE1EEEvT1_.uses_flat_scratch, 0
	.set _ZN7rocprim17ROCPRIM_400000_NS6detail17trampoline_kernelINS0_14default_configENS1_20scan_config_selectorIN3c108BFloat16EEEZZNS1_9scan_implILNS1_25lookback_scan_determinismE0ELb0ELb0ES3_PKS6_PS6_S6_ZZZN2at6native31launch_logcumsumexp_cuda_kernelERKNSD_10TensorBaseESH_lENKUlvE_clEvENKUlvE4_clEvEUlS6_S6_E_S6_EEDaPvRmT3_T4_T5_mT6_P12ihipStream_tbENKUlT_T0_E_clISt17integral_constantIbLb0EESY_EEDaST_SU_EUlST_E0_NS1_11comp_targetILNS1_3genE10ELNS1_11target_archE1200ELNS1_3gpuE4ELNS1_3repE0EEENS1_30default_config_static_selectorELNS0_4arch9wavefront6targetE1EEEvT1_.has_dyn_sized_stack, 0
	.set _ZN7rocprim17ROCPRIM_400000_NS6detail17trampoline_kernelINS0_14default_configENS1_20scan_config_selectorIN3c108BFloat16EEEZZNS1_9scan_implILNS1_25lookback_scan_determinismE0ELb0ELb0ES3_PKS6_PS6_S6_ZZZN2at6native31launch_logcumsumexp_cuda_kernelERKNSD_10TensorBaseESH_lENKUlvE_clEvENKUlvE4_clEvEUlS6_S6_E_S6_EEDaPvRmT3_T4_T5_mT6_P12ihipStream_tbENKUlT_T0_E_clISt17integral_constantIbLb0EESY_EEDaST_SU_EUlST_E0_NS1_11comp_targetILNS1_3genE10ELNS1_11target_archE1200ELNS1_3gpuE4ELNS1_3repE0EEENS1_30default_config_static_selectorELNS0_4arch9wavefront6targetE1EEEvT1_.has_recursion, 0
	.set _ZN7rocprim17ROCPRIM_400000_NS6detail17trampoline_kernelINS0_14default_configENS1_20scan_config_selectorIN3c108BFloat16EEEZZNS1_9scan_implILNS1_25lookback_scan_determinismE0ELb0ELb0ES3_PKS6_PS6_S6_ZZZN2at6native31launch_logcumsumexp_cuda_kernelERKNSD_10TensorBaseESH_lENKUlvE_clEvENKUlvE4_clEvEUlS6_S6_E_S6_EEDaPvRmT3_T4_T5_mT6_P12ihipStream_tbENKUlT_T0_E_clISt17integral_constantIbLb0EESY_EEDaST_SU_EUlST_E0_NS1_11comp_targetILNS1_3genE10ELNS1_11target_archE1200ELNS1_3gpuE4ELNS1_3repE0EEENS1_30default_config_static_selectorELNS0_4arch9wavefront6targetE1EEEvT1_.has_indirect_call, 0
	.section	.AMDGPU.csdata,"",@progbits
; Kernel info:
; codeLenInByte = 0
; TotalNumSgprs: 6
; NumVgprs: 0
; NumAgprs: 0
; TotalNumVgprs: 0
; ScratchSize: 0
; MemoryBound: 0
; FloatMode: 240
; IeeeMode: 1
; LDSByteSize: 0 bytes/workgroup (compile time only)
; SGPRBlocks: 0
; VGPRBlocks: 0
; NumSGPRsForWavesPerEU: 6
; NumVGPRsForWavesPerEU: 1
; AccumOffset: 4
; Occupancy: 8
; WaveLimiterHint : 0
; COMPUTE_PGM_RSRC2:SCRATCH_EN: 0
; COMPUTE_PGM_RSRC2:USER_SGPR: 2
; COMPUTE_PGM_RSRC2:TRAP_HANDLER: 0
; COMPUTE_PGM_RSRC2:TGID_X_EN: 1
; COMPUTE_PGM_RSRC2:TGID_Y_EN: 0
; COMPUTE_PGM_RSRC2:TGID_Z_EN: 0
; COMPUTE_PGM_RSRC2:TIDIG_COMP_CNT: 0
; COMPUTE_PGM_RSRC3_GFX90A:ACCUM_OFFSET: 0
; COMPUTE_PGM_RSRC3_GFX90A:TG_SPLIT: 0
	.section	.text._ZN7rocprim17ROCPRIM_400000_NS6detail17trampoline_kernelINS0_14default_configENS1_20scan_config_selectorIN3c108BFloat16EEEZZNS1_9scan_implILNS1_25lookback_scan_determinismE0ELb0ELb0ES3_PKS6_PS6_S6_ZZZN2at6native31launch_logcumsumexp_cuda_kernelERKNSD_10TensorBaseESH_lENKUlvE_clEvENKUlvE4_clEvEUlS6_S6_E_S6_EEDaPvRmT3_T4_T5_mT6_P12ihipStream_tbENKUlT_T0_E_clISt17integral_constantIbLb0EESY_EEDaST_SU_EUlST_E0_NS1_11comp_targetILNS1_3genE9ELNS1_11target_archE1100ELNS1_3gpuE3ELNS1_3repE0EEENS1_30default_config_static_selectorELNS0_4arch9wavefront6targetE1EEEvT1_,"axG",@progbits,_ZN7rocprim17ROCPRIM_400000_NS6detail17trampoline_kernelINS0_14default_configENS1_20scan_config_selectorIN3c108BFloat16EEEZZNS1_9scan_implILNS1_25lookback_scan_determinismE0ELb0ELb0ES3_PKS6_PS6_S6_ZZZN2at6native31launch_logcumsumexp_cuda_kernelERKNSD_10TensorBaseESH_lENKUlvE_clEvENKUlvE4_clEvEUlS6_S6_E_S6_EEDaPvRmT3_T4_T5_mT6_P12ihipStream_tbENKUlT_T0_E_clISt17integral_constantIbLb0EESY_EEDaST_SU_EUlST_E0_NS1_11comp_targetILNS1_3genE9ELNS1_11target_archE1100ELNS1_3gpuE3ELNS1_3repE0EEENS1_30default_config_static_selectorELNS0_4arch9wavefront6targetE1EEEvT1_,comdat
	.globl	_ZN7rocprim17ROCPRIM_400000_NS6detail17trampoline_kernelINS0_14default_configENS1_20scan_config_selectorIN3c108BFloat16EEEZZNS1_9scan_implILNS1_25lookback_scan_determinismE0ELb0ELb0ES3_PKS6_PS6_S6_ZZZN2at6native31launch_logcumsumexp_cuda_kernelERKNSD_10TensorBaseESH_lENKUlvE_clEvENKUlvE4_clEvEUlS6_S6_E_S6_EEDaPvRmT3_T4_T5_mT6_P12ihipStream_tbENKUlT_T0_E_clISt17integral_constantIbLb0EESY_EEDaST_SU_EUlST_E0_NS1_11comp_targetILNS1_3genE9ELNS1_11target_archE1100ELNS1_3gpuE3ELNS1_3repE0EEENS1_30default_config_static_selectorELNS0_4arch9wavefront6targetE1EEEvT1_ ; -- Begin function _ZN7rocprim17ROCPRIM_400000_NS6detail17trampoline_kernelINS0_14default_configENS1_20scan_config_selectorIN3c108BFloat16EEEZZNS1_9scan_implILNS1_25lookback_scan_determinismE0ELb0ELb0ES3_PKS6_PS6_S6_ZZZN2at6native31launch_logcumsumexp_cuda_kernelERKNSD_10TensorBaseESH_lENKUlvE_clEvENKUlvE4_clEvEUlS6_S6_E_S6_EEDaPvRmT3_T4_T5_mT6_P12ihipStream_tbENKUlT_T0_E_clISt17integral_constantIbLb0EESY_EEDaST_SU_EUlST_E0_NS1_11comp_targetILNS1_3genE9ELNS1_11target_archE1100ELNS1_3gpuE3ELNS1_3repE0EEENS1_30default_config_static_selectorELNS0_4arch9wavefront6targetE1EEEvT1_
	.p2align	8
	.type	_ZN7rocprim17ROCPRIM_400000_NS6detail17trampoline_kernelINS0_14default_configENS1_20scan_config_selectorIN3c108BFloat16EEEZZNS1_9scan_implILNS1_25lookback_scan_determinismE0ELb0ELb0ES3_PKS6_PS6_S6_ZZZN2at6native31launch_logcumsumexp_cuda_kernelERKNSD_10TensorBaseESH_lENKUlvE_clEvENKUlvE4_clEvEUlS6_S6_E_S6_EEDaPvRmT3_T4_T5_mT6_P12ihipStream_tbENKUlT_T0_E_clISt17integral_constantIbLb0EESY_EEDaST_SU_EUlST_E0_NS1_11comp_targetILNS1_3genE9ELNS1_11target_archE1100ELNS1_3gpuE3ELNS1_3repE0EEENS1_30default_config_static_selectorELNS0_4arch9wavefront6targetE1EEEvT1_,@function
_ZN7rocprim17ROCPRIM_400000_NS6detail17trampoline_kernelINS0_14default_configENS1_20scan_config_selectorIN3c108BFloat16EEEZZNS1_9scan_implILNS1_25lookback_scan_determinismE0ELb0ELb0ES3_PKS6_PS6_S6_ZZZN2at6native31launch_logcumsumexp_cuda_kernelERKNSD_10TensorBaseESH_lENKUlvE_clEvENKUlvE4_clEvEUlS6_S6_E_S6_EEDaPvRmT3_T4_T5_mT6_P12ihipStream_tbENKUlT_T0_E_clISt17integral_constantIbLb0EESY_EEDaST_SU_EUlST_E0_NS1_11comp_targetILNS1_3genE9ELNS1_11target_archE1100ELNS1_3gpuE3ELNS1_3repE0EEENS1_30default_config_static_selectorELNS0_4arch9wavefront6targetE1EEEvT1_: ; @_ZN7rocprim17ROCPRIM_400000_NS6detail17trampoline_kernelINS0_14default_configENS1_20scan_config_selectorIN3c108BFloat16EEEZZNS1_9scan_implILNS1_25lookback_scan_determinismE0ELb0ELb0ES3_PKS6_PS6_S6_ZZZN2at6native31launch_logcumsumexp_cuda_kernelERKNSD_10TensorBaseESH_lENKUlvE_clEvENKUlvE4_clEvEUlS6_S6_E_S6_EEDaPvRmT3_T4_T5_mT6_P12ihipStream_tbENKUlT_T0_E_clISt17integral_constantIbLb0EESY_EEDaST_SU_EUlST_E0_NS1_11comp_targetILNS1_3genE9ELNS1_11target_archE1100ELNS1_3gpuE3ELNS1_3repE0EEENS1_30default_config_static_selectorELNS0_4arch9wavefront6targetE1EEEvT1_
; %bb.0:
	.section	.rodata,"a",@progbits
	.p2align	6, 0x0
	.amdhsa_kernel _ZN7rocprim17ROCPRIM_400000_NS6detail17trampoline_kernelINS0_14default_configENS1_20scan_config_selectorIN3c108BFloat16EEEZZNS1_9scan_implILNS1_25lookback_scan_determinismE0ELb0ELb0ES3_PKS6_PS6_S6_ZZZN2at6native31launch_logcumsumexp_cuda_kernelERKNSD_10TensorBaseESH_lENKUlvE_clEvENKUlvE4_clEvEUlS6_S6_E_S6_EEDaPvRmT3_T4_T5_mT6_P12ihipStream_tbENKUlT_T0_E_clISt17integral_constantIbLb0EESY_EEDaST_SU_EUlST_E0_NS1_11comp_targetILNS1_3genE9ELNS1_11target_archE1100ELNS1_3gpuE3ELNS1_3repE0EEENS1_30default_config_static_selectorELNS0_4arch9wavefront6targetE1EEEvT1_
		.amdhsa_group_segment_fixed_size 0
		.amdhsa_private_segment_fixed_size 0
		.amdhsa_kernarg_size 32
		.amdhsa_user_sgpr_count 2
		.amdhsa_user_sgpr_dispatch_ptr 0
		.amdhsa_user_sgpr_queue_ptr 0
		.amdhsa_user_sgpr_kernarg_segment_ptr 1
		.amdhsa_user_sgpr_dispatch_id 0
		.amdhsa_user_sgpr_kernarg_preload_length 0
		.amdhsa_user_sgpr_kernarg_preload_offset 0
		.amdhsa_user_sgpr_private_segment_size 0
		.amdhsa_uses_dynamic_stack 0
		.amdhsa_enable_private_segment 0
		.amdhsa_system_sgpr_workgroup_id_x 1
		.amdhsa_system_sgpr_workgroup_id_y 0
		.amdhsa_system_sgpr_workgroup_id_z 0
		.amdhsa_system_sgpr_workgroup_info 0
		.amdhsa_system_vgpr_workitem_id 0
		.amdhsa_next_free_vgpr 1
		.amdhsa_next_free_sgpr 0
		.amdhsa_accum_offset 4
		.amdhsa_reserve_vcc 0
		.amdhsa_float_round_mode_32 0
		.amdhsa_float_round_mode_16_64 0
		.amdhsa_float_denorm_mode_32 3
		.amdhsa_float_denorm_mode_16_64 3
		.amdhsa_dx10_clamp 1
		.amdhsa_ieee_mode 1
		.amdhsa_fp16_overflow 0
		.amdhsa_tg_split 0
		.amdhsa_exception_fp_ieee_invalid_op 0
		.amdhsa_exception_fp_denorm_src 0
		.amdhsa_exception_fp_ieee_div_zero 0
		.amdhsa_exception_fp_ieee_overflow 0
		.amdhsa_exception_fp_ieee_underflow 0
		.amdhsa_exception_fp_ieee_inexact 0
		.amdhsa_exception_int_div_zero 0
	.end_amdhsa_kernel
	.section	.text._ZN7rocprim17ROCPRIM_400000_NS6detail17trampoline_kernelINS0_14default_configENS1_20scan_config_selectorIN3c108BFloat16EEEZZNS1_9scan_implILNS1_25lookback_scan_determinismE0ELb0ELb0ES3_PKS6_PS6_S6_ZZZN2at6native31launch_logcumsumexp_cuda_kernelERKNSD_10TensorBaseESH_lENKUlvE_clEvENKUlvE4_clEvEUlS6_S6_E_S6_EEDaPvRmT3_T4_T5_mT6_P12ihipStream_tbENKUlT_T0_E_clISt17integral_constantIbLb0EESY_EEDaST_SU_EUlST_E0_NS1_11comp_targetILNS1_3genE9ELNS1_11target_archE1100ELNS1_3gpuE3ELNS1_3repE0EEENS1_30default_config_static_selectorELNS0_4arch9wavefront6targetE1EEEvT1_,"axG",@progbits,_ZN7rocprim17ROCPRIM_400000_NS6detail17trampoline_kernelINS0_14default_configENS1_20scan_config_selectorIN3c108BFloat16EEEZZNS1_9scan_implILNS1_25lookback_scan_determinismE0ELb0ELb0ES3_PKS6_PS6_S6_ZZZN2at6native31launch_logcumsumexp_cuda_kernelERKNSD_10TensorBaseESH_lENKUlvE_clEvENKUlvE4_clEvEUlS6_S6_E_S6_EEDaPvRmT3_T4_T5_mT6_P12ihipStream_tbENKUlT_T0_E_clISt17integral_constantIbLb0EESY_EEDaST_SU_EUlST_E0_NS1_11comp_targetILNS1_3genE9ELNS1_11target_archE1100ELNS1_3gpuE3ELNS1_3repE0EEENS1_30default_config_static_selectorELNS0_4arch9wavefront6targetE1EEEvT1_,comdat
.Lfunc_end462:
	.size	_ZN7rocprim17ROCPRIM_400000_NS6detail17trampoline_kernelINS0_14default_configENS1_20scan_config_selectorIN3c108BFloat16EEEZZNS1_9scan_implILNS1_25lookback_scan_determinismE0ELb0ELb0ES3_PKS6_PS6_S6_ZZZN2at6native31launch_logcumsumexp_cuda_kernelERKNSD_10TensorBaseESH_lENKUlvE_clEvENKUlvE4_clEvEUlS6_S6_E_S6_EEDaPvRmT3_T4_T5_mT6_P12ihipStream_tbENKUlT_T0_E_clISt17integral_constantIbLb0EESY_EEDaST_SU_EUlST_E0_NS1_11comp_targetILNS1_3genE9ELNS1_11target_archE1100ELNS1_3gpuE3ELNS1_3repE0EEENS1_30default_config_static_selectorELNS0_4arch9wavefront6targetE1EEEvT1_, .Lfunc_end462-_ZN7rocprim17ROCPRIM_400000_NS6detail17trampoline_kernelINS0_14default_configENS1_20scan_config_selectorIN3c108BFloat16EEEZZNS1_9scan_implILNS1_25lookback_scan_determinismE0ELb0ELb0ES3_PKS6_PS6_S6_ZZZN2at6native31launch_logcumsumexp_cuda_kernelERKNSD_10TensorBaseESH_lENKUlvE_clEvENKUlvE4_clEvEUlS6_S6_E_S6_EEDaPvRmT3_T4_T5_mT6_P12ihipStream_tbENKUlT_T0_E_clISt17integral_constantIbLb0EESY_EEDaST_SU_EUlST_E0_NS1_11comp_targetILNS1_3genE9ELNS1_11target_archE1100ELNS1_3gpuE3ELNS1_3repE0EEENS1_30default_config_static_selectorELNS0_4arch9wavefront6targetE1EEEvT1_
                                        ; -- End function
	.set _ZN7rocprim17ROCPRIM_400000_NS6detail17trampoline_kernelINS0_14default_configENS1_20scan_config_selectorIN3c108BFloat16EEEZZNS1_9scan_implILNS1_25lookback_scan_determinismE0ELb0ELb0ES3_PKS6_PS6_S6_ZZZN2at6native31launch_logcumsumexp_cuda_kernelERKNSD_10TensorBaseESH_lENKUlvE_clEvENKUlvE4_clEvEUlS6_S6_E_S6_EEDaPvRmT3_T4_T5_mT6_P12ihipStream_tbENKUlT_T0_E_clISt17integral_constantIbLb0EESY_EEDaST_SU_EUlST_E0_NS1_11comp_targetILNS1_3genE9ELNS1_11target_archE1100ELNS1_3gpuE3ELNS1_3repE0EEENS1_30default_config_static_selectorELNS0_4arch9wavefront6targetE1EEEvT1_.num_vgpr, 0
	.set _ZN7rocprim17ROCPRIM_400000_NS6detail17trampoline_kernelINS0_14default_configENS1_20scan_config_selectorIN3c108BFloat16EEEZZNS1_9scan_implILNS1_25lookback_scan_determinismE0ELb0ELb0ES3_PKS6_PS6_S6_ZZZN2at6native31launch_logcumsumexp_cuda_kernelERKNSD_10TensorBaseESH_lENKUlvE_clEvENKUlvE4_clEvEUlS6_S6_E_S6_EEDaPvRmT3_T4_T5_mT6_P12ihipStream_tbENKUlT_T0_E_clISt17integral_constantIbLb0EESY_EEDaST_SU_EUlST_E0_NS1_11comp_targetILNS1_3genE9ELNS1_11target_archE1100ELNS1_3gpuE3ELNS1_3repE0EEENS1_30default_config_static_selectorELNS0_4arch9wavefront6targetE1EEEvT1_.num_agpr, 0
	.set _ZN7rocprim17ROCPRIM_400000_NS6detail17trampoline_kernelINS0_14default_configENS1_20scan_config_selectorIN3c108BFloat16EEEZZNS1_9scan_implILNS1_25lookback_scan_determinismE0ELb0ELb0ES3_PKS6_PS6_S6_ZZZN2at6native31launch_logcumsumexp_cuda_kernelERKNSD_10TensorBaseESH_lENKUlvE_clEvENKUlvE4_clEvEUlS6_S6_E_S6_EEDaPvRmT3_T4_T5_mT6_P12ihipStream_tbENKUlT_T0_E_clISt17integral_constantIbLb0EESY_EEDaST_SU_EUlST_E0_NS1_11comp_targetILNS1_3genE9ELNS1_11target_archE1100ELNS1_3gpuE3ELNS1_3repE0EEENS1_30default_config_static_selectorELNS0_4arch9wavefront6targetE1EEEvT1_.numbered_sgpr, 0
	.set _ZN7rocprim17ROCPRIM_400000_NS6detail17trampoline_kernelINS0_14default_configENS1_20scan_config_selectorIN3c108BFloat16EEEZZNS1_9scan_implILNS1_25lookback_scan_determinismE0ELb0ELb0ES3_PKS6_PS6_S6_ZZZN2at6native31launch_logcumsumexp_cuda_kernelERKNSD_10TensorBaseESH_lENKUlvE_clEvENKUlvE4_clEvEUlS6_S6_E_S6_EEDaPvRmT3_T4_T5_mT6_P12ihipStream_tbENKUlT_T0_E_clISt17integral_constantIbLb0EESY_EEDaST_SU_EUlST_E0_NS1_11comp_targetILNS1_3genE9ELNS1_11target_archE1100ELNS1_3gpuE3ELNS1_3repE0EEENS1_30default_config_static_selectorELNS0_4arch9wavefront6targetE1EEEvT1_.num_named_barrier, 0
	.set _ZN7rocprim17ROCPRIM_400000_NS6detail17trampoline_kernelINS0_14default_configENS1_20scan_config_selectorIN3c108BFloat16EEEZZNS1_9scan_implILNS1_25lookback_scan_determinismE0ELb0ELb0ES3_PKS6_PS6_S6_ZZZN2at6native31launch_logcumsumexp_cuda_kernelERKNSD_10TensorBaseESH_lENKUlvE_clEvENKUlvE4_clEvEUlS6_S6_E_S6_EEDaPvRmT3_T4_T5_mT6_P12ihipStream_tbENKUlT_T0_E_clISt17integral_constantIbLb0EESY_EEDaST_SU_EUlST_E0_NS1_11comp_targetILNS1_3genE9ELNS1_11target_archE1100ELNS1_3gpuE3ELNS1_3repE0EEENS1_30default_config_static_selectorELNS0_4arch9wavefront6targetE1EEEvT1_.private_seg_size, 0
	.set _ZN7rocprim17ROCPRIM_400000_NS6detail17trampoline_kernelINS0_14default_configENS1_20scan_config_selectorIN3c108BFloat16EEEZZNS1_9scan_implILNS1_25lookback_scan_determinismE0ELb0ELb0ES3_PKS6_PS6_S6_ZZZN2at6native31launch_logcumsumexp_cuda_kernelERKNSD_10TensorBaseESH_lENKUlvE_clEvENKUlvE4_clEvEUlS6_S6_E_S6_EEDaPvRmT3_T4_T5_mT6_P12ihipStream_tbENKUlT_T0_E_clISt17integral_constantIbLb0EESY_EEDaST_SU_EUlST_E0_NS1_11comp_targetILNS1_3genE9ELNS1_11target_archE1100ELNS1_3gpuE3ELNS1_3repE0EEENS1_30default_config_static_selectorELNS0_4arch9wavefront6targetE1EEEvT1_.uses_vcc, 0
	.set _ZN7rocprim17ROCPRIM_400000_NS6detail17trampoline_kernelINS0_14default_configENS1_20scan_config_selectorIN3c108BFloat16EEEZZNS1_9scan_implILNS1_25lookback_scan_determinismE0ELb0ELb0ES3_PKS6_PS6_S6_ZZZN2at6native31launch_logcumsumexp_cuda_kernelERKNSD_10TensorBaseESH_lENKUlvE_clEvENKUlvE4_clEvEUlS6_S6_E_S6_EEDaPvRmT3_T4_T5_mT6_P12ihipStream_tbENKUlT_T0_E_clISt17integral_constantIbLb0EESY_EEDaST_SU_EUlST_E0_NS1_11comp_targetILNS1_3genE9ELNS1_11target_archE1100ELNS1_3gpuE3ELNS1_3repE0EEENS1_30default_config_static_selectorELNS0_4arch9wavefront6targetE1EEEvT1_.uses_flat_scratch, 0
	.set _ZN7rocprim17ROCPRIM_400000_NS6detail17trampoline_kernelINS0_14default_configENS1_20scan_config_selectorIN3c108BFloat16EEEZZNS1_9scan_implILNS1_25lookback_scan_determinismE0ELb0ELb0ES3_PKS6_PS6_S6_ZZZN2at6native31launch_logcumsumexp_cuda_kernelERKNSD_10TensorBaseESH_lENKUlvE_clEvENKUlvE4_clEvEUlS6_S6_E_S6_EEDaPvRmT3_T4_T5_mT6_P12ihipStream_tbENKUlT_T0_E_clISt17integral_constantIbLb0EESY_EEDaST_SU_EUlST_E0_NS1_11comp_targetILNS1_3genE9ELNS1_11target_archE1100ELNS1_3gpuE3ELNS1_3repE0EEENS1_30default_config_static_selectorELNS0_4arch9wavefront6targetE1EEEvT1_.has_dyn_sized_stack, 0
	.set _ZN7rocprim17ROCPRIM_400000_NS6detail17trampoline_kernelINS0_14default_configENS1_20scan_config_selectorIN3c108BFloat16EEEZZNS1_9scan_implILNS1_25lookback_scan_determinismE0ELb0ELb0ES3_PKS6_PS6_S6_ZZZN2at6native31launch_logcumsumexp_cuda_kernelERKNSD_10TensorBaseESH_lENKUlvE_clEvENKUlvE4_clEvEUlS6_S6_E_S6_EEDaPvRmT3_T4_T5_mT6_P12ihipStream_tbENKUlT_T0_E_clISt17integral_constantIbLb0EESY_EEDaST_SU_EUlST_E0_NS1_11comp_targetILNS1_3genE9ELNS1_11target_archE1100ELNS1_3gpuE3ELNS1_3repE0EEENS1_30default_config_static_selectorELNS0_4arch9wavefront6targetE1EEEvT1_.has_recursion, 0
	.set _ZN7rocprim17ROCPRIM_400000_NS6detail17trampoline_kernelINS0_14default_configENS1_20scan_config_selectorIN3c108BFloat16EEEZZNS1_9scan_implILNS1_25lookback_scan_determinismE0ELb0ELb0ES3_PKS6_PS6_S6_ZZZN2at6native31launch_logcumsumexp_cuda_kernelERKNSD_10TensorBaseESH_lENKUlvE_clEvENKUlvE4_clEvEUlS6_S6_E_S6_EEDaPvRmT3_T4_T5_mT6_P12ihipStream_tbENKUlT_T0_E_clISt17integral_constantIbLb0EESY_EEDaST_SU_EUlST_E0_NS1_11comp_targetILNS1_3genE9ELNS1_11target_archE1100ELNS1_3gpuE3ELNS1_3repE0EEENS1_30default_config_static_selectorELNS0_4arch9wavefront6targetE1EEEvT1_.has_indirect_call, 0
	.section	.AMDGPU.csdata,"",@progbits
; Kernel info:
; codeLenInByte = 0
; TotalNumSgprs: 6
; NumVgprs: 0
; NumAgprs: 0
; TotalNumVgprs: 0
; ScratchSize: 0
; MemoryBound: 0
; FloatMode: 240
; IeeeMode: 1
; LDSByteSize: 0 bytes/workgroup (compile time only)
; SGPRBlocks: 0
; VGPRBlocks: 0
; NumSGPRsForWavesPerEU: 6
; NumVGPRsForWavesPerEU: 1
; AccumOffset: 4
; Occupancy: 8
; WaveLimiterHint : 0
; COMPUTE_PGM_RSRC2:SCRATCH_EN: 0
; COMPUTE_PGM_RSRC2:USER_SGPR: 2
; COMPUTE_PGM_RSRC2:TRAP_HANDLER: 0
; COMPUTE_PGM_RSRC2:TGID_X_EN: 1
; COMPUTE_PGM_RSRC2:TGID_Y_EN: 0
; COMPUTE_PGM_RSRC2:TGID_Z_EN: 0
; COMPUTE_PGM_RSRC2:TIDIG_COMP_CNT: 0
; COMPUTE_PGM_RSRC3_GFX90A:ACCUM_OFFSET: 0
; COMPUTE_PGM_RSRC3_GFX90A:TG_SPLIT: 0
	.section	.text._ZN7rocprim17ROCPRIM_400000_NS6detail17trampoline_kernelINS0_14default_configENS1_20scan_config_selectorIN3c108BFloat16EEEZZNS1_9scan_implILNS1_25lookback_scan_determinismE0ELb0ELb0ES3_PKS6_PS6_S6_ZZZN2at6native31launch_logcumsumexp_cuda_kernelERKNSD_10TensorBaseESH_lENKUlvE_clEvENKUlvE4_clEvEUlS6_S6_E_S6_EEDaPvRmT3_T4_T5_mT6_P12ihipStream_tbENKUlT_T0_E_clISt17integral_constantIbLb0EESY_EEDaST_SU_EUlST_E0_NS1_11comp_targetILNS1_3genE8ELNS1_11target_archE1030ELNS1_3gpuE2ELNS1_3repE0EEENS1_30default_config_static_selectorELNS0_4arch9wavefront6targetE1EEEvT1_,"axG",@progbits,_ZN7rocprim17ROCPRIM_400000_NS6detail17trampoline_kernelINS0_14default_configENS1_20scan_config_selectorIN3c108BFloat16EEEZZNS1_9scan_implILNS1_25lookback_scan_determinismE0ELb0ELb0ES3_PKS6_PS6_S6_ZZZN2at6native31launch_logcumsumexp_cuda_kernelERKNSD_10TensorBaseESH_lENKUlvE_clEvENKUlvE4_clEvEUlS6_S6_E_S6_EEDaPvRmT3_T4_T5_mT6_P12ihipStream_tbENKUlT_T0_E_clISt17integral_constantIbLb0EESY_EEDaST_SU_EUlST_E0_NS1_11comp_targetILNS1_3genE8ELNS1_11target_archE1030ELNS1_3gpuE2ELNS1_3repE0EEENS1_30default_config_static_selectorELNS0_4arch9wavefront6targetE1EEEvT1_,comdat
	.globl	_ZN7rocprim17ROCPRIM_400000_NS6detail17trampoline_kernelINS0_14default_configENS1_20scan_config_selectorIN3c108BFloat16EEEZZNS1_9scan_implILNS1_25lookback_scan_determinismE0ELb0ELb0ES3_PKS6_PS6_S6_ZZZN2at6native31launch_logcumsumexp_cuda_kernelERKNSD_10TensorBaseESH_lENKUlvE_clEvENKUlvE4_clEvEUlS6_S6_E_S6_EEDaPvRmT3_T4_T5_mT6_P12ihipStream_tbENKUlT_T0_E_clISt17integral_constantIbLb0EESY_EEDaST_SU_EUlST_E0_NS1_11comp_targetILNS1_3genE8ELNS1_11target_archE1030ELNS1_3gpuE2ELNS1_3repE0EEENS1_30default_config_static_selectorELNS0_4arch9wavefront6targetE1EEEvT1_ ; -- Begin function _ZN7rocprim17ROCPRIM_400000_NS6detail17trampoline_kernelINS0_14default_configENS1_20scan_config_selectorIN3c108BFloat16EEEZZNS1_9scan_implILNS1_25lookback_scan_determinismE0ELb0ELb0ES3_PKS6_PS6_S6_ZZZN2at6native31launch_logcumsumexp_cuda_kernelERKNSD_10TensorBaseESH_lENKUlvE_clEvENKUlvE4_clEvEUlS6_S6_E_S6_EEDaPvRmT3_T4_T5_mT6_P12ihipStream_tbENKUlT_T0_E_clISt17integral_constantIbLb0EESY_EEDaST_SU_EUlST_E0_NS1_11comp_targetILNS1_3genE8ELNS1_11target_archE1030ELNS1_3gpuE2ELNS1_3repE0EEENS1_30default_config_static_selectorELNS0_4arch9wavefront6targetE1EEEvT1_
	.p2align	8
	.type	_ZN7rocprim17ROCPRIM_400000_NS6detail17trampoline_kernelINS0_14default_configENS1_20scan_config_selectorIN3c108BFloat16EEEZZNS1_9scan_implILNS1_25lookback_scan_determinismE0ELb0ELb0ES3_PKS6_PS6_S6_ZZZN2at6native31launch_logcumsumexp_cuda_kernelERKNSD_10TensorBaseESH_lENKUlvE_clEvENKUlvE4_clEvEUlS6_S6_E_S6_EEDaPvRmT3_T4_T5_mT6_P12ihipStream_tbENKUlT_T0_E_clISt17integral_constantIbLb0EESY_EEDaST_SU_EUlST_E0_NS1_11comp_targetILNS1_3genE8ELNS1_11target_archE1030ELNS1_3gpuE2ELNS1_3repE0EEENS1_30default_config_static_selectorELNS0_4arch9wavefront6targetE1EEEvT1_,@function
_ZN7rocprim17ROCPRIM_400000_NS6detail17trampoline_kernelINS0_14default_configENS1_20scan_config_selectorIN3c108BFloat16EEEZZNS1_9scan_implILNS1_25lookback_scan_determinismE0ELb0ELb0ES3_PKS6_PS6_S6_ZZZN2at6native31launch_logcumsumexp_cuda_kernelERKNSD_10TensorBaseESH_lENKUlvE_clEvENKUlvE4_clEvEUlS6_S6_E_S6_EEDaPvRmT3_T4_T5_mT6_P12ihipStream_tbENKUlT_T0_E_clISt17integral_constantIbLb0EESY_EEDaST_SU_EUlST_E0_NS1_11comp_targetILNS1_3genE8ELNS1_11target_archE1030ELNS1_3gpuE2ELNS1_3repE0EEENS1_30default_config_static_selectorELNS0_4arch9wavefront6targetE1EEEvT1_: ; @_ZN7rocprim17ROCPRIM_400000_NS6detail17trampoline_kernelINS0_14default_configENS1_20scan_config_selectorIN3c108BFloat16EEEZZNS1_9scan_implILNS1_25lookback_scan_determinismE0ELb0ELb0ES3_PKS6_PS6_S6_ZZZN2at6native31launch_logcumsumexp_cuda_kernelERKNSD_10TensorBaseESH_lENKUlvE_clEvENKUlvE4_clEvEUlS6_S6_E_S6_EEDaPvRmT3_T4_T5_mT6_P12ihipStream_tbENKUlT_T0_E_clISt17integral_constantIbLb0EESY_EEDaST_SU_EUlST_E0_NS1_11comp_targetILNS1_3genE8ELNS1_11target_archE1030ELNS1_3gpuE2ELNS1_3repE0EEENS1_30default_config_static_selectorELNS0_4arch9wavefront6targetE1EEEvT1_
; %bb.0:
	.section	.rodata,"a",@progbits
	.p2align	6, 0x0
	.amdhsa_kernel _ZN7rocprim17ROCPRIM_400000_NS6detail17trampoline_kernelINS0_14default_configENS1_20scan_config_selectorIN3c108BFloat16EEEZZNS1_9scan_implILNS1_25lookback_scan_determinismE0ELb0ELb0ES3_PKS6_PS6_S6_ZZZN2at6native31launch_logcumsumexp_cuda_kernelERKNSD_10TensorBaseESH_lENKUlvE_clEvENKUlvE4_clEvEUlS6_S6_E_S6_EEDaPvRmT3_T4_T5_mT6_P12ihipStream_tbENKUlT_T0_E_clISt17integral_constantIbLb0EESY_EEDaST_SU_EUlST_E0_NS1_11comp_targetILNS1_3genE8ELNS1_11target_archE1030ELNS1_3gpuE2ELNS1_3repE0EEENS1_30default_config_static_selectorELNS0_4arch9wavefront6targetE1EEEvT1_
		.amdhsa_group_segment_fixed_size 0
		.amdhsa_private_segment_fixed_size 0
		.amdhsa_kernarg_size 32
		.amdhsa_user_sgpr_count 2
		.amdhsa_user_sgpr_dispatch_ptr 0
		.amdhsa_user_sgpr_queue_ptr 0
		.amdhsa_user_sgpr_kernarg_segment_ptr 1
		.amdhsa_user_sgpr_dispatch_id 0
		.amdhsa_user_sgpr_kernarg_preload_length 0
		.amdhsa_user_sgpr_kernarg_preload_offset 0
		.amdhsa_user_sgpr_private_segment_size 0
		.amdhsa_uses_dynamic_stack 0
		.amdhsa_enable_private_segment 0
		.amdhsa_system_sgpr_workgroup_id_x 1
		.amdhsa_system_sgpr_workgroup_id_y 0
		.amdhsa_system_sgpr_workgroup_id_z 0
		.amdhsa_system_sgpr_workgroup_info 0
		.amdhsa_system_vgpr_workitem_id 0
		.amdhsa_next_free_vgpr 1
		.amdhsa_next_free_sgpr 0
		.amdhsa_accum_offset 4
		.amdhsa_reserve_vcc 0
		.amdhsa_float_round_mode_32 0
		.amdhsa_float_round_mode_16_64 0
		.amdhsa_float_denorm_mode_32 3
		.amdhsa_float_denorm_mode_16_64 3
		.amdhsa_dx10_clamp 1
		.amdhsa_ieee_mode 1
		.amdhsa_fp16_overflow 0
		.amdhsa_tg_split 0
		.amdhsa_exception_fp_ieee_invalid_op 0
		.amdhsa_exception_fp_denorm_src 0
		.amdhsa_exception_fp_ieee_div_zero 0
		.amdhsa_exception_fp_ieee_overflow 0
		.amdhsa_exception_fp_ieee_underflow 0
		.amdhsa_exception_fp_ieee_inexact 0
		.amdhsa_exception_int_div_zero 0
	.end_amdhsa_kernel
	.section	.text._ZN7rocprim17ROCPRIM_400000_NS6detail17trampoline_kernelINS0_14default_configENS1_20scan_config_selectorIN3c108BFloat16EEEZZNS1_9scan_implILNS1_25lookback_scan_determinismE0ELb0ELb0ES3_PKS6_PS6_S6_ZZZN2at6native31launch_logcumsumexp_cuda_kernelERKNSD_10TensorBaseESH_lENKUlvE_clEvENKUlvE4_clEvEUlS6_S6_E_S6_EEDaPvRmT3_T4_T5_mT6_P12ihipStream_tbENKUlT_T0_E_clISt17integral_constantIbLb0EESY_EEDaST_SU_EUlST_E0_NS1_11comp_targetILNS1_3genE8ELNS1_11target_archE1030ELNS1_3gpuE2ELNS1_3repE0EEENS1_30default_config_static_selectorELNS0_4arch9wavefront6targetE1EEEvT1_,"axG",@progbits,_ZN7rocprim17ROCPRIM_400000_NS6detail17trampoline_kernelINS0_14default_configENS1_20scan_config_selectorIN3c108BFloat16EEEZZNS1_9scan_implILNS1_25lookback_scan_determinismE0ELb0ELb0ES3_PKS6_PS6_S6_ZZZN2at6native31launch_logcumsumexp_cuda_kernelERKNSD_10TensorBaseESH_lENKUlvE_clEvENKUlvE4_clEvEUlS6_S6_E_S6_EEDaPvRmT3_T4_T5_mT6_P12ihipStream_tbENKUlT_T0_E_clISt17integral_constantIbLb0EESY_EEDaST_SU_EUlST_E0_NS1_11comp_targetILNS1_3genE8ELNS1_11target_archE1030ELNS1_3gpuE2ELNS1_3repE0EEENS1_30default_config_static_selectorELNS0_4arch9wavefront6targetE1EEEvT1_,comdat
.Lfunc_end463:
	.size	_ZN7rocprim17ROCPRIM_400000_NS6detail17trampoline_kernelINS0_14default_configENS1_20scan_config_selectorIN3c108BFloat16EEEZZNS1_9scan_implILNS1_25lookback_scan_determinismE0ELb0ELb0ES3_PKS6_PS6_S6_ZZZN2at6native31launch_logcumsumexp_cuda_kernelERKNSD_10TensorBaseESH_lENKUlvE_clEvENKUlvE4_clEvEUlS6_S6_E_S6_EEDaPvRmT3_T4_T5_mT6_P12ihipStream_tbENKUlT_T0_E_clISt17integral_constantIbLb0EESY_EEDaST_SU_EUlST_E0_NS1_11comp_targetILNS1_3genE8ELNS1_11target_archE1030ELNS1_3gpuE2ELNS1_3repE0EEENS1_30default_config_static_selectorELNS0_4arch9wavefront6targetE1EEEvT1_, .Lfunc_end463-_ZN7rocprim17ROCPRIM_400000_NS6detail17trampoline_kernelINS0_14default_configENS1_20scan_config_selectorIN3c108BFloat16EEEZZNS1_9scan_implILNS1_25lookback_scan_determinismE0ELb0ELb0ES3_PKS6_PS6_S6_ZZZN2at6native31launch_logcumsumexp_cuda_kernelERKNSD_10TensorBaseESH_lENKUlvE_clEvENKUlvE4_clEvEUlS6_S6_E_S6_EEDaPvRmT3_T4_T5_mT6_P12ihipStream_tbENKUlT_T0_E_clISt17integral_constantIbLb0EESY_EEDaST_SU_EUlST_E0_NS1_11comp_targetILNS1_3genE8ELNS1_11target_archE1030ELNS1_3gpuE2ELNS1_3repE0EEENS1_30default_config_static_selectorELNS0_4arch9wavefront6targetE1EEEvT1_
                                        ; -- End function
	.set _ZN7rocprim17ROCPRIM_400000_NS6detail17trampoline_kernelINS0_14default_configENS1_20scan_config_selectorIN3c108BFloat16EEEZZNS1_9scan_implILNS1_25lookback_scan_determinismE0ELb0ELb0ES3_PKS6_PS6_S6_ZZZN2at6native31launch_logcumsumexp_cuda_kernelERKNSD_10TensorBaseESH_lENKUlvE_clEvENKUlvE4_clEvEUlS6_S6_E_S6_EEDaPvRmT3_T4_T5_mT6_P12ihipStream_tbENKUlT_T0_E_clISt17integral_constantIbLb0EESY_EEDaST_SU_EUlST_E0_NS1_11comp_targetILNS1_3genE8ELNS1_11target_archE1030ELNS1_3gpuE2ELNS1_3repE0EEENS1_30default_config_static_selectorELNS0_4arch9wavefront6targetE1EEEvT1_.num_vgpr, 0
	.set _ZN7rocprim17ROCPRIM_400000_NS6detail17trampoline_kernelINS0_14default_configENS1_20scan_config_selectorIN3c108BFloat16EEEZZNS1_9scan_implILNS1_25lookback_scan_determinismE0ELb0ELb0ES3_PKS6_PS6_S6_ZZZN2at6native31launch_logcumsumexp_cuda_kernelERKNSD_10TensorBaseESH_lENKUlvE_clEvENKUlvE4_clEvEUlS6_S6_E_S6_EEDaPvRmT3_T4_T5_mT6_P12ihipStream_tbENKUlT_T0_E_clISt17integral_constantIbLb0EESY_EEDaST_SU_EUlST_E0_NS1_11comp_targetILNS1_3genE8ELNS1_11target_archE1030ELNS1_3gpuE2ELNS1_3repE0EEENS1_30default_config_static_selectorELNS0_4arch9wavefront6targetE1EEEvT1_.num_agpr, 0
	.set _ZN7rocprim17ROCPRIM_400000_NS6detail17trampoline_kernelINS0_14default_configENS1_20scan_config_selectorIN3c108BFloat16EEEZZNS1_9scan_implILNS1_25lookback_scan_determinismE0ELb0ELb0ES3_PKS6_PS6_S6_ZZZN2at6native31launch_logcumsumexp_cuda_kernelERKNSD_10TensorBaseESH_lENKUlvE_clEvENKUlvE4_clEvEUlS6_S6_E_S6_EEDaPvRmT3_T4_T5_mT6_P12ihipStream_tbENKUlT_T0_E_clISt17integral_constantIbLb0EESY_EEDaST_SU_EUlST_E0_NS1_11comp_targetILNS1_3genE8ELNS1_11target_archE1030ELNS1_3gpuE2ELNS1_3repE0EEENS1_30default_config_static_selectorELNS0_4arch9wavefront6targetE1EEEvT1_.numbered_sgpr, 0
	.set _ZN7rocprim17ROCPRIM_400000_NS6detail17trampoline_kernelINS0_14default_configENS1_20scan_config_selectorIN3c108BFloat16EEEZZNS1_9scan_implILNS1_25lookback_scan_determinismE0ELb0ELb0ES3_PKS6_PS6_S6_ZZZN2at6native31launch_logcumsumexp_cuda_kernelERKNSD_10TensorBaseESH_lENKUlvE_clEvENKUlvE4_clEvEUlS6_S6_E_S6_EEDaPvRmT3_T4_T5_mT6_P12ihipStream_tbENKUlT_T0_E_clISt17integral_constantIbLb0EESY_EEDaST_SU_EUlST_E0_NS1_11comp_targetILNS1_3genE8ELNS1_11target_archE1030ELNS1_3gpuE2ELNS1_3repE0EEENS1_30default_config_static_selectorELNS0_4arch9wavefront6targetE1EEEvT1_.num_named_barrier, 0
	.set _ZN7rocprim17ROCPRIM_400000_NS6detail17trampoline_kernelINS0_14default_configENS1_20scan_config_selectorIN3c108BFloat16EEEZZNS1_9scan_implILNS1_25lookback_scan_determinismE0ELb0ELb0ES3_PKS6_PS6_S6_ZZZN2at6native31launch_logcumsumexp_cuda_kernelERKNSD_10TensorBaseESH_lENKUlvE_clEvENKUlvE4_clEvEUlS6_S6_E_S6_EEDaPvRmT3_T4_T5_mT6_P12ihipStream_tbENKUlT_T0_E_clISt17integral_constantIbLb0EESY_EEDaST_SU_EUlST_E0_NS1_11comp_targetILNS1_3genE8ELNS1_11target_archE1030ELNS1_3gpuE2ELNS1_3repE0EEENS1_30default_config_static_selectorELNS0_4arch9wavefront6targetE1EEEvT1_.private_seg_size, 0
	.set _ZN7rocprim17ROCPRIM_400000_NS6detail17trampoline_kernelINS0_14default_configENS1_20scan_config_selectorIN3c108BFloat16EEEZZNS1_9scan_implILNS1_25lookback_scan_determinismE0ELb0ELb0ES3_PKS6_PS6_S6_ZZZN2at6native31launch_logcumsumexp_cuda_kernelERKNSD_10TensorBaseESH_lENKUlvE_clEvENKUlvE4_clEvEUlS6_S6_E_S6_EEDaPvRmT3_T4_T5_mT6_P12ihipStream_tbENKUlT_T0_E_clISt17integral_constantIbLb0EESY_EEDaST_SU_EUlST_E0_NS1_11comp_targetILNS1_3genE8ELNS1_11target_archE1030ELNS1_3gpuE2ELNS1_3repE0EEENS1_30default_config_static_selectorELNS0_4arch9wavefront6targetE1EEEvT1_.uses_vcc, 0
	.set _ZN7rocprim17ROCPRIM_400000_NS6detail17trampoline_kernelINS0_14default_configENS1_20scan_config_selectorIN3c108BFloat16EEEZZNS1_9scan_implILNS1_25lookback_scan_determinismE0ELb0ELb0ES3_PKS6_PS6_S6_ZZZN2at6native31launch_logcumsumexp_cuda_kernelERKNSD_10TensorBaseESH_lENKUlvE_clEvENKUlvE4_clEvEUlS6_S6_E_S6_EEDaPvRmT3_T4_T5_mT6_P12ihipStream_tbENKUlT_T0_E_clISt17integral_constantIbLb0EESY_EEDaST_SU_EUlST_E0_NS1_11comp_targetILNS1_3genE8ELNS1_11target_archE1030ELNS1_3gpuE2ELNS1_3repE0EEENS1_30default_config_static_selectorELNS0_4arch9wavefront6targetE1EEEvT1_.uses_flat_scratch, 0
	.set _ZN7rocprim17ROCPRIM_400000_NS6detail17trampoline_kernelINS0_14default_configENS1_20scan_config_selectorIN3c108BFloat16EEEZZNS1_9scan_implILNS1_25lookback_scan_determinismE0ELb0ELb0ES3_PKS6_PS6_S6_ZZZN2at6native31launch_logcumsumexp_cuda_kernelERKNSD_10TensorBaseESH_lENKUlvE_clEvENKUlvE4_clEvEUlS6_S6_E_S6_EEDaPvRmT3_T4_T5_mT6_P12ihipStream_tbENKUlT_T0_E_clISt17integral_constantIbLb0EESY_EEDaST_SU_EUlST_E0_NS1_11comp_targetILNS1_3genE8ELNS1_11target_archE1030ELNS1_3gpuE2ELNS1_3repE0EEENS1_30default_config_static_selectorELNS0_4arch9wavefront6targetE1EEEvT1_.has_dyn_sized_stack, 0
	.set _ZN7rocprim17ROCPRIM_400000_NS6detail17trampoline_kernelINS0_14default_configENS1_20scan_config_selectorIN3c108BFloat16EEEZZNS1_9scan_implILNS1_25lookback_scan_determinismE0ELb0ELb0ES3_PKS6_PS6_S6_ZZZN2at6native31launch_logcumsumexp_cuda_kernelERKNSD_10TensorBaseESH_lENKUlvE_clEvENKUlvE4_clEvEUlS6_S6_E_S6_EEDaPvRmT3_T4_T5_mT6_P12ihipStream_tbENKUlT_T0_E_clISt17integral_constantIbLb0EESY_EEDaST_SU_EUlST_E0_NS1_11comp_targetILNS1_3genE8ELNS1_11target_archE1030ELNS1_3gpuE2ELNS1_3repE0EEENS1_30default_config_static_selectorELNS0_4arch9wavefront6targetE1EEEvT1_.has_recursion, 0
	.set _ZN7rocprim17ROCPRIM_400000_NS6detail17trampoline_kernelINS0_14default_configENS1_20scan_config_selectorIN3c108BFloat16EEEZZNS1_9scan_implILNS1_25lookback_scan_determinismE0ELb0ELb0ES3_PKS6_PS6_S6_ZZZN2at6native31launch_logcumsumexp_cuda_kernelERKNSD_10TensorBaseESH_lENKUlvE_clEvENKUlvE4_clEvEUlS6_S6_E_S6_EEDaPvRmT3_T4_T5_mT6_P12ihipStream_tbENKUlT_T0_E_clISt17integral_constantIbLb0EESY_EEDaST_SU_EUlST_E0_NS1_11comp_targetILNS1_3genE8ELNS1_11target_archE1030ELNS1_3gpuE2ELNS1_3repE0EEENS1_30default_config_static_selectorELNS0_4arch9wavefront6targetE1EEEvT1_.has_indirect_call, 0
	.section	.AMDGPU.csdata,"",@progbits
; Kernel info:
; codeLenInByte = 0
; TotalNumSgprs: 6
; NumVgprs: 0
; NumAgprs: 0
; TotalNumVgprs: 0
; ScratchSize: 0
; MemoryBound: 0
; FloatMode: 240
; IeeeMode: 1
; LDSByteSize: 0 bytes/workgroup (compile time only)
; SGPRBlocks: 0
; VGPRBlocks: 0
; NumSGPRsForWavesPerEU: 6
; NumVGPRsForWavesPerEU: 1
; AccumOffset: 4
; Occupancy: 8
; WaveLimiterHint : 0
; COMPUTE_PGM_RSRC2:SCRATCH_EN: 0
; COMPUTE_PGM_RSRC2:USER_SGPR: 2
; COMPUTE_PGM_RSRC2:TRAP_HANDLER: 0
; COMPUTE_PGM_RSRC2:TGID_X_EN: 1
; COMPUTE_PGM_RSRC2:TGID_Y_EN: 0
; COMPUTE_PGM_RSRC2:TGID_Z_EN: 0
; COMPUTE_PGM_RSRC2:TIDIG_COMP_CNT: 0
; COMPUTE_PGM_RSRC3_GFX90A:ACCUM_OFFSET: 0
; COMPUTE_PGM_RSRC3_GFX90A:TG_SPLIT: 0
	.section	.text._ZN7rocprim17ROCPRIM_400000_NS6detail31init_lookback_scan_state_kernelINS1_19lookback_scan_stateIN3c108BFloat16ELb1ELb1EEENS1_16block_id_wrapperIjLb1EEEEEvT_jT0_jPNS9_10value_typeE,"axG",@progbits,_ZN7rocprim17ROCPRIM_400000_NS6detail31init_lookback_scan_state_kernelINS1_19lookback_scan_stateIN3c108BFloat16ELb1ELb1EEENS1_16block_id_wrapperIjLb1EEEEEvT_jT0_jPNS9_10value_typeE,comdat
	.protected	_ZN7rocprim17ROCPRIM_400000_NS6detail31init_lookback_scan_state_kernelINS1_19lookback_scan_stateIN3c108BFloat16ELb1ELb1EEENS1_16block_id_wrapperIjLb1EEEEEvT_jT0_jPNS9_10value_typeE ; -- Begin function _ZN7rocprim17ROCPRIM_400000_NS6detail31init_lookback_scan_state_kernelINS1_19lookback_scan_stateIN3c108BFloat16ELb1ELb1EEENS1_16block_id_wrapperIjLb1EEEEEvT_jT0_jPNS9_10value_typeE
	.globl	_ZN7rocprim17ROCPRIM_400000_NS6detail31init_lookback_scan_state_kernelINS1_19lookback_scan_stateIN3c108BFloat16ELb1ELb1EEENS1_16block_id_wrapperIjLb1EEEEEvT_jT0_jPNS9_10value_typeE
	.p2align	8
	.type	_ZN7rocprim17ROCPRIM_400000_NS6detail31init_lookback_scan_state_kernelINS1_19lookback_scan_stateIN3c108BFloat16ELb1ELb1EEENS1_16block_id_wrapperIjLb1EEEEEvT_jT0_jPNS9_10value_typeE,@function
_ZN7rocprim17ROCPRIM_400000_NS6detail31init_lookback_scan_state_kernelINS1_19lookback_scan_stateIN3c108BFloat16ELb1ELb1EEENS1_16block_id_wrapperIjLb1EEEEEvT_jT0_jPNS9_10value_typeE: ; @_ZN7rocprim17ROCPRIM_400000_NS6detail31init_lookback_scan_state_kernelINS1_19lookback_scan_stateIN3c108BFloat16ELb1ELb1EEENS1_16block_id_wrapperIjLb1EEEEEvT_jT0_jPNS9_10value_typeE
; %bb.0:
	s_load_dword s3, s[0:1], 0x34
	s_load_dwordx2 s[6:7], s[0:1], 0x20
	s_load_dwordx2 s[4:5], s[0:1], 0x0
	s_load_dword s10, s[0:1], 0x8
	s_waitcnt lgkmcnt(0)
	s_and_b32 s3, s3, 0xffff
	s_mul_i32 s2, s2, s3
	s_cmp_eq_u64 s[6:7], 0
	v_add_u32_e32 v0, s2, v0
	s_cbranch_scc1 .LBB464_9
; %bb.1:
	s_load_dword s8, s[0:1], 0x18
	s_mov_b32 s9, 0
	s_waitcnt lgkmcnt(0)
	s_cmp_lt_u32 s8, s10
	s_cselect_b32 s2, s8, 0
	v_cmp_eq_u32_e32 vcc, s2, v0
	s_and_saveexec_b64 s[2:3], vcc
	s_cbranch_execz .LBB464_8
; %bb.2:
	s_add_i32 s8, s8, 64
	s_lshl_b64 s[8:9], s[8:9], 2
	s_add_u32 s8, s4, s8
	s_addc_u32 s9, s5, s9
	v_mov_b32_e32 v1, 0
	global_load_dword v2, v1, s[8:9] sc1
	s_waitcnt vmcnt(0)
	v_and_b32_e32 v3, 0xff0000, v2
	v_cmp_ne_u32_e32 vcc, 0, v3
	s_cbranch_vccnz .LBB464_7
; %bb.3:
	s_mov_b32 s11, 1
.LBB464_4:                              ; =>This Loop Header: Depth=1
                                        ;     Child Loop BB464_5 Depth 2
	s_mov_b32 s12, s11
.LBB464_5:                              ;   Parent Loop BB464_4 Depth=1
                                        ; =>  This Inner Loop Header: Depth=2
	s_add_i32 s12, s12, -1
	s_cmp_eq_u32 s12, 0
	s_sleep 1
	s_cbranch_scc0 .LBB464_5
; %bb.6:                                ;   in Loop: Header=BB464_4 Depth=1
	global_load_dword v2, v1, s[8:9] sc1
	s_cmp_lt_u32 s11, 32
	s_cselect_b64 s[12:13], -1, 0
	s_cmp_lg_u64 s[12:13], 0
	s_addc_u32 s11, s11, 0
	s_waitcnt vmcnt(0)
	v_and_b32_e32 v3, 0xff0000, v2
	v_cmp_ne_u32_e32 vcc, 0, v3
	s_cbranch_vccz .LBB464_4
.LBB464_7:
	v_mov_b32_e32 v1, 0
	global_store_short v1, v2, s[6:7]
.LBB464_8:
	s_or_b64 exec, exec, s[2:3]
.LBB464_9:
	v_cmp_eq_u32_e32 vcc, 0, v0
	s_and_saveexec_b64 s[2:3], vcc
	s_cbranch_execnz .LBB464_13
; %bb.10:
	s_or_b64 exec, exec, s[2:3]
	v_cmp_gt_u32_e32 vcc, s10, v0
	s_and_saveexec_b64 s[0:1], vcc
	s_cbranch_execnz .LBB464_14
.LBB464_11:
	s_or_b64 exec, exec, s[0:1]
	v_cmp_gt_u32_e32 vcc, 64, v0
	s_and_saveexec_b64 s[0:1], vcc
	s_cbranch_execnz .LBB464_15
.LBB464_12:
	s_endpgm
.LBB464_13:
	s_load_dwordx2 s[0:1], s[0:1], 0x10
	v_mov_b32_e32 v1, 0
	s_waitcnt lgkmcnt(0)
	global_store_dword v1, v1, s[0:1]
	s_or_b64 exec, exec, s[2:3]
	v_cmp_gt_u32_e32 vcc, s10, v0
	s_and_saveexec_b64 s[0:1], vcc
	s_cbranch_execz .LBB464_11
.LBB464_14:
	v_add_u32_e32 v2, 64, v0
	v_mov_b32_e32 v3, 0
	v_lshl_add_u64 v[4:5], v[2:3], 2, s[4:5]
	global_store_dword v[4:5], v3, off
	s_or_b64 exec, exec, s[0:1]
	v_cmp_gt_u32_e32 vcc, 64, v0
	s_and_saveexec_b64 s[0:1], vcc
	s_cbranch_execz .LBB464_12
.LBB464_15:
	v_mov_b32_e32 v1, 0
	v_lshl_add_u64 v[0:1], v[0:1], 2, s[4:5]
	v_mov_b32_e32 v2, 0xff0000
	global_store_dword v[0:1], v2, off
	s_endpgm
	.section	.rodata,"a",@progbits
	.p2align	6, 0x0
	.amdhsa_kernel _ZN7rocprim17ROCPRIM_400000_NS6detail31init_lookback_scan_state_kernelINS1_19lookback_scan_stateIN3c108BFloat16ELb1ELb1EEENS1_16block_id_wrapperIjLb1EEEEEvT_jT0_jPNS9_10value_typeE
		.amdhsa_group_segment_fixed_size 0
		.amdhsa_private_segment_fixed_size 0
		.amdhsa_kernarg_size 296
		.amdhsa_user_sgpr_count 2
		.amdhsa_user_sgpr_dispatch_ptr 0
		.amdhsa_user_sgpr_queue_ptr 0
		.amdhsa_user_sgpr_kernarg_segment_ptr 1
		.amdhsa_user_sgpr_dispatch_id 0
		.amdhsa_user_sgpr_kernarg_preload_length 0
		.amdhsa_user_sgpr_kernarg_preload_offset 0
		.amdhsa_user_sgpr_private_segment_size 0
		.amdhsa_uses_dynamic_stack 0
		.amdhsa_enable_private_segment 0
		.amdhsa_system_sgpr_workgroup_id_x 1
		.amdhsa_system_sgpr_workgroup_id_y 0
		.amdhsa_system_sgpr_workgroup_id_z 0
		.amdhsa_system_sgpr_workgroup_info 0
		.amdhsa_system_vgpr_workitem_id 0
		.amdhsa_next_free_vgpr 6
		.amdhsa_next_free_sgpr 14
		.amdhsa_accum_offset 8
		.amdhsa_reserve_vcc 1
		.amdhsa_float_round_mode_32 0
		.amdhsa_float_round_mode_16_64 0
		.amdhsa_float_denorm_mode_32 3
		.amdhsa_float_denorm_mode_16_64 3
		.amdhsa_dx10_clamp 1
		.amdhsa_ieee_mode 1
		.amdhsa_fp16_overflow 0
		.amdhsa_tg_split 0
		.amdhsa_exception_fp_ieee_invalid_op 0
		.amdhsa_exception_fp_denorm_src 0
		.amdhsa_exception_fp_ieee_div_zero 0
		.amdhsa_exception_fp_ieee_overflow 0
		.amdhsa_exception_fp_ieee_underflow 0
		.amdhsa_exception_fp_ieee_inexact 0
		.amdhsa_exception_int_div_zero 0
	.end_amdhsa_kernel
	.section	.text._ZN7rocprim17ROCPRIM_400000_NS6detail31init_lookback_scan_state_kernelINS1_19lookback_scan_stateIN3c108BFloat16ELb1ELb1EEENS1_16block_id_wrapperIjLb1EEEEEvT_jT0_jPNS9_10value_typeE,"axG",@progbits,_ZN7rocprim17ROCPRIM_400000_NS6detail31init_lookback_scan_state_kernelINS1_19lookback_scan_stateIN3c108BFloat16ELb1ELb1EEENS1_16block_id_wrapperIjLb1EEEEEvT_jT0_jPNS9_10value_typeE,comdat
.Lfunc_end464:
	.size	_ZN7rocprim17ROCPRIM_400000_NS6detail31init_lookback_scan_state_kernelINS1_19lookback_scan_stateIN3c108BFloat16ELb1ELb1EEENS1_16block_id_wrapperIjLb1EEEEEvT_jT0_jPNS9_10value_typeE, .Lfunc_end464-_ZN7rocprim17ROCPRIM_400000_NS6detail31init_lookback_scan_state_kernelINS1_19lookback_scan_stateIN3c108BFloat16ELb1ELb1EEENS1_16block_id_wrapperIjLb1EEEEEvT_jT0_jPNS9_10value_typeE
                                        ; -- End function
	.set _ZN7rocprim17ROCPRIM_400000_NS6detail31init_lookback_scan_state_kernelINS1_19lookback_scan_stateIN3c108BFloat16ELb1ELb1EEENS1_16block_id_wrapperIjLb1EEEEEvT_jT0_jPNS9_10value_typeE.num_vgpr, 6
	.set _ZN7rocprim17ROCPRIM_400000_NS6detail31init_lookback_scan_state_kernelINS1_19lookback_scan_stateIN3c108BFloat16ELb1ELb1EEENS1_16block_id_wrapperIjLb1EEEEEvT_jT0_jPNS9_10value_typeE.num_agpr, 0
	.set _ZN7rocprim17ROCPRIM_400000_NS6detail31init_lookback_scan_state_kernelINS1_19lookback_scan_stateIN3c108BFloat16ELb1ELb1EEENS1_16block_id_wrapperIjLb1EEEEEvT_jT0_jPNS9_10value_typeE.numbered_sgpr, 14
	.set _ZN7rocprim17ROCPRIM_400000_NS6detail31init_lookback_scan_state_kernelINS1_19lookback_scan_stateIN3c108BFloat16ELb1ELb1EEENS1_16block_id_wrapperIjLb1EEEEEvT_jT0_jPNS9_10value_typeE.num_named_barrier, 0
	.set _ZN7rocprim17ROCPRIM_400000_NS6detail31init_lookback_scan_state_kernelINS1_19lookback_scan_stateIN3c108BFloat16ELb1ELb1EEENS1_16block_id_wrapperIjLb1EEEEEvT_jT0_jPNS9_10value_typeE.private_seg_size, 0
	.set _ZN7rocprim17ROCPRIM_400000_NS6detail31init_lookback_scan_state_kernelINS1_19lookback_scan_stateIN3c108BFloat16ELb1ELb1EEENS1_16block_id_wrapperIjLb1EEEEEvT_jT0_jPNS9_10value_typeE.uses_vcc, 1
	.set _ZN7rocprim17ROCPRIM_400000_NS6detail31init_lookback_scan_state_kernelINS1_19lookback_scan_stateIN3c108BFloat16ELb1ELb1EEENS1_16block_id_wrapperIjLb1EEEEEvT_jT0_jPNS9_10value_typeE.uses_flat_scratch, 0
	.set _ZN7rocprim17ROCPRIM_400000_NS6detail31init_lookback_scan_state_kernelINS1_19lookback_scan_stateIN3c108BFloat16ELb1ELb1EEENS1_16block_id_wrapperIjLb1EEEEEvT_jT0_jPNS9_10value_typeE.has_dyn_sized_stack, 0
	.set _ZN7rocprim17ROCPRIM_400000_NS6detail31init_lookback_scan_state_kernelINS1_19lookback_scan_stateIN3c108BFloat16ELb1ELb1EEENS1_16block_id_wrapperIjLb1EEEEEvT_jT0_jPNS9_10value_typeE.has_recursion, 0
	.set _ZN7rocprim17ROCPRIM_400000_NS6detail31init_lookback_scan_state_kernelINS1_19lookback_scan_stateIN3c108BFloat16ELb1ELb1EEENS1_16block_id_wrapperIjLb1EEEEEvT_jT0_jPNS9_10value_typeE.has_indirect_call, 0
	.section	.AMDGPU.csdata,"",@progbits
; Kernel info:
; codeLenInByte = 388
; TotalNumSgprs: 20
; NumVgprs: 6
; NumAgprs: 0
; TotalNumVgprs: 6
; ScratchSize: 0
; MemoryBound: 0
; FloatMode: 240
; IeeeMode: 1
; LDSByteSize: 0 bytes/workgroup (compile time only)
; SGPRBlocks: 2
; VGPRBlocks: 0
; NumSGPRsForWavesPerEU: 20
; NumVGPRsForWavesPerEU: 6
; AccumOffset: 8
; Occupancy: 8
; WaveLimiterHint : 0
; COMPUTE_PGM_RSRC2:SCRATCH_EN: 0
; COMPUTE_PGM_RSRC2:USER_SGPR: 2
; COMPUTE_PGM_RSRC2:TRAP_HANDLER: 0
; COMPUTE_PGM_RSRC2:TGID_X_EN: 1
; COMPUTE_PGM_RSRC2:TGID_Y_EN: 0
; COMPUTE_PGM_RSRC2:TGID_Z_EN: 0
; COMPUTE_PGM_RSRC2:TIDIG_COMP_CNT: 0
; COMPUTE_PGM_RSRC3_GFX90A:ACCUM_OFFSET: 1
; COMPUTE_PGM_RSRC3_GFX90A:TG_SPLIT: 0
	.section	.text._ZN7rocprim17ROCPRIM_400000_NS6detail17trampoline_kernelINS0_14default_configENS1_20scan_config_selectorIN3c108BFloat16EEEZZNS1_9scan_implILNS1_25lookback_scan_determinismE0ELb0ELb0ES3_PKS6_PS6_S6_ZZZN2at6native31launch_logcumsumexp_cuda_kernelERKNSD_10TensorBaseESH_lENKUlvE_clEvENKUlvE4_clEvEUlS6_S6_E_S6_EEDaPvRmT3_T4_T5_mT6_P12ihipStream_tbENKUlT_T0_E_clISt17integral_constantIbLb1EESY_EEDaST_SU_EUlST_E_NS1_11comp_targetILNS1_3genE0ELNS1_11target_archE4294967295ELNS1_3gpuE0ELNS1_3repE0EEENS1_30default_config_static_selectorELNS0_4arch9wavefront6targetE1EEEvT1_,"axG",@progbits,_ZN7rocprim17ROCPRIM_400000_NS6detail17trampoline_kernelINS0_14default_configENS1_20scan_config_selectorIN3c108BFloat16EEEZZNS1_9scan_implILNS1_25lookback_scan_determinismE0ELb0ELb0ES3_PKS6_PS6_S6_ZZZN2at6native31launch_logcumsumexp_cuda_kernelERKNSD_10TensorBaseESH_lENKUlvE_clEvENKUlvE4_clEvEUlS6_S6_E_S6_EEDaPvRmT3_T4_T5_mT6_P12ihipStream_tbENKUlT_T0_E_clISt17integral_constantIbLb1EESY_EEDaST_SU_EUlST_E_NS1_11comp_targetILNS1_3genE0ELNS1_11target_archE4294967295ELNS1_3gpuE0ELNS1_3repE0EEENS1_30default_config_static_selectorELNS0_4arch9wavefront6targetE1EEEvT1_,comdat
	.globl	_ZN7rocprim17ROCPRIM_400000_NS6detail17trampoline_kernelINS0_14default_configENS1_20scan_config_selectorIN3c108BFloat16EEEZZNS1_9scan_implILNS1_25lookback_scan_determinismE0ELb0ELb0ES3_PKS6_PS6_S6_ZZZN2at6native31launch_logcumsumexp_cuda_kernelERKNSD_10TensorBaseESH_lENKUlvE_clEvENKUlvE4_clEvEUlS6_S6_E_S6_EEDaPvRmT3_T4_T5_mT6_P12ihipStream_tbENKUlT_T0_E_clISt17integral_constantIbLb1EESY_EEDaST_SU_EUlST_E_NS1_11comp_targetILNS1_3genE0ELNS1_11target_archE4294967295ELNS1_3gpuE0ELNS1_3repE0EEENS1_30default_config_static_selectorELNS0_4arch9wavefront6targetE1EEEvT1_ ; -- Begin function _ZN7rocprim17ROCPRIM_400000_NS6detail17trampoline_kernelINS0_14default_configENS1_20scan_config_selectorIN3c108BFloat16EEEZZNS1_9scan_implILNS1_25lookback_scan_determinismE0ELb0ELb0ES3_PKS6_PS6_S6_ZZZN2at6native31launch_logcumsumexp_cuda_kernelERKNSD_10TensorBaseESH_lENKUlvE_clEvENKUlvE4_clEvEUlS6_S6_E_S6_EEDaPvRmT3_T4_T5_mT6_P12ihipStream_tbENKUlT_T0_E_clISt17integral_constantIbLb1EESY_EEDaST_SU_EUlST_E_NS1_11comp_targetILNS1_3genE0ELNS1_11target_archE4294967295ELNS1_3gpuE0ELNS1_3repE0EEENS1_30default_config_static_selectorELNS0_4arch9wavefront6targetE1EEEvT1_
	.p2align	8
	.type	_ZN7rocprim17ROCPRIM_400000_NS6detail17trampoline_kernelINS0_14default_configENS1_20scan_config_selectorIN3c108BFloat16EEEZZNS1_9scan_implILNS1_25lookback_scan_determinismE0ELb0ELb0ES3_PKS6_PS6_S6_ZZZN2at6native31launch_logcumsumexp_cuda_kernelERKNSD_10TensorBaseESH_lENKUlvE_clEvENKUlvE4_clEvEUlS6_S6_E_S6_EEDaPvRmT3_T4_T5_mT6_P12ihipStream_tbENKUlT_T0_E_clISt17integral_constantIbLb1EESY_EEDaST_SU_EUlST_E_NS1_11comp_targetILNS1_3genE0ELNS1_11target_archE4294967295ELNS1_3gpuE0ELNS1_3repE0EEENS1_30default_config_static_selectorELNS0_4arch9wavefront6targetE1EEEvT1_,@function
_ZN7rocprim17ROCPRIM_400000_NS6detail17trampoline_kernelINS0_14default_configENS1_20scan_config_selectorIN3c108BFloat16EEEZZNS1_9scan_implILNS1_25lookback_scan_determinismE0ELb0ELb0ES3_PKS6_PS6_S6_ZZZN2at6native31launch_logcumsumexp_cuda_kernelERKNSD_10TensorBaseESH_lENKUlvE_clEvENKUlvE4_clEvEUlS6_S6_E_S6_EEDaPvRmT3_T4_T5_mT6_P12ihipStream_tbENKUlT_T0_E_clISt17integral_constantIbLb1EESY_EEDaST_SU_EUlST_E_NS1_11comp_targetILNS1_3genE0ELNS1_11target_archE4294967295ELNS1_3gpuE0ELNS1_3repE0EEENS1_30default_config_static_selectorELNS0_4arch9wavefront6targetE1EEEvT1_: ; @_ZN7rocprim17ROCPRIM_400000_NS6detail17trampoline_kernelINS0_14default_configENS1_20scan_config_selectorIN3c108BFloat16EEEZZNS1_9scan_implILNS1_25lookback_scan_determinismE0ELb0ELb0ES3_PKS6_PS6_S6_ZZZN2at6native31launch_logcumsumexp_cuda_kernelERKNSD_10TensorBaseESH_lENKUlvE_clEvENKUlvE4_clEvEUlS6_S6_E_S6_EEDaPvRmT3_T4_T5_mT6_P12ihipStream_tbENKUlT_T0_E_clISt17integral_constantIbLb1EESY_EEDaST_SU_EUlST_E_NS1_11comp_targetILNS1_3genE0ELNS1_11target_archE4294967295ELNS1_3gpuE0ELNS1_3repE0EEENS1_30default_config_static_selectorELNS0_4arch9wavefront6targetE1EEEvT1_
; %bb.0:
	s_endpgm
	.section	.rodata,"a",@progbits
	.p2align	6, 0x0
	.amdhsa_kernel _ZN7rocprim17ROCPRIM_400000_NS6detail17trampoline_kernelINS0_14default_configENS1_20scan_config_selectorIN3c108BFloat16EEEZZNS1_9scan_implILNS1_25lookback_scan_determinismE0ELb0ELb0ES3_PKS6_PS6_S6_ZZZN2at6native31launch_logcumsumexp_cuda_kernelERKNSD_10TensorBaseESH_lENKUlvE_clEvENKUlvE4_clEvEUlS6_S6_E_S6_EEDaPvRmT3_T4_T5_mT6_P12ihipStream_tbENKUlT_T0_E_clISt17integral_constantIbLb1EESY_EEDaST_SU_EUlST_E_NS1_11comp_targetILNS1_3genE0ELNS1_11target_archE4294967295ELNS1_3gpuE0ELNS1_3repE0EEENS1_30default_config_static_selectorELNS0_4arch9wavefront6targetE1EEEvT1_
		.amdhsa_group_segment_fixed_size 0
		.amdhsa_private_segment_fixed_size 0
		.amdhsa_kernarg_size 96
		.amdhsa_user_sgpr_count 2
		.amdhsa_user_sgpr_dispatch_ptr 0
		.amdhsa_user_sgpr_queue_ptr 0
		.amdhsa_user_sgpr_kernarg_segment_ptr 1
		.amdhsa_user_sgpr_dispatch_id 0
		.amdhsa_user_sgpr_kernarg_preload_length 0
		.amdhsa_user_sgpr_kernarg_preload_offset 0
		.amdhsa_user_sgpr_private_segment_size 0
		.amdhsa_uses_dynamic_stack 0
		.amdhsa_enable_private_segment 0
		.amdhsa_system_sgpr_workgroup_id_x 1
		.amdhsa_system_sgpr_workgroup_id_y 0
		.amdhsa_system_sgpr_workgroup_id_z 0
		.amdhsa_system_sgpr_workgroup_info 0
		.amdhsa_system_vgpr_workitem_id 0
		.amdhsa_next_free_vgpr 1
		.amdhsa_next_free_sgpr 0
		.amdhsa_accum_offset 4
		.amdhsa_reserve_vcc 0
		.amdhsa_float_round_mode_32 0
		.amdhsa_float_round_mode_16_64 0
		.amdhsa_float_denorm_mode_32 3
		.amdhsa_float_denorm_mode_16_64 3
		.amdhsa_dx10_clamp 1
		.amdhsa_ieee_mode 1
		.amdhsa_fp16_overflow 0
		.amdhsa_tg_split 0
		.amdhsa_exception_fp_ieee_invalid_op 0
		.amdhsa_exception_fp_denorm_src 0
		.amdhsa_exception_fp_ieee_div_zero 0
		.amdhsa_exception_fp_ieee_overflow 0
		.amdhsa_exception_fp_ieee_underflow 0
		.amdhsa_exception_fp_ieee_inexact 0
		.amdhsa_exception_int_div_zero 0
	.end_amdhsa_kernel
	.section	.text._ZN7rocprim17ROCPRIM_400000_NS6detail17trampoline_kernelINS0_14default_configENS1_20scan_config_selectorIN3c108BFloat16EEEZZNS1_9scan_implILNS1_25lookback_scan_determinismE0ELb0ELb0ES3_PKS6_PS6_S6_ZZZN2at6native31launch_logcumsumexp_cuda_kernelERKNSD_10TensorBaseESH_lENKUlvE_clEvENKUlvE4_clEvEUlS6_S6_E_S6_EEDaPvRmT3_T4_T5_mT6_P12ihipStream_tbENKUlT_T0_E_clISt17integral_constantIbLb1EESY_EEDaST_SU_EUlST_E_NS1_11comp_targetILNS1_3genE0ELNS1_11target_archE4294967295ELNS1_3gpuE0ELNS1_3repE0EEENS1_30default_config_static_selectorELNS0_4arch9wavefront6targetE1EEEvT1_,"axG",@progbits,_ZN7rocprim17ROCPRIM_400000_NS6detail17trampoline_kernelINS0_14default_configENS1_20scan_config_selectorIN3c108BFloat16EEEZZNS1_9scan_implILNS1_25lookback_scan_determinismE0ELb0ELb0ES3_PKS6_PS6_S6_ZZZN2at6native31launch_logcumsumexp_cuda_kernelERKNSD_10TensorBaseESH_lENKUlvE_clEvENKUlvE4_clEvEUlS6_S6_E_S6_EEDaPvRmT3_T4_T5_mT6_P12ihipStream_tbENKUlT_T0_E_clISt17integral_constantIbLb1EESY_EEDaST_SU_EUlST_E_NS1_11comp_targetILNS1_3genE0ELNS1_11target_archE4294967295ELNS1_3gpuE0ELNS1_3repE0EEENS1_30default_config_static_selectorELNS0_4arch9wavefront6targetE1EEEvT1_,comdat
.Lfunc_end465:
	.size	_ZN7rocprim17ROCPRIM_400000_NS6detail17trampoline_kernelINS0_14default_configENS1_20scan_config_selectorIN3c108BFloat16EEEZZNS1_9scan_implILNS1_25lookback_scan_determinismE0ELb0ELb0ES3_PKS6_PS6_S6_ZZZN2at6native31launch_logcumsumexp_cuda_kernelERKNSD_10TensorBaseESH_lENKUlvE_clEvENKUlvE4_clEvEUlS6_S6_E_S6_EEDaPvRmT3_T4_T5_mT6_P12ihipStream_tbENKUlT_T0_E_clISt17integral_constantIbLb1EESY_EEDaST_SU_EUlST_E_NS1_11comp_targetILNS1_3genE0ELNS1_11target_archE4294967295ELNS1_3gpuE0ELNS1_3repE0EEENS1_30default_config_static_selectorELNS0_4arch9wavefront6targetE1EEEvT1_, .Lfunc_end465-_ZN7rocprim17ROCPRIM_400000_NS6detail17trampoline_kernelINS0_14default_configENS1_20scan_config_selectorIN3c108BFloat16EEEZZNS1_9scan_implILNS1_25lookback_scan_determinismE0ELb0ELb0ES3_PKS6_PS6_S6_ZZZN2at6native31launch_logcumsumexp_cuda_kernelERKNSD_10TensorBaseESH_lENKUlvE_clEvENKUlvE4_clEvEUlS6_S6_E_S6_EEDaPvRmT3_T4_T5_mT6_P12ihipStream_tbENKUlT_T0_E_clISt17integral_constantIbLb1EESY_EEDaST_SU_EUlST_E_NS1_11comp_targetILNS1_3genE0ELNS1_11target_archE4294967295ELNS1_3gpuE0ELNS1_3repE0EEENS1_30default_config_static_selectorELNS0_4arch9wavefront6targetE1EEEvT1_
                                        ; -- End function
	.set _ZN7rocprim17ROCPRIM_400000_NS6detail17trampoline_kernelINS0_14default_configENS1_20scan_config_selectorIN3c108BFloat16EEEZZNS1_9scan_implILNS1_25lookback_scan_determinismE0ELb0ELb0ES3_PKS6_PS6_S6_ZZZN2at6native31launch_logcumsumexp_cuda_kernelERKNSD_10TensorBaseESH_lENKUlvE_clEvENKUlvE4_clEvEUlS6_S6_E_S6_EEDaPvRmT3_T4_T5_mT6_P12ihipStream_tbENKUlT_T0_E_clISt17integral_constantIbLb1EESY_EEDaST_SU_EUlST_E_NS1_11comp_targetILNS1_3genE0ELNS1_11target_archE4294967295ELNS1_3gpuE0ELNS1_3repE0EEENS1_30default_config_static_selectorELNS0_4arch9wavefront6targetE1EEEvT1_.num_vgpr, 0
	.set _ZN7rocprim17ROCPRIM_400000_NS6detail17trampoline_kernelINS0_14default_configENS1_20scan_config_selectorIN3c108BFloat16EEEZZNS1_9scan_implILNS1_25lookback_scan_determinismE0ELb0ELb0ES3_PKS6_PS6_S6_ZZZN2at6native31launch_logcumsumexp_cuda_kernelERKNSD_10TensorBaseESH_lENKUlvE_clEvENKUlvE4_clEvEUlS6_S6_E_S6_EEDaPvRmT3_T4_T5_mT6_P12ihipStream_tbENKUlT_T0_E_clISt17integral_constantIbLb1EESY_EEDaST_SU_EUlST_E_NS1_11comp_targetILNS1_3genE0ELNS1_11target_archE4294967295ELNS1_3gpuE0ELNS1_3repE0EEENS1_30default_config_static_selectorELNS0_4arch9wavefront6targetE1EEEvT1_.num_agpr, 0
	.set _ZN7rocprim17ROCPRIM_400000_NS6detail17trampoline_kernelINS0_14default_configENS1_20scan_config_selectorIN3c108BFloat16EEEZZNS1_9scan_implILNS1_25lookback_scan_determinismE0ELb0ELb0ES3_PKS6_PS6_S6_ZZZN2at6native31launch_logcumsumexp_cuda_kernelERKNSD_10TensorBaseESH_lENKUlvE_clEvENKUlvE4_clEvEUlS6_S6_E_S6_EEDaPvRmT3_T4_T5_mT6_P12ihipStream_tbENKUlT_T0_E_clISt17integral_constantIbLb1EESY_EEDaST_SU_EUlST_E_NS1_11comp_targetILNS1_3genE0ELNS1_11target_archE4294967295ELNS1_3gpuE0ELNS1_3repE0EEENS1_30default_config_static_selectorELNS0_4arch9wavefront6targetE1EEEvT1_.numbered_sgpr, 0
	.set _ZN7rocprim17ROCPRIM_400000_NS6detail17trampoline_kernelINS0_14default_configENS1_20scan_config_selectorIN3c108BFloat16EEEZZNS1_9scan_implILNS1_25lookback_scan_determinismE0ELb0ELb0ES3_PKS6_PS6_S6_ZZZN2at6native31launch_logcumsumexp_cuda_kernelERKNSD_10TensorBaseESH_lENKUlvE_clEvENKUlvE4_clEvEUlS6_S6_E_S6_EEDaPvRmT3_T4_T5_mT6_P12ihipStream_tbENKUlT_T0_E_clISt17integral_constantIbLb1EESY_EEDaST_SU_EUlST_E_NS1_11comp_targetILNS1_3genE0ELNS1_11target_archE4294967295ELNS1_3gpuE0ELNS1_3repE0EEENS1_30default_config_static_selectorELNS0_4arch9wavefront6targetE1EEEvT1_.num_named_barrier, 0
	.set _ZN7rocprim17ROCPRIM_400000_NS6detail17trampoline_kernelINS0_14default_configENS1_20scan_config_selectorIN3c108BFloat16EEEZZNS1_9scan_implILNS1_25lookback_scan_determinismE0ELb0ELb0ES3_PKS6_PS6_S6_ZZZN2at6native31launch_logcumsumexp_cuda_kernelERKNSD_10TensorBaseESH_lENKUlvE_clEvENKUlvE4_clEvEUlS6_S6_E_S6_EEDaPvRmT3_T4_T5_mT6_P12ihipStream_tbENKUlT_T0_E_clISt17integral_constantIbLb1EESY_EEDaST_SU_EUlST_E_NS1_11comp_targetILNS1_3genE0ELNS1_11target_archE4294967295ELNS1_3gpuE0ELNS1_3repE0EEENS1_30default_config_static_selectorELNS0_4arch9wavefront6targetE1EEEvT1_.private_seg_size, 0
	.set _ZN7rocprim17ROCPRIM_400000_NS6detail17trampoline_kernelINS0_14default_configENS1_20scan_config_selectorIN3c108BFloat16EEEZZNS1_9scan_implILNS1_25lookback_scan_determinismE0ELb0ELb0ES3_PKS6_PS6_S6_ZZZN2at6native31launch_logcumsumexp_cuda_kernelERKNSD_10TensorBaseESH_lENKUlvE_clEvENKUlvE4_clEvEUlS6_S6_E_S6_EEDaPvRmT3_T4_T5_mT6_P12ihipStream_tbENKUlT_T0_E_clISt17integral_constantIbLb1EESY_EEDaST_SU_EUlST_E_NS1_11comp_targetILNS1_3genE0ELNS1_11target_archE4294967295ELNS1_3gpuE0ELNS1_3repE0EEENS1_30default_config_static_selectorELNS0_4arch9wavefront6targetE1EEEvT1_.uses_vcc, 0
	.set _ZN7rocprim17ROCPRIM_400000_NS6detail17trampoline_kernelINS0_14default_configENS1_20scan_config_selectorIN3c108BFloat16EEEZZNS1_9scan_implILNS1_25lookback_scan_determinismE0ELb0ELb0ES3_PKS6_PS6_S6_ZZZN2at6native31launch_logcumsumexp_cuda_kernelERKNSD_10TensorBaseESH_lENKUlvE_clEvENKUlvE4_clEvEUlS6_S6_E_S6_EEDaPvRmT3_T4_T5_mT6_P12ihipStream_tbENKUlT_T0_E_clISt17integral_constantIbLb1EESY_EEDaST_SU_EUlST_E_NS1_11comp_targetILNS1_3genE0ELNS1_11target_archE4294967295ELNS1_3gpuE0ELNS1_3repE0EEENS1_30default_config_static_selectorELNS0_4arch9wavefront6targetE1EEEvT1_.uses_flat_scratch, 0
	.set _ZN7rocprim17ROCPRIM_400000_NS6detail17trampoline_kernelINS0_14default_configENS1_20scan_config_selectorIN3c108BFloat16EEEZZNS1_9scan_implILNS1_25lookback_scan_determinismE0ELb0ELb0ES3_PKS6_PS6_S6_ZZZN2at6native31launch_logcumsumexp_cuda_kernelERKNSD_10TensorBaseESH_lENKUlvE_clEvENKUlvE4_clEvEUlS6_S6_E_S6_EEDaPvRmT3_T4_T5_mT6_P12ihipStream_tbENKUlT_T0_E_clISt17integral_constantIbLb1EESY_EEDaST_SU_EUlST_E_NS1_11comp_targetILNS1_3genE0ELNS1_11target_archE4294967295ELNS1_3gpuE0ELNS1_3repE0EEENS1_30default_config_static_selectorELNS0_4arch9wavefront6targetE1EEEvT1_.has_dyn_sized_stack, 0
	.set _ZN7rocprim17ROCPRIM_400000_NS6detail17trampoline_kernelINS0_14default_configENS1_20scan_config_selectorIN3c108BFloat16EEEZZNS1_9scan_implILNS1_25lookback_scan_determinismE0ELb0ELb0ES3_PKS6_PS6_S6_ZZZN2at6native31launch_logcumsumexp_cuda_kernelERKNSD_10TensorBaseESH_lENKUlvE_clEvENKUlvE4_clEvEUlS6_S6_E_S6_EEDaPvRmT3_T4_T5_mT6_P12ihipStream_tbENKUlT_T0_E_clISt17integral_constantIbLb1EESY_EEDaST_SU_EUlST_E_NS1_11comp_targetILNS1_3genE0ELNS1_11target_archE4294967295ELNS1_3gpuE0ELNS1_3repE0EEENS1_30default_config_static_selectorELNS0_4arch9wavefront6targetE1EEEvT1_.has_recursion, 0
	.set _ZN7rocprim17ROCPRIM_400000_NS6detail17trampoline_kernelINS0_14default_configENS1_20scan_config_selectorIN3c108BFloat16EEEZZNS1_9scan_implILNS1_25lookback_scan_determinismE0ELb0ELb0ES3_PKS6_PS6_S6_ZZZN2at6native31launch_logcumsumexp_cuda_kernelERKNSD_10TensorBaseESH_lENKUlvE_clEvENKUlvE4_clEvEUlS6_S6_E_S6_EEDaPvRmT3_T4_T5_mT6_P12ihipStream_tbENKUlT_T0_E_clISt17integral_constantIbLb1EESY_EEDaST_SU_EUlST_E_NS1_11comp_targetILNS1_3genE0ELNS1_11target_archE4294967295ELNS1_3gpuE0ELNS1_3repE0EEENS1_30default_config_static_selectorELNS0_4arch9wavefront6targetE1EEEvT1_.has_indirect_call, 0
	.section	.AMDGPU.csdata,"",@progbits
; Kernel info:
; codeLenInByte = 4
; TotalNumSgprs: 6
; NumVgprs: 0
; NumAgprs: 0
; TotalNumVgprs: 0
; ScratchSize: 0
; MemoryBound: 0
; FloatMode: 240
; IeeeMode: 1
; LDSByteSize: 0 bytes/workgroup (compile time only)
; SGPRBlocks: 0
; VGPRBlocks: 0
; NumSGPRsForWavesPerEU: 6
; NumVGPRsForWavesPerEU: 1
; AccumOffset: 4
; Occupancy: 8
; WaveLimiterHint : 0
; COMPUTE_PGM_RSRC2:SCRATCH_EN: 0
; COMPUTE_PGM_RSRC2:USER_SGPR: 2
; COMPUTE_PGM_RSRC2:TRAP_HANDLER: 0
; COMPUTE_PGM_RSRC2:TGID_X_EN: 1
; COMPUTE_PGM_RSRC2:TGID_Y_EN: 0
; COMPUTE_PGM_RSRC2:TGID_Z_EN: 0
; COMPUTE_PGM_RSRC2:TIDIG_COMP_CNT: 0
; COMPUTE_PGM_RSRC3_GFX90A:ACCUM_OFFSET: 0
; COMPUTE_PGM_RSRC3_GFX90A:TG_SPLIT: 0
	.section	.text._ZN7rocprim17ROCPRIM_400000_NS6detail17trampoline_kernelINS0_14default_configENS1_20scan_config_selectorIN3c108BFloat16EEEZZNS1_9scan_implILNS1_25lookback_scan_determinismE0ELb0ELb0ES3_PKS6_PS6_S6_ZZZN2at6native31launch_logcumsumexp_cuda_kernelERKNSD_10TensorBaseESH_lENKUlvE_clEvENKUlvE4_clEvEUlS6_S6_E_S6_EEDaPvRmT3_T4_T5_mT6_P12ihipStream_tbENKUlT_T0_E_clISt17integral_constantIbLb1EESY_EEDaST_SU_EUlST_E_NS1_11comp_targetILNS1_3genE5ELNS1_11target_archE942ELNS1_3gpuE9ELNS1_3repE0EEENS1_30default_config_static_selectorELNS0_4arch9wavefront6targetE1EEEvT1_,"axG",@progbits,_ZN7rocprim17ROCPRIM_400000_NS6detail17trampoline_kernelINS0_14default_configENS1_20scan_config_selectorIN3c108BFloat16EEEZZNS1_9scan_implILNS1_25lookback_scan_determinismE0ELb0ELb0ES3_PKS6_PS6_S6_ZZZN2at6native31launch_logcumsumexp_cuda_kernelERKNSD_10TensorBaseESH_lENKUlvE_clEvENKUlvE4_clEvEUlS6_S6_E_S6_EEDaPvRmT3_T4_T5_mT6_P12ihipStream_tbENKUlT_T0_E_clISt17integral_constantIbLb1EESY_EEDaST_SU_EUlST_E_NS1_11comp_targetILNS1_3genE5ELNS1_11target_archE942ELNS1_3gpuE9ELNS1_3repE0EEENS1_30default_config_static_selectorELNS0_4arch9wavefront6targetE1EEEvT1_,comdat
	.globl	_ZN7rocprim17ROCPRIM_400000_NS6detail17trampoline_kernelINS0_14default_configENS1_20scan_config_selectorIN3c108BFloat16EEEZZNS1_9scan_implILNS1_25lookback_scan_determinismE0ELb0ELb0ES3_PKS6_PS6_S6_ZZZN2at6native31launch_logcumsumexp_cuda_kernelERKNSD_10TensorBaseESH_lENKUlvE_clEvENKUlvE4_clEvEUlS6_S6_E_S6_EEDaPvRmT3_T4_T5_mT6_P12ihipStream_tbENKUlT_T0_E_clISt17integral_constantIbLb1EESY_EEDaST_SU_EUlST_E_NS1_11comp_targetILNS1_3genE5ELNS1_11target_archE942ELNS1_3gpuE9ELNS1_3repE0EEENS1_30default_config_static_selectorELNS0_4arch9wavefront6targetE1EEEvT1_ ; -- Begin function _ZN7rocprim17ROCPRIM_400000_NS6detail17trampoline_kernelINS0_14default_configENS1_20scan_config_selectorIN3c108BFloat16EEEZZNS1_9scan_implILNS1_25lookback_scan_determinismE0ELb0ELb0ES3_PKS6_PS6_S6_ZZZN2at6native31launch_logcumsumexp_cuda_kernelERKNSD_10TensorBaseESH_lENKUlvE_clEvENKUlvE4_clEvEUlS6_S6_E_S6_EEDaPvRmT3_T4_T5_mT6_P12ihipStream_tbENKUlT_T0_E_clISt17integral_constantIbLb1EESY_EEDaST_SU_EUlST_E_NS1_11comp_targetILNS1_3genE5ELNS1_11target_archE942ELNS1_3gpuE9ELNS1_3repE0EEENS1_30default_config_static_selectorELNS0_4arch9wavefront6targetE1EEEvT1_
	.p2align	8
	.type	_ZN7rocprim17ROCPRIM_400000_NS6detail17trampoline_kernelINS0_14default_configENS1_20scan_config_selectorIN3c108BFloat16EEEZZNS1_9scan_implILNS1_25lookback_scan_determinismE0ELb0ELb0ES3_PKS6_PS6_S6_ZZZN2at6native31launch_logcumsumexp_cuda_kernelERKNSD_10TensorBaseESH_lENKUlvE_clEvENKUlvE4_clEvEUlS6_S6_E_S6_EEDaPvRmT3_T4_T5_mT6_P12ihipStream_tbENKUlT_T0_E_clISt17integral_constantIbLb1EESY_EEDaST_SU_EUlST_E_NS1_11comp_targetILNS1_3genE5ELNS1_11target_archE942ELNS1_3gpuE9ELNS1_3repE0EEENS1_30default_config_static_selectorELNS0_4arch9wavefront6targetE1EEEvT1_,@function
_ZN7rocprim17ROCPRIM_400000_NS6detail17trampoline_kernelINS0_14default_configENS1_20scan_config_selectorIN3c108BFloat16EEEZZNS1_9scan_implILNS1_25lookback_scan_determinismE0ELb0ELb0ES3_PKS6_PS6_S6_ZZZN2at6native31launch_logcumsumexp_cuda_kernelERKNSD_10TensorBaseESH_lENKUlvE_clEvENKUlvE4_clEvEUlS6_S6_E_S6_EEDaPvRmT3_T4_T5_mT6_P12ihipStream_tbENKUlT_T0_E_clISt17integral_constantIbLb1EESY_EEDaST_SU_EUlST_E_NS1_11comp_targetILNS1_3genE5ELNS1_11target_archE942ELNS1_3gpuE9ELNS1_3repE0EEENS1_30default_config_static_selectorELNS0_4arch9wavefront6targetE1EEEvT1_: ; @_ZN7rocprim17ROCPRIM_400000_NS6detail17trampoline_kernelINS0_14default_configENS1_20scan_config_selectorIN3c108BFloat16EEEZZNS1_9scan_implILNS1_25lookback_scan_determinismE0ELb0ELb0ES3_PKS6_PS6_S6_ZZZN2at6native31launch_logcumsumexp_cuda_kernelERKNSD_10TensorBaseESH_lENKUlvE_clEvENKUlvE4_clEvEUlS6_S6_E_S6_EEDaPvRmT3_T4_T5_mT6_P12ihipStream_tbENKUlT_T0_E_clISt17integral_constantIbLb1EESY_EEDaST_SU_EUlST_E_NS1_11comp_targetILNS1_3genE5ELNS1_11target_archE942ELNS1_3gpuE9ELNS1_3repE0EEENS1_30default_config_static_selectorELNS0_4arch9wavefront6targetE1EEEvT1_
; %bb.0:
	.section	.rodata,"a",@progbits
	.p2align	6, 0x0
	.amdhsa_kernel _ZN7rocprim17ROCPRIM_400000_NS6detail17trampoline_kernelINS0_14default_configENS1_20scan_config_selectorIN3c108BFloat16EEEZZNS1_9scan_implILNS1_25lookback_scan_determinismE0ELb0ELb0ES3_PKS6_PS6_S6_ZZZN2at6native31launch_logcumsumexp_cuda_kernelERKNSD_10TensorBaseESH_lENKUlvE_clEvENKUlvE4_clEvEUlS6_S6_E_S6_EEDaPvRmT3_T4_T5_mT6_P12ihipStream_tbENKUlT_T0_E_clISt17integral_constantIbLb1EESY_EEDaST_SU_EUlST_E_NS1_11comp_targetILNS1_3genE5ELNS1_11target_archE942ELNS1_3gpuE9ELNS1_3repE0EEENS1_30default_config_static_selectorELNS0_4arch9wavefront6targetE1EEEvT1_
		.amdhsa_group_segment_fixed_size 0
		.amdhsa_private_segment_fixed_size 0
		.amdhsa_kernarg_size 96
		.amdhsa_user_sgpr_count 2
		.amdhsa_user_sgpr_dispatch_ptr 0
		.amdhsa_user_sgpr_queue_ptr 0
		.amdhsa_user_sgpr_kernarg_segment_ptr 1
		.amdhsa_user_sgpr_dispatch_id 0
		.amdhsa_user_sgpr_kernarg_preload_length 0
		.amdhsa_user_sgpr_kernarg_preload_offset 0
		.amdhsa_user_sgpr_private_segment_size 0
		.amdhsa_uses_dynamic_stack 0
		.amdhsa_enable_private_segment 0
		.amdhsa_system_sgpr_workgroup_id_x 1
		.amdhsa_system_sgpr_workgroup_id_y 0
		.amdhsa_system_sgpr_workgroup_id_z 0
		.amdhsa_system_sgpr_workgroup_info 0
		.amdhsa_system_vgpr_workitem_id 0
		.amdhsa_next_free_vgpr 1
		.amdhsa_next_free_sgpr 0
		.amdhsa_accum_offset 4
		.amdhsa_reserve_vcc 0
		.amdhsa_float_round_mode_32 0
		.amdhsa_float_round_mode_16_64 0
		.amdhsa_float_denorm_mode_32 3
		.amdhsa_float_denorm_mode_16_64 3
		.amdhsa_dx10_clamp 1
		.amdhsa_ieee_mode 1
		.amdhsa_fp16_overflow 0
		.amdhsa_tg_split 0
		.amdhsa_exception_fp_ieee_invalid_op 0
		.amdhsa_exception_fp_denorm_src 0
		.amdhsa_exception_fp_ieee_div_zero 0
		.amdhsa_exception_fp_ieee_overflow 0
		.amdhsa_exception_fp_ieee_underflow 0
		.amdhsa_exception_fp_ieee_inexact 0
		.amdhsa_exception_int_div_zero 0
	.end_amdhsa_kernel
	.section	.text._ZN7rocprim17ROCPRIM_400000_NS6detail17trampoline_kernelINS0_14default_configENS1_20scan_config_selectorIN3c108BFloat16EEEZZNS1_9scan_implILNS1_25lookback_scan_determinismE0ELb0ELb0ES3_PKS6_PS6_S6_ZZZN2at6native31launch_logcumsumexp_cuda_kernelERKNSD_10TensorBaseESH_lENKUlvE_clEvENKUlvE4_clEvEUlS6_S6_E_S6_EEDaPvRmT3_T4_T5_mT6_P12ihipStream_tbENKUlT_T0_E_clISt17integral_constantIbLb1EESY_EEDaST_SU_EUlST_E_NS1_11comp_targetILNS1_3genE5ELNS1_11target_archE942ELNS1_3gpuE9ELNS1_3repE0EEENS1_30default_config_static_selectorELNS0_4arch9wavefront6targetE1EEEvT1_,"axG",@progbits,_ZN7rocprim17ROCPRIM_400000_NS6detail17trampoline_kernelINS0_14default_configENS1_20scan_config_selectorIN3c108BFloat16EEEZZNS1_9scan_implILNS1_25lookback_scan_determinismE0ELb0ELb0ES3_PKS6_PS6_S6_ZZZN2at6native31launch_logcumsumexp_cuda_kernelERKNSD_10TensorBaseESH_lENKUlvE_clEvENKUlvE4_clEvEUlS6_S6_E_S6_EEDaPvRmT3_T4_T5_mT6_P12ihipStream_tbENKUlT_T0_E_clISt17integral_constantIbLb1EESY_EEDaST_SU_EUlST_E_NS1_11comp_targetILNS1_3genE5ELNS1_11target_archE942ELNS1_3gpuE9ELNS1_3repE0EEENS1_30default_config_static_selectorELNS0_4arch9wavefront6targetE1EEEvT1_,comdat
.Lfunc_end466:
	.size	_ZN7rocprim17ROCPRIM_400000_NS6detail17trampoline_kernelINS0_14default_configENS1_20scan_config_selectorIN3c108BFloat16EEEZZNS1_9scan_implILNS1_25lookback_scan_determinismE0ELb0ELb0ES3_PKS6_PS6_S6_ZZZN2at6native31launch_logcumsumexp_cuda_kernelERKNSD_10TensorBaseESH_lENKUlvE_clEvENKUlvE4_clEvEUlS6_S6_E_S6_EEDaPvRmT3_T4_T5_mT6_P12ihipStream_tbENKUlT_T0_E_clISt17integral_constantIbLb1EESY_EEDaST_SU_EUlST_E_NS1_11comp_targetILNS1_3genE5ELNS1_11target_archE942ELNS1_3gpuE9ELNS1_3repE0EEENS1_30default_config_static_selectorELNS0_4arch9wavefront6targetE1EEEvT1_, .Lfunc_end466-_ZN7rocprim17ROCPRIM_400000_NS6detail17trampoline_kernelINS0_14default_configENS1_20scan_config_selectorIN3c108BFloat16EEEZZNS1_9scan_implILNS1_25lookback_scan_determinismE0ELb0ELb0ES3_PKS6_PS6_S6_ZZZN2at6native31launch_logcumsumexp_cuda_kernelERKNSD_10TensorBaseESH_lENKUlvE_clEvENKUlvE4_clEvEUlS6_S6_E_S6_EEDaPvRmT3_T4_T5_mT6_P12ihipStream_tbENKUlT_T0_E_clISt17integral_constantIbLb1EESY_EEDaST_SU_EUlST_E_NS1_11comp_targetILNS1_3genE5ELNS1_11target_archE942ELNS1_3gpuE9ELNS1_3repE0EEENS1_30default_config_static_selectorELNS0_4arch9wavefront6targetE1EEEvT1_
                                        ; -- End function
	.set _ZN7rocprim17ROCPRIM_400000_NS6detail17trampoline_kernelINS0_14default_configENS1_20scan_config_selectorIN3c108BFloat16EEEZZNS1_9scan_implILNS1_25lookback_scan_determinismE0ELb0ELb0ES3_PKS6_PS6_S6_ZZZN2at6native31launch_logcumsumexp_cuda_kernelERKNSD_10TensorBaseESH_lENKUlvE_clEvENKUlvE4_clEvEUlS6_S6_E_S6_EEDaPvRmT3_T4_T5_mT6_P12ihipStream_tbENKUlT_T0_E_clISt17integral_constantIbLb1EESY_EEDaST_SU_EUlST_E_NS1_11comp_targetILNS1_3genE5ELNS1_11target_archE942ELNS1_3gpuE9ELNS1_3repE0EEENS1_30default_config_static_selectorELNS0_4arch9wavefront6targetE1EEEvT1_.num_vgpr, 0
	.set _ZN7rocprim17ROCPRIM_400000_NS6detail17trampoline_kernelINS0_14default_configENS1_20scan_config_selectorIN3c108BFloat16EEEZZNS1_9scan_implILNS1_25lookback_scan_determinismE0ELb0ELb0ES3_PKS6_PS6_S6_ZZZN2at6native31launch_logcumsumexp_cuda_kernelERKNSD_10TensorBaseESH_lENKUlvE_clEvENKUlvE4_clEvEUlS6_S6_E_S6_EEDaPvRmT3_T4_T5_mT6_P12ihipStream_tbENKUlT_T0_E_clISt17integral_constantIbLb1EESY_EEDaST_SU_EUlST_E_NS1_11comp_targetILNS1_3genE5ELNS1_11target_archE942ELNS1_3gpuE9ELNS1_3repE0EEENS1_30default_config_static_selectorELNS0_4arch9wavefront6targetE1EEEvT1_.num_agpr, 0
	.set _ZN7rocprim17ROCPRIM_400000_NS6detail17trampoline_kernelINS0_14default_configENS1_20scan_config_selectorIN3c108BFloat16EEEZZNS1_9scan_implILNS1_25lookback_scan_determinismE0ELb0ELb0ES3_PKS6_PS6_S6_ZZZN2at6native31launch_logcumsumexp_cuda_kernelERKNSD_10TensorBaseESH_lENKUlvE_clEvENKUlvE4_clEvEUlS6_S6_E_S6_EEDaPvRmT3_T4_T5_mT6_P12ihipStream_tbENKUlT_T0_E_clISt17integral_constantIbLb1EESY_EEDaST_SU_EUlST_E_NS1_11comp_targetILNS1_3genE5ELNS1_11target_archE942ELNS1_3gpuE9ELNS1_3repE0EEENS1_30default_config_static_selectorELNS0_4arch9wavefront6targetE1EEEvT1_.numbered_sgpr, 0
	.set _ZN7rocprim17ROCPRIM_400000_NS6detail17trampoline_kernelINS0_14default_configENS1_20scan_config_selectorIN3c108BFloat16EEEZZNS1_9scan_implILNS1_25lookback_scan_determinismE0ELb0ELb0ES3_PKS6_PS6_S6_ZZZN2at6native31launch_logcumsumexp_cuda_kernelERKNSD_10TensorBaseESH_lENKUlvE_clEvENKUlvE4_clEvEUlS6_S6_E_S6_EEDaPvRmT3_T4_T5_mT6_P12ihipStream_tbENKUlT_T0_E_clISt17integral_constantIbLb1EESY_EEDaST_SU_EUlST_E_NS1_11comp_targetILNS1_3genE5ELNS1_11target_archE942ELNS1_3gpuE9ELNS1_3repE0EEENS1_30default_config_static_selectorELNS0_4arch9wavefront6targetE1EEEvT1_.num_named_barrier, 0
	.set _ZN7rocprim17ROCPRIM_400000_NS6detail17trampoline_kernelINS0_14default_configENS1_20scan_config_selectorIN3c108BFloat16EEEZZNS1_9scan_implILNS1_25lookback_scan_determinismE0ELb0ELb0ES3_PKS6_PS6_S6_ZZZN2at6native31launch_logcumsumexp_cuda_kernelERKNSD_10TensorBaseESH_lENKUlvE_clEvENKUlvE4_clEvEUlS6_S6_E_S6_EEDaPvRmT3_T4_T5_mT6_P12ihipStream_tbENKUlT_T0_E_clISt17integral_constantIbLb1EESY_EEDaST_SU_EUlST_E_NS1_11comp_targetILNS1_3genE5ELNS1_11target_archE942ELNS1_3gpuE9ELNS1_3repE0EEENS1_30default_config_static_selectorELNS0_4arch9wavefront6targetE1EEEvT1_.private_seg_size, 0
	.set _ZN7rocprim17ROCPRIM_400000_NS6detail17trampoline_kernelINS0_14default_configENS1_20scan_config_selectorIN3c108BFloat16EEEZZNS1_9scan_implILNS1_25lookback_scan_determinismE0ELb0ELb0ES3_PKS6_PS6_S6_ZZZN2at6native31launch_logcumsumexp_cuda_kernelERKNSD_10TensorBaseESH_lENKUlvE_clEvENKUlvE4_clEvEUlS6_S6_E_S6_EEDaPvRmT3_T4_T5_mT6_P12ihipStream_tbENKUlT_T0_E_clISt17integral_constantIbLb1EESY_EEDaST_SU_EUlST_E_NS1_11comp_targetILNS1_3genE5ELNS1_11target_archE942ELNS1_3gpuE9ELNS1_3repE0EEENS1_30default_config_static_selectorELNS0_4arch9wavefront6targetE1EEEvT1_.uses_vcc, 0
	.set _ZN7rocprim17ROCPRIM_400000_NS6detail17trampoline_kernelINS0_14default_configENS1_20scan_config_selectorIN3c108BFloat16EEEZZNS1_9scan_implILNS1_25lookback_scan_determinismE0ELb0ELb0ES3_PKS6_PS6_S6_ZZZN2at6native31launch_logcumsumexp_cuda_kernelERKNSD_10TensorBaseESH_lENKUlvE_clEvENKUlvE4_clEvEUlS6_S6_E_S6_EEDaPvRmT3_T4_T5_mT6_P12ihipStream_tbENKUlT_T0_E_clISt17integral_constantIbLb1EESY_EEDaST_SU_EUlST_E_NS1_11comp_targetILNS1_3genE5ELNS1_11target_archE942ELNS1_3gpuE9ELNS1_3repE0EEENS1_30default_config_static_selectorELNS0_4arch9wavefront6targetE1EEEvT1_.uses_flat_scratch, 0
	.set _ZN7rocprim17ROCPRIM_400000_NS6detail17trampoline_kernelINS0_14default_configENS1_20scan_config_selectorIN3c108BFloat16EEEZZNS1_9scan_implILNS1_25lookback_scan_determinismE0ELb0ELb0ES3_PKS6_PS6_S6_ZZZN2at6native31launch_logcumsumexp_cuda_kernelERKNSD_10TensorBaseESH_lENKUlvE_clEvENKUlvE4_clEvEUlS6_S6_E_S6_EEDaPvRmT3_T4_T5_mT6_P12ihipStream_tbENKUlT_T0_E_clISt17integral_constantIbLb1EESY_EEDaST_SU_EUlST_E_NS1_11comp_targetILNS1_3genE5ELNS1_11target_archE942ELNS1_3gpuE9ELNS1_3repE0EEENS1_30default_config_static_selectorELNS0_4arch9wavefront6targetE1EEEvT1_.has_dyn_sized_stack, 0
	.set _ZN7rocprim17ROCPRIM_400000_NS6detail17trampoline_kernelINS0_14default_configENS1_20scan_config_selectorIN3c108BFloat16EEEZZNS1_9scan_implILNS1_25lookback_scan_determinismE0ELb0ELb0ES3_PKS6_PS6_S6_ZZZN2at6native31launch_logcumsumexp_cuda_kernelERKNSD_10TensorBaseESH_lENKUlvE_clEvENKUlvE4_clEvEUlS6_S6_E_S6_EEDaPvRmT3_T4_T5_mT6_P12ihipStream_tbENKUlT_T0_E_clISt17integral_constantIbLb1EESY_EEDaST_SU_EUlST_E_NS1_11comp_targetILNS1_3genE5ELNS1_11target_archE942ELNS1_3gpuE9ELNS1_3repE0EEENS1_30default_config_static_selectorELNS0_4arch9wavefront6targetE1EEEvT1_.has_recursion, 0
	.set _ZN7rocprim17ROCPRIM_400000_NS6detail17trampoline_kernelINS0_14default_configENS1_20scan_config_selectorIN3c108BFloat16EEEZZNS1_9scan_implILNS1_25lookback_scan_determinismE0ELb0ELb0ES3_PKS6_PS6_S6_ZZZN2at6native31launch_logcumsumexp_cuda_kernelERKNSD_10TensorBaseESH_lENKUlvE_clEvENKUlvE4_clEvEUlS6_S6_E_S6_EEDaPvRmT3_T4_T5_mT6_P12ihipStream_tbENKUlT_T0_E_clISt17integral_constantIbLb1EESY_EEDaST_SU_EUlST_E_NS1_11comp_targetILNS1_3genE5ELNS1_11target_archE942ELNS1_3gpuE9ELNS1_3repE0EEENS1_30default_config_static_selectorELNS0_4arch9wavefront6targetE1EEEvT1_.has_indirect_call, 0
	.section	.AMDGPU.csdata,"",@progbits
; Kernel info:
; codeLenInByte = 0
; TotalNumSgprs: 6
; NumVgprs: 0
; NumAgprs: 0
; TotalNumVgprs: 0
; ScratchSize: 0
; MemoryBound: 0
; FloatMode: 240
; IeeeMode: 1
; LDSByteSize: 0 bytes/workgroup (compile time only)
; SGPRBlocks: 0
; VGPRBlocks: 0
; NumSGPRsForWavesPerEU: 6
; NumVGPRsForWavesPerEU: 1
; AccumOffset: 4
; Occupancy: 8
; WaveLimiterHint : 0
; COMPUTE_PGM_RSRC2:SCRATCH_EN: 0
; COMPUTE_PGM_RSRC2:USER_SGPR: 2
; COMPUTE_PGM_RSRC2:TRAP_HANDLER: 0
; COMPUTE_PGM_RSRC2:TGID_X_EN: 1
; COMPUTE_PGM_RSRC2:TGID_Y_EN: 0
; COMPUTE_PGM_RSRC2:TGID_Z_EN: 0
; COMPUTE_PGM_RSRC2:TIDIG_COMP_CNT: 0
; COMPUTE_PGM_RSRC3_GFX90A:ACCUM_OFFSET: 0
; COMPUTE_PGM_RSRC3_GFX90A:TG_SPLIT: 0
	.section	.text._ZN7rocprim17ROCPRIM_400000_NS6detail17trampoline_kernelINS0_14default_configENS1_20scan_config_selectorIN3c108BFloat16EEEZZNS1_9scan_implILNS1_25lookback_scan_determinismE0ELb0ELb0ES3_PKS6_PS6_S6_ZZZN2at6native31launch_logcumsumexp_cuda_kernelERKNSD_10TensorBaseESH_lENKUlvE_clEvENKUlvE4_clEvEUlS6_S6_E_S6_EEDaPvRmT3_T4_T5_mT6_P12ihipStream_tbENKUlT_T0_E_clISt17integral_constantIbLb1EESY_EEDaST_SU_EUlST_E_NS1_11comp_targetILNS1_3genE4ELNS1_11target_archE910ELNS1_3gpuE8ELNS1_3repE0EEENS1_30default_config_static_selectorELNS0_4arch9wavefront6targetE1EEEvT1_,"axG",@progbits,_ZN7rocprim17ROCPRIM_400000_NS6detail17trampoline_kernelINS0_14default_configENS1_20scan_config_selectorIN3c108BFloat16EEEZZNS1_9scan_implILNS1_25lookback_scan_determinismE0ELb0ELb0ES3_PKS6_PS6_S6_ZZZN2at6native31launch_logcumsumexp_cuda_kernelERKNSD_10TensorBaseESH_lENKUlvE_clEvENKUlvE4_clEvEUlS6_S6_E_S6_EEDaPvRmT3_T4_T5_mT6_P12ihipStream_tbENKUlT_T0_E_clISt17integral_constantIbLb1EESY_EEDaST_SU_EUlST_E_NS1_11comp_targetILNS1_3genE4ELNS1_11target_archE910ELNS1_3gpuE8ELNS1_3repE0EEENS1_30default_config_static_selectorELNS0_4arch9wavefront6targetE1EEEvT1_,comdat
	.globl	_ZN7rocprim17ROCPRIM_400000_NS6detail17trampoline_kernelINS0_14default_configENS1_20scan_config_selectorIN3c108BFloat16EEEZZNS1_9scan_implILNS1_25lookback_scan_determinismE0ELb0ELb0ES3_PKS6_PS6_S6_ZZZN2at6native31launch_logcumsumexp_cuda_kernelERKNSD_10TensorBaseESH_lENKUlvE_clEvENKUlvE4_clEvEUlS6_S6_E_S6_EEDaPvRmT3_T4_T5_mT6_P12ihipStream_tbENKUlT_T0_E_clISt17integral_constantIbLb1EESY_EEDaST_SU_EUlST_E_NS1_11comp_targetILNS1_3genE4ELNS1_11target_archE910ELNS1_3gpuE8ELNS1_3repE0EEENS1_30default_config_static_selectorELNS0_4arch9wavefront6targetE1EEEvT1_ ; -- Begin function _ZN7rocprim17ROCPRIM_400000_NS6detail17trampoline_kernelINS0_14default_configENS1_20scan_config_selectorIN3c108BFloat16EEEZZNS1_9scan_implILNS1_25lookback_scan_determinismE0ELb0ELb0ES3_PKS6_PS6_S6_ZZZN2at6native31launch_logcumsumexp_cuda_kernelERKNSD_10TensorBaseESH_lENKUlvE_clEvENKUlvE4_clEvEUlS6_S6_E_S6_EEDaPvRmT3_T4_T5_mT6_P12ihipStream_tbENKUlT_T0_E_clISt17integral_constantIbLb1EESY_EEDaST_SU_EUlST_E_NS1_11comp_targetILNS1_3genE4ELNS1_11target_archE910ELNS1_3gpuE8ELNS1_3repE0EEENS1_30default_config_static_selectorELNS0_4arch9wavefront6targetE1EEEvT1_
	.p2align	8
	.type	_ZN7rocprim17ROCPRIM_400000_NS6detail17trampoline_kernelINS0_14default_configENS1_20scan_config_selectorIN3c108BFloat16EEEZZNS1_9scan_implILNS1_25lookback_scan_determinismE0ELb0ELb0ES3_PKS6_PS6_S6_ZZZN2at6native31launch_logcumsumexp_cuda_kernelERKNSD_10TensorBaseESH_lENKUlvE_clEvENKUlvE4_clEvEUlS6_S6_E_S6_EEDaPvRmT3_T4_T5_mT6_P12ihipStream_tbENKUlT_T0_E_clISt17integral_constantIbLb1EESY_EEDaST_SU_EUlST_E_NS1_11comp_targetILNS1_3genE4ELNS1_11target_archE910ELNS1_3gpuE8ELNS1_3repE0EEENS1_30default_config_static_selectorELNS0_4arch9wavefront6targetE1EEEvT1_,@function
_ZN7rocprim17ROCPRIM_400000_NS6detail17trampoline_kernelINS0_14default_configENS1_20scan_config_selectorIN3c108BFloat16EEEZZNS1_9scan_implILNS1_25lookback_scan_determinismE0ELb0ELb0ES3_PKS6_PS6_S6_ZZZN2at6native31launch_logcumsumexp_cuda_kernelERKNSD_10TensorBaseESH_lENKUlvE_clEvENKUlvE4_clEvEUlS6_S6_E_S6_EEDaPvRmT3_T4_T5_mT6_P12ihipStream_tbENKUlT_T0_E_clISt17integral_constantIbLb1EESY_EEDaST_SU_EUlST_E_NS1_11comp_targetILNS1_3genE4ELNS1_11target_archE910ELNS1_3gpuE8ELNS1_3repE0EEENS1_30default_config_static_selectorELNS0_4arch9wavefront6targetE1EEEvT1_: ; @_ZN7rocprim17ROCPRIM_400000_NS6detail17trampoline_kernelINS0_14default_configENS1_20scan_config_selectorIN3c108BFloat16EEEZZNS1_9scan_implILNS1_25lookback_scan_determinismE0ELb0ELb0ES3_PKS6_PS6_S6_ZZZN2at6native31launch_logcumsumexp_cuda_kernelERKNSD_10TensorBaseESH_lENKUlvE_clEvENKUlvE4_clEvEUlS6_S6_E_S6_EEDaPvRmT3_T4_T5_mT6_P12ihipStream_tbENKUlT_T0_E_clISt17integral_constantIbLb1EESY_EEDaST_SU_EUlST_E_NS1_11comp_targetILNS1_3genE4ELNS1_11target_archE910ELNS1_3gpuE8ELNS1_3repE0EEENS1_30default_config_static_selectorELNS0_4arch9wavefront6targetE1EEEvT1_
; %bb.0:
	.section	.rodata,"a",@progbits
	.p2align	6, 0x0
	.amdhsa_kernel _ZN7rocprim17ROCPRIM_400000_NS6detail17trampoline_kernelINS0_14default_configENS1_20scan_config_selectorIN3c108BFloat16EEEZZNS1_9scan_implILNS1_25lookback_scan_determinismE0ELb0ELb0ES3_PKS6_PS6_S6_ZZZN2at6native31launch_logcumsumexp_cuda_kernelERKNSD_10TensorBaseESH_lENKUlvE_clEvENKUlvE4_clEvEUlS6_S6_E_S6_EEDaPvRmT3_T4_T5_mT6_P12ihipStream_tbENKUlT_T0_E_clISt17integral_constantIbLb1EESY_EEDaST_SU_EUlST_E_NS1_11comp_targetILNS1_3genE4ELNS1_11target_archE910ELNS1_3gpuE8ELNS1_3repE0EEENS1_30default_config_static_selectorELNS0_4arch9wavefront6targetE1EEEvT1_
		.amdhsa_group_segment_fixed_size 0
		.amdhsa_private_segment_fixed_size 0
		.amdhsa_kernarg_size 96
		.amdhsa_user_sgpr_count 2
		.amdhsa_user_sgpr_dispatch_ptr 0
		.amdhsa_user_sgpr_queue_ptr 0
		.amdhsa_user_sgpr_kernarg_segment_ptr 1
		.amdhsa_user_sgpr_dispatch_id 0
		.amdhsa_user_sgpr_kernarg_preload_length 0
		.amdhsa_user_sgpr_kernarg_preload_offset 0
		.amdhsa_user_sgpr_private_segment_size 0
		.amdhsa_uses_dynamic_stack 0
		.amdhsa_enable_private_segment 0
		.amdhsa_system_sgpr_workgroup_id_x 1
		.amdhsa_system_sgpr_workgroup_id_y 0
		.amdhsa_system_sgpr_workgroup_id_z 0
		.amdhsa_system_sgpr_workgroup_info 0
		.amdhsa_system_vgpr_workitem_id 0
		.amdhsa_next_free_vgpr 1
		.amdhsa_next_free_sgpr 0
		.amdhsa_accum_offset 4
		.amdhsa_reserve_vcc 0
		.amdhsa_float_round_mode_32 0
		.amdhsa_float_round_mode_16_64 0
		.amdhsa_float_denorm_mode_32 3
		.amdhsa_float_denorm_mode_16_64 3
		.amdhsa_dx10_clamp 1
		.amdhsa_ieee_mode 1
		.amdhsa_fp16_overflow 0
		.amdhsa_tg_split 0
		.amdhsa_exception_fp_ieee_invalid_op 0
		.amdhsa_exception_fp_denorm_src 0
		.amdhsa_exception_fp_ieee_div_zero 0
		.amdhsa_exception_fp_ieee_overflow 0
		.amdhsa_exception_fp_ieee_underflow 0
		.amdhsa_exception_fp_ieee_inexact 0
		.amdhsa_exception_int_div_zero 0
	.end_amdhsa_kernel
	.section	.text._ZN7rocprim17ROCPRIM_400000_NS6detail17trampoline_kernelINS0_14default_configENS1_20scan_config_selectorIN3c108BFloat16EEEZZNS1_9scan_implILNS1_25lookback_scan_determinismE0ELb0ELb0ES3_PKS6_PS6_S6_ZZZN2at6native31launch_logcumsumexp_cuda_kernelERKNSD_10TensorBaseESH_lENKUlvE_clEvENKUlvE4_clEvEUlS6_S6_E_S6_EEDaPvRmT3_T4_T5_mT6_P12ihipStream_tbENKUlT_T0_E_clISt17integral_constantIbLb1EESY_EEDaST_SU_EUlST_E_NS1_11comp_targetILNS1_3genE4ELNS1_11target_archE910ELNS1_3gpuE8ELNS1_3repE0EEENS1_30default_config_static_selectorELNS0_4arch9wavefront6targetE1EEEvT1_,"axG",@progbits,_ZN7rocprim17ROCPRIM_400000_NS6detail17trampoline_kernelINS0_14default_configENS1_20scan_config_selectorIN3c108BFloat16EEEZZNS1_9scan_implILNS1_25lookback_scan_determinismE0ELb0ELb0ES3_PKS6_PS6_S6_ZZZN2at6native31launch_logcumsumexp_cuda_kernelERKNSD_10TensorBaseESH_lENKUlvE_clEvENKUlvE4_clEvEUlS6_S6_E_S6_EEDaPvRmT3_T4_T5_mT6_P12ihipStream_tbENKUlT_T0_E_clISt17integral_constantIbLb1EESY_EEDaST_SU_EUlST_E_NS1_11comp_targetILNS1_3genE4ELNS1_11target_archE910ELNS1_3gpuE8ELNS1_3repE0EEENS1_30default_config_static_selectorELNS0_4arch9wavefront6targetE1EEEvT1_,comdat
.Lfunc_end467:
	.size	_ZN7rocprim17ROCPRIM_400000_NS6detail17trampoline_kernelINS0_14default_configENS1_20scan_config_selectorIN3c108BFloat16EEEZZNS1_9scan_implILNS1_25lookback_scan_determinismE0ELb0ELb0ES3_PKS6_PS6_S6_ZZZN2at6native31launch_logcumsumexp_cuda_kernelERKNSD_10TensorBaseESH_lENKUlvE_clEvENKUlvE4_clEvEUlS6_S6_E_S6_EEDaPvRmT3_T4_T5_mT6_P12ihipStream_tbENKUlT_T0_E_clISt17integral_constantIbLb1EESY_EEDaST_SU_EUlST_E_NS1_11comp_targetILNS1_3genE4ELNS1_11target_archE910ELNS1_3gpuE8ELNS1_3repE0EEENS1_30default_config_static_selectorELNS0_4arch9wavefront6targetE1EEEvT1_, .Lfunc_end467-_ZN7rocprim17ROCPRIM_400000_NS6detail17trampoline_kernelINS0_14default_configENS1_20scan_config_selectorIN3c108BFloat16EEEZZNS1_9scan_implILNS1_25lookback_scan_determinismE0ELb0ELb0ES3_PKS6_PS6_S6_ZZZN2at6native31launch_logcumsumexp_cuda_kernelERKNSD_10TensorBaseESH_lENKUlvE_clEvENKUlvE4_clEvEUlS6_S6_E_S6_EEDaPvRmT3_T4_T5_mT6_P12ihipStream_tbENKUlT_T0_E_clISt17integral_constantIbLb1EESY_EEDaST_SU_EUlST_E_NS1_11comp_targetILNS1_3genE4ELNS1_11target_archE910ELNS1_3gpuE8ELNS1_3repE0EEENS1_30default_config_static_selectorELNS0_4arch9wavefront6targetE1EEEvT1_
                                        ; -- End function
	.set _ZN7rocprim17ROCPRIM_400000_NS6detail17trampoline_kernelINS0_14default_configENS1_20scan_config_selectorIN3c108BFloat16EEEZZNS1_9scan_implILNS1_25lookback_scan_determinismE0ELb0ELb0ES3_PKS6_PS6_S6_ZZZN2at6native31launch_logcumsumexp_cuda_kernelERKNSD_10TensorBaseESH_lENKUlvE_clEvENKUlvE4_clEvEUlS6_S6_E_S6_EEDaPvRmT3_T4_T5_mT6_P12ihipStream_tbENKUlT_T0_E_clISt17integral_constantIbLb1EESY_EEDaST_SU_EUlST_E_NS1_11comp_targetILNS1_3genE4ELNS1_11target_archE910ELNS1_3gpuE8ELNS1_3repE0EEENS1_30default_config_static_selectorELNS0_4arch9wavefront6targetE1EEEvT1_.num_vgpr, 0
	.set _ZN7rocprim17ROCPRIM_400000_NS6detail17trampoline_kernelINS0_14default_configENS1_20scan_config_selectorIN3c108BFloat16EEEZZNS1_9scan_implILNS1_25lookback_scan_determinismE0ELb0ELb0ES3_PKS6_PS6_S6_ZZZN2at6native31launch_logcumsumexp_cuda_kernelERKNSD_10TensorBaseESH_lENKUlvE_clEvENKUlvE4_clEvEUlS6_S6_E_S6_EEDaPvRmT3_T4_T5_mT6_P12ihipStream_tbENKUlT_T0_E_clISt17integral_constantIbLb1EESY_EEDaST_SU_EUlST_E_NS1_11comp_targetILNS1_3genE4ELNS1_11target_archE910ELNS1_3gpuE8ELNS1_3repE0EEENS1_30default_config_static_selectorELNS0_4arch9wavefront6targetE1EEEvT1_.num_agpr, 0
	.set _ZN7rocprim17ROCPRIM_400000_NS6detail17trampoline_kernelINS0_14default_configENS1_20scan_config_selectorIN3c108BFloat16EEEZZNS1_9scan_implILNS1_25lookback_scan_determinismE0ELb0ELb0ES3_PKS6_PS6_S6_ZZZN2at6native31launch_logcumsumexp_cuda_kernelERKNSD_10TensorBaseESH_lENKUlvE_clEvENKUlvE4_clEvEUlS6_S6_E_S6_EEDaPvRmT3_T4_T5_mT6_P12ihipStream_tbENKUlT_T0_E_clISt17integral_constantIbLb1EESY_EEDaST_SU_EUlST_E_NS1_11comp_targetILNS1_3genE4ELNS1_11target_archE910ELNS1_3gpuE8ELNS1_3repE0EEENS1_30default_config_static_selectorELNS0_4arch9wavefront6targetE1EEEvT1_.numbered_sgpr, 0
	.set _ZN7rocprim17ROCPRIM_400000_NS6detail17trampoline_kernelINS0_14default_configENS1_20scan_config_selectorIN3c108BFloat16EEEZZNS1_9scan_implILNS1_25lookback_scan_determinismE0ELb0ELb0ES3_PKS6_PS6_S6_ZZZN2at6native31launch_logcumsumexp_cuda_kernelERKNSD_10TensorBaseESH_lENKUlvE_clEvENKUlvE4_clEvEUlS6_S6_E_S6_EEDaPvRmT3_T4_T5_mT6_P12ihipStream_tbENKUlT_T0_E_clISt17integral_constantIbLb1EESY_EEDaST_SU_EUlST_E_NS1_11comp_targetILNS1_3genE4ELNS1_11target_archE910ELNS1_3gpuE8ELNS1_3repE0EEENS1_30default_config_static_selectorELNS0_4arch9wavefront6targetE1EEEvT1_.num_named_barrier, 0
	.set _ZN7rocprim17ROCPRIM_400000_NS6detail17trampoline_kernelINS0_14default_configENS1_20scan_config_selectorIN3c108BFloat16EEEZZNS1_9scan_implILNS1_25lookback_scan_determinismE0ELb0ELb0ES3_PKS6_PS6_S6_ZZZN2at6native31launch_logcumsumexp_cuda_kernelERKNSD_10TensorBaseESH_lENKUlvE_clEvENKUlvE4_clEvEUlS6_S6_E_S6_EEDaPvRmT3_T4_T5_mT6_P12ihipStream_tbENKUlT_T0_E_clISt17integral_constantIbLb1EESY_EEDaST_SU_EUlST_E_NS1_11comp_targetILNS1_3genE4ELNS1_11target_archE910ELNS1_3gpuE8ELNS1_3repE0EEENS1_30default_config_static_selectorELNS0_4arch9wavefront6targetE1EEEvT1_.private_seg_size, 0
	.set _ZN7rocprim17ROCPRIM_400000_NS6detail17trampoline_kernelINS0_14default_configENS1_20scan_config_selectorIN3c108BFloat16EEEZZNS1_9scan_implILNS1_25lookback_scan_determinismE0ELb0ELb0ES3_PKS6_PS6_S6_ZZZN2at6native31launch_logcumsumexp_cuda_kernelERKNSD_10TensorBaseESH_lENKUlvE_clEvENKUlvE4_clEvEUlS6_S6_E_S6_EEDaPvRmT3_T4_T5_mT6_P12ihipStream_tbENKUlT_T0_E_clISt17integral_constantIbLb1EESY_EEDaST_SU_EUlST_E_NS1_11comp_targetILNS1_3genE4ELNS1_11target_archE910ELNS1_3gpuE8ELNS1_3repE0EEENS1_30default_config_static_selectorELNS0_4arch9wavefront6targetE1EEEvT1_.uses_vcc, 0
	.set _ZN7rocprim17ROCPRIM_400000_NS6detail17trampoline_kernelINS0_14default_configENS1_20scan_config_selectorIN3c108BFloat16EEEZZNS1_9scan_implILNS1_25lookback_scan_determinismE0ELb0ELb0ES3_PKS6_PS6_S6_ZZZN2at6native31launch_logcumsumexp_cuda_kernelERKNSD_10TensorBaseESH_lENKUlvE_clEvENKUlvE4_clEvEUlS6_S6_E_S6_EEDaPvRmT3_T4_T5_mT6_P12ihipStream_tbENKUlT_T0_E_clISt17integral_constantIbLb1EESY_EEDaST_SU_EUlST_E_NS1_11comp_targetILNS1_3genE4ELNS1_11target_archE910ELNS1_3gpuE8ELNS1_3repE0EEENS1_30default_config_static_selectorELNS0_4arch9wavefront6targetE1EEEvT1_.uses_flat_scratch, 0
	.set _ZN7rocprim17ROCPRIM_400000_NS6detail17trampoline_kernelINS0_14default_configENS1_20scan_config_selectorIN3c108BFloat16EEEZZNS1_9scan_implILNS1_25lookback_scan_determinismE0ELb0ELb0ES3_PKS6_PS6_S6_ZZZN2at6native31launch_logcumsumexp_cuda_kernelERKNSD_10TensorBaseESH_lENKUlvE_clEvENKUlvE4_clEvEUlS6_S6_E_S6_EEDaPvRmT3_T4_T5_mT6_P12ihipStream_tbENKUlT_T0_E_clISt17integral_constantIbLb1EESY_EEDaST_SU_EUlST_E_NS1_11comp_targetILNS1_3genE4ELNS1_11target_archE910ELNS1_3gpuE8ELNS1_3repE0EEENS1_30default_config_static_selectorELNS0_4arch9wavefront6targetE1EEEvT1_.has_dyn_sized_stack, 0
	.set _ZN7rocprim17ROCPRIM_400000_NS6detail17trampoline_kernelINS0_14default_configENS1_20scan_config_selectorIN3c108BFloat16EEEZZNS1_9scan_implILNS1_25lookback_scan_determinismE0ELb0ELb0ES3_PKS6_PS6_S6_ZZZN2at6native31launch_logcumsumexp_cuda_kernelERKNSD_10TensorBaseESH_lENKUlvE_clEvENKUlvE4_clEvEUlS6_S6_E_S6_EEDaPvRmT3_T4_T5_mT6_P12ihipStream_tbENKUlT_T0_E_clISt17integral_constantIbLb1EESY_EEDaST_SU_EUlST_E_NS1_11comp_targetILNS1_3genE4ELNS1_11target_archE910ELNS1_3gpuE8ELNS1_3repE0EEENS1_30default_config_static_selectorELNS0_4arch9wavefront6targetE1EEEvT1_.has_recursion, 0
	.set _ZN7rocprim17ROCPRIM_400000_NS6detail17trampoline_kernelINS0_14default_configENS1_20scan_config_selectorIN3c108BFloat16EEEZZNS1_9scan_implILNS1_25lookback_scan_determinismE0ELb0ELb0ES3_PKS6_PS6_S6_ZZZN2at6native31launch_logcumsumexp_cuda_kernelERKNSD_10TensorBaseESH_lENKUlvE_clEvENKUlvE4_clEvEUlS6_S6_E_S6_EEDaPvRmT3_T4_T5_mT6_P12ihipStream_tbENKUlT_T0_E_clISt17integral_constantIbLb1EESY_EEDaST_SU_EUlST_E_NS1_11comp_targetILNS1_3genE4ELNS1_11target_archE910ELNS1_3gpuE8ELNS1_3repE0EEENS1_30default_config_static_selectorELNS0_4arch9wavefront6targetE1EEEvT1_.has_indirect_call, 0
	.section	.AMDGPU.csdata,"",@progbits
; Kernel info:
; codeLenInByte = 0
; TotalNumSgprs: 6
; NumVgprs: 0
; NumAgprs: 0
; TotalNumVgprs: 0
; ScratchSize: 0
; MemoryBound: 0
; FloatMode: 240
; IeeeMode: 1
; LDSByteSize: 0 bytes/workgroup (compile time only)
; SGPRBlocks: 0
; VGPRBlocks: 0
; NumSGPRsForWavesPerEU: 6
; NumVGPRsForWavesPerEU: 1
; AccumOffset: 4
; Occupancy: 8
; WaveLimiterHint : 0
; COMPUTE_PGM_RSRC2:SCRATCH_EN: 0
; COMPUTE_PGM_RSRC2:USER_SGPR: 2
; COMPUTE_PGM_RSRC2:TRAP_HANDLER: 0
; COMPUTE_PGM_RSRC2:TGID_X_EN: 1
; COMPUTE_PGM_RSRC2:TGID_Y_EN: 0
; COMPUTE_PGM_RSRC2:TGID_Z_EN: 0
; COMPUTE_PGM_RSRC2:TIDIG_COMP_CNT: 0
; COMPUTE_PGM_RSRC3_GFX90A:ACCUM_OFFSET: 0
; COMPUTE_PGM_RSRC3_GFX90A:TG_SPLIT: 0
	.section	.text._ZN7rocprim17ROCPRIM_400000_NS6detail17trampoline_kernelINS0_14default_configENS1_20scan_config_selectorIN3c108BFloat16EEEZZNS1_9scan_implILNS1_25lookback_scan_determinismE0ELb0ELb0ES3_PKS6_PS6_S6_ZZZN2at6native31launch_logcumsumexp_cuda_kernelERKNSD_10TensorBaseESH_lENKUlvE_clEvENKUlvE4_clEvEUlS6_S6_E_S6_EEDaPvRmT3_T4_T5_mT6_P12ihipStream_tbENKUlT_T0_E_clISt17integral_constantIbLb1EESY_EEDaST_SU_EUlST_E_NS1_11comp_targetILNS1_3genE3ELNS1_11target_archE908ELNS1_3gpuE7ELNS1_3repE0EEENS1_30default_config_static_selectorELNS0_4arch9wavefront6targetE1EEEvT1_,"axG",@progbits,_ZN7rocprim17ROCPRIM_400000_NS6detail17trampoline_kernelINS0_14default_configENS1_20scan_config_selectorIN3c108BFloat16EEEZZNS1_9scan_implILNS1_25lookback_scan_determinismE0ELb0ELb0ES3_PKS6_PS6_S6_ZZZN2at6native31launch_logcumsumexp_cuda_kernelERKNSD_10TensorBaseESH_lENKUlvE_clEvENKUlvE4_clEvEUlS6_S6_E_S6_EEDaPvRmT3_T4_T5_mT6_P12ihipStream_tbENKUlT_T0_E_clISt17integral_constantIbLb1EESY_EEDaST_SU_EUlST_E_NS1_11comp_targetILNS1_3genE3ELNS1_11target_archE908ELNS1_3gpuE7ELNS1_3repE0EEENS1_30default_config_static_selectorELNS0_4arch9wavefront6targetE1EEEvT1_,comdat
	.globl	_ZN7rocprim17ROCPRIM_400000_NS6detail17trampoline_kernelINS0_14default_configENS1_20scan_config_selectorIN3c108BFloat16EEEZZNS1_9scan_implILNS1_25lookback_scan_determinismE0ELb0ELb0ES3_PKS6_PS6_S6_ZZZN2at6native31launch_logcumsumexp_cuda_kernelERKNSD_10TensorBaseESH_lENKUlvE_clEvENKUlvE4_clEvEUlS6_S6_E_S6_EEDaPvRmT3_T4_T5_mT6_P12ihipStream_tbENKUlT_T0_E_clISt17integral_constantIbLb1EESY_EEDaST_SU_EUlST_E_NS1_11comp_targetILNS1_3genE3ELNS1_11target_archE908ELNS1_3gpuE7ELNS1_3repE0EEENS1_30default_config_static_selectorELNS0_4arch9wavefront6targetE1EEEvT1_ ; -- Begin function _ZN7rocprim17ROCPRIM_400000_NS6detail17trampoline_kernelINS0_14default_configENS1_20scan_config_selectorIN3c108BFloat16EEEZZNS1_9scan_implILNS1_25lookback_scan_determinismE0ELb0ELb0ES3_PKS6_PS6_S6_ZZZN2at6native31launch_logcumsumexp_cuda_kernelERKNSD_10TensorBaseESH_lENKUlvE_clEvENKUlvE4_clEvEUlS6_S6_E_S6_EEDaPvRmT3_T4_T5_mT6_P12ihipStream_tbENKUlT_T0_E_clISt17integral_constantIbLb1EESY_EEDaST_SU_EUlST_E_NS1_11comp_targetILNS1_3genE3ELNS1_11target_archE908ELNS1_3gpuE7ELNS1_3repE0EEENS1_30default_config_static_selectorELNS0_4arch9wavefront6targetE1EEEvT1_
	.p2align	8
	.type	_ZN7rocprim17ROCPRIM_400000_NS6detail17trampoline_kernelINS0_14default_configENS1_20scan_config_selectorIN3c108BFloat16EEEZZNS1_9scan_implILNS1_25lookback_scan_determinismE0ELb0ELb0ES3_PKS6_PS6_S6_ZZZN2at6native31launch_logcumsumexp_cuda_kernelERKNSD_10TensorBaseESH_lENKUlvE_clEvENKUlvE4_clEvEUlS6_S6_E_S6_EEDaPvRmT3_T4_T5_mT6_P12ihipStream_tbENKUlT_T0_E_clISt17integral_constantIbLb1EESY_EEDaST_SU_EUlST_E_NS1_11comp_targetILNS1_3genE3ELNS1_11target_archE908ELNS1_3gpuE7ELNS1_3repE0EEENS1_30default_config_static_selectorELNS0_4arch9wavefront6targetE1EEEvT1_,@function
_ZN7rocprim17ROCPRIM_400000_NS6detail17trampoline_kernelINS0_14default_configENS1_20scan_config_selectorIN3c108BFloat16EEEZZNS1_9scan_implILNS1_25lookback_scan_determinismE0ELb0ELb0ES3_PKS6_PS6_S6_ZZZN2at6native31launch_logcumsumexp_cuda_kernelERKNSD_10TensorBaseESH_lENKUlvE_clEvENKUlvE4_clEvEUlS6_S6_E_S6_EEDaPvRmT3_T4_T5_mT6_P12ihipStream_tbENKUlT_T0_E_clISt17integral_constantIbLb1EESY_EEDaST_SU_EUlST_E_NS1_11comp_targetILNS1_3genE3ELNS1_11target_archE908ELNS1_3gpuE7ELNS1_3repE0EEENS1_30default_config_static_selectorELNS0_4arch9wavefront6targetE1EEEvT1_: ; @_ZN7rocprim17ROCPRIM_400000_NS6detail17trampoline_kernelINS0_14default_configENS1_20scan_config_selectorIN3c108BFloat16EEEZZNS1_9scan_implILNS1_25lookback_scan_determinismE0ELb0ELb0ES3_PKS6_PS6_S6_ZZZN2at6native31launch_logcumsumexp_cuda_kernelERKNSD_10TensorBaseESH_lENKUlvE_clEvENKUlvE4_clEvEUlS6_S6_E_S6_EEDaPvRmT3_T4_T5_mT6_P12ihipStream_tbENKUlT_T0_E_clISt17integral_constantIbLb1EESY_EEDaST_SU_EUlST_E_NS1_11comp_targetILNS1_3genE3ELNS1_11target_archE908ELNS1_3gpuE7ELNS1_3repE0EEENS1_30default_config_static_selectorELNS0_4arch9wavefront6targetE1EEEvT1_
; %bb.0:
	.section	.rodata,"a",@progbits
	.p2align	6, 0x0
	.amdhsa_kernel _ZN7rocprim17ROCPRIM_400000_NS6detail17trampoline_kernelINS0_14default_configENS1_20scan_config_selectorIN3c108BFloat16EEEZZNS1_9scan_implILNS1_25lookback_scan_determinismE0ELb0ELb0ES3_PKS6_PS6_S6_ZZZN2at6native31launch_logcumsumexp_cuda_kernelERKNSD_10TensorBaseESH_lENKUlvE_clEvENKUlvE4_clEvEUlS6_S6_E_S6_EEDaPvRmT3_T4_T5_mT6_P12ihipStream_tbENKUlT_T0_E_clISt17integral_constantIbLb1EESY_EEDaST_SU_EUlST_E_NS1_11comp_targetILNS1_3genE3ELNS1_11target_archE908ELNS1_3gpuE7ELNS1_3repE0EEENS1_30default_config_static_selectorELNS0_4arch9wavefront6targetE1EEEvT1_
		.amdhsa_group_segment_fixed_size 0
		.amdhsa_private_segment_fixed_size 0
		.amdhsa_kernarg_size 96
		.amdhsa_user_sgpr_count 2
		.amdhsa_user_sgpr_dispatch_ptr 0
		.amdhsa_user_sgpr_queue_ptr 0
		.amdhsa_user_sgpr_kernarg_segment_ptr 1
		.amdhsa_user_sgpr_dispatch_id 0
		.amdhsa_user_sgpr_kernarg_preload_length 0
		.amdhsa_user_sgpr_kernarg_preload_offset 0
		.amdhsa_user_sgpr_private_segment_size 0
		.amdhsa_uses_dynamic_stack 0
		.amdhsa_enable_private_segment 0
		.amdhsa_system_sgpr_workgroup_id_x 1
		.amdhsa_system_sgpr_workgroup_id_y 0
		.amdhsa_system_sgpr_workgroup_id_z 0
		.amdhsa_system_sgpr_workgroup_info 0
		.amdhsa_system_vgpr_workitem_id 0
		.amdhsa_next_free_vgpr 1
		.amdhsa_next_free_sgpr 0
		.amdhsa_accum_offset 4
		.amdhsa_reserve_vcc 0
		.amdhsa_float_round_mode_32 0
		.amdhsa_float_round_mode_16_64 0
		.amdhsa_float_denorm_mode_32 3
		.amdhsa_float_denorm_mode_16_64 3
		.amdhsa_dx10_clamp 1
		.amdhsa_ieee_mode 1
		.amdhsa_fp16_overflow 0
		.amdhsa_tg_split 0
		.amdhsa_exception_fp_ieee_invalid_op 0
		.amdhsa_exception_fp_denorm_src 0
		.amdhsa_exception_fp_ieee_div_zero 0
		.amdhsa_exception_fp_ieee_overflow 0
		.amdhsa_exception_fp_ieee_underflow 0
		.amdhsa_exception_fp_ieee_inexact 0
		.amdhsa_exception_int_div_zero 0
	.end_amdhsa_kernel
	.section	.text._ZN7rocprim17ROCPRIM_400000_NS6detail17trampoline_kernelINS0_14default_configENS1_20scan_config_selectorIN3c108BFloat16EEEZZNS1_9scan_implILNS1_25lookback_scan_determinismE0ELb0ELb0ES3_PKS6_PS6_S6_ZZZN2at6native31launch_logcumsumexp_cuda_kernelERKNSD_10TensorBaseESH_lENKUlvE_clEvENKUlvE4_clEvEUlS6_S6_E_S6_EEDaPvRmT3_T4_T5_mT6_P12ihipStream_tbENKUlT_T0_E_clISt17integral_constantIbLb1EESY_EEDaST_SU_EUlST_E_NS1_11comp_targetILNS1_3genE3ELNS1_11target_archE908ELNS1_3gpuE7ELNS1_3repE0EEENS1_30default_config_static_selectorELNS0_4arch9wavefront6targetE1EEEvT1_,"axG",@progbits,_ZN7rocprim17ROCPRIM_400000_NS6detail17trampoline_kernelINS0_14default_configENS1_20scan_config_selectorIN3c108BFloat16EEEZZNS1_9scan_implILNS1_25lookback_scan_determinismE0ELb0ELb0ES3_PKS6_PS6_S6_ZZZN2at6native31launch_logcumsumexp_cuda_kernelERKNSD_10TensorBaseESH_lENKUlvE_clEvENKUlvE4_clEvEUlS6_S6_E_S6_EEDaPvRmT3_T4_T5_mT6_P12ihipStream_tbENKUlT_T0_E_clISt17integral_constantIbLb1EESY_EEDaST_SU_EUlST_E_NS1_11comp_targetILNS1_3genE3ELNS1_11target_archE908ELNS1_3gpuE7ELNS1_3repE0EEENS1_30default_config_static_selectorELNS0_4arch9wavefront6targetE1EEEvT1_,comdat
.Lfunc_end468:
	.size	_ZN7rocprim17ROCPRIM_400000_NS6detail17trampoline_kernelINS0_14default_configENS1_20scan_config_selectorIN3c108BFloat16EEEZZNS1_9scan_implILNS1_25lookback_scan_determinismE0ELb0ELb0ES3_PKS6_PS6_S6_ZZZN2at6native31launch_logcumsumexp_cuda_kernelERKNSD_10TensorBaseESH_lENKUlvE_clEvENKUlvE4_clEvEUlS6_S6_E_S6_EEDaPvRmT3_T4_T5_mT6_P12ihipStream_tbENKUlT_T0_E_clISt17integral_constantIbLb1EESY_EEDaST_SU_EUlST_E_NS1_11comp_targetILNS1_3genE3ELNS1_11target_archE908ELNS1_3gpuE7ELNS1_3repE0EEENS1_30default_config_static_selectorELNS0_4arch9wavefront6targetE1EEEvT1_, .Lfunc_end468-_ZN7rocprim17ROCPRIM_400000_NS6detail17trampoline_kernelINS0_14default_configENS1_20scan_config_selectorIN3c108BFloat16EEEZZNS1_9scan_implILNS1_25lookback_scan_determinismE0ELb0ELb0ES3_PKS6_PS6_S6_ZZZN2at6native31launch_logcumsumexp_cuda_kernelERKNSD_10TensorBaseESH_lENKUlvE_clEvENKUlvE4_clEvEUlS6_S6_E_S6_EEDaPvRmT3_T4_T5_mT6_P12ihipStream_tbENKUlT_T0_E_clISt17integral_constantIbLb1EESY_EEDaST_SU_EUlST_E_NS1_11comp_targetILNS1_3genE3ELNS1_11target_archE908ELNS1_3gpuE7ELNS1_3repE0EEENS1_30default_config_static_selectorELNS0_4arch9wavefront6targetE1EEEvT1_
                                        ; -- End function
	.set _ZN7rocprim17ROCPRIM_400000_NS6detail17trampoline_kernelINS0_14default_configENS1_20scan_config_selectorIN3c108BFloat16EEEZZNS1_9scan_implILNS1_25lookback_scan_determinismE0ELb0ELb0ES3_PKS6_PS6_S6_ZZZN2at6native31launch_logcumsumexp_cuda_kernelERKNSD_10TensorBaseESH_lENKUlvE_clEvENKUlvE4_clEvEUlS6_S6_E_S6_EEDaPvRmT3_T4_T5_mT6_P12ihipStream_tbENKUlT_T0_E_clISt17integral_constantIbLb1EESY_EEDaST_SU_EUlST_E_NS1_11comp_targetILNS1_3genE3ELNS1_11target_archE908ELNS1_3gpuE7ELNS1_3repE0EEENS1_30default_config_static_selectorELNS0_4arch9wavefront6targetE1EEEvT1_.num_vgpr, 0
	.set _ZN7rocprim17ROCPRIM_400000_NS6detail17trampoline_kernelINS0_14default_configENS1_20scan_config_selectorIN3c108BFloat16EEEZZNS1_9scan_implILNS1_25lookback_scan_determinismE0ELb0ELb0ES3_PKS6_PS6_S6_ZZZN2at6native31launch_logcumsumexp_cuda_kernelERKNSD_10TensorBaseESH_lENKUlvE_clEvENKUlvE4_clEvEUlS6_S6_E_S6_EEDaPvRmT3_T4_T5_mT6_P12ihipStream_tbENKUlT_T0_E_clISt17integral_constantIbLb1EESY_EEDaST_SU_EUlST_E_NS1_11comp_targetILNS1_3genE3ELNS1_11target_archE908ELNS1_3gpuE7ELNS1_3repE0EEENS1_30default_config_static_selectorELNS0_4arch9wavefront6targetE1EEEvT1_.num_agpr, 0
	.set _ZN7rocprim17ROCPRIM_400000_NS6detail17trampoline_kernelINS0_14default_configENS1_20scan_config_selectorIN3c108BFloat16EEEZZNS1_9scan_implILNS1_25lookback_scan_determinismE0ELb0ELb0ES3_PKS6_PS6_S6_ZZZN2at6native31launch_logcumsumexp_cuda_kernelERKNSD_10TensorBaseESH_lENKUlvE_clEvENKUlvE4_clEvEUlS6_S6_E_S6_EEDaPvRmT3_T4_T5_mT6_P12ihipStream_tbENKUlT_T0_E_clISt17integral_constantIbLb1EESY_EEDaST_SU_EUlST_E_NS1_11comp_targetILNS1_3genE3ELNS1_11target_archE908ELNS1_3gpuE7ELNS1_3repE0EEENS1_30default_config_static_selectorELNS0_4arch9wavefront6targetE1EEEvT1_.numbered_sgpr, 0
	.set _ZN7rocprim17ROCPRIM_400000_NS6detail17trampoline_kernelINS0_14default_configENS1_20scan_config_selectorIN3c108BFloat16EEEZZNS1_9scan_implILNS1_25lookback_scan_determinismE0ELb0ELb0ES3_PKS6_PS6_S6_ZZZN2at6native31launch_logcumsumexp_cuda_kernelERKNSD_10TensorBaseESH_lENKUlvE_clEvENKUlvE4_clEvEUlS6_S6_E_S6_EEDaPvRmT3_T4_T5_mT6_P12ihipStream_tbENKUlT_T0_E_clISt17integral_constantIbLb1EESY_EEDaST_SU_EUlST_E_NS1_11comp_targetILNS1_3genE3ELNS1_11target_archE908ELNS1_3gpuE7ELNS1_3repE0EEENS1_30default_config_static_selectorELNS0_4arch9wavefront6targetE1EEEvT1_.num_named_barrier, 0
	.set _ZN7rocprim17ROCPRIM_400000_NS6detail17trampoline_kernelINS0_14default_configENS1_20scan_config_selectorIN3c108BFloat16EEEZZNS1_9scan_implILNS1_25lookback_scan_determinismE0ELb0ELb0ES3_PKS6_PS6_S6_ZZZN2at6native31launch_logcumsumexp_cuda_kernelERKNSD_10TensorBaseESH_lENKUlvE_clEvENKUlvE4_clEvEUlS6_S6_E_S6_EEDaPvRmT3_T4_T5_mT6_P12ihipStream_tbENKUlT_T0_E_clISt17integral_constantIbLb1EESY_EEDaST_SU_EUlST_E_NS1_11comp_targetILNS1_3genE3ELNS1_11target_archE908ELNS1_3gpuE7ELNS1_3repE0EEENS1_30default_config_static_selectorELNS0_4arch9wavefront6targetE1EEEvT1_.private_seg_size, 0
	.set _ZN7rocprim17ROCPRIM_400000_NS6detail17trampoline_kernelINS0_14default_configENS1_20scan_config_selectorIN3c108BFloat16EEEZZNS1_9scan_implILNS1_25lookback_scan_determinismE0ELb0ELb0ES3_PKS6_PS6_S6_ZZZN2at6native31launch_logcumsumexp_cuda_kernelERKNSD_10TensorBaseESH_lENKUlvE_clEvENKUlvE4_clEvEUlS6_S6_E_S6_EEDaPvRmT3_T4_T5_mT6_P12ihipStream_tbENKUlT_T0_E_clISt17integral_constantIbLb1EESY_EEDaST_SU_EUlST_E_NS1_11comp_targetILNS1_3genE3ELNS1_11target_archE908ELNS1_3gpuE7ELNS1_3repE0EEENS1_30default_config_static_selectorELNS0_4arch9wavefront6targetE1EEEvT1_.uses_vcc, 0
	.set _ZN7rocprim17ROCPRIM_400000_NS6detail17trampoline_kernelINS0_14default_configENS1_20scan_config_selectorIN3c108BFloat16EEEZZNS1_9scan_implILNS1_25lookback_scan_determinismE0ELb0ELb0ES3_PKS6_PS6_S6_ZZZN2at6native31launch_logcumsumexp_cuda_kernelERKNSD_10TensorBaseESH_lENKUlvE_clEvENKUlvE4_clEvEUlS6_S6_E_S6_EEDaPvRmT3_T4_T5_mT6_P12ihipStream_tbENKUlT_T0_E_clISt17integral_constantIbLb1EESY_EEDaST_SU_EUlST_E_NS1_11comp_targetILNS1_3genE3ELNS1_11target_archE908ELNS1_3gpuE7ELNS1_3repE0EEENS1_30default_config_static_selectorELNS0_4arch9wavefront6targetE1EEEvT1_.uses_flat_scratch, 0
	.set _ZN7rocprim17ROCPRIM_400000_NS6detail17trampoline_kernelINS0_14default_configENS1_20scan_config_selectorIN3c108BFloat16EEEZZNS1_9scan_implILNS1_25lookback_scan_determinismE0ELb0ELb0ES3_PKS6_PS6_S6_ZZZN2at6native31launch_logcumsumexp_cuda_kernelERKNSD_10TensorBaseESH_lENKUlvE_clEvENKUlvE4_clEvEUlS6_S6_E_S6_EEDaPvRmT3_T4_T5_mT6_P12ihipStream_tbENKUlT_T0_E_clISt17integral_constantIbLb1EESY_EEDaST_SU_EUlST_E_NS1_11comp_targetILNS1_3genE3ELNS1_11target_archE908ELNS1_3gpuE7ELNS1_3repE0EEENS1_30default_config_static_selectorELNS0_4arch9wavefront6targetE1EEEvT1_.has_dyn_sized_stack, 0
	.set _ZN7rocprim17ROCPRIM_400000_NS6detail17trampoline_kernelINS0_14default_configENS1_20scan_config_selectorIN3c108BFloat16EEEZZNS1_9scan_implILNS1_25lookback_scan_determinismE0ELb0ELb0ES3_PKS6_PS6_S6_ZZZN2at6native31launch_logcumsumexp_cuda_kernelERKNSD_10TensorBaseESH_lENKUlvE_clEvENKUlvE4_clEvEUlS6_S6_E_S6_EEDaPvRmT3_T4_T5_mT6_P12ihipStream_tbENKUlT_T0_E_clISt17integral_constantIbLb1EESY_EEDaST_SU_EUlST_E_NS1_11comp_targetILNS1_3genE3ELNS1_11target_archE908ELNS1_3gpuE7ELNS1_3repE0EEENS1_30default_config_static_selectorELNS0_4arch9wavefront6targetE1EEEvT1_.has_recursion, 0
	.set _ZN7rocprim17ROCPRIM_400000_NS6detail17trampoline_kernelINS0_14default_configENS1_20scan_config_selectorIN3c108BFloat16EEEZZNS1_9scan_implILNS1_25lookback_scan_determinismE0ELb0ELb0ES3_PKS6_PS6_S6_ZZZN2at6native31launch_logcumsumexp_cuda_kernelERKNSD_10TensorBaseESH_lENKUlvE_clEvENKUlvE4_clEvEUlS6_S6_E_S6_EEDaPvRmT3_T4_T5_mT6_P12ihipStream_tbENKUlT_T0_E_clISt17integral_constantIbLb1EESY_EEDaST_SU_EUlST_E_NS1_11comp_targetILNS1_3genE3ELNS1_11target_archE908ELNS1_3gpuE7ELNS1_3repE0EEENS1_30default_config_static_selectorELNS0_4arch9wavefront6targetE1EEEvT1_.has_indirect_call, 0
	.section	.AMDGPU.csdata,"",@progbits
; Kernel info:
; codeLenInByte = 0
; TotalNumSgprs: 6
; NumVgprs: 0
; NumAgprs: 0
; TotalNumVgprs: 0
; ScratchSize: 0
; MemoryBound: 0
; FloatMode: 240
; IeeeMode: 1
; LDSByteSize: 0 bytes/workgroup (compile time only)
; SGPRBlocks: 0
; VGPRBlocks: 0
; NumSGPRsForWavesPerEU: 6
; NumVGPRsForWavesPerEU: 1
; AccumOffset: 4
; Occupancy: 8
; WaveLimiterHint : 0
; COMPUTE_PGM_RSRC2:SCRATCH_EN: 0
; COMPUTE_PGM_RSRC2:USER_SGPR: 2
; COMPUTE_PGM_RSRC2:TRAP_HANDLER: 0
; COMPUTE_PGM_RSRC2:TGID_X_EN: 1
; COMPUTE_PGM_RSRC2:TGID_Y_EN: 0
; COMPUTE_PGM_RSRC2:TGID_Z_EN: 0
; COMPUTE_PGM_RSRC2:TIDIG_COMP_CNT: 0
; COMPUTE_PGM_RSRC3_GFX90A:ACCUM_OFFSET: 0
; COMPUTE_PGM_RSRC3_GFX90A:TG_SPLIT: 0
	.section	.text._ZN7rocprim17ROCPRIM_400000_NS6detail17trampoline_kernelINS0_14default_configENS1_20scan_config_selectorIN3c108BFloat16EEEZZNS1_9scan_implILNS1_25lookback_scan_determinismE0ELb0ELb0ES3_PKS6_PS6_S6_ZZZN2at6native31launch_logcumsumexp_cuda_kernelERKNSD_10TensorBaseESH_lENKUlvE_clEvENKUlvE4_clEvEUlS6_S6_E_S6_EEDaPvRmT3_T4_T5_mT6_P12ihipStream_tbENKUlT_T0_E_clISt17integral_constantIbLb1EESY_EEDaST_SU_EUlST_E_NS1_11comp_targetILNS1_3genE2ELNS1_11target_archE906ELNS1_3gpuE6ELNS1_3repE0EEENS1_30default_config_static_selectorELNS0_4arch9wavefront6targetE1EEEvT1_,"axG",@progbits,_ZN7rocprim17ROCPRIM_400000_NS6detail17trampoline_kernelINS0_14default_configENS1_20scan_config_selectorIN3c108BFloat16EEEZZNS1_9scan_implILNS1_25lookback_scan_determinismE0ELb0ELb0ES3_PKS6_PS6_S6_ZZZN2at6native31launch_logcumsumexp_cuda_kernelERKNSD_10TensorBaseESH_lENKUlvE_clEvENKUlvE4_clEvEUlS6_S6_E_S6_EEDaPvRmT3_T4_T5_mT6_P12ihipStream_tbENKUlT_T0_E_clISt17integral_constantIbLb1EESY_EEDaST_SU_EUlST_E_NS1_11comp_targetILNS1_3genE2ELNS1_11target_archE906ELNS1_3gpuE6ELNS1_3repE0EEENS1_30default_config_static_selectorELNS0_4arch9wavefront6targetE1EEEvT1_,comdat
	.globl	_ZN7rocprim17ROCPRIM_400000_NS6detail17trampoline_kernelINS0_14default_configENS1_20scan_config_selectorIN3c108BFloat16EEEZZNS1_9scan_implILNS1_25lookback_scan_determinismE0ELb0ELb0ES3_PKS6_PS6_S6_ZZZN2at6native31launch_logcumsumexp_cuda_kernelERKNSD_10TensorBaseESH_lENKUlvE_clEvENKUlvE4_clEvEUlS6_S6_E_S6_EEDaPvRmT3_T4_T5_mT6_P12ihipStream_tbENKUlT_T0_E_clISt17integral_constantIbLb1EESY_EEDaST_SU_EUlST_E_NS1_11comp_targetILNS1_3genE2ELNS1_11target_archE906ELNS1_3gpuE6ELNS1_3repE0EEENS1_30default_config_static_selectorELNS0_4arch9wavefront6targetE1EEEvT1_ ; -- Begin function _ZN7rocprim17ROCPRIM_400000_NS6detail17trampoline_kernelINS0_14default_configENS1_20scan_config_selectorIN3c108BFloat16EEEZZNS1_9scan_implILNS1_25lookback_scan_determinismE0ELb0ELb0ES3_PKS6_PS6_S6_ZZZN2at6native31launch_logcumsumexp_cuda_kernelERKNSD_10TensorBaseESH_lENKUlvE_clEvENKUlvE4_clEvEUlS6_S6_E_S6_EEDaPvRmT3_T4_T5_mT6_P12ihipStream_tbENKUlT_T0_E_clISt17integral_constantIbLb1EESY_EEDaST_SU_EUlST_E_NS1_11comp_targetILNS1_3genE2ELNS1_11target_archE906ELNS1_3gpuE6ELNS1_3repE0EEENS1_30default_config_static_selectorELNS0_4arch9wavefront6targetE1EEEvT1_
	.p2align	8
	.type	_ZN7rocprim17ROCPRIM_400000_NS6detail17trampoline_kernelINS0_14default_configENS1_20scan_config_selectorIN3c108BFloat16EEEZZNS1_9scan_implILNS1_25lookback_scan_determinismE0ELb0ELb0ES3_PKS6_PS6_S6_ZZZN2at6native31launch_logcumsumexp_cuda_kernelERKNSD_10TensorBaseESH_lENKUlvE_clEvENKUlvE4_clEvEUlS6_S6_E_S6_EEDaPvRmT3_T4_T5_mT6_P12ihipStream_tbENKUlT_T0_E_clISt17integral_constantIbLb1EESY_EEDaST_SU_EUlST_E_NS1_11comp_targetILNS1_3genE2ELNS1_11target_archE906ELNS1_3gpuE6ELNS1_3repE0EEENS1_30default_config_static_selectorELNS0_4arch9wavefront6targetE1EEEvT1_,@function
_ZN7rocprim17ROCPRIM_400000_NS6detail17trampoline_kernelINS0_14default_configENS1_20scan_config_selectorIN3c108BFloat16EEEZZNS1_9scan_implILNS1_25lookback_scan_determinismE0ELb0ELb0ES3_PKS6_PS6_S6_ZZZN2at6native31launch_logcumsumexp_cuda_kernelERKNSD_10TensorBaseESH_lENKUlvE_clEvENKUlvE4_clEvEUlS6_S6_E_S6_EEDaPvRmT3_T4_T5_mT6_P12ihipStream_tbENKUlT_T0_E_clISt17integral_constantIbLb1EESY_EEDaST_SU_EUlST_E_NS1_11comp_targetILNS1_3genE2ELNS1_11target_archE906ELNS1_3gpuE6ELNS1_3repE0EEENS1_30default_config_static_selectorELNS0_4arch9wavefront6targetE1EEEvT1_: ; @_ZN7rocprim17ROCPRIM_400000_NS6detail17trampoline_kernelINS0_14default_configENS1_20scan_config_selectorIN3c108BFloat16EEEZZNS1_9scan_implILNS1_25lookback_scan_determinismE0ELb0ELb0ES3_PKS6_PS6_S6_ZZZN2at6native31launch_logcumsumexp_cuda_kernelERKNSD_10TensorBaseESH_lENKUlvE_clEvENKUlvE4_clEvEUlS6_S6_E_S6_EEDaPvRmT3_T4_T5_mT6_P12ihipStream_tbENKUlT_T0_E_clISt17integral_constantIbLb1EESY_EEDaST_SU_EUlST_E_NS1_11comp_targetILNS1_3genE2ELNS1_11target_archE906ELNS1_3gpuE6ELNS1_3repE0EEENS1_30default_config_static_selectorELNS0_4arch9wavefront6targetE1EEEvT1_
; %bb.0:
	.section	.rodata,"a",@progbits
	.p2align	6, 0x0
	.amdhsa_kernel _ZN7rocprim17ROCPRIM_400000_NS6detail17trampoline_kernelINS0_14default_configENS1_20scan_config_selectorIN3c108BFloat16EEEZZNS1_9scan_implILNS1_25lookback_scan_determinismE0ELb0ELb0ES3_PKS6_PS6_S6_ZZZN2at6native31launch_logcumsumexp_cuda_kernelERKNSD_10TensorBaseESH_lENKUlvE_clEvENKUlvE4_clEvEUlS6_S6_E_S6_EEDaPvRmT3_T4_T5_mT6_P12ihipStream_tbENKUlT_T0_E_clISt17integral_constantIbLb1EESY_EEDaST_SU_EUlST_E_NS1_11comp_targetILNS1_3genE2ELNS1_11target_archE906ELNS1_3gpuE6ELNS1_3repE0EEENS1_30default_config_static_selectorELNS0_4arch9wavefront6targetE1EEEvT1_
		.amdhsa_group_segment_fixed_size 0
		.amdhsa_private_segment_fixed_size 0
		.amdhsa_kernarg_size 96
		.amdhsa_user_sgpr_count 2
		.amdhsa_user_sgpr_dispatch_ptr 0
		.amdhsa_user_sgpr_queue_ptr 0
		.amdhsa_user_sgpr_kernarg_segment_ptr 1
		.amdhsa_user_sgpr_dispatch_id 0
		.amdhsa_user_sgpr_kernarg_preload_length 0
		.amdhsa_user_sgpr_kernarg_preload_offset 0
		.amdhsa_user_sgpr_private_segment_size 0
		.amdhsa_uses_dynamic_stack 0
		.amdhsa_enable_private_segment 0
		.amdhsa_system_sgpr_workgroup_id_x 1
		.amdhsa_system_sgpr_workgroup_id_y 0
		.amdhsa_system_sgpr_workgroup_id_z 0
		.amdhsa_system_sgpr_workgroup_info 0
		.amdhsa_system_vgpr_workitem_id 0
		.amdhsa_next_free_vgpr 1
		.amdhsa_next_free_sgpr 0
		.amdhsa_accum_offset 4
		.amdhsa_reserve_vcc 0
		.amdhsa_float_round_mode_32 0
		.amdhsa_float_round_mode_16_64 0
		.amdhsa_float_denorm_mode_32 3
		.amdhsa_float_denorm_mode_16_64 3
		.amdhsa_dx10_clamp 1
		.amdhsa_ieee_mode 1
		.amdhsa_fp16_overflow 0
		.amdhsa_tg_split 0
		.amdhsa_exception_fp_ieee_invalid_op 0
		.amdhsa_exception_fp_denorm_src 0
		.amdhsa_exception_fp_ieee_div_zero 0
		.amdhsa_exception_fp_ieee_overflow 0
		.amdhsa_exception_fp_ieee_underflow 0
		.amdhsa_exception_fp_ieee_inexact 0
		.amdhsa_exception_int_div_zero 0
	.end_amdhsa_kernel
	.section	.text._ZN7rocprim17ROCPRIM_400000_NS6detail17trampoline_kernelINS0_14default_configENS1_20scan_config_selectorIN3c108BFloat16EEEZZNS1_9scan_implILNS1_25lookback_scan_determinismE0ELb0ELb0ES3_PKS6_PS6_S6_ZZZN2at6native31launch_logcumsumexp_cuda_kernelERKNSD_10TensorBaseESH_lENKUlvE_clEvENKUlvE4_clEvEUlS6_S6_E_S6_EEDaPvRmT3_T4_T5_mT6_P12ihipStream_tbENKUlT_T0_E_clISt17integral_constantIbLb1EESY_EEDaST_SU_EUlST_E_NS1_11comp_targetILNS1_3genE2ELNS1_11target_archE906ELNS1_3gpuE6ELNS1_3repE0EEENS1_30default_config_static_selectorELNS0_4arch9wavefront6targetE1EEEvT1_,"axG",@progbits,_ZN7rocprim17ROCPRIM_400000_NS6detail17trampoline_kernelINS0_14default_configENS1_20scan_config_selectorIN3c108BFloat16EEEZZNS1_9scan_implILNS1_25lookback_scan_determinismE0ELb0ELb0ES3_PKS6_PS6_S6_ZZZN2at6native31launch_logcumsumexp_cuda_kernelERKNSD_10TensorBaseESH_lENKUlvE_clEvENKUlvE4_clEvEUlS6_S6_E_S6_EEDaPvRmT3_T4_T5_mT6_P12ihipStream_tbENKUlT_T0_E_clISt17integral_constantIbLb1EESY_EEDaST_SU_EUlST_E_NS1_11comp_targetILNS1_3genE2ELNS1_11target_archE906ELNS1_3gpuE6ELNS1_3repE0EEENS1_30default_config_static_selectorELNS0_4arch9wavefront6targetE1EEEvT1_,comdat
.Lfunc_end469:
	.size	_ZN7rocprim17ROCPRIM_400000_NS6detail17trampoline_kernelINS0_14default_configENS1_20scan_config_selectorIN3c108BFloat16EEEZZNS1_9scan_implILNS1_25lookback_scan_determinismE0ELb0ELb0ES3_PKS6_PS6_S6_ZZZN2at6native31launch_logcumsumexp_cuda_kernelERKNSD_10TensorBaseESH_lENKUlvE_clEvENKUlvE4_clEvEUlS6_S6_E_S6_EEDaPvRmT3_T4_T5_mT6_P12ihipStream_tbENKUlT_T0_E_clISt17integral_constantIbLb1EESY_EEDaST_SU_EUlST_E_NS1_11comp_targetILNS1_3genE2ELNS1_11target_archE906ELNS1_3gpuE6ELNS1_3repE0EEENS1_30default_config_static_selectorELNS0_4arch9wavefront6targetE1EEEvT1_, .Lfunc_end469-_ZN7rocprim17ROCPRIM_400000_NS6detail17trampoline_kernelINS0_14default_configENS1_20scan_config_selectorIN3c108BFloat16EEEZZNS1_9scan_implILNS1_25lookback_scan_determinismE0ELb0ELb0ES3_PKS6_PS6_S6_ZZZN2at6native31launch_logcumsumexp_cuda_kernelERKNSD_10TensorBaseESH_lENKUlvE_clEvENKUlvE4_clEvEUlS6_S6_E_S6_EEDaPvRmT3_T4_T5_mT6_P12ihipStream_tbENKUlT_T0_E_clISt17integral_constantIbLb1EESY_EEDaST_SU_EUlST_E_NS1_11comp_targetILNS1_3genE2ELNS1_11target_archE906ELNS1_3gpuE6ELNS1_3repE0EEENS1_30default_config_static_selectorELNS0_4arch9wavefront6targetE1EEEvT1_
                                        ; -- End function
	.set _ZN7rocprim17ROCPRIM_400000_NS6detail17trampoline_kernelINS0_14default_configENS1_20scan_config_selectorIN3c108BFloat16EEEZZNS1_9scan_implILNS1_25lookback_scan_determinismE0ELb0ELb0ES3_PKS6_PS6_S6_ZZZN2at6native31launch_logcumsumexp_cuda_kernelERKNSD_10TensorBaseESH_lENKUlvE_clEvENKUlvE4_clEvEUlS6_S6_E_S6_EEDaPvRmT3_T4_T5_mT6_P12ihipStream_tbENKUlT_T0_E_clISt17integral_constantIbLb1EESY_EEDaST_SU_EUlST_E_NS1_11comp_targetILNS1_3genE2ELNS1_11target_archE906ELNS1_3gpuE6ELNS1_3repE0EEENS1_30default_config_static_selectorELNS0_4arch9wavefront6targetE1EEEvT1_.num_vgpr, 0
	.set _ZN7rocprim17ROCPRIM_400000_NS6detail17trampoline_kernelINS0_14default_configENS1_20scan_config_selectorIN3c108BFloat16EEEZZNS1_9scan_implILNS1_25lookback_scan_determinismE0ELb0ELb0ES3_PKS6_PS6_S6_ZZZN2at6native31launch_logcumsumexp_cuda_kernelERKNSD_10TensorBaseESH_lENKUlvE_clEvENKUlvE4_clEvEUlS6_S6_E_S6_EEDaPvRmT3_T4_T5_mT6_P12ihipStream_tbENKUlT_T0_E_clISt17integral_constantIbLb1EESY_EEDaST_SU_EUlST_E_NS1_11comp_targetILNS1_3genE2ELNS1_11target_archE906ELNS1_3gpuE6ELNS1_3repE0EEENS1_30default_config_static_selectorELNS0_4arch9wavefront6targetE1EEEvT1_.num_agpr, 0
	.set _ZN7rocprim17ROCPRIM_400000_NS6detail17trampoline_kernelINS0_14default_configENS1_20scan_config_selectorIN3c108BFloat16EEEZZNS1_9scan_implILNS1_25lookback_scan_determinismE0ELb0ELb0ES3_PKS6_PS6_S6_ZZZN2at6native31launch_logcumsumexp_cuda_kernelERKNSD_10TensorBaseESH_lENKUlvE_clEvENKUlvE4_clEvEUlS6_S6_E_S6_EEDaPvRmT3_T4_T5_mT6_P12ihipStream_tbENKUlT_T0_E_clISt17integral_constantIbLb1EESY_EEDaST_SU_EUlST_E_NS1_11comp_targetILNS1_3genE2ELNS1_11target_archE906ELNS1_3gpuE6ELNS1_3repE0EEENS1_30default_config_static_selectorELNS0_4arch9wavefront6targetE1EEEvT1_.numbered_sgpr, 0
	.set _ZN7rocprim17ROCPRIM_400000_NS6detail17trampoline_kernelINS0_14default_configENS1_20scan_config_selectorIN3c108BFloat16EEEZZNS1_9scan_implILNS1_25lookback_scan_determinismE0ELb0ELb0ES3_PKS6_PS6_S6_ZZZN2at6native31launch_logcumsumexp_cuda_kernelERKNSD_10TensorBaseESH_lENKUlvE_clEvENKUlvE4_clEvEUlS6_S6_E_S6_EEDaPvRmT3_T4_T5_mT6_P12ihipStream_tbENKUlT_T0_E_clISt17integral_constantIbLb1EESY_EEDaST_SU_EUlST_E_NS1_11comp_targetILNS1_3genE2ELNS1_11target_archE906ELNS1_3gpuE6ELNS1_3repE0EEENS1_30default_config_static_selectorELNS0_4arch9wavefront6targetE1EEEvT1_.num_named_barrier, 0
	.set _ZN7rocprim17ROCPRIM_400000_NS6detail17trampoline_kernelINS0_14default_configENS1_20scan_config_selectorIN3c108BFloat16EEEZZNS1_9scan_implILNS1_25lookback_scan_determinismE0ELb0ELb0ES3_PKS6_PS6_S6_ZZZN2at6native31launch_logcumsumexp_cuda_kernelERKNSD_10TensorBaseESH_lENKUlvE_clEvENKUlvE4_clEvEUlS6_S6_E_S6_EEDaPvRmT3_T4_T5_mT6_P12ihipStream_tbENKUlT_T0_E_clISt17integral_constantIbLb1EESY_EEDaST_SU_EUlST_E_NS1_11comp_targetILNS1_3genE2ELNS1_11target_archE906ELNS1_3gpuE6ELNS1_3repE0EEENS1_30default_config_static_selectorELNS0_4arch9wavefront6targetE1EEEvT1_.private_seg_size, 0
	.set _ZN7rocprim17ROCPRIM_400000_NS6detail17trampoline_kernelINS0_14default_configENS1_20scan_config_selectorIN3c108BFloat16EEEZZNS1_9scan_implILNS1_25lookback_scan_determinismE0ELb0ELb0ES3_PKS6_PS6_S6_ZZZN2at6native31launch_logcumsumexp_cuda_kernelERKNSD_10TensorBaseESH_lENKUlvE_clEvENKUlvE4_clEvEUlS6_S6_E_S6_EEDaPvRmT3_T4_T5_mT6_P12ihipStream_tbENKUlT_T0_E_clISt17integral_constantIbLb1EESY_EEDaST_SU_EUlST_E_NS1_11comp_targetILNS1_3genE2ELNS1_11target_archE906ELNS1_3gpuE6ELNS1_3repE0EEENS1_30default_config_static_selectorELNS0_4arch9wavefront6targetE1EEEvT1_.uses_vcc, 0
	.set _ZN7rocprim17ROCPRIM_400000_NS6detail17trampoline_kernelINS0_14default_configENS1_20scan_config_selectorIN3c108BFloat16EEEZZNS1_9scan_implILNS1_25lookback_scan_determinismE0ELb0ELb0ES3_PKS6_PS6_S6_ZZZN2at6native31launch_logcumsumexp_cuda_kernelERKNSD_10TensorBaseESH_lENKUlvE_clEvENKUlvE4_clEvEUlS6_S6_E_S6_EEDaPvRmT3_T4_T5_mT6_P12ihipStream_tbENKUlT_T0_E_clISt17integral_constantIbLb1EESY_EEDaST_SU_EUlST_E_NS1_11comp_targetILNS1_3genE2ELNS1_11target_archE906ELNS1_3gpuE6ELNS1_3repE0EEENS1_30default_config_static_selectorELNS0_4arch9wavefront6targetE1EEEvT1_.uses_flat_scratch, 0
	.set _ZN7rocprim17ROCPRIM_400000_NS6detail17trampoline_kernelINS0_14default_configENS1_20scan_config_selectorIN3c108BFloat16EEEZZNS1_9scan_implILNS1_25lookback_scan_determinismE0ELb0ELb0ES3_PKS6_PS6_S6_ZZZN2at6native31launch_logcumsumexp_cuda_kernelERKNSD_10TensorBaseESH_lENKUlvE_clEvENKUlvE4_clEvEUlS6_S6_E_S6_EEDaPvRmT3_T4_T5_mT6_P12ihipStream_tbENKUlT_T0_E_clISt17integral_constantIbLb1EESY_EEDaST_SU_EUlST_E_NS1_11comp_targetILNS1_3genE2ELNS1_11target_archE906ELNS1_3gpuE6ELNS1_3repE0EEENS1_30default_config_static_selectorELNS0_4arch9wavefront6targetE1EEEvT1_.has_dyn_sized_stack, 0
	.set _ZN7rocprim17ROCPRIM_400000_NS6detail17trampoline_kernelINS0_14default_configENS1_20scan_config_selectorIN3c108BFloat16EEEZZNS1_9scan_implILNS1_25lookback_scan_determinismE0ELb0ELb0ES3_PKS6_PS6_S6_ZZZN2at6native31launch_logcumsumexp_cuda_kernelERKNSD_10TensorBaseESH_lENKUlvE_clEvENKUlvE4_clEvEUlS6_S6_E_S6_EEDaPvRmT3_T4_T5_mT6_P12ihipStream_tbENKUlT_T0_E_clISt17integral_constantIbLb1EESY_EEDaST_SU_EUlST_E_NS1_11comp_targetILNS1_3genE2ELNS1_11target_archE906ELNS1_3gpuE6ELNS1_3repE0EEENS1_30default_config_static_selectorELNS0_4arch9wavefront6targetE1EEEvT1_.has_recursion, 0
	.set _ZN7rocprim17ROCPRIM_400000_NS6detail17trampoline_kernelINS0_14default_configENS1_20scan_config_selectorIN3c108BFloat16EEEZZNS1_9scan_implILNS1_25lookback_scan_determinismE0ELb0ELb0ES3_PKS6_PS6_S6_ZZZN2at6native31launch_logcumsumexp_cuda_kernelERKNSD_10TensorBaseESH_lENKUlvE_clEvENKUlvE4_clEvEUlS6_S6_E_S6_EEDaPvRmT3_T4_T5_mT6_P12ihipStream_tbENKUlT_T0_E_clISt17integral_constantIbLb1EESY_EEDaST_SU_EUlST_E_NS1_11comp_targetILNS1_3genE2ELNS1_11target_archE906ELNS1_3gpuE6ELNS1_3repE0EEENS1_30default_config_static_selectorELNS0_4arch9wavefront6targetE1EEEvT1_.has_indirect_call, 0
	.section	.AMDGPU.csdata,"",@progbits
; Kernel info:
; codeLenInByte = 0
; TotalNumSgprs: 6
; NumVgprs: 0
; NumAgprs: 0
; TotalNumVgprs: 0
; ScratchSize: 0
; MemoryBound: 0
; FloatMode: 240
; IeeeMode: 1
; LDSByteSize: 0 bytes/workgroup (compile time only)
; SGPRBlocks: 0
; VGPRBlocks: 0
; NumSGPRsForWavesPerEU: 6
; NumVGPRsForWavesPerEU: 1
; AccumOffset: 4
; Occupancy: 8
; WaveLimiterHint : 0
; COMPUTE_PGM_RSRC2:SCRATCH_EN: 0
; COMPUTE_PGM_RSRC2:USER_SGPR: 2
; COMPUTE_PGM_RSRC2:TRAP_HANDLER: 0
; COMPUTE_PGM_RSRC2:TGID_X_EN: 1
; COMPUTE_PGM_RSRC2:TGID_Y_EN: 0
; COMPUTE_PGM_RSRC2:TGID_Z_EN: 0
; COMPUTE_PGM_RSRC2:TIDIG_COMP_CNT: 0
; COMPUTE_PGM_RSRC3_GFX90A:ACCUM_OFFSET: 0
; COMPUTE_PGM_RSRC3_GFX90A:TG_SPLIT: 0
	.section	.text._ZN7rocprim17ROCPRIM_400000_NS6detail17trampoline_kernelINS0_14default_configENS1_20scan_config_selectorIN3c108BFloat16EEEZZNS1_9scan_implILNS1_25lookback_scan_determinismE0ELb0ELb0ES3_PKS6_PS6_S6_ZZZN2at6native31launch_logcumsumexp_cuda_kernelERKNSD_10TensorBaseESH_lENKUlvE_clEvENKUlvE4_clEvEUlS6_S6_E_S6_EEDaPvRmT3_T4_T5_mT6_P12ihipStream_tbENKUlT_T0_E_clISt17integral_constantIbLb1EESY_EEDaST_SU_EUlST_E_NS1_11comp_targetILNS1_3genE10ELNS1_11target_archE1201ELNS1_3gpuE5ELNS1_3repE0EEENS1_30default_config_static_selectorELNS0_4arch9wavefront6targetE1EEEvT1_,"axG",@progbits,_ZN7rocprim17ROCPRIM_400000_NS6detail17trampoline_kernelINS0_14default_configENS1_20scan_config_selectorIN3c108BFloat16EEEZZNS1_9scan_implILNS1_25lookback_scan_determinismE0ELb0ELb0ES3_PKS6_PS6_S6_ZZZN2at6native31launch_logcumsumexp_cuda_kernelERKNSD_10TensorBaseESH_lENKUlvE_clEvENKUlvE4_clEvEUlS6_S6_E_S6_EEDaPvRmT3_T4_T5_mT6_P12ihipStream_tbENKUlT_T0_E_clISt17integral_constantIbLb1EESY_EEDaST_SU_EUlST_E_NS1_11comp_targetILNS1_3genE10ELNS1_11target_archE1201ELNS1_3gpuE5ELNS1_3repE0EEENS1_30default_config_static_selectorELNS0_4arch9wavefront6targetE1EEEvT1_,comdat
	.globl	_ZN7rocprim17ROCPRIM_400000_NS6detail17trampoline_kernelINS0_14default_configENS1_20scan_config_selectorIN3c108BFloat16EEEZZNS1_9scan_implILNS1_25lookback_scan_determinismE0ELb0ELb0ES3_PKS6_PS6_S6_ZZZN2at6native31launch_logcumsumexp_cuda_kernelERKNSD_10TensorBaseESH_lENKUlvE_clEvENKUlvE4_clEvEUlS6_S6_E_S6_EEDaPvRmT3_T4_T5_mT6_P12ihipStream_tbENKUlT_T0_E_clISt17integral_constantIbLb1EESY_EEDaST_SU_EUlST_E_NS1_11comp_targetILNS1_3genE10ELNS1_11target_archE1201ELNS1_3gpuE5ELNS1_3repE0EEENS1_30default_config_static_selectorELNS0_4arch9wavefront6targetE1EEEvT1_ ; -- Begin function _ZN7rocprim17ROCPRIM_400000_NS6detail17trampoline_kernelINS0_14default_configENS1_20scan_config_selectorIN3c108BFloat16EEEZZNS1_9scan_implILNS1_25lookback_scan_determinismE0ELb0ELb0ES3_PKS6_PS6_S6_ZZZN2at6native31launch_logcumsumexp_cuda_kernelERKNSD_10TensorBaseESH_lENKUlvE_clEvENKUlvE4_clEvEUlS6_S6_E_S6_EEDaPvRmT3_T4_T5_mT6_P12ihipStream_tbENKUlT_T0_E_clISt17integral_constantIbLb1EESY_EEDaST_SU_EUlST_E_NS1_11comp_targetILNS1_3genE10ELNS1_11target_archE1201ELNS1_3gpuE5ELNS1_3repE0EEENS1_30default_config_static_selectorELNS0_4arch9wavefront6targetE1EEEvT1_
	.p2align	8
	.type	_ZN7rocprim17ROCPRIM_400000_NS6detail17trampoline_kernelINS0_14default_configENS1_20scan_config_selectorIN3c108BFloat16EEEZZNS1_9scan_implILNS1_25lookback_scan_determinismE0ELb0ELb0ES3_PKS6_PS6_S6_ZZZN2at6native31launch_logcumsumexp_cuda_kernelERKNSD_10TensorBaseESH_lENKUlvE_clEvENKUlvE4_clEvEUlS6_S6_E_S6_EEDaPvRmT3_T4_T5_mT6_P12ihipStream_tbENKUlT_T0_E_clISt17integral_constantIbLb1EESY_EEDaST_SU_EUlST_E_NS1_11comp_targetILNS1_3genE10ELNS1_11target_archE1201ELNS1_3gpuE5ELNS1_3repE0EEENS1_30default_config_static_selectorELNS0_4arch9wavefront6targetE1EEEvT1_,@function
_ZN7rocprim17ROCPRIM_400000_NS6detail17trampoline_kernelINS0_14default_configENS1_20scan_config_selectorIN3c108BFloat16EEEZZNS1_9scan_implILNS1_25lookback_scan_determinismE0ELb0ELb0ES3_PKS6_PS6_S6_ZZZN2at6native31launch_logcumsumexp_cuda_kernelERKNSD_10TensorBaseESH_lENKUlvE_clEvENKUlvE4_clEvEUlS6_S6_E_S6_EEDaPvRmT3_T4_T5_mT6_P12ihipStream_tbENKUlT_T0_E_clISt17integral_constantIbLb1EESY_EEDaST_SU_EUlST_E_NS1_11comp_targetILNS1_3genE10ELNS1_11target_archE1201ELNS1_3gpuE5ELNS1_3repE0EEENS1_30default_config_static_selectorELNS0_4arch9wavefront6targetE1EEEvT1_: ; @_ZN7rocprim17ROCPRIM_400000_NS6detail17trampoline_kernelINS0_14default_configENS1_20scan_config_selectorIN3c108BFloat16EEEZZNS1_9scan_implILNS1_25lookback_scan_determinismE0ELb0ELb0ES3_PKS6_PS6_S6_ZZZN2at6native31launch_logcumsumexp_cuda_kernelERKNSD_10TensorBaseESH_lENKUlvE_clEvENKUlvE4_clEvEUlS6_S6_E_S6_EEDaPvRmT3_T4_T5_mT6_P12ihipStream_tbENKUlT_T0_E_clISt17integral_constantIbLb1EESY_EEDaST_SU_EUlST_E_NS1_11comp_targetILNS1_3genE10ELNS1_11target_archE1201ELNS1_3gpuE5ELNS1_3repE0EEENS1_30default_config_static_selectorELNS0_4arch9wavefront6targetE1EEEvT1_
; %bb.0:
	.section	.rodata,"a",@progbits
	.p2align	6, 0x0
	.amdhsa_kernel _ZN7rocprim17ROCPRIM_400000_NS6detail17trampoline_kernelINS0_14default_configENS1_20scan_config_selectorIN3c108BFloat16EEEZZNS1_9scan_implILNS1_25lookback_scan_determinismE0ELb0ELb0ES3_PKS6_PS6_S6_ZZZN2at6native31launch_logcumsumexp_cuda_kernelERKNSD_10TensorBaseESH_lENKUlvE_clEvENKUlvE4_clEvEUlS6_S6_E_S6_EEDaPvRmT3_T4_T5_mT6_P12ihipStream_tbENKUlT_T0_E_clISt17integral_constantIbLb1EESY_EEDaST_SU_EUlST_E_NS1_11comp_targetILNS1_3genE10ELNS1_11target_archE1201ELNS1_3gpuE5ELNS1_3repE0EEENS1_30default_config_static_selectorELNS0_4arch9wavefront6targetE1EEEvT1_
		.amdhsa_group_segment_fixed_size 0
		.amdhsa_private_segment_fixed_size 0
		.amdhsa_kernarg_size 96
		.amdhsa_user_sgpr_count 2
		.amdhsa_user_sgpr_dispatch_ptr 0
		.amdhsa_user_sgpr_queue_ptr 0
		.amdhsa_user_sgpr_kernarg_segment_ptr 1
		.amdhsa_user_sgpr_dispatch_id 0
		.amdhsa_user_sgpr_kernarg_preload_length 0
		.amdhsa_user_sgpr_kernarg_preload_offset 0
		.amdhsa_user_sgpr_private_segment_size 0
		.amdhsa_uses_dynamic_stack 0
		.amdhsa_enable_private_segment 0
		.amdhsa_system_sgpr_workgroup_id_x 1
		.amdhsa_system_sgpr_workgroup_id_y 0
		.amdhsa_system_sgpr_workgroup_id_z 0
		.amdhsa_system_sgpr_workgroup_info 0
		.amdhsa_system_vgpr_workitem_id 0
		.amdhsa_next_free_vgpr 1
		.amdhsa_next_free_sgpr 0
		.amdhsa_accum_offset 4
		.amdhsa_reserve_vcc 0
		.amdhsa_float_round_mode_32 0
		.amdhsa_float_round_mode_16_64 0
		.amdhsa_float_denorm_mode_32 3
		.amdhsa_float_denorm_mode_16_64 3
		.amdhsa_dx10_clamp 1
		.amdhsa_ieee_mode 1
		.amdhsa_fp16_overflow 0
		.amdhsa_tg_split 0
		.amdhsa_exception_fp_ieee_invalid_op 0
		.amdhsa_exception_fp_denorm_src 0
		.amdhsa_exception_fp_ieee_div_zero 0
		.amdhsa_exception_fp_ieee_overflow 0
		.amdhsa_exception_fp_ieee_underflow 0
		.amdhsa_exception_fp_ieee_inexact 0
		.amdhsa_exception_int_div_zero 0
	.end_amdhsa_kernel
	.section	.text._ZN7rocprim17ROCPRIM_400000_NS6detail17trampoline_kernelINS0_14default_configENS1_20scan_config_selectorIN3c108BFloat16EEEZZNS1_9scan_implILNS1_25lookback_scan_determinismE0ELb0ELb0ES3_PKS6_PS6_S6_ZZZN2at6native31launch_logcumsumexp_cuda_kernelERKNSD_10TensorBaseESH_lENKUlvE_clEvENKUlvE4_clEvEUlS6_S6_E_S6_EEDaPvRmT3_T4_T5_mT6_P12ihipStream_tbENKUlT_T0_E_clISt17integral_constantIbLb1EESY_EEDaST_SU_EUlST_E_NS1_11comp_targetILNS1_3genE10ELNS1_11target_archE1201ELNS1_3gpuE5ELNS1_3repE0EEENS1_30default_config_static_selectorELNS0_4arch9wavefront6targetE1EEEvT1_,"axG",@progbits,_ZN7rocprim17ROCPRIM_400000_NS6detail17trampoline_kernelINS0_14default_configENS1_20scan_config_selectorIN3c108BFloat16EEEZZNS1_9scan_implILNS1_25lookback_scan_determinismE0ELb0ELb0ES3_PKS6_PS6_S6_ZZZN2at6native31launch_logcumsumexp_cuda_kernelERKNSD_10TensorBaseESH_lENKUlvE_clEvENKUlvE4_clEvEUlS6_S6_E_S6_EEDaPvRmT3_T4_T5_mT6_P12ihipStream_tbENKUlT_T0_E_clISt17integral_constantIbLb1EESY_EEDaST_SU_EUlST_E_NS1_11comp_targetILNS1_3genE10ELNS1_11target_archE1201ELNS1_3gpuE5ELNS1_3repE0EEENS1_30default_config_static_selectorELNS0_4arch9wavefront6targetE1EEEvT1_,comdat
.Lfunc_end470:
	.size	_ZN7rocprim17ROCPRIM_400000_NS6detail17trampoline_kernelINS0_14default_configENS1_20scan_config_selectorIN3c108BFloat16EEEZZNS1_9scan_implILNS1_25lookback_scan_determinismE0ELb0ELb0ES3_PKS6_PS6_S6_ZZZN2at6native31launch_logcumsumexp_cuda_kernelERKNSD_10TensorBaseESH_lENKUlvE_clEvENKUlvE4_clEvEUlS6_S6_E_S6_EEDaPvRmT3_T4_T5_mT6_P12ihipStream_tbENKUlT_T0_E_clISt17integral_constantIbLb1EESY_EEDaST_SU_EUlST_E_NS1_11comp_targetILNS1_3genE10ELNS1_11target_archE1201ELNS1_3gpuE5ELNS1_3repE0EEENS1_30default_config_static_selectorELNS0_4arch9wavefront6targetE1EEEvT1_, .Lfunc_end470-_ZN7rocprim17ROCPRIM_400000_NS6detail17trampoline_kernelINS0_14default_configENS1_20scan_config_selectorIN3c108BFloat16EEEZZNS1_9scan_implILNS1_25lookback_scan_determinismE0ELb0ELb0ES3_PKS6_PS6_S6_ZZZN2at6native31launch_logcumsumexp_cuda_kernelERKNSD_10TensorBaseESH_lENKUlvE_clEvENKUlvE4_clEvEUlS6_S6_E_S6_EEDaPvRmT3_T4_T5_mT6_P12ihipStream_tbENKUlT_T0_E_clISt17integral_constantIbLb1EESY_EEDaST_SU_EUlST_E_NS1_11comp_targetILNS1_3genE10ELNS1_11target_archE1201ELNS1_3gpuE5ELNS1_3repE0EEENS1_30default_config_static_selectorELNS0_4arch9wavefront6targetE1EEEvT1_
                                        ; -- End function
	.set _ZN7rocprim17ROCPRIM_400000_NS6detail17trampoline_kernelINS0_14default_configENS1_20scan_config_selectorIN3c108BFloat16EEEZZNS1_9scan_implILNS1_25lookback_scan_determinismE0ELb0ELb0ES3_PKS6_PS6_S6_ZZZN2at6native31launch_logcumsumexp_cuda_kernelERKNSD_10TensorBaseESH_lENKUlvE_clEvENKUlvE4_clEvEUlS6_S6_E_S6_EEDaPvRmT3_T4_T5_mT6_P12ihipStream_tbENKUlT_T0_E_clISt17integral_constantIbLb1EESY_EEDaST_SU_EUlST_E_NS1_11comp_targetILNS1_3genE10ELNS1_11target_archE1201ELNS1_3gpuE5ELNS1_3repE0EEENS1_30default_config_static_selectorELNS0_4arch9wavefront6targetE1EEEvT1_.num_vgpr, 0
	.set _ZN7rocprim17ROCPRIM_400000_NS6detail17trampoline_kernelINS0_14default_configENS1_20scan_config_selectorIN3c108BFloat16EEEZZNS1_9scan_implILNS1_25lookback_scan_determinismE0ELb0ELb0ES3_PKS6_PS6_S6_ZZZN2at6native31launch_logcumsumexp_cuda_kernelERKNSD_10TensorBaseESH_lENKUlvE_clEvENKUlvE4_clEvEUlS6_S6_E_S6_EEDaPvRmT3_T4_T5_mT6_P12ihipStream_tbENKUlT_T0_E_clISt17integral_constantIbLb1EESY_EEDaST_SU_EUlST_E_NS1_11comp_targetILNS1_3genE10ELNS1_11target_archE1201ELNS1_3gpuE5ELNS1_3repE0EEENS1_30default_config_static_selectorELNS0_4arch9wavefront6targetE1EEEvT1_.num_agpr, 0
	.set _ZN7rocprim17ROCPRIM_400000_NS6detail17trampoline_kernelINS0_14default_configENS1_20scan_config_selectorIN3c108BFloat16EEEZZNS1_9scan_implILNS1_25lookback_scan_determinismE0ELb0ELb0ES3_PKS6_PS6_S6_ZZZN2at6native31launch_logcumsumexp_cuda_kernelERKNSD_10TensorBaseESH_lENKUlvE_clEvENKUlvE4_clEvEUlS6_S6_E_S6_EEDaPvRmT3_T4_T5_mT6_P12ihipStream_tbENKUlT_T0_E_clISt17integral_constantIbLb1EESY_EEDaST_SU_EUlST_E_NS1_11comp_targetILNS1_3genE10ELNS1_11target_archE1201ELNS1_3gpuE5ELNS1_3repE0EEENS1_30default_config_static_selectorELNS0_4arch9wavefront6targetE1EEEvT1_.numbered_sgpr, 0
	.set _ZN7rocprim17ROCPRIM_400000_NS6detail17trampoline_kernelINS0_14default_configENS1_20scan_config_selectorIN3c108BFloat16EEEZZNS1_9scan_implILNS1_25lookback_scan_determinismE0ELb0ELb0ES3_PKS6_PS6_S6_ZZZN2at6native31launch_logcumsumexp_cuda_kernelERKNSD_10TensorBaseESH_lENKUlvE_clEvENKUlvE4_clEvEUlS6_S6_E_S6_EEDaPvRmT3_T4_T5_mT6_P12ihipStream_tbENKUlT_T0_E_clISt17integral_constantIbLb1EESY_EEDaST_SU_EUlST_E_NS1_11comp_targetILNS1_3genE10ELNS1_11target_archE1201ELNS1_3gpuE5ELNS1_3repE0EEENS1_30default_config_static_selectorELNS0_4arch9wavefront6targetE1EEEvT1_.num_named_barrier, 0
	.set _ZN7rocprim17ROCPRIM_400000_NS6detail17trampoline_kernelINS0_14default_configENS1_20scan_config_selectorIN3c108BFloat16EEEZZNS1_9scan_implILNS1_25lookback_scan_determinismE0ELb0ELb0ES3_PKS6_PS6_S6_ZZZN2at6native31launch_logcumsumexp_cuda_kernelERKNSD_10TensorBaseESH_lENKUlvE_clEvENKUlvE4_clEvEUlS6_S6_E_S6_EEDaPvRmT3_T4_T5_mT6_P12ihipStream_tbENKUlT_T0_E_clISt17integral_constantIbLb1EESY_EEDaST_SU_EUlST_E_NS1_11comp_targetILNS1_3genE10ELNS1_11target_archE1201ELNS1_3gpuE5ELNS1_3repE0EEENS1_30default_config_static_selectorELNS0_4arch9wavefront6targetE1EEEvT1_.private_seg_size, 0
	.set _ZN7rocprim17ROCPRIM_400000_NS6detail17trampoline_kernelINS0_14default_configENS1_20scan_config_selectorIN3c108BFloat16EEEZZNS1_9scan_implILNS1_25lookback_scan_determinismE0ELb0ELb0ES3_PKS6_PS6_S6_ZZZN2at6native31launch_logcumsumexp_cuda_kernelERKNSD_10TensorBaseESH_lENKUlvE_clEvENKUlvE4_clEvEUlS6_S6_E_S6_EEDaPvRmT3_T4_T5_mT6_P12ihipStream_tbENKUlT_T0_E_clISt17integral_constantIbLb1EESY_EEDaST_SU_EUlST_E_NS1_11comp_targetILNS1_3genE10ELNS1_11target_archE1201ELNS1_3gpuE5ELNS1_3repE0EEENS1_30default_config_static_selectorELNS0_4arch9wavefront6targetE1EEEvT1_.uses_vcc, 0
	.set _ZN7rocprim17ROCPRIM_400000_NS6detail17trampoline_kernelINS0_14default_configENS1_20scan_config_selectorIN3c108BFloat16EEEZZNS1_9scan_implILNS1_25lookback_scan_determinismE0ELb0ELb0ES3_PKS6_PS6_S6_ZZZN2at6native31launch_logcumsumexp_cuda_kernelERKNSD_10TensorBaseESH_lENKUlvE_clEvENKUlvE4_clEvEUlS6_S6_E_S6_EEDaPvRmT3_T4_T5_mT6_P12ihipStream_tbENKUlT_T0_E_clISt17integral_constantIbLb1EESY_EEDaST_SU_EUlST_E_NS1_11comp_targetILNS1_3genE10ELNS1_11target_archE1201ELNS1_3gpuE5ELNS1_3repE0EEENS1_30default_config_static_selectorELNS0_4arch9wavefront6targetE1EEEvT1_.uses_flat_scratch, 0
	.set _ZN7rocprim17ROCPRIM_400000_NS6detail17trampoline_kernelINS0_14default_configENS1_20scan_config_selectorIN3c108BFloat16EEEZZNS1_9scan_implILNS1_25lookback_scan_determinismE0ELb0ELb0ES3_PKS6_PS6_S6_ZZZN2at6native31launch_logcumsumexp_cuda_kernelERKNSD_10TensorBaseESH_lENKUlvE_clEvENKUlvE4_clEvEUlS6_S6_E_S6_EEDaPvRmT3_T4_T5_mT6_P12ihipStream_tbENKUlT_T0_E_clISt17integral_constantIbLb1EESY_EEDaST_SU_EUlST_E_NS1_11comp_targetILNS1_3genE10ELNS1_11target_archE1201ELNS1_3gpuE5ELNS1_3repE0EEENS1_30default_config_static_selectorELNS0_4arch9wavefront6targetE1EEEvT1_.has_dyn_sized_stack, 0
	.set _ZN7rocprim17ROCPRIM_400000_NS6detail17trampoline_kernelINS0_14default_configENS1_20scan_config_selectorIN3c108BFloat16EEEZZNS1_9scan_implILNS1_25lookback_scan_determinismE0ELb0ELb0ES3_PKS6_PS6_S6_ZZZN2at6native31launch_logcumsumexp_cuda_kernelERKNSD_10TensorBaseESH_lENKUlvE_clEvENKUlvE4_clEvEUlS6_S6_E_S6_EEDaPvRmT3_T4_T5_mT6_P12ihipStream_tbENKUlT_T0_E_clISt17integral_constantIbLb1EESY_EEDaST_SU_EUlST_E_NS1_11comp_targetILNS1_3genE10ELNS1_11target_archE1201ELNS1_3gpuE5ELNS1_3repE0EEENS1_30default_config_static_selectorELNS0_4arch9wavefront6targetE1EEEvT1_.has_recursion, 0
	.set _ZN7rocprim17ROCPRIM_400000_NS6detail17trampoline_kernelINS0_14default_configENS1_20scan_config_selectorIN3c108BFloat16EEEZZNS1_9scan_implILNS1_25lookback_scan_determinismE0ELb0ELb0ES3_PKS6_PS6_S6_ZZZN2at6native31launch_logcumsumexp_cuda_kernelERKNSD_10TensorBaseESH_lENKUlvE_clEvENKUlvE4_clEvEUlS6_S6_E_S6_EEDaPvRmT3_T4_T5_mT6_P12ihipStream_tbENKUlT_T0_E_clISt17integral_constantIbLb1EESY_EEDaST_SU_EUlST_E_NS1_11comp_targetILNS1_3genE10ELNS1_11target_archE1201ELNS1_3gpuE5ELNS1_3repE0EEENS1_30default_config_static_selectorELNS0_4arch9wavefront6targetE1EEEvT1_.has_indirect_call, 0
	.section	.AMDGPU.csdata,"",@progbits
; Kernel info:
; codeLenInByte = 0
; TotalNumSgprs: 6
; NumVgprs: 0
; NumAgprs: 0
; TotalNumVgprs: 0
; ScratchSize: 0
; MemoryBound: 0
; FloatMode: 240
; IeeeMode: 1
; LDSByteSize: 0 bytes/workgroup (compile time only)
; SGPRBlocks: 0
; VGPRBlocks: 0
; NumSGPRsForWavesPerEU: 6
; NumVGPRsForWavesPerEU: 1
; AccumOffset: 4
; Occupancy: 8
; WaveLimiterHint : 0
; COMPUTE_PGM_RSRC2:SCRATCH_EN: 0
; COMPUTE_PGM_RSRC2:USER_SGPR: 2
; COMPUTE_PGM_RSRC2:TRAP_HANDLER: 0
; COMPUTE_PGM_RSRC2:TGID_X_EN: 1
; COMPUTE_PGM_RSRC2:TGID_Y_EN: 0
; COMPUTE_PGM_RSRC2:TGID_Z_EN: 0
; COMPUTE_PGM_RSRC2:TIDIG_COMP_CNT: 0
; COMPUTE_PGM_RSRC3_GFX90A:ACCUM_OFFSET: 0
; COMPUTE_PGM_RSRC3_GFX90A:TG_SPLIT: 0
	.section	.text._ZN7rocprim17ROCPRIM_400000_NS6detail17trampoline_kernelINS0_14default_configENS1_20scan_config_selectorIN3c108BFloat16EEEZZNS1_9scan_implILNS1_25lookback_scan_determinismE0ELb0ELb0ES3_PKS6_PS6_S6_ZZZN2at6native31launch_logcumsumexp_cuda_kernelERKNSD_10TensorBaseESH_lENKUlvE_clEvENKUlvE4_clEvEUlS6_S6_E_S6_EEDaPvRmT3_T4_T5_mT6_P12ihipStream_tbENKUlT_T0_E_clISt17integral_constantIbLb1EESY_EEDaST_SU_EUlST_E_NS1_11comp_targetILNS1_3genE10ELNS1_11target_archE1200ELNS1_3gpuE4ELNS1_3repE0EEENS1_30default_config_static_selectorELNS0_4arch9wavefront6targetE1EEEvT1_,"axG",@progbits,_ZN7rocprim17ROCPRIM_400000_NS6detail17trampoline_kernelINS0_14default_configENS1_20scan_config_selectorIN3c108BFloat16EEEZZNS1_9scan_implILNS1_25lookback_scan_determinismE0ELb0ELb0ES3_PKS6_PS6_S6_ZZZN2at6native31launch_logcumsumexp_cuda_kernelERKNSD_10TensorBaseESH_lENKUlvE_clEvENKUlvE4_clEvEUlS6_S6_E_S6_EEDaPvRmT3_T4_T5_mT6_P12ihipStream_tbENKUlT_T0_E_clISt17integral_constantIbLb1EESY_EEDaST_SU_EUlST_E_NS1_11comp_targetILNS1_3genE10ELNS1_11target_archE1200ELNS1_3gpuE4ELNS1_3repE0EEENS1_30default_config_static_selectorELNS0_4arch9wavefront6targetE1EEEvT1_,comdat
	.globl	_ZN7rocprim17ROCPRIM_400000_NS6detail17trampoline_kernelINS0_14default_configENS1_20scan_config_selectorIN3c108BFloat16EEEZZNS1_9scan_implILNS1_25lookback_scan_determinismE0ELb0ELb0ES3_PKS6_PS6_S6_ZZZN2at6native31launch_logcumsumexp_cuda_kernelERKNSD_10TensorBaseESH_lENKUlvE_clEvENKUlvE4_clEvEUlS6_S6_E_S6_EEDaPvRmT3_T4_T5_mT6_P12ihipStream_tbENKUlT_T0_E_clISt17integral_constantIbLb1EESY_EEDaST_SU_EUlST_E_NS1_11comp_targetILNS1_3genE10ELNS1_11target_archE1200ELNS1_3gpuE4ELNS1_3repE0EEENS1_30default_config_static_selectorELNS0_4arch9wavefront6targetE1EEEvT1_ ; -- Begin function _ZN7rocprim17ROCPRIM_400000_NS6detail17trampoline_kernelINS0_14default_configENS1_20scan_config_selectorIN3c108BFloat16EEEZZNS1_9scan_implILNS1_25lookback_scan_determinismE0ELb0ELb0ES3_PKS6_PS6_S6_ZZZN2at6native31launch_logcumsumexp_cuda_kernelERKNSD_10TensorBaseESH_lENKUlvE_clEvENKUlvE4_clEvEUlS6_S6_E_S6_EEDaPvRmT3_T4_T5_mT6_P12ihipStream_tbENKUlT_T0_E_clISt17integral_constantIbLb1EESY_EEDaST_SU_EUlST_E_NS1_11comp_targetILNS1_3genE10ELNS1_11target_archE1200ELNS1_3gpuE4ELNS1_3repE0EEENS1_30default_config_static_selectorELNS0_4arch9wavefront6targetE1EEEvT1_
	.p2align	8
	.type	_ZN7rocprim17ROCPRIM_400000_NS6detail17trampoline_kernelINS0_14default_configENS1_20scan_config_selectorIN3c108BFloat16EEEZZNS1_9scan_implILNS1_25lookback_scan_determinismE0ELb0ELb0ES3_PKS6_PS6_S6_ZZZN2at6native31launch_logcumsumexp_cuda_kernelERKNSD_10TensorBaseESH_lENKUlvE_clEvENKUlvE4_clEvEUlS6_S6_E_S6_EEDaPvRmT3_T4_T5_mT6_P12ihipStream_tbENKUlT_T0_E_clISt17integral_constantIbLb1EESY_EEDaST_SU_EUlST_E_NS1_11comp_targetILNS1_3genE10ELNS1_11target_archE1200ELNS1_3gpuE4ELNS1_3repE0EEENS1_30default_config_static_selectorELNS0_4arch9wavefront6targetE1EEEvT1_,@function
_ZN7rocprim17ROCPRIM_400000_NS6detail17trampoline_kernelINS0_14default_configENS1_20scan_config_selectorIN3c108BFloat16EEEZZNS1_9scan_implILNS1_25lookback_scan_determinismE0ELb0ELb0ES3_PKS6_PS6_S6_ZZZN2at6native31launch_logcumsumexp_cuda_kernelERKNSD_10TensorBaseESH_lENKUlvE_clEvENKUlvE4_clEvEUlS6_S6_E_S6_EEDaPvRmT3_T4_T5_mT6_P12ihipStream_tbENKUlT_T0_E_clISt17integral_constantIbLb1EESY_EEDaST_SU_EUlST_E_NS1_11comp_targetILNS1_3genE10ELNS1_11target_archE1200ELNS1_3gpuE4ELNS1_3repE0EEENS1_30default_config_static_selectorELNS0_4arch9wavefront6targetE1EEEvT1_: ; @_ZN7rocprim17ROCPRIM_400000_NS6detail17trampoline_kernelINS0_14default_configENS1_20scan_config_selectorIN3c108BFloat16EEEZZNS1_9scan_implILNS1_25lookback_scan_determinismE0ELb0ELb0ES3_PKS6_PS6_S6_ZZZN2at6native31launch_logcumsumexp_cuda_kernelERKNSD_10TensorBaseESH_lENKUlvE_clEvENKUlvE4_clEvEUlS6_S6_E_S6_EEDaPvRmT3_T4_T5_mT6_P12ihipStream_tbENKUlT_T0_E_clISt17integral_constantIbLb1EESY_EEDaST_SU_EUlST_E_NS1_11comp_targetILNS1_3genE10ELNS1_11target_archE1200ELNS1_3gpuE4ELNS1_3repE0EEENS1_30default_config_static_selectorELNS0_4arch9wavefront6targetE1EEEvT1_
; %bb.0:
	.section	.rodata,"a",@progbits
	.p2align	6, 0x0
	.amdhsa_kernel _ZN7rocprim17ROCPRIM_400000_NS6detail17trampoline_kernelINS0_14default_configENS1_20scan_config_selectorIN3c108BFloat16EEEZZNS1_9scan_implILNS1_25lookback_scan_determinismE0ELb0ELb0ES3_PKS6_PS6_S6_ZZZN2at6native31launch_logcumsumexp_cuda_kernelERKNSD_10TensorBaseESH_lENKUlvE_clEvENKUlvE4_clEvEUlS6_S6_E_S6_EEDaPvRmT3_T4_T5_mT6_P12ihipStream_tbENKUlT_T0_E_clISt17integral_constantIbLb1EESY_EEDaST_SU_EUlST_E_NS1_11comp_targetILNS1_3genE10ELNS1_11target_archE1200ELNS1_3gpuE4ELNS1_3repE0EEENS1_30default_config_static_selectorELNS0_4arch9wavefront6targetE1EEEvT1_
		.amdhsa_group_segment_fixed_size 0
		.amdhsa_private_segment_fixed_size 0
		.amdhsa_kernarg_size 96
		.amdhsa_user_sgpr_count 2
		.amdhsa_user_sgpr_dispatch_ptr 0
		.amdhsa_user_sgpr_queue_ptr 0
		.amdhsa_user_sgpr_kernarg_segment_ptr 1
		.amdhsa_user_sgpr_dispatch_id 0
		.amdhsa_user_sgpr_kernarg_preload_length 0
		.amdhsa_user_sgpr_kernarg_preload_offset 0
		.amdhsa_user_sgpr_private_segment_size 0
		.amdhsa_uses_dynamic_stack 0
		.amdhsa_enable_private_segment 0
		.amdhsa_system_sgpr_workgroup_id_x 1
		.amdhsa_system_sgpr_workgroup_id_y 0
		.amdhsa_system_sgpr_workgroup_id_z 0
		.amdhsa_system_sgpr_workgroup_info 0
		.amdhsa_system_vgpr_workitem_id 0
		.amdhsa_next_free_vgpr 1
		.amdhsa_next_free_sgpr 0
		.amdhsa_accum_offset 4
		.amdhsa_reserve_vcc 0
		.amdhsa_float_round_mode_32 0
		.amdhsa_float_round_mode_16_64 0
		.amdhsa_float_denorm_mode_32 3
		.amdhsa_float_denorm_mode_16_64 3
		.amdhsa_dx10_clamp 1
		.amdhsa_ieee_mode 1
		.amdhsa_fp16_overflow 0
		.amdhsa_tg_split 0
		.amdhsa_exception_fp_ieee_invalid_op 0
		.amdhsa_exception_fp_denorm_src 0
		.amdhsa_exception_fp_ieee_div_zero 0
		.amdhsa_exception_fp_ieee_overflow 0
		.amdhsa_exception_fp_ieee_underflow 0
		.amdhsa_exception_fp_ieee_inexact 0
		.amdhsa_exception_int_div_zero 0
	.end_amdhsa_kernel
	.section	.text._ZN7rocprim17ROCPRIM_400000_NS6detail17trampoline_kernelINS0_14default_configENS1_20scan_config_selectorIN3c108BFloat16EEEZZNS1_9scan_implILNS1_25lookback_scan_determinismE0ELb0ELb0ES3_PKS6_PS6_S6_ZZZN2at6native31launch_logcumsumexp_cuda_kernelERKNSD_10TensorBaseESH_lENKUlvE_clEvENKUlvE4_clEvEUlS6_S6_E_S6_EEDaPvRmT3_T4_T5_mT6_P12ihipStream_tbENKUlT_T0_E_clISt17integral_constantIbLb1EESY_EEDaST_SU_EUlST_E_NS1_11comp_targetILNS1_3genE10ELNS1_11target_archE1200ELNS1_3gpuE4ELNS1_3repE0EEENS1_30default_config_static_selectorELNS0_4arch9wavefront6targetE1EEEvT1_,"axG",@progbits,_ZN7rocprim17ROCPRIM_400000_NS6detail17trampoline_kernelINS0_14default_configENS1_20scan_config_selectorIN3c108BFloat16EEEZZNS1_9scan_implILNS1_25lookback_scan_determinismE0ELb0ELb0ES3_PKS6_PS6_S6_ZZZN2at6native31launch_logcumsumexp_cuda_kernelERKNSD_10TensorBaseESH_lENKUlvE_clEvENKUlvE4_clEvEUlS6_S6_E_S6_EEDaPvRmT3_T4_T5_mT6_P12ihipStream_tbENKUlT_T0_E_clISt17integral_constantIbLb1EESY_EEDaST_SU_EUlST_E_NS1_11comp_targetILNS1_3genE10ELNS1_11target_archE1200ELNS1_3gpuE4ELNS1_3repE0EEENS1_30default_config_static_selectorELNS0_4arch9wavefront6targetE1EEEvT1_,comdat
.Lfunc_end471:
	.size	_ZN7rocprim17ROCPRIM_400000_NS6detail17trampoline_kernelINS0_14default_configENS1_20scan_config_selectorIN3c108BFloat16EEEZZNS1_9scan_implILNS1_25lookback_scan_determinismE0ELb0ELb0ES3_PKS6_PS6_S6_ZZZN2at6native31launch_logcumsumexp_cuda_kernelERKNSD_10TensorBaseESH_lENKUlvE_clEvENKUlvE4_clEvEUlS6_S6_E_S6_EEDaPvRmT3_T4_T5_mT6_P12ihipStream_tbENKUlT_T0_E_clISt17integral_constantIbLb1EESY_EEDaST_SU_EUlST_E_NS1_11comp_targetILNS1_3genE10ELNS1_11target_archE1200ELNS1_3gpuE4ELNS1_3repE0EEENS1_30default_config_static_selectorELNS0_4arch9wavefront6targetE1EEEvT1_, .Lfunc_end471-_ZN7rocprim17ROCPRIM_400000_NS6detail17trampoline_kernelINS0_14default_configENS1_20scan_config_selectorIN3c108BFloat16EEEZZNS1_9scan_implILNS1_25lookback_scan_determinismE0ELb0ELb0ES3_PKS6_PS6_S6_ZZZN2at6native31launch_logcumsumexp_cuda_kernelERKNSD_10TensorBaseESH_lENKUlvE_clEvENKUlvE4_clEvEUlS6_S6_E_S6_EEDaPvRmT3_T4_T5_mT6_P12ihipStream_tbENKUlT_T0_E_clISt17integral_constantIbLb1EESY_EEDaST_SU_EUlST_E_NS1_11comp_targetILNS1_3genE10ELNS1_11target_archE1200ELNS1_3gpuE4ELNS1_3repE0EEENS1_30default_config_static_selectorELNS0_4arch9wavefront6targetE1EEEvT1_
                                        ; -- End function
	.set _ZN7rocprim17ROCPRIM_400000_NS6detail17trampoline_kernelINS0_14default_configENS1_20scan_config_selectorIN3c108BFloat16EEEZZNS1_9scan_implILNS1_25lookback_scan_determinismE0ELb0ELb0ES3_PKS6_PS6_S6_ZZZN2at6native31launch_logcumsumexp_cuda_kernelERKNSD_10TensorBaseESH_lENKUlvE_clEvENKUlvE4_clEvEUlS6_S6_E_S6_EEDaPvRmT3_T4_T5_mT6_P12ihipStream_tbENKUlT_T0_E_clISt17integral_constantIbLb1EESY_EEDaST_SU_EUlST_E_NS1_11comp_targetILNS1_3genE10ELNS1_11target_archE1200ELNS1_3gpuE4ELNS1_3repE0EEENS1_30default_config_static_selectorELNS0_4arch9wavefront6targetE1EEEvT1_.num_vgpr, 0
	.set _ZN7rocprim17ROCPRIM_400000_NS6detail17trampoline_kernelINS0_14default_configENS1_20scan_config_selectorIN3c108BFloat16EEEZZNS1_9scan_implILNS1_25lookback_scan_determinismE0ELb0ELb0ES3_PKS6_PS6_S6_ZZZN2at6native31launch_logcumsumexp_cuda_kernelERKNSD_10TensorBaseESH_lENKUlvE_clEvENKUlvE4_clEvEUlS6_S6_E_S6_EEDaPvRmT3_T4_T5_mT6_P12ihipStream_tbENKUlT_T0_E_clISt17integral_constantIbLb1EESY_EEDaST_SU_EUlST_E_NS1_11comp_targetILNS1_3genE10ELNS1_11target_archE1200ELNS1_3gpuE4ELNS1_3repE0EEENS1_30default_config_static_selectorELNS0_4arch9wavefront6targetE1EEEvT1_.num_agpr, 0
	.set _ZN7rocprim17ROCPRIM_400000_NS6detail17trampoline_kernelINS0_14default_configENS1_20scan_config_selectorIN3c108BFloat16EEEZZNS1_9scan_implILNS1_25lookback_scan_determinismE0ELb0ELb0ES3_PKS6_PS6_S6_ZZZN2at6native31launch_logcumsumexp_cuda_kernelERKNSD_10TensorBaseESH_lENKUlvE_clEvENKUlvE4_clEvEUlS6_S6_E_S6_EEDaPvRmT3_T4_T5_mT6_P12ihipStream_tbENKUlT_T0_E_clISt17integral_constantIbLb1EESY_EEDaST_SU_EUlST_E_NS1_11comp_targetILNS1_3genE10ELNS1_11target_archE1200ELNS1_3gpuE4ELNS1_3repE0EEENS1_30default_config_static_selectorELNS0_4arch9wavefront6targetE1EEEvT1_.numbered_sgpr, 0
	.set _ZN7rocprim17ROCPRIM_400000_NS6detail17trampoline_kernelINS0_14default_configENS1_20scan_config_selectorIN3c108BFloat16EEEZZNS1_9scan_implILNS1_25lookback_scan_determinismE0ELb0ELb0ES3_PKS6_PS6_S6_ZZZN2at6native31launch_logcumsumexp_cuda_kernelERKNSD_10TensorBaseESH_lENKUlvE_clEvENKUlvE4_clEvEUlS6_S6_E_S6_EEDaPvRmT3_T4_T5_mT6_P12ihipStream_tbENKUlT_T0_E_clISt17integral_constantIbLb1EESY_EEDaST_SU_EUlST_E_NS1_11comp_targetILNS1_3genE10ELNS1_11target_archE1200ELNS1_3gpuE4ELNS1_3repE0EEENS1_30default_config_static_selectorELNS0_4arch9wavefront6targetE1EEEvT1_.num_named_barrier, 0
	.set _ZN7rocprim17ROCPRIM_400000_NS6detail17trampoline_kernelINS0_14default_configENS1_20scan_config_selectorIN3c108BFloat16EEEZZNS1_9scan_implILNS1_25lookback_scan_determinismE0ELb0ELb0ES3_PKS6_PS6_S6_ZZZN2at6native31launch_logcumsumexp_cuda_kernelERKNSD_10TensorBaseESH_lENKUlvE_clEvENKUlvE4_clEvEUlS6_S6_E_S6_EEDaPvRmT3_T4_T5_mT6_P12ihipStream_tbENKUlT_T0_E_clISt17integral_constantIbLb1EESY_EEDaST_SU_EUlST_E_NS1_11comp_targetILNS1_3genE10ELNS1_11target_archE1200ELNS1_3gpuE4ELNS1_3repE0EEENS1_30default_config_static_selectorELNS0_4arch9wavefront6targetE1EEEvT1_.private_seg_size, 0
	.set _ZN7rocprim17ROCPRIM_400000_NS6detail17trampoline_kernelINS0_14default_configENS1_20scan_config_selectorIN3c108BFloat16EEEZZNS1_9scan_implILNS1_25lookback_scan_determinismE0ELb0ELb0ES3_PKS6_PS6_S6_ZZZN2at6native31launch_logcumsumexp_cuda_kernelERKNSD_10TensorBaseESH_lENKUlvE_clEvENKUlvE4_clEvEUlS6_S6_E_S6_EEDaPvRmT3_T4_T5_mT6_P12ihipStream_tbENKUlT_T0_E_clISt17integral_constantIbLb1EESY_EEDaST_SU_EUlST_E_NS1_11comp_targetILNS1_3genE10ELNS1_11target_archE1200ELNS1_3gpuE4ELNS1_3repE0EEENS1_30default_config_static_selectorELNS0_4arch9wavefront6targetE1EEEvT1_.uses_vcc, 0
	.set _ZN7rocprim17ROCPRIM_400000_NS6detail17trampoline_kernelINS0_14default_configENS1_20scan_config_selectorIN3c108BFloat16EEEZZNS1_9scan_implILNS1_25lookback_scan_determinismE0ELb0ELb0ES3_PKS6_PS6_S6_ZZZN2at6native31launch_logcumsumexp_cuda_kernelERKNSD_10TensorBaseESH_lENKUlvE_clEvENKUlvE4_clEvEUlS6_S6_E_S6_EEDaPvRmT3_T4_T5_mT6_P12ihipStream_tbENKUlT_T0_E_clISt17integral_constantIbLb1EESY_EEDaST_SU_EUlST_E_NS1_11comp_targetILNS1_3genE10ELNS1_11target_archE1200ELNS1_3gpuE4ELNS1_3repE0EEENS1_30default_config_static_selectorELNS0_4arch9wavefront6targetE1EEEvT1_.uses_flat_scratch, 0
	.set _ZN7rocprim17ROCPRIM_400000_NS6detail17trampoline_kernelINS0_14default_configENS1_20scan_config_selectorIN3c108BFloat16EEEZZNS1_9scan_implILNS1_25lookback_scan_determinismE0ELb0ELb0ES3_PKS6_PS6_S6_ZZZN2at6native31launch_logcumsumexp_cuda_kernelERKNSD_10TensorBaseESH_lENKUlvE_clEvENKUlvE4_clEvEUlS6_S6_E_S6_EEDaPvRmT3_T4_T5_mT6_P12ihipStream_tbENKUlT_T0_E_clISt17integral_constantIbLb1EESY_EEDaST_SU_EUlST_E_NS1_11comp_targetILNS1_3genE10ELNS1_11target_archE1200ELNS1_3gpuE4ELNS1_3repE0EEENS1_30default_config_static_selectorELNS0_4arch9wavefront6targetE1EEEvT1_.has_dyn_sized_stack, 0
	.set _ZN7rocprim17ROCPRIM_400000_NS6detail17trampoline_kernelINS0_14default_configENS1_20scan_config_selectorIN3c108BFloat16EEEZZNS1_9scan_implILNS1_25lookback_scan_determinismE0ELb0ELb0ES3_PKS6_PS6_S6_ZZZN2at6native31launch_logcumsumexp_cuda_kernelERKNSD_10TensorBaseESH_lENKUlvE_clEvENKUlvE4_clEvEUlS6_S6_E_S6_EEDaPvRmT3_T4_T5_mT6_P12ihipStream_tbENKUlT_T0_E_clISt17integral_constantIbLb1EESY_EEDaST_SU_EUlST_E_NS1_11comp_targetILNS1_3genE10ELNS1_11target_archE1200ELNS1_3gpuE4ELNS1_3repE0EEENS1_30default_config_static_selectorELNS0_4arch9wavefront6targetE1EEEvT1_.has_recursion, 0
	.set _ZN7rocprim17ROCPRIM_400000_NS6detail17trampoline_kernelINS0_14default_configENS1_20scan_config_selectorIN3c108BFloat16EEEZZNS1_9scan_implILNS1_25lookback_scan_determinismE0ELb0ELb0ES3_PKS6_PS6_S6_ZZZN2at6native31launch_logcumsumexp_cuda_kernelERKNSD_10TensorBaseESH_lENKUlvE_clEvENKUlvE4_clEvEUlS6_S6_E_S6_EEDaPvRmT3_T4_T5_mT6_P12ihipStream_tbENKUlT_T0_E_clISt17integral_constantIbLb1EESY_EEDaST_SU_EUlST_E_NS1_11comp_targetILNS1_3genE10ELNS1_11target_archE1200ELNS1_3gpuE4ELNS1_3repE0EEENS1_30default_config_static_selectorELNS0_4arch9wavefront6targetE1EEEvT1_.has_indirect_call, 0
	.section	.AMDGPU.csdata,"",@progbits
; Kernel info:
; codeLenInByte = 0
; TotalNumSgprs: 6
; NumVgprs: 0
; NumAgprs: 0
; TotalNumVgprs: 0
; ScratchSize: 0
; MemoryBound: 0
; FloatMode: 240
; IeeeMode: 1
; LDSByteSize: 0 bytes/workgroup (compile time only)
; SGPRBlocks: 0
; VGPRBlocks: 0
; NumSGPRsForWavesPerEU: 6
; NumVGPRsForWavesPerEU: 1
; AccumOffset: 4
; Occupancy: 8
; WaveLimiterHint : 0
; COMPUTE_PGM_RSRC2:SCRATCH_EN: 0
; COMPUTE_PGM_RSRC2:USER_SGPR: 2
; COMPUTE_PGM_RSRC2:TRAP_HANDLER: 0
; COMPUTE_PGM_RSRC2:TGID_X_EN: 1
; COMPUTE_PGM_RSRC2:TGID_Y_EN: 0
; COMPUTE_PGM_RSRC2:TGID_Z_EN: 0
; COMPUTE_PGM_RSRC2:TIDIG_COMP_CNT: 0
; COMPUTE_PGM_RSRC3_GFX90A:ACCUM_OFFSET: 0
; COMPUTE_PGM_RSRC3_GFX90A:TG_SPLIT: 0
	.section	.text._ZN7rocprim17ROCPRIM_400000_NS6detail17trampoline_kernelINS0_14default_configENS1_20scan_config_selectorIN3c108BFloat16EEEZZNS1_9scan_implILNS1_25lookback_scan_determinismE0ELb0ELb0ES3_PKS6_PS6_S6_ZZZN2at6native31launch_logcumsumexp_cuda_kernelERKNSD_10TensorBaseESH_lENKUlvE_clEvENKUlvE4_clEvEUlS6_S6_E_S6_EEDaPvRmT3_T4_T5_mT6_P12ihipStream_tbENKUlT_T0_E_clISt17integral_constantIbLb1EESY_EEDaST_SU_EUlST_E_NS1_11comp_targetILNS1_3genE9ELNS1_11target_archE1100ELNS1_3gpuE3ELNS1_3repE0EEENS1_30default_config_static_selectorELNS0_4arch9wavefront6targetE1EEEvT1_,"axG",@progbits,_ZN7rocprim17ROCPRIM_400000_NS6detail17trampoline_kernelINS0_14default_configENS1_20scan_config_selectorIN3c108BFloat16EEEZZNS1_9scan_implILNS1_25lookback_scan_determinismE0ELb0ELb0ES3_PKS6_PS6_S6_ZZZN2at6native31launch_logcumsumexp_cuda_kernelERKNSD_10TensorBaseESH_lENKUlvE_clEvENKUlvE4_clEvEUlS6_S6_E_S6_EEDaPvRmT3_T4_T5_mT6_P12ihipStream_tbENKUlT_T0_E_clISt17integral_constantIbLb1EESY_EEDaST_SU_EUlST_E_NS1_11comp_targetILNS1_3genE9ELNS1_11target_archE1100ELNS1_3gpuE3ELNS1_3repE0EEENS1_30default_config_static_selectorELNS0_4arch9wavefront6targetE1EEEvT1_,comdat
	.globl	_ZN7rocprim17ROCPRIM_400000_NS6detail17trampoline_kernelINS0_14default_configENS1_20scan_config_selectorIN3c108BFloat16EEEZZNS1_9scan_implILNS1_25lookback_scan_determinismE0ELb0ELb0ES3_PKS6_PS6_S6_ZZZN2at6native31launch_logcumsumexp_cuda_kernelERKNSD_10TensorBaseESH_lENKUlvE_clEvENKUlvE4_clEvEUlS6_S6_E_S6_EEDaPvRmT3_T4_T5_mT6_P12ihipStream_tbENKUlT_T0_E_clISt17integral_constantIbLb1EESY_EEDaST_SU_EUlST_E_NS1_11comp_targetILNS1_3genE9ELNS1_11target_archE1100ELNS1_3gpuE3ELNS1_3repE0EEENS1_30default_config_static_selectorELNS0_4arch9wavefront6targetE1EEEvT1_ ; -- Begin function _ZN7rocprim17ROCPRIM_400000_NS6detail17trampoline_kernelINS0_14default_configENS1_20scan_config_selectorIN3c108BFloat16EEEZZNS1_9scan_implILNS1_25lookback_scan_determinismE0ELb0ELb0ES3_PKS6_PS6_S6_ZZZN2at6native31launch_logcumsumexp_cuda_kernelERKNSD_10TensorBaseESH_lENKUlvE_clEvENKUlvE4_clEvEUlS6_S6_E_S6_EEDaPvRmT3_T4_T5_mT6_P12ihipStream_tbENKUlT_T0_E_clISt17integral_constantIbLb1EESY_EEDaST_SU_EUlST_E_NS1_11comp_targetILNS1_3genE9ELNS1_11target_archE1100ELNS1_3gpuE3ELNS1_3repE0EEENS1_30default_config_static_selectorELNS0_4arch9wavefront6targetE1EEEvT1_
	.p2align	8
	.type	_ZN7rocprim17ROCPRIM_400000_NS6detail17trampoline_kernelINS0_14default_configENS1_20scan_config_selectorIN3c108BFloat16EEEZZNS1_9scan_implILNS1_25lookback_scan_determinismE0ELb0ELb0ES3_PKS6_PS6_S6_ZZZN2at6native31launch_logcumsumexp_cuda_kernelERKNSD_10TensorBaseESH_lENKUlvE_clEvENKUlvE4_clEvEUlS6_S6_E_S6_EEDaPvRmT3_T4_T5_mT6_P12ihipStream_tbENKUlT_T0_E_clISt17integral_constantIbLb1EESY_EEDaST_SU_EUlST_E_NS1_11comp_targetILNS1_3genE9ELNS1_11target_archE1100ELNS1_3gpuE3ELNS1_3repE0EEENS1_30default_config_static_selectorELNS0_4arch9wavefront6targetE1EEEvT1_,@function
_ZN7rocprim17ROCPRIM_400000_NS6detail17trampoline_kernelINS0_14default_configENS1_20scan_config_selectorIN3c108BFloat16EEEZZNS1_9scan_implILNS1_25lookback_scan_determinismE0ELb0ELb0ES3_PKS6_PS6_S6_ZZZN2at6native31launch_logcumsumexp_cuda_kernelERKNSD_10TensorBaseESH_lENKUlvE_clEvENKUlvE4_clEvEUlS6_S6_E_S6_EEDaPvRmT3_T4_T5_mT6_P12ihipStream_tbENKUlT_T0_E_clISt17integral_constantIbLb1EESY_EEDaST_SU_EUlST_E_NS1_11comp_targetILNS1_3genE9ELNS1_11target_archE1100ELNS1_3gpuE3ELNS1_3repE0EEENS1_30default_config_static_selectorELNS0_4arch9wavefront6targetE1EEEvT1_: ; @_ZN7rocprim17ROCPRIM_400000_NS6detail17trampoline_kernelINS0_14default_configENS1_20scan_config_selectorIN3c108BFloat16EEEZZNS1_9scan_implILNS1_25lookback_scan_determinismE0ELb0ELb0ES3_PKS6_PS6_S6_ZZZN2at6native31launch_logcumsumexp_cuda_kernelERKNSD_10TensorBaseESH_lENKUlvE_clEvENKUlvE4_clEvEUlS6_S6_E_S6_EEDaPvRmT3_T4_T5_mT6_P12ihipStream_tbENKUlT_T0_E_clISt17integral_constantIbLb1EESY_EEDaST_SU_EUlST_E_NS1_11comp_targetILNS1_3genE9ELNS1_11target_archE1100ELNS1_3gpuE3ELNS1_3repE0EEENS1_30default_config_static_selectorELNS0_4arch9wavefront6targetE1EEEvT1_
; %bb.0:
	.section	.rodata,"a",@progbits
	.p2align	6, 0x0
	.amdhsa_kernel _ZN7rocprim17ROCPRIM_400000_NS6detail17trampoline_kernelINS0_14default_configENS1_20scan_config_selectorIN3c108BFloat16EEEZZNS1_9scan_implILNS1_25lookback_scan_determinismE0ELb0ELb0ES3_PKS6_PS6_S6_ZZZN2at6native31launch_logcumsumexp_cuda_kernelERKNSD_10TensorBaseESH_lENKUlvE_clEvENKUlvE4_clEvEUlS6_S6_E_S6_EEDaPvRmT3_T4_T5_mT6_P12ihipStream_tbENKUlT_T0_E_clISt17integral_constantIbLb1EESY_EEDaST_SU_EUlST_E_NS1_11comp_targetILNS1_3genE9ELNS1_11target_archE1100ELNS1_3gpuE3ELNS1_3repE0EEENS1_30default_config_static_selectorELNS0_4arch9wavefront6targetE1EEEvT1_
		.amdhsa_group_segment_fixed_size 0
		.amdhsa_private_segment_fixed_size 0
		.amdhsa_kernarg_size 96
		.amdhsa_user_sgpr_count 2
		.amdhsa_user_sgpr_dispatch_ptr 0
		.amdhsa_user_sgpr_queue_ptr 0
		.amdhsa_user_sgpr_kernarg_segment_ptr 1
		.amdhsa_user_sgpr_dispatch_id 0
		.amdhsa_user_sgpr_kernarg_preload_length 0
		.amdhsa_user_sgpr_kernarg_preload_offset 0
		.amdhsa_user_sgpr_private_segment_size 0
		.amdhsa_uses_dynamic_stack 0
		.amdhsa_enable_private_segment 0
		.amdhsa_system_sgpr_workgroup_id_x 1
		.amdhsa_system_sgpr_workgroup_id_y 0
		.amdhsa_system_sgpr_workgroup_id_z 0
		.amdhsa_system_sgpr_workgroup_info 0
		.amdhsa_system_vgpr_workitem_id 0
		.amdhsa_next_free_vgpr 1
		.amdhsa_next_free_sgpr 0
		.amdhsa_accum_offset 4
		.amdhsa_reserve_vcc 0
		.amdhsa_float_round_mode_32 0
		.amdhsa_float_round_mode_16_64 0
		.amdhsa_float_denorm_mode_32 3
		.amdhsa_float_denorm_mode_16_64 3
		.amdhsa_dx10_clamp 1
		.amdhsa_ieee_mode 1
		.amdhsa_fp16_overflow 0
		.amdhsa_tg_split 0
		.amdhsa_exception_fp_ieee_invalid_op 0
		.amdhsa_exception_fp_denorm_src 0
		.amdhsa_exception_fp_ieee_div_zero 0
		.amdhsa_exception_fp_ieee_overflow 0
		.amdhsa_exception_fp_ieee_underflow 0
		.amdhsa_exception_fp_ieee_inexact 0
		.amdhsa_exception_int_div_zero 0
	.end_amdhsa_kernel
	.section	.text._ZN7rocprim17ROCPRIM_400000_NS6detail17trampoline_kernelINS0_14default_configENS1_20scan_config_selectorIN3c108BFloat16EEEZZNS1_9scan_implILNS1_25lookback_scan_determinismE0ELb0ELb0ES3_PKS6_PS6_S6_ZZZN2at6native31launch_logcumsumexp_cuda_kernelERKNSD_10TensorBaseESH_lENKUlvE_clEvENKUlvE4_clEvEUlS6_S6_E_S6_EEDaPvRmT3_T4_T5_mT6_P12ihipStream_tbENKUlT_T0_E_clISt17integral_constantIbLb1EESY_EEDaST_SU_EUlST_E_NS1_11comp_targetILNS1_3genE9ELNS1_11target_archE1100ELNS1_3gpuE3ELNS1_3repE0EEENS1_30default_config_static_selectorELNS0_4arch9wavefront6targetE1EEEvT1_,"axG",@progbits,_ZN7rocprim17ROCPRIM_400000_NS6detail17trampoline_kernelINS0_14default_configENS1_20scan_config_selectorIN3c108BFloat16EEEZZNS1_9scan_implILNS1_25lookback_scan_determinismE0ELb0ELb0ES3_PKS6_PS6_S6_ZZZN2at6native31launch_logcumsumexp_cuda_kernelERKNSD_10TensorBaseESH_lENKUlvE_clEvENKUlvE4_clEvEUlS6_S6_E_S6_EEDaPvRmT3_T4_T5_mT6_P12ihipStream_tbENKUlT_T0_E_clISt17integral_constantIbLb1EESY_EEDaST_SU_EUlST_E_NS1_11comp_targetILNS1_3genE9ELNS1_11target_archE1100ELNS1_3gpuE3ELNS1_3repE0EEENS1_30default_config_static_selectorELNS0_4arch9wavefront6targetE1EEEvT1_,comdat
.Lfunc_end472:
	.size	_ZN7rocprim17ROCPRIM_400000_NS6detail17trampoline_kernelINS0_14default_configENS1_20scan_config_selectorIN3c108BFloat16EEEZZNS1_9scan_implILNS1_25lookback_scan_determinismE0ELb0ELb0ES3_PKS6_PS6_S6_ZZZN2at6native31launch_logcumsumexp_cuda_kernelERKNSD_10TensorBaseESH_lENKUlvE_clEvENKUlvE4_clEvEUlS6_S6_E_S6_EEDaPvRmT3_T4_T5_mT6_P12ihipStream_tbENKUlT_T0_E_clISt17integral_constantIbLb1EESY_EEDaST_SU_EUlST_E_NS1_11comp_targetILNS1_3genE9ELNS1_11target_archE1100ELNS1_3gpuE3ELNS1_3repE0EEENS1_30default_config_static_selectorELNS0_4arch9wavefront6targetE1EEEvT1_, .Lfunc_end472-_ZN7rocprim17ROCPRIM_400000_NS6detail17trampoline_kernelINS0_14default_configENS1_20scan_config_selectorIN3c108BFloat16EEEZZNS1_9scan_implILNS1_25lookback_scan_determinismE0ELb0ELb0ES3_PKS6_PS6_S6_ZZZN2at6native31launch_logcumsumexp_cuda_kernelERKNSD_10TensorBaseESH_lENKUlvE_clEvENKUlvE4_clEvEUlS6_S6_E_S6_EEDaPvRmT3_T4_T5_mT6_P12ihipStream_tbENKUlT_T0_E_clISt17integral_constantIbLb1EESY_EEDaST_SU_EUlST_E_NS1_11comp_targetILNS1_3genE9ELNS1_11target_archE1100ELNS1_3gpuE3ELNS1_3repE0EEENS1_30default_config_static_selectorELNS0_4arch9wavefront6targetE1EEEvT1_
                                        ; -- End function
	.set _ZN7rocprim17ROCPRIM_400000_NS6detail17trampoline_kernelINS0_14default_configENS1_20scan_config_selectorIN3c108BFloat16EEEZZNS1_9scan_implILNS1_25lookback_scan_determinismE0ELb0ELb0ES3_PKS6_PS6_S6_ZZZN2at6native31launch_logcumsumexp_cuda_kernelERKNSD_10TensorBaseESH_lENKUlvE_clEvENKUlvE4_clEvEUlS6_S6_E_S6_EEDaPvRmT3_T4_T5_mT6_P12ihipStream_tbENKUlT_T0_E_clISt17integral_constantIbLb1EESY_EEDaST_SU_EUlST_E_NS1_11comp_targetILNS1_3genE9ELNS1_11target_archE1100ELNS1_3gpuE3ELNS1_3repE0EEENS1_30default_config_static_selectorELNS0_4arch9wavefront6targetE1EEEvT1_.num_vgpr, 0
	.set _ZN7rocprim17ROCPRIM_400000_NS6detail17trampoline_kernelINS0_14default_configENS1_20scan_config_selectorIN3c108BFloat16EEEZZNS1_9scan_implILNS1_25lookback_scan_determinismE0ELb0ELb0ES3_PKS6_PS6_S6_ZZZN2at6native31launch_logcumsumexp_cuda_kernelERKNSD_10TensorBaseESH_lENKUlvE_clEvENKUlvE4_clEvEUlS6_S6_E_S6_EEDaPvRmT3_T4_T5_mT6_P12ihipStream_tbENKUlT_T0_E_clISt17integral_constantIbLb1EESY_EEDaST_SU_EUlST_E_NS1_11comp_targetILNS1_3genE9ELNS1_11target_archE1100ELNS1_3gpuE3ELNS1_3repE0EEENS1_30default_config_static_selectorELNS0_4arch9wavefront6targetE1EEEvT1_.num_agpr, 0
	.set _ZN7rocprim17ROCPRIM_400000_NS6detail17trampoline_kernelINS0_14default_configENS1_20scan_config_selectorIN3c108BFloat16EEEZZNS1_9scan_implILNS1_25lookback_scan_determinismE0ELb0ELb0ES3_PKS6_PS6_S6_ZZZN2at6native31launch_logcumsumexp_cuda_kernelERKNSD_10TensorBaseESH_lENKUlvE_clEvENKUlvE4_clEvEUlS6_S6_E_S6_EEDaPvRmT3_T4_T5_mT6_P12ihipStream_tbENKUlT_T0_E_clISt17integral_constantIbLb1EESY_EEDaST_SU_EUlST_E_NS1_11comp_targetILNS1_3genE9ELNS1_11target_archE1100ELNS1_3gpuE3ELNS1_3repE0EEENS1_30default_config_static_selectorELNS0_4arch9wavefront6targetE1EEEvT1_.numbered_sgpr, 0
	.set _ZN7rocprim17ROCPRIM_400000_NS6detail17trampoline_kernelINS0_14default_configENS1_20scan_config_selectorIN3c108BFloat16EEEZZNS1_9scan_implILNS1_25lookback_scan_determinismE0ELb0ELb0ES3_PKS6_PS6_S6_ZZZN2at6native31launch_logcumsumexp_cuda_kernelERKNSD_10TensorBaseESH_lENKUlvE_clEvENKUlvE4_clEvEUlS6_S6_E_S6_EEDaPvRmT3_T4_T5_mT6_P12ihipStream_tbENKUlT_T0_E_clISt17integral_constantIbLb1EESY_EEDaST_SU_EUlST_E_NS1_11comp_targetILNS1_3genE9ELNS1_11target_archE1100ELNS1_3gpuE3ELNS1_3repE0EEENS1_30default_config_static_selectorELNS0_4arch9wavefront6targetE1EEEvT1_.num_named_barrier, 0
	.set _ZN7rocprim17ROCPRIM_400000_NS6detail17trampoline_kernelINS0_14default_configENS1_20scan_config_selectorIN3c108BFloat16EEEZZNS1_9scan_implILNS1_25lookback_scan_determinismE0ELb0ELb0ES3_PKS6_PS6_S6_ZZZN2at6native31launch_logcumsumexp_cuda_kernelERKNSD_10TensorBaseESH_lENKUlvE_clEvENKUlvE4_clEvEUlS6_S6_E_S6_EEDaPvRmT3_T4_T5_mT6_P12ihipStream_tbENKUlT_T0_E_clISt17integral_constantIbLb1EESY_EEDaST_SU_EUlST_E_NS1_11comp_targetILNS1_3genE9ELNS1_11target_archE1100ELNS1_3gpuE3ELNS1_3repE0EEENS1_30default_config_static_selectorELNS0_4arch9wavefront6targetE1EEEvT1_.private_seg_size, 0
	.set _ZN7rocprim17ROCPRIM_400000_NS6detail17trampoline_kernelINS0_14default_configENS1_20scan_config_selectorIN3c108BFloat16EEEZZNS1_9scan_implILNS1_25lookback_scan_determinismE0ELb0ELb0ES3_PKS6_PS6_S6_ZZZN2at6native31launch_logcumsumexp_cuda_kernelERKNSD_10TensorBaseESH_lENKUlvE_clEvENKUlvE4_clEvEUlS6_S6_E_S6_EEDaPvRmT3_T4_T5_mT6_P12ihipStream_tbENKUlT_T0_E_clISt17integral_constantIbLb1EESY_EEDaST_SU_EUlST_E_NS1_11comp_targetILNS1_3genE9ELNS1_11target_archE1100ELNS1_3gpuE3ELNS1_3repE0EEENS1_30default_config_static_selectorELNS0_4arch9wavefront6targetE1EEEvT1_.uses_vcc, 0
	.set _ZN7rocprim17ROCPRIM_400000_NS6detail17trampoline_kernelINS0_14default_configENS1_20scan_config_selectorIN3c108BFloat16EEEZZNS1_9scan_implILNS1_25lookback_scan_determinismE0ELb0ELb0ES3_PKS6_PS6_S6_ZZZN2at6native31launch_logcumsumexp_cuda_kernelERKNSD_10TensorBaseESH_lENKUlvE_clEvENKUlvE4_clEvEUlS6_S6_E_S6_EEDaPvRmT3_T4_T5_mT6_P12ihipStream_tbENKUlT_T0_E_clISt17integral_constantIbLb1EESY_EEDaST_SU_EUlST_E_NS1_11comp_targetILNS1_3genE9ELNS1_11target_archE1100ELNS1_3gpuE3ELNS1_3repE0EEENS1_30default_config_static_selectorELNS0_4arch9wavefront6targetE1EEEvT1_.uses_flat_scratch, 0
	.set _ZN7rocprim17ROCPRIM_400000_NS6detail17trampoline_kernelINS0_14default_configENS1_20scan_config_selectorIN3c108BFloat16EEEZZNS1_9scan_implILNS1_25lookback_scan_determinismE0ELb0ELb0ES3_PKS6_PS6_S6_ZZZN2at6native31launch_logcumsumexp_cuda_kernelERKNSD_10TensorBaseESH_lENKUlvE_clEvENKUlvE4_clEvEUlS6_S6_E_S6_EEDaPvRmT3_T4_T5_mT6_P12ihipStream_tbENKUlT_T0_E_clISt17integral_constantIbLb1EESY_EEDaST_SU_EUlST_E_NS1_11comp_targetILNS1_3genE9ELNS1_11target_archE1100ELNS1_3gpuE3ELNS1_3repE0EEENS1_30default_config_static_selectorELNS0_4arch9wavefront6targetE1EEEvT1_.has_dyn_sized_stack, 0
	.set _ZN7rocprim17ROCPRIM_400000_NS6detail17trampoline_kernelINS0_14default_configENS1_20scan_config_selectorIN3c108BFloat16EEEZZNS1_9scan_implILNS1_25lookback_scan_determinismE0ELb0ELb0ES3_PKS6_PS6_S6_ZZZN2at6native31launch_logcumsumexp_cuda_kernelERKNSD_10TensorBaseESH_lENKUlvE_clEvENKUlvE4_clEvEUlS6_S6_E_S6_EEDaPvRmT3_T4_T5_mT6_P12ihipStream_tbENKUlT_T0_E_clISt17integral_constantIbLb1EESY_EEDaST_SU_EUlST_E_NS1_11comp_targetILNS1_3genE9ELNS1_11target_archE1100ELNS1_3gpuE3ELNS1_3repE0EEENS1_30default_config_static_selectorELNS0_4arch9wavefront6targetE1EEEvT1_.has_recursion, 0
	.set _ZN7rocprim17ROCPRIM_400000_NS6detail17trampoline_kernelINS0_14default_configENS1_20scan_config_selectorIN3c108BFloat16EEEZZNS1_9scan_implILNS1_25lookback_scan_determinismE0ELb0ELb0ES3_PKS6_PS6_S6_ZZZN2at6native31launch_logcumsumexp_cuda_kernelERKNSD_10TensorBaseESH_lENKUlvE_clEvENKUlvE4_clEvEUlS6_S6_E_S6_EEDaPvRmT3_T4_T5_mT6_P12ihipStream_tbENKUlT_T0_E_clISt17integral_constantIbLb1EESY_EEDaST_SU_EUlST_E_NS1_11comp_targetILNS1_3genE9ELNS1_11target_archE1100ELNS1_3gpuE3ELNS1_3repE0EEENS1_30default_config_static_selectorELNS0_4arch9wavefront6targetE1EEEvT1_.has_indirect_call, 0
	.section	.AMDGPU.csdata,"",@progbits
; Kernel info:
; codeLenInByte = 0
; TotalNumSgprs: 6
; NumVgprs: 0
; NumAgprs: 0
; TotalNumVgprs: 0
; ScratchSize: 0
; MemoryBound: 0
; FloatMode: 240
; IeeeMode: 1
; LDSByteSize: 0 bytes/workgroup (compile time only)
; SGPRBlocks: 0
; VGPRBlocks: 0
; NumSGPRsForWavesPerEU: 6
; NumVGPRsForWavesPerEU: 1
; AccumOffset: 4
; Occupancy: 8
; WaveLimiterHint : 0
; COMPUTE_PGM_RSRC2:SCRATCH_EN: 0
; COMPUTE_PGM_RSRC2:USER_SGPR: 2
; COMPUTE_PGM_RSRC2:TRAP_HANDLER: 0
; COMPUTE_PGM_RSRC2:TGID_X_EN: 1
; COMPUTE_PGM_RSRC2:TGID_Y_EN: 0
; COMPUTE_PGM_RSRC2:TGID_Z_EN: 0
; COMPUTE_PGM_RSRC2:TIDIG_COMP_CNT: 0
; COMPUTE_PGM_RSRC3_GFX90A:ACCUM_OFFSET: 0
; COMPUTE_PGM_RSRC3_GFX90A:TG_SPLIT: 0
	.section	.text._ZN7rocprim17ROCPRIM_400000_NS6detail17trampoline_kernelINS0_14default_configENS1_20scan_config_selectorIN3c108BFloat16EEEZZNS1_9scan_implILNS1_25lookback_scan_determinismE0ELb0ELb0ES3_PKS6_PS6_S6_ZZZN2at6native31launch_logcumsumexp_cuda_kernelERKNSD_10TensorBaseESH_lENKUlvE_clEvENKUlvE4_clEvEUlS6_S6_E_S6_EEDaPvRmT3_T4_T5_mT6_P12ihipStream_tbENKUlT_T0_E_clISt17integral_constantIbLb1EESY_EEDaST_SU_EUlST_E_NS1_11comp_targetILNS1_3genE8ELNS1_11target_archE1030ELNS1_3gpuE2ELNS1_3repE0EEENS1_30default_config_static_selectorELNS0_4arch9wavefront6targetE1EEEvT1_,"axG",@progbits,_ZN7rocprim17ROCPRIM_400000_NS6detail17trampoline_kernelINS0_14default_configENS1_20scan_config_selectorIN3c108BFloat16EEEZZNS1_9scan_implILNS1_25lookback_scan_determinismE0ELb0ELb0ES3_PKS6_PS6_S6_ZZZN2at6native31launch_logcumsumexp_cuda_kernelERKNSD_10TensorBaseESH_lENKUlvE_clEvENKUlvE4_clEvEUlS6_S6_E_S6_EEDaPvRmT3_T4_T5_mT6_P12ihipStream_tbENKUlT_T0_E_clISt17integral_constantIbLb1EESY_EEDaST_SU_EUlST_E_NS1_11comp_targetILNS1_3genE8ELNS1_11target_archE1030ELNS1_3gpuE2ELNS1_3repE0EEENS1_30default_config_static_selectorELNS0_4arch9wavefront6targetE1EEEvT1_,comdat
	.globl	_ZN7rocprim17ROCPRIM_400000_NS6detail17trampoline_kernelINS0_14default_configENS1_20scan_config_selectorIN3c108BFloat16EEEZZNS1_9scan_implILNS1_25lookback_scan_determinismE0ELb0ELb0ES3_PKS6_PS6_S6_ZZZN2at6native31launch_logcumsumexp_cuda_kernelERKNSD_10TensorBaseESH_lENKUlvE_clEvENKUlvE4_clEvEUlS6_S6_E_S6_EEDaPvRmT3_T4_T5_mT6_P12ihipStream_tbENKUlT_T0_E_clISt17integral_constantIbLb1EESY_EEDaST_SU_EUlST_E_NS1_11comp_targetILNS1_3genE8ELNS1_11target_archE1030ELNS1_3gpuE2ELNS1_3repE0EEENS1_30default_config_static_selectorELNS0_4arch9wavefront6targetE1EEEvT1_ ; -- Begin function _ZN7rocprim17ROCPRIM_400000_NS6detail17trampoline_kernelINS0_14default_configENS1_20scan_config_selectorIN3c108BFloat16EEEZZNS1_9scan_implILNS1_25lookback_scan_determinismE0ELb0ELb0ES3_PKS6_PS6_S6_ZZZN2at6native31launch_logcumsumexp_cuda_kernelERKNSD_10TensorBaseESH_lENKUlvE_clEvENKUlvE4_clEvEUlS6_S6_E_S6_EEDaPvRmT3_T4_T5_mT6_P12ihipStream_tbENKUlT_T0_E_clISt17integral_constantIbLb1EESY_EEDaST_SU_EUlST_E_NS1_11comp_targetILNS1_3genE8ELNS1_11target_archE1030ELNS1_3gpuE2ELNS1_3repE0EEENS1_30default_config_static_selectorELNS0_4arch9wavefront6targetE1EEEvT1_
	.p2align	8
	.type	_ZN7rocprim17ROCPRIM_400000_NS6detail17trampoline_kernelINS0_14default_configENS1_20scan_config_selectorIN3c108BFloat16EEEZZNS1_9scan_implILNS1_25lookback_scan_determinismE0ELb0ELb0ES3_PKS6_PS6_S6_ZZZN2at6native31launch_logcumsumexp_cuda_kernelERKNSD_10TensorBaseESH_lENKUlvE_clEvENKUlvE4_clEvEUlS6_S6_E_S6_EEDaPvRmT3_T4_T5_mT6_P12ihipStream_tbENKUlT_T0_E_clISt17integral_constantIbLb1EESY_EEDaST_SU_EUlST_E_NS1_11comp_targetILNS1_3genE8ELNS1_11target_archE1030ELNS1_3gpuE2ELNS1_3repE0EEENS1_30default_config_static_selectorELNS0_4arch9wavefront6targetE1EEEvT1_,@function
_ZN7rocprim17ROCPRIM_400000_NS6detail17trampoline_kernelINS0_14default_configENS1_20scan_config_selectorIN3c108BFloat16EEEZZNS1_9scan_implILNS1_25lookback_scan_determinismE0ELb0ELb0ES3_PKS6_PS6_S6_ZZZN2at6native31launch_logcumsumexp_cuda_kernelERKNSD_10TensorBaseESH_lENKUlvE_clEvENKUlvE4_clEvEUlS6_S6_E_S6_EEDaPvRmT3_T4_T5_mT6_P12ihipStream_tbENKUlT_T0_E_clISt17integral_constantIbLb1EESY_EEDaST_SU_EUlST_E_NS1_11comp_targetILNS1_3genE8ELNS1_11target_archE1030ELNS1_3gpuE2ELNS1_3repE0EEENS1_30default_config_static_selectorELNS0_4arch9wavefront6targetE1EEEvT1_: ; @_ZN7rocprim17ROCPRIM_400000_NS6detail17trampoline_kernelINS0_14default_configENS1_20scan_config_selectorIN3c108BFloat16EEEZZNS1_9scan_implILNS1_25lookback_scan_determinismE0ELb0ELb0ES3_PKS6_PS6_S6_ZZZN2at6native31launch_logcumsumexp_cuda_kernelERKNSD_10TensorBaseESH_lENKUlvE_clEvENKUlvE4_clEvEUlS6_S6_E_S6_EEDaPvRmT3_T4_T5_mT6_P12ihipStream_tbENKUlT_T0_E_clISt17integral_constantIbLb1EESY_EEDaST_SU_EUlST_E_NS1_11comp_targetILNS1_3genE8ELNS1_11target_archE1030ELNS1_3gpuE2ELNS1_3repE0EEENS1_30default_config_static_selectorELNS0_4arch9wavefront6targetE1EEEvT1_
; %bb.0:
	.section	.rodata,"a",@progbits
	.p2align	6, 0x0
	.amdhsa_kernel _ZN7rocprim17ROCPRIM_400000_NS6detail17trampoline_kernelINS0_14default_configENS1_20scan_config_selectorIN3c108BFloat16EEEZZNS1_9scan_implILNS1_25lookback_scan_determinismE0ELb0ELb0ES3_PKS6_PS6_S6_ZZZN2at6native31launch_logcumsumexp_cuda_kernelERKNSD_10TensorBaseESH_lENKUlvE_clEvENKUlvE4_clEvEUlS6_S6_E_S6_EEDaPvRmT3_T4_T5_mT6_P12ihipStream_tbENKUlT_T0_E_clISt17integral_constantIbLb1EESY_EEDaST_SU_EUlST_E_NS1_11comp_targetILNS1_3genE8ELNS1_11target_archE1030ELNS1_3gpuE2ELNS1_3repE0EEENS1_30default_config_static_selectorELNS0_4arch9wavefront6targetE1EEEvT1_
		.amdhsa_group_segment_fixed_size 0
		.amdhsa_private_segment_fixed_size 0
		.amdhsa_kernarg_size 96
		.amdhsa_user_sgpr_count 2
		.amdhsa_user_sgpr_dispatch_ptr 0
		.amdhsa_user_sgpr_queue_ptr 0
		.amdhsa_user_sgpr_kernarg_segment_ptr 1
		.amdhsa_user_sgpr_dispatch_id 0
		.amdhsa_user_sgpr_kernarg_preload_length 0
		.amdhsa_user_sgpr_kernarg_preload_offset 0
		.amdhsa_user_sgpr_private_segment_size 0
		.amdhsa_uses_dynamic_stack 0
		.amdhsa_enable_private_segment 0
		.amdhsa_system_sgpr_workgroup_id_x 1
		.amdhsa_system_sgpr_workgroup_id_y 0
		.amdhsa_system_sgpr_workgroup_id_z 0
		.amdhsa_system_sgpr_workgroup_info 0
		.amdhsa_system_vgpr_workitem_id 0
		.amdhsa_next_free_vgpr 1
		.amdhsa_next_free_sgpr 0
		.amdhsa_accum_offset 4
		.amdhsa_reserve_vcc 0
		.amdhsa_float_round_mode_32 0
		.amdhsa_float_round_mode_16_64 0
		.amdhsa_float_denorm_mode_32 3
		.amdhsa_float_denorm_mode_16_64 3
		.amdhsa_dx10_clamp 1
		.amdhsa_ieee_mode 1
		.amdhsa_fp16_overflow 0
		.amdhsa_tg_split 0
		.amdhsa_exception_fp_ieee_invalid_op 0
		.amdhsa_exception_fp_denorm_src 0
		.amdhsa_exception_fp_ieee_div_zero 0
		.amdhsa_exception_fp_ieee_overflow 0
		.amdhsa_exception_fp_ieee_underflow 0
		.amdhsa_exception_fp_ieee_inexact 0
		.amdhsa_exception_int_div_zero 0
	.end_amdhsa_kernel
	.section	.text._ZN7rocprim17ROCPRIM_400000_NS6detail17trampoline_kernelINS0_14default_configENS1_20scan_config_selectorIN3c108BFloat16EEEZZNS1_9scan_implILNS1_25lookback_scan_determinismE0ELb0ELb0ES3_PKS6_PS6_S6_ZZZN2at6native31launch_logcumsumexp_cuda_kernelERKNSD_10TensorBaseESH_lENKUlvE_clEvENKUlvE4_clEvEUlS6_S6_E_S6_EEDaPvRmT3_T4_T5_mT6_P12ihipStream_tbENKUlT_T0_E_clISt17integral_constantIbLb1EESY_EEDaST_SU_EUlST_E_NS1_11comp_targetILNS1_3genE8ELNS1_11target_archE1030ELNS1_3gpuE2ELNS1_3repE0EEENS1_30default_config_static_selectorELNS0_4arch9wavefront6targetE1EEEvT1_,"axG",@progbits,_ZN7rocprim17ROCPRIM_400000_NS6detail17trampoline_kernelINS0_14default_configENS1_20scan_config_selectorIN3c108BFloat16EEEZZNS1_9scan_implILNS1_25lookback_scan_determinismE0ELb0ELb0ES3_PKS6_PS6_S6_ZZZN2at6native31launch_logcumsumexp_cuda_kernelERKNSD_10TensorBaseESH_lENKUlvE_clEvENKUlvE4_clEvEUlS6_S6_E_S6_EEDaPvRmT3_T4_T5_mT6_P12ihipStream_tbENKUlT_T0_E_clISt17integral_constantIbLb1EESY_EEDaST_SU_EUlST_E_NS1_11comp_targetILNS1_3genE8ELNS1_11target_archE1030ELNS1_3gpuE2ELNS1_3repE0EEENS1_30default_config_static_selectorELNS0_4arch9wavefront6targetE1EEEvT1_,comdat
.Lfunc_end473:
	.size	_ZN7rocprim17ROCPRIM_400000_NS6detail17trampoline_kernelINS0_14default_configENS1_20scan_config_selectorIN3c108BFloat16EEEZZNS1_9scan_implILNS1_25lookback_scan_determinismE0ELb0ELb0ES3_PKS6_PS6_S6_ZZZN2at6native31launch_logcumsumexp_cuda_kernelERKNSD_10TensorBaseESH_lENKUlvE_clEvENKUlvE4_clEvEUlS6_S6_E_S6_EEDaPvRmT3_T4_T5_mT6_P12ihipStream_tbENKUlT_T0_E_clISt17integral_constantIbLb1EESY_EEDaST_SU_EUlST_E_NS1_11comp_targetILNS1_3genE8ELNS1_11target_archE1030ELNS1_3gpuE2ELNS1_3repE0EEENS1_30default_config_static_selectorELNS0_4arch9wavefront6targetE1EEEvT1_, .Lfunc_end473-_ZN7rocprim17ROCPRIM_400000_NS6detail17trampoline_kernelINS0_14default_configENS1_20scan_config_selectorIN3c108BFloat16EEEZZNS1_9scan_implILNS1_25lookback_scan_determinismE0ELb0ELb0ES3_PKS6_PS6_S6_ZZZN2at6native31launch_logcumsumexp_cuda_kernelERKNSD_10TensorBaseESH_lENKUlvE_clEvENKUlvE4_clEvEUlS6_S6_E_S6_EEDaPvRmT3_T4_T5_mT6_P12ihipStream_tbENKUlT_T0_E_clISt17integral_constantIbLb1EESY_EEDaST_SU_EUlST_E_NS1_11comp_targetILNS1_3genE8ELNS1_11target_archE1030ELNS1_3gpuE2ELNS1_3repE0EEENS1_30default_config_static_selectorELNS0_4arch9wavefront6targetE1EEEvT1_
                                        ; -- End function
	.set _ZN7rocprim17ROCPRIM_400000_NS6detail17trampoline_kernelINS0_14default_configENS1_20scan_config_selectorIN3c108BFloat16EEEZZNS1_9scan_implILNS1_25lookback_scan_determinismE0ELb0ELb0ES3_PKS6_PS6_S6_ZZZN2at6native31launch_logcumsumexp_cuda_kernelERKNSD_10TensorBaseESH_lENKUlvE_clEvENKUlvE4_clEvEUlS6_S6_E_S6_EEDaPvRmT3_T4_T5_mT6_P12ihipStream_tbENKUlT_T0_E_clISt17integral_constantIbLb1EESY_EEDaST_SU_EUlST_E_NS1_11comp_targetILNS1_3genE8ELNS1_11target_archE1030ELNS1_3gpuE2ELNS1_3repE0EEENS1_30default_config_static_selectorELNS0_4arch9wavefront6targetE1EEEvT1_.num_vgpr, 0
	.set _ZN7rocprim17ROCPRIM_400000_NS6detail17trampoline_kernelINS0_14default_configENS1_20scan_config_selectorIN3c108BFloat16EEEZZNS1_9scan_implILNS1_25lookback_scan_determinismE0ELb0ELb0ES3_PKS6_PS6_S6_ZZZN2at6native31launch_logcumsumexp_cuda_kernelERKNSD_10TensorBaseESH_lENKUlvE_clEvENKUlvE4_clEvEUlS6_S6_E_S6_EEDaPvRmT3_T4_T5_mT6_P12ihipStream_tbENKUlT_T0_E_clISt17integral_constantIbLb1EESY_EEDaST_SU_EUlST_E_NS1_11comp_targetILNS1_3genE8ELNS1_11target_archE1030ELNS1_3gpuE2ELNS1_3repE0EEENS1_30default_config_static_selectorELNS0_4arch9wavefront6targetE1EEEvT1_.num_agpr, 0
	.set _ZN7rocprim17ROCPRIM_400000_NS6detail17trampoline_kernelINS0_14default_configENS1_20scan_config_selectorIN3c108BFloat16EEEZZNS1_9scan_implILNS1_25lookback_scan_determinismE0ELb0ELb0ES3_PKS6_PS6_S6_ZZZN2at6native31launch_logcumsumexp_cuda_kernelERKNSD_10TensorBaseESH_lENKUlvE_clEvENKUlvE4_clEvEUlS6_S6_E_S6_EEDaPvRmT3_T4_T5_mT6_P12ihipStream_tbENKUlT_T0_E_clISt17integral_constantIbLb1EESY_EEDaST_SU_EUlST_E_NS1_11comp_targetILNS1_3genE8ELNS1_11target_archE1030ELNS1_3gpuE2ELNS1_3repE0EEENS1_30default_config_static_selectorELNS0_4arch9wavefront6targetE1EEEvT1_.numbered_sgpr, 0
	.set _ZN7rocprim17ROCPRIM_400000_NS6detail17trampoline_kernelINS0_14default_configENS1_20scan_config_selectorIN3c108BFloat16EEEZZNS1_9scan_implILNS1_25lookback_scan_determinismE0ELb0ELb0ES3_PKS6_PS6_S6_ZZZN2at6native31launch_logcumsumexp_cuda_kernelERKNSD_10TensorBaseESH_lENKUlvE_clEvENKUlvE4_clEvEUlS6_S6_E_S6_EEDaPvRmT3_T4_T5_mT6_P12ihipStream_tbENKUlT_T0_E_clISt17integral_constantIbLb1EESY_EEDaST_SU_EUlST_E_NS1_11comp_targetILNS1_3genE8ELNS1_11target_archE1030ELNS1_3gpuE2ELNS1_3repE0EEENS1_30default_config_static_selectorELNS0_4arch9wavefront6targetE1EEEvT1_.num_named_barrier, 0
	.set _ZN7rocprim17ROCPRIM_400000_NS6detail17trampoline_kernelINS0_14default_configENS1_20scan_config_selectorIN3c108BFloat16EEEZZNS1_9scan_implILNS1_25lookback_scan_determinismE0ELb0ELb0ES3_PKS6_PS6_S6_ZZZN2at6native31launch_logcumsumexp_cuda_kernelERKNSD_10TensorBaseESH_lENKUlvE_clEvENKUlvE4_clEvEUlS6_S6_E_S6_EEDaPvRmT3_T4_T5_mT6_P12ihipStream_tbENKUlT_T0_E_clISt17integral_constantIbLb1EESY_EEDaST_SU_EUlST_E_NS1_11comp_targetILNS1_3genE8ELNS1_11target_archE1030ELNS1_3gpuE2ELNS1_3repE0EEENS1_30default_config_static_selectorELNS0_4arch9wavefront6targetE1EEEvT1_.private_seg_size, 0
	.set _ZN7rocprim17ROCPRIM_400000_NS6detail17trampoline_kernelINS0_14default_configENS1_20scan_config_selectorIN3c108BFloat16EEEZZNS1_9scan_implILNS1_25lookback_scan_determinismE0ELb0ELb0ES3_PKS6_PS6_S6_ZZZN2at6native31launch_logcumsumexp_cuda_kernelERKNSD_10TensorBaseESH_lENKUlvE_clEvENKUlvE4_clEvEUlS6_S6_E_S6_EEDaPvRmT3_T4_T5_mT6_P12ihipStream_tbENKUlT_T0_E_clISt17integral_constantIbLb1EESY_EEDaST_SU_EUlST_E_NS1_11comp_targetILNS1_3genE8ELNS1_11target_archE1030ELNS1_3gpuE2ELNS1_3repE0EEENS1_30default_config_static_selectorELNS0_4arch9wavefront6targetE1EEEvT1_.uses_vcc, 0
	.set _ZN7rocprim17ROCPRIM_400000_NS6detail17trampoline_kernelINS0_14default_configENS1_20scan_config_selectorIN3c108BFloat16EEEZZNS1_9scan_implILNS1_25lookback_scan_determinismE0ELb0ELb0ES3_PKS6_PS6_S6_ZZZN2at6native31launch_logcumsumexp_cuda_kernelERKNSD_10TensorBaseESH_lENKUlvE_clEvENKUlvE4_clEvEUlS6_S6_E_S6_EEDaPvRmT3_T4_T5_mT6_P12ihipStream_tbENKUlT_T0_E_clISt17integral_constantIbLb1EESY_EEDaST_SU_EUlST_E_NS1_11comp_targetILNS1_3genE8ELNS1_11target_archE1030ELNS1_3gpuE2ELNS1_3repE0EEENS1_30default_config_static_selectorELNS0_4arch9wavefront6targetE1EEEvT1_.uses_flat_scratch, 0
	.set _ZN7rocprim17ROCPRIM_400000_NS6detail17trampoline_kernelINS0_14default_configENS1_20scan_config_selectorIN3c108BFloat16EEEZZNS1_9scan_implILNS1_25lookback_scan_determinismE0ELb0ELb0ES3_PKS6_PS6_S6_ZZZN2at6native31launch_logcumsumexp_cuda_kernelERKNSD_10TensorBaseESH_lENKUlvE_clEvENKUlvE4_clEvEUlS6_S6_E_S6_EEDaPvRmT3_T4_T5_mT6_P12ihipStream_tbENKUlT_T0_E_clISt17integral_constantIbLb1EESY_EEDaST_SU_EUlST_E_NS1_11comp_targetILNS1_3genE8ELNS1_11target_archE1030ELNS1_3gpuE2ELNS1_3repE0EEENS1_30default_config_static_selectorELNS0_4arch9wavefront6targetE1EEEvT1_.has_dyn_sized_stack, 0
	.set _ZN7rocprim17ROCPRIM_400000_NS6detail17trampoline_kernelINS0_14default_configENS1_20scan_config_selectorIN3c108BFloat16EEEZZNS1_9scan_implILNS1_25lookback_scan_determinismE0ELb0ELb0ES3_PKS6_PS6_S6_ZZZN2at6native31launch_logcumsumexp_cuda_kernelERKNSD_10TensorBaseESH_lENKUlvE_clEvENKUlvE4_clEvEUlS6_S6_E_S6_EEDaPvRmT3_T4_T5_mT6_P12ihipStream_tbENKUlT_T0_E_clISt17integral_constantIbLb1EESY_EEDaST_SU_EUlST_E_NS1_11comp_targetILNS1_3genE8ELNS1_11target_archE1030ELNS1_3gpuE2ELNS1_3repE0EEENS1_30default_config_static_selectorELNS0_4arch9wavefront6targetE1EEEvT1_.has_recursion, 0
	.set _ZN7rocprim17ROCPRIM_400000_NS6detail17trampoline_kernelINS0_14default_configENS1_20scan_config_selectorIN3c108BFloat16EEEZZNS1_9scan_implILNS1_25lookback_scan_determinismE0ELb0ELb0ES3_PKS6_PS6_S6_ZZZN2at6native31launch_logcumsumexp_cuda_kernelERKNSD_10TensorBaseESH_lENKUlvE_clEvENKUlvE4_clEvEUlS6_S6_E_S6_EEDaPvRmT3_T4_T5_mT6_P12ihipStream_tbENKUlT_T0_E_clISt17integral_constantIbLb1EESY_EEDaST_SU_EUlST_E_NS1_11comp_targetILNS1_3genE8ELNS1_11target_archE1030ELNS1_3gpuE2ELNS1_3repE0EEENS1_30default_config_static_selectorELNS0_4arch9wavefront6targetE1EEEvT1_.has_indirect_call, 0
	.section	.AMDGPU.csdata,"",@progbits
; Kernel info:
; codeLenInByte = 0
; TotalNumSgprs: 6
; NumVgprs: 0
; NumAgprs: 0
; TotalNumVgprs: 0
; ScratchSize: 0
; MemoryBound: 0
; FloatMode: 240
; IeeeMode: 1
; LDSByteSize: 0 bytes/workgroup (compile time only)
; SGPRBlocks: 0
; VGPRBlocks: 0
; NumSGPRsForWavesPerEU: 6
; NumVGPRsForWavesPerEU: 1
; AccumOffset: 4
; Occupancy: 8
; WaveLimiterHint : 0
; COMPUTE_PGM_RSRC2:SCRATCH_EN: 0
; COMPUTE_PGM_RSRC2:USER_SGPR: 2
; COMPUTE_PGM_RSRC2:TRAP_HANDLER: 0
; COMPUTE_PGM_RSRC2:TGID_X_EN: 1
; COMPUTE_PGM_RSRC2:TGID_Y_EN: 0
; COMPUTE_PGM_RSRC2:TGID_Z_EN: 0
; COMPUTE_PGM_RSRC2:TIDIG_COMP_CNT: 0
; COMPUTE_PGM_RSRC3_GFX90A:ACCUM_OFFSET: 0
; COMPUTE_PGM_RSRC3_GFX90A:TG_SPLIT: 0
	.section	.text._ZN7rocprim17ROCPRIM_400000_NS6detail17trampoline_kernelINS0_14default_configENS1_20scan_config_selectorIN3c108BFloat16EEEZZNS1_9scan_implILNS1_25lookback_scan_determinismE0ELb0ELb0ES3_PKS6_PS6_S6_ZZZN2at6native31launch_logcumsumexp_cuda_kernelERKNSD_10TensorBaseESH_lENKUlvE_clEvENKUlvE4_clEvEUlS6_S6_E_S6_EEDaPvRmT3_T4_T5_mT6_P12ihipStream_tbENKUlT_T0_E_clISt17integral_constantIbLb1EESY_EEDaST_SU_EUlST_E0_NS1_11comp_targetILNS1_3genE0ELNS1_11target_archE4294967295ELNS1_3gpuE0ELNS1_3repE0EEENS1_30default_config_static_selectorELNS0_4arch9wavefront6targetE1EEEvT1_,"axG",@progbits,_ZN7rocprim17ROCPRIM_400000_NS6detail17trampoline_kernelINS0_14default_configENS1_20scan_config_selectorIN3c108BFloat16EEEZZNS1_9scan_implILNS1_25lookback_scan_determinismE0ELb0ELb0ES3_PKS6_PS6_S6_ZZZN2at6native31launch_logcumsumexp_cuda_kernelERKNSD_10TensorBaseESH_lENKUlvE_clEvENKUlvE4_clEvEUlS6_S6_E_S6_EEDaPvRmT3_T4_T5_mT6_P12ihipStream_tbENKUlT_T0_E_clISt17integral_constantIbLb1EESY_EEDaST_SU_EUlST_E0_NS1_11comp_targetILNS1_3genE0ELNS1_11target_archE4294967295ELNS1_3gpuE0ELNS1_3repE0EEENS1_30default_config_static_selectorELNS0_4arch9wavefront6targetE1EEEvT1_,comdat
	.globl	_ZN7rocprim17ROCPRIM_400000_NS6detail17trampoline_kernelINS0_14default_configENS1_20scan_config_selectorIN3c108BFloat16EEEZZNS1_9scan_implILNS1_25lookback_scan_determinismE0ELb0ELb0ES3_PKS6_PS6_S6_ZZZN2at6native31launch_logcumsumexp_cuda_kernelERKNSD_10TensorBaseESH_lENKUlvE_clEvENKUlvE4_clEvEUlS6_S6_E_S6_EEDaPvRmT3_T4_T5_mT6_P12ihipStream_tbENKUlT_T0_E_clISt17integral_constantIbLb1EESY_EEDaST_SU_EUlST_E0_NS1_11comp_targetILNS1_3genE0ELNS1_11target_archE4294967295ELNS1_3gpuE0ELNS1_3repE0EEENS1_30default_config_static_selectorELNS0_4arch9wavefront6targetE1EEEvT1_ ; -- Begin function _ZN7rocprim17ROCPRIM_400000_NS6detail17trampoline_kernelINS0_14default_configENS1_20scan_config_selectorIN3c108BFloat16EEEZZNS1_9scan_implILNS1_25lookback_scan_determinismE0ELb0ELb0ES3_PKS6_PS6_S6_ZZZN2at6native31launch_logcumsumexp_cuda_kernelERKNSD_10TensorBaseESH_lENKUlvE_clEvENKUlvE4_clEvEUlS6_S6_E_S6_EEDaPvRmT3_T4_T5_mT6_P12ihipStream_tbENKUlT_T0_E_clISt17integral_constantIbLb1EESY_EEDaST_SU_EUlST_E0_NS1_11comp_targetILNS1_3genE0ELNS1_11target_archE4294967295ELNS1_3gpuE0ELNS1_3repE0EEENS1_30default_config_static_selectorELNS0_4arch9wavefront6targetE1EEEvT1_
	.p2align	8
	.type	_ZN7rocprim17ROCPRIM_400000_NS6detail17trampoline_kernelINS0_14default_configENS1_20scan_config_selectorIN3c108BFloat16EEEZZNS1_9scan_implILNS1_25lookback_scan_determinismE0ELb0ELb0ES3_PKS6_PS6_S6_ZZZN2at6native31launch_logcumsumexp_cuda_kernelERKNSD_10TensorBaseESH_lENKUlvE_clEvENKUlvE4_clEvEUlS6_S6_E_S6_EEDaPvRmT3_T4_T5_mT6_P12ihipStream_tbENKUlT_T0_E_clISt17integral_constantIbLb1EESY_EEDaST_SU_EUlST_E0_NS1_11comp_targetILNS1_3genE0ELNS1_11target_archE4294967295ELNS1_3gpuE0ELNS1_3repE0EEENS1_30default_config_static_selectorELNS0_4arch9wavefront6targetE1EEEvT1_,@function
_ZN7rocprim17ROCPRIM_400000_NS6detail17trampoline_kernelINS0_14default_configENS1_20scan_config_selectorIN3c108BFloat16EEEZZNS1_9scan_implILNS1_25lookback_scan_determinismE0ELb0ELb0ES3_PKS6_PS6_S6_ZZZN2at6native31launch_logcumsumexp_cuda_kernelERKNSD_10TensorBaseESH_lENKUlvE_clEvENKUlvE4_clEvEUlS6_S6_E_S6_EEDaPvRmT3_T4_T5_mT6_P12ihipStream_tbENKUlT_T0_E_clISt17integral_constantIbLb1EESY_EEDaST_SU_EUlST_E0_NS1_11comp_targetILNS1_3genE0ELNS1_11target_archE4294967295ELNS1_3gpuE0ELNS1_3repE0EEENS1_30default_config_static_selectorELNS0_4arch9wavefront6targetE1EEEvT1_: ; @_ZN7rocprim17ROCPRIM_400000_NS6detail17trampoline_kernelINS0_14default_configENS1_20scan_config_selectorIN3c108BFloat16EEEZZNS1_9scan_implILNS1_25lookback_scan_determinismE0ELb0ELb0ES3_PKS6_PS6_S6_ZZZN2at6native31launch_logcumsumexp_cuda_kernelERKNSD_10TensorBaseESH_lENKUlvE_clEvENKUlvE4_clEvEUlS6_S6_E_S6_EEDaPvRmT3_T4_T5_mT6_P12ihipStream_tbENKUlT_T0_E_clISt17integral_constantIbLb1EESY_EEDaST_SU_EUlST_E0_NS1_11comp_targetILNS1_3genE0ELNS1_11target_archE4294967295ELNS1_3gpuE0ELNS1_3repE0EEENS1_30default_config_static_selectorELNS0_4arch9wavefront6targetE1EEEvT1_
; %bb.0:
	s_load_dwordx4 s[28:31], s[0:1], 0x0
	v_mov_b32_e32 v1, 0
	v_lshlrev_b32_e32 v8, 1, v0
	s_waitcnt lgkmcnt(0)
	global_load_ushort v1, v1, s[28:29]
	v_cmp_gt_u32_e64 s[58:59], s30, v0
	s_waitcnt vmcnt(0)
	v_mov_b32_e32 v2, v1
	s_and_saveexec_b64 s[2:3], s[58:59]
	s_cbranch_execz .LBB474_2
; %bb.1:
	global_load_ushort v2, v8, s[28:29]
.LBB474_2:
	s_or_b64 exec, exec, s[2:3]
	v_or_b32_e32 v3, 0x80, v0
	v_cmp_gt_u32_e64 s[2:3], s30, v3
	v_mov_b32_e32 v3, v1
	s_and_saveexec_b64 s[4:5], s[2:3]
	s_cbranch_execz .LBB474_4
; %bb.3:
	global_load_ushort v3, v8, s[28:29] offset:256
.LBB474_4:
	s_or_b64 exec, exec, s[4:5]
	v_or_b32_e32 v4, 0x100, v0
	v_cmp_gt_u32_e64 s[4:5], s30, v4
	v_mov_b32_e32 v4, v1
	s_and_saveexec_b64 s[6:7], s[4:5]
	s_cbranch_execz .LBB474_6
; %bb.5:
	global_load_ushort v4, v8, s[28:29] offset:512
.LBB474_6:
	;; [unrolled: 9-line block ×12, first 2 shown]
	s_or_b64 exec, exec, s[26:27]
	v_or_b32_e32 v16, 0x680, v0
	v_cmp_gt_u32_e64 s[26:27], s30, v16
	v_cmp_le_u32_e32 vcc, s30, v16
	s_and_saveexec_b64 s[30:31], vcc
	s_xor_b64 s[30:31], exec, s[30:31]
	s_andn2_saveexec_b64 s[30:31], s[30:31]
	s_cbranch_execz .LBB474_28
; %bb.27:
	v_lshlrev_b32_e32 v1, 1, v0
	global_load_ushort v1, v1, s[28:29] offset:3328
.LBB474_28:
	s_or_b64 exec, exec, s[30:31]
	s_waitcnt vmcnt(0)
	ds_write_b16 v8, v2
	ds_write_b16 v8, v3 offset:256
	ds_write_b16 v8, v4 offset:512
	;; [unrolled: 1-line block ×13, first 2 shown]
	v_mad_u32_u24 v1, v0, 26, v8
	s_waitcnt lgkmcnt(0)
	s_barrier
	ds_read2_b32 v[2:3], v1 offset1:1
	ds_read2_b32 v[6:7], v1 offset0:2 offset1:3
	ds_read2_b32 v[4:5], v1 offset0:4 offset1:5
	ds_read_b32 v26, v1 offset:24
	s_movk_i32 s33, 0x1f8
	s_waitcnt lgkmcnt(3)
	v_lshlrev_b32_e32 v29, 16, v2
	v_and_b32_e32 v1, 0xffff0000, v2
	v_max_f32_e32 v16, v1, v1
	v_max_f32_e32 v31, v29, v29
	v_min_f32_e32 v30, v31, v16
	v_cmp_u_f32_e64 s[56:57], v29, v29
	v_cmp_u_f32_e64 s[28:29], v1, v1
	v_max_f32_e32 v32, v31, v16
	v_cndmask_b32_e64 v9, v30, v29, s[56:57]
	v_cndmask_b32_e64 v11, v9, v1, s[28:29]
	;; [unrolled: 1-line block ×4, first 2 shown]
	v_cmp_neq_f32_e32 vcc, v11, v9
	v_cmp_class_f32_e64 s[30:31], v11, s33
	s_or_b64 s[34:35], vcc, s[30:31]
	v_mov_b32_e32 v10, v29
	s_waitcnt lgkmcnt(0)
	s_barrier
	s_and_saveexec_b64 s[30:31], s[34:35]
	s_cbranch_execz .LBB474_30
; %bb.29:
	v_sub_f32_e32 v10, v11, v9
	s_mov_b32 s34, 0x3fb8aa3b
	v_mul_f32_e32 v11, 0x3fb8aa3b, v10
	v_fma_f32 v12, v10, s34, -v11
	v_rndne_f32_e32 v13, v11
	v_fmamk_f32 v12, v10, 0x32a5705f, v12
	v_sub_f32_e32 v11, v11, v13
	v_add_f32_e32 v11, v11, v12
	v_exp_f32_e32 v11, v11
	v_cvt_i32_f32_e32 v12, v13
	s_mov_b32 s34, 0xc2ce8ed0
	v_cmp_ngt_f32_e32 vcc, s34, v10
	s_mov_b32 s34, 0x42b17218
	v_ldexp_f32 v11, v11, v12
	v_cndmask_b32_e32 v11, 0, v11, vcc
	v_mov_b32_e32 v17, 0x7f800000
	v_cmp_nlt_f32_e32 vcc, s34, v10
	s_mov_b32 s34, 0x3f2aaaab
	s_mov_b32 s35, 0x7f800000
	v_cndmask_b32_e32 v27, v17, v11, vcc
	v_add_f32_e32 v12, 1.0, v27
	v_add_f32_e32 v10, -1.0, v12
	v_sub_f32_e32 v11, v10, v12
	v_add_f32_e32 v11, 1.0, v11
	v_sub_f32_e32 v10, v27, v10
	v_add_f32_e32 v13, v10, v11
	v_frexp_mant_f32_e32 v14, v12
	v_cvt_f64_f32_e32 v[10:11], v12
	v_frexp_exp_i32_f64_e32 v10, v[10:11]
	v_cmp_gt_f32_e32 vcc, s34, v14
	s_mov_b32 s34, 0x3f317218
	s_nop 0
	v_subbrev_co_u32_e32 v20, vcc, 0, v10, vcc
	v_sub_u32_e32 v10, 0, v20
	v_ldexp_f32 v11, v12, v10
	v_add_f32_e32 v12, -1.0, v11
	v_add_f32_e32 v14, 1.0, v11
	v_ldexp_f32 v10, v13, v10
	v_add_f32_e32 v13, 1.0, v12
	v_add_f32_e32 v15, -1.0, v14
	v_sub_f32_e32 v13, v11, v13
	v_sub_f32_e32 v11, v11, v15
	v_add_f32_e32 v13, v10, v13
	v_add_f32_e32 v10, v10, v11
	;; [unrolled: 1-line block ×3, first 2 shown]
	v_rcp_f32_e32 v23, v21
	v_sub_f32_e32 v11, v14, v21
	v_add_f32_e32 v22, v10, v11
	v_add_f32_e32 v11, v12, v13
	v_mul_f32_e32 v25, v11, v23
	v_sub_f32_e32 v10, v12, v11
	v_mul_f32_e32 v12, v21, v25
	v_fma_f32 v14, v25, v21, -v12
	v_fmac_f32_e32 v14, v25, v22
	v_add_f32_e32 v24, v13, v10
	v_add_f32_e32 v10, v12, v14
	v_sub_f32_e32 v13, v11, v10
	v_pk_add_f32 v[18:19], v[10:11], v[12:13] neg_lo:[0,1] neg_hi:[0,1]
	v_mov_b32_e32 v15, v10
	v_pk_add_f32 v[10:11], v[18:19], v[14:15] neg_lo:[0,1] neg_hi:[0,1]
	v_cmp_neq_f32_e32 vcc, s35, v27
	v_add_f32_e32 v11, v24, v11
	v_add_f32_e32 v10, v10, v11
	;; [unrolled: 1-line block ×3, first 2 shown]
	v_mul_f32_e32 v24, v23, v11
	v_mul_f32_e32 v12, v21, v24
	v_fma_f32 v14, v24, v21, -v12
	v_fmac_f32_e32 v14, v24, v22
	v_sub_f32_e32 v13, v13, v11
	v_add_f32_e32 v21, v10, v13
	v_add_f32_e32 v10, v12, v14
	v_sub_f32_e32 v13, v11, v10
	v_pk_add_f32 v[18:19], v[10:11], v[12:13] neg_lo:[0,1] neg_hi:[0,1]
	v_mov_b32_e32 v15, v10
	v_pk_add_f32 v[10:11], v[18:19], v[14:15] neg_lo:[0,1] neg_hi:[0,1]
	v_cvt_f32_i32_e32 v12, v20
	v_add_f32_e32 v11, v21, v11
	v_add_f32_e32 v10, v10, v11
	;; [unrolled: 1-line block ×4, first 2 shown]
	v_sub_f32_e32 v11, v13, v25
	v_mul_f32_e32 v10, v23, v10
	v_sub_f32_e32 v11, v24, v11
	v_add_f32_e32 v10, v11, v10
	v_add_f32_e32 v14, v13, v10
	v_mul_f32_e32 v18, v14, v14
	v_mov_b32_e32 v11, 0x3ecc95a3
	v_sub_f32_e32 v13, v14, v13
	v_fmac_f32_e32 v11, 0x3e9b6dac, v18
	v_sub_f32_e32 v10, v10, v13
	v_fmaak_f32 v11, v18, v11, 0x3f2aaada
	v_ldexp_f32 v19, v10, 1
	v_mul_f32_e32 v13, v14, v18
	v_mov_b32_e32 v10, 0x3f317218
	v_pk_mul_f32 v[10:11], v[12:13], v[10:11]
	v_ldexp_f32 v15, v14, 1
	v_fma_f32 v13, v12, s34, -v10
	v_fmamk_f32 v14, v12, 0xb102e308, v13
	v_pk_add_f32 v[12:13], v[10:11], v[14:15]
	v_mov_b32_e32 v18, v10
	v_sub_f32_e32 v15, v13, v15
	v_sub_f32_e32 v15, v11, v15
	v_add_f32_e32 v19, v19, v15
	v_pk_add_f32 v[10:11], v[12:13], v[10:11] neg_lo:[0,1] neg_hi:[0,1]
	v_pk_add_f32 v[20:21], v[12:13], v[18:19]
	v_mov_b32_e32 v15, v12
	v_mov_b32_e32 v11, v21
	v_pk_add_f32 v[22:23], v[14:15], v[10:11] neg_lo:[0,1] neg_hi:[0,1]
	v_pk_add_f32 v[10:11], v[14:15], v[10:11]
	v_mov_b32_e32 v18, v19
	v_pk_add_f32 v[14:15], v[10:11], v[12:13] op_sel:[1,0] op_sel_hi:[0,1] neg_lo:[0,1] neg_hi:[0,1]
	v_pk_add_f32 v[24:25], v[20:21], v[14:15] op_sel_hi:[1,0] neg_lo:[0,1] neg_hi:[0,1]
	v_mov_b32_e32 v20, v21
	v_mov_b32_e32 v21, v11
	v_pk_mov_b32 v[14:15], v[12:13], v[14:15] op_sel:[1,0]
	v_mov_b32_e32 v19, v12
	v_pk_add_f32 v[14:15], v[20:21], v[14:15] neg_lo:[0,1] neg_hi:[0,1]
	v_mov_b32_e32 v24, v22
	v_pk_add_f32 v[12:13], v[18:19], v[14:15] neg_lo:[0,1] neg_hi:[0,1]
	v_mov_b32_e32 v23, v11
	v_pk_add_f32 v[14:15], v[24:25], v[12:13]
	s_mov_b32 s34, 0x33800000
	v_pk_add_f32 v[18:19], v[14:15], v[14:15] op_sel:[0,1] op_sel_hi:[1,0]
	s_nop 0
	v_pk_add_f32 v[10:11], v[10:11], v[18:19] op_sel:[1,0] op_sel_hi:[0,1]
	v_mov_b32_e32 v15, v10
	v_pk_add_f32 v[20:21], v[14:15], v[22:23] neg_lo:[0,1] neg_hi:[0,1]
	v_mov_b32_e32 v13, v18
	v_sub_f32_e32 v11, v14, v20
	v_pk_add_f32 v[12:13], v[12:13], v[20:21] neg_lo:[0,1] neg_hi:[0,1]
	v_sub_f32_e32 v11, v22, v11
	v_add_f32_e32 v11, v12, v11
	v_add_f32_e32 v11, v11, v13
	;; [unrolled: 1-line block ×3, first 2 shown]
	v_cndmask_b32_e32 v10, v17, v10, vcc
	v_cmp_lt_f32_e64 vcc, |v27|, s34
	s_nop 1
	v_cndmask_b32_e32 v10, v10, v27, vcc
	v_add_f32_e32 v10, v9, v10
.LBB474_30:
	s_or_b64 exec, exec, s[30:31]
	v_bfe_u32 v9, v10, 16, 1
	s_movk_i32 s36, 0x7fff
	v_add3_u32 v9, v10, v9, s36
	v_and_b32_e32 v9, 0xffff0000, v9
	v_mov_b32_e32 v11, 0x7fc00000
	v_cmp_o_f32_e32 vcc, v10, v10
	s_nop 1
	v_cndmask_b32_e32 v13, v11, v9, vcc
	v_lshlrev_b32_e32 v9, 16, v3
	v_max_f32_e32 v12, v13, v13
	v_max_f32_e32 v10, v9, v9
	v_min_f32_e32 v14, v12, v10
	v_cmp_u_f32_e32 vcc, v13, v13
	v_max_f32_e32 v12, v12, v10
	v_cmp_u_f32_e64 s[30:31], v9, v9
	v_cndmask_b32_e32 v14, v14, v13, vcc
	v_cndmask_b32_e32 v12, v12, v13, vcc
	v_cndmask_b32_e64 v14, v14, v9, s[30:31]
	v_cndmask_b32_e64 v12, v12, v9, s[30:31]
	v_cmp_neq_f32_e32 vcc, v14, v12
	v_cmp_class_f32_e64 s[34:35], v14, s33
	s_or_b64 s[38:39], vcc, s[34:35]
	s_and_saveexec_b64 s[34:35], s[38:39]
	s_cbranch_execz .LBB474_32
; %bb.31:
	v_sub_f32_e32 v13, v14, v12
	s_mov_b32 s33, 0x3fb8aa3b
	v_mul_f32_e32 v14, 0x3fb8aa3b, v13
	v_fma_f32 v15, v13, s33, -v14
	v_rndne_f32_e32 v17, v14
	v_fmamk_f32 v15, v13, 0x32a5705f, v15
	v_sub_f32_e32 v14, v14, v17
	v_add_f32_e32 v14, v14, v15
	v_exp_f32_e32 v14, v14
	v_cvt_i32_f32_e32 v15, v17
	s_mov_b32 s33, 0xc2ce8ed0
	v_cmp_ngt_f32_e32 vcc, s33, v13
	s_mov_b32 s33, 0x42b17218
	v_ldexp_f32 v14, v14, v15
	v_cndmask_b32_e32 v14, 0, v14, vcc
	v_mov_b32_e32 v17, 0x7f800000
	v_cmp_nlt_f32_e32 vcc, s33, v13
	s_mov_b32 s33, 0x3f2aaaab
	s_mov_b32 s37, 0x7f800000
	v_cndmask_b32_e32 v13, v17, v14, vcc
	v_add_f32_e32 v18, 1.0, v13
	v_add_f32_e32 v14, -1.0, v18
	v_sub_f32_e32 v15, v14, v18
	v_add_f32_e32 v15, 1.0, v15
	v_sub_f32_e32 v14, v13, v14
	v_add_f32_e32 v19, v14, v15
	v_frexp_mant_f32_e32 v20, v18
	v_cvt_f64_f32_e32 v[14:15], v18
	v_frexp_exp_i32_f64_e32 v14, v[14:15]
	v_cmp_gt_f32_e32 vcc, s33, v20
	s_mov_b32 s33, 0x3f317218
	s_nop 0
	v_subbrev_co_u32_e32 v24, vcc, 0, v14, vcc
	v_sub_u32_e32 v14, 0, v24
	v_ldexp_f32 v15, v18, v14
	v_add_f32_e32 v18, -1.0, v15
	v_add_f32_e32 v20, 1.0, v15
	v_ldexp_f32 v14, v19, v14
	v_add_f32_e32 v19, 1.0, v18
	v_add_f32_e32 v21, -1.0, v20
	v_sub_f32_e32 v19, v15, v19
	v_sub_f32_e32 v15, v15, v21
	v_add_f32_e32 v19, v14, v19
	v_add_f32_e32 v14, v14, v15
	;; [unrolled: 1-line block ×3, first 2 shown]
	v_rcp_f32_e32 v28, v25
	v_sub_f32_e32 v15, v20, v25
	v_add_f32_e32 v27, v14, v15
	v_add_f32_e32 v15, v18, v19
	v_mul_f32_e32 v34, v15, v28
	v_sub_f32_e32 v14, v18, v15
	v_mul_f32_e32 v18, v25, v34
	v_fma_f32 v20, v34, v25, -v18
	v_fmac_f32_e32 v20, v34, v27
	v_add_f32_e32 v33, v19, v14
	v_add_f32_e32 v14, v18, v20
	v_sub_f32_e32 v19, v15, v14
	v_pk_add_f32 v[22:23], v[14:15], v[18:19] neg_lo:[0,1] neg_hi:[0,1]
	v_mov_b32_e32 v21, v14
	v_pk_add_f32 v[14:15], v[22:23], v[20:21] neg_lo:[0,1] neg_hi:[0,1]
	v_cmp_neq_f32_e32 vcc, s37, v13
	v_add_f32_e32 v15, v33, v15
	v_add_f32_e32 v14, v14, v15
	;; [unrolled: 1-line block ×3, first 2 shown]
	v_mul_f32_e32 v33, v28, v15
	v_mul_f32_e32 v18, v25, v33
	v_fma_f32 v20, v33, v25, -v18
	v_fmac_f32_e32 v20, v33, v27
	v_sub_f32_e32 v19, v19, v15
	v_add_f32_e32 v25, v14, v19
	v_add_f32_e32 v14, v18, v20
	v_sub_f32_e32 v19, v15, v14
	v_pk_add_f32 v[22:23], v[14:15], v[18:19] neg_lo:[0,1] neg_hi:[0,1]
	v_mov_b32_e32 v21, v14
	v_pk_add_f32 v[14:15], v[22:23], v[20:21] neg_lo:[0,1] neg_hi:[0,1]
	v_cvt_f32_i32_e32 v18, v24
	v_add_f32_e32 v15, v25, v15
	v_add_f32_e32 v14, v14, v15
	;; [unrolled: 1-line block ×4, first 2 shown]
	v_sub_f32_e32 v15, v19, v34
	v_mul_f32_e32 v14, v28, v14
	v_sub_f32_e32 v15, v33, v15
	v_add_f32_e32 v14, v15, v14
	v_add_f32_e32 v20, v19, v14
	v_mul_f32_e32 v22, v20, v20
	v_mov_b32_e32 v15, 0x3ecc95a3
	v_sub_f32_e32 v19, v20, v19
	v_fmac_f32_e32 v15, 0x3e9b6dac, v22
	v_sub_f32_e32 v14, v14, v19
	v_fmaak_f32 v15, v22, v15, 0x3f2aaada
	v_ldexp_f32 v23, v14, 1
	v_mul_f32_e32 v19, v20, v22
	v_mov_b32_e32 v14, 0x3f317218
	v_pk_mul_f32 v[14:15], v[18:19], v[14:15]
	v_ldexp_f32 v21, v20, 1
	v_fma_f32 v19, v18, s33, -v14
	v_fmamk_f32 v20, v18, 0xb102e308, v19
	v_pk_add_f32 v[18:19], v[14:15], v[20:21]
	v_mov_b32_e32 v22, v14
	v_sub_f32_e32 v21, v19, v21
	v_sub_f32_e32 v21, v15, v21
	v_add_f32_e32 v23, v23, v21
	v_pk_add_f32 v[14:15], v[18:19], v[14:15] neg_lo:[0,1] neg_hi:[0,1]
	v_pk_add_f32 v[24:25], v[18:19], v[22:23]
	v_mov_b32_e32 v21, v18
	v_mov_b32_e32 v15, v25
	v_pk_add_f32 v[34:35], v[20:21], v[14:15] neg_lo:[0,1] neg_hi:[0,1]
	v_pk_add_f32 v[14:15], v[20:21], v[14:15]
	v_mov_b32_e32 v22, v23
	v_pk_add_f32 v[20:21], v[14:15], v[18:19] op_sel:[1,0] op_sel_hi:[0,1] neg_lo:[0,1] neg_hi:[0,1]
	v_pk_add_f32 v[36:37], v[24:25], v[20:21] op_sel_hi:[1,0] neg_lo:[0,1] neg_hi:[0,1]
	v_mov_b32_e32 v24, v25
	v_mov_b32_e32 v25, v15
	v_pk_mov_b32 v[20:21], v[18:19], v[20:21] op_sel:[1,0]
	v_mov_b32_e32 v23, v18
	v_pk_add_f32 v[20:21], v[24:25], v[20:21] neg_lo:[0,1] neg_hi:[0,1]
	v_mov_b32_e32 v36, v34
	v_pk_add_f32 v[18:19], v[22:23], v[20:21] neg_lo:[0,1] neg_hi:[0,1]
	v_mov_b32_e32 v35, v15
	v_pk_add_f32 v[20:21], v[36:37], v[18:19]
	s_mov_b32 s33, 0x33800000
	v_pk_add_f32 v[22:23], v[20:21], v[20:21] op_sel:[0,1] op_sel_hi:[1,0]
	s_nop 0
	v_pk_add_f32 v[14:15], v[14:15], v[22:23] op_sel:[1,0] op_sel_hi:[0,1]
	v_mov_b32_e32 v21, v14
	v_pk_add_f32 v[24:25], v[20:21], v[34:35] neg_lo:[0,1] neg_hi:[0,1]
	v_mov_b32_e32 v19, v22
	v_sub_f32_e32 v15, v20, v24
	v_pk_add_f32 v[18:19], v[18:19], v[24:25] neg_lo:[0,1] neg_hi:[0,1]
	v_sub_f32_e32 v15, v34, v15
	v_add_f32_e32 v15, v18, v15
	v_add_f32_e32 v15, v15, v19
	;; [unrolled: 1-line block ×3, first 2 shown]
	v_cndmask_b32_e32 v14, v17, v14, vcc
	v_cmp_lt_f32_e64 vcc, |v13|, s33
	s_nop 1
	v_cndmask_b32_e32 v13, v14, v13, vcc
	v_add_f32_e32 v13, v12, v13
.LBB474_32:
	s_or_b64 exec, exec, s[34:35]
	v_bfe_u32 v12, v13, 16, 1
	v_add3_u32 v12, v13, v12, s36
	v_and_b32_e32 v12, 0xffff0000, v12
	v_cmp_o_f32_e32 vcc, v13, v13
	v_and_b32_e32 v3, 0xffff0000, v3
	v_cmp_u_f32_e64 s[34:35], v3, v3
	v_cndmask_b32_e32 v13, v11, v12, vcc
	v_max_f32_e32 v11, v13, v13
	v_max_f32_e32 v12, v3, v3
	v_min_f32_e32 v14, v11, v12
	v_cmp_u_f32_e32 vcc, v13, v13
	v_max_f32_e32 v11, v11, v12
	s_movk_i32 s33, 0x1f8
	v_cndmask_b32_e32 v14, v14, v13, vcc
	v_cndmask_b32_e32 v11, v11, v13, vcc
	v_cndmask_b32_e64 v14, v14, v3, s[34:35]
	v_cndmask_b32_e64 v11, v11, v3, s[34:35]
	v_cmp_neq_f32_e32 vcc, v14, v11
	v_cmp_class_f32_e64 s[36:37], v14, s33
	s_or_b64 s[38:39], vcc, s[36:37]
	s_and_saveexec_b64 s[36:37], s[38:39]
	s_cbranch_execz .LBB474_34
; %bb.33:
	v_sub_f32_e32 v13, v14, v11
	s_mov_b32 s38, 0x3fb8aa3b
	v_mul_f32_e32 v14, 0x3fb8aa3b, v13
	v_fma_f32 v15, v13, s38, -v14
	v_rndne_f32_e32 v17, v14
	v_fmamk_f32 v15, v13, 0x32a5705f, v15
	v_sub_f32_e32 v14, v14, v17
	v_add_f32_e32 v14, v14, v15
	v_exp_f32_e32 v14, v14
	v_cvt_i32_f32_e32 v15, v17
	s_mov_b32 s38, 0xc2ce8ed0
	v_cmp_ngt_f32_e32 vcc, s38, v13
	s_mov_b32 s38, 0x42b17218
	v_ldexp_f32 v14, v14, v15
	v_cndmask_b32_e32 v14, 0, v14, vcc
	v_mov_b32_e32 v17, 0x7f800000
	v_cmp_nlt_f32_e32 vcc, s38, v13
	s_mov_b32 s38, 0x3f2aaaab
	s_mov_b32 s39, 0x7f800000
	v_cndmask_b32_e32 v13, v17, v14, vcc
	v_add_f32_e32 v18, 1.0, v13
	v_add_f32_e32 v14, -1.0, v18
	v_sub_f32_e32 v15, v14, v18
	v_add_f32_e32 v15, 1.0, v15
	v_sub_f32_e32 v14, v13, v14
	v_add_f32_e32 v19, v14, v15
	v_frexp_mant_f32_e32 v20, v18
	v_cvt_f64_f32_e32 v[14:15], v18
	v_frexp_exp_i32_f64_e32 v14, v[14:15]
	v_cmp_gt_f32_e32 vcc, s38, v20
	s_mov_b32 s38, 0x3f317218
	s_nop 0
	v_subbrev_co_u32_e32 v24, vcc, 0, v14, vcc
	v_sub_u32_e32 v14, 0, v24
	v_ldexp_f32 v15, v18, v14
	v_add_f32_e32 v18, -1.0, v15
	v_add_f32_e32 v20, 1.0, v15
	v_ldexp_f32 v14, v19, v14
	v_add_f32_e32 v19, 1.0, v18
	v_add_f32_e32 v21, -1.0, v20
	v_sub_f32_e32 v19, v15, v19
	v_sub_f32_e32 v15, v15, v21
	v_add_f32_e32 v19, v14, v19
	v_add_f32_e32 v14, v14, v15
	;; [unrolled: 1-line block ×3, first 2 shown]
	v_rcp_f32_e32 v28, v25
	v_sub_f32_e32 v15, v20, v25
	v_add_f32_e32 v27, v14, v15
	v_add_f32_e32 v15, v18, v19
	v_mul_f32_e32 v34, v15, v28
	v_sub_f32_e32 v14, v18, v15
	v_mul_f32_e32 v18, v25, v34
	v_fma_f32 v20, v34, v25, -v18
	v_fmac_f32_e32 v20, v34, v27
	v_add_f32_e32 v33, v19, v14
	v_add_f32_e32 v14, v18, v20
	v_sub_f32_e32 v19, v15, v14
	v_pk_add_f32 v[22:23], v[14:15], v[18:19] neg_lo:[0,1] neg_hi:[0,1]
	v_mov_b32_e32 v21, v14
	v_pk_add_f32 v[14:15], v[22:23], v[20:21] neg_lo:[0,1] neg_hi:[0,1]
	v_cmp_neq_f32_e32 vcc, s39, v13
	v_add_f32_e32 v15, v33, v15
	v_add_f32_e32 v14, v14, v15
	;; [unrolled: 1-line block ×3, first 2 shown]
	v_mul_f32_e32 v33, v28, v15
	v_mul_f32_e32 v18, v25, v33
	v_fma_f32 v20, v33, v25, -v18
	v_fmac_f32_e32 v20, v33, v27
	v_sub_f32_e32 v19, v19, v15
	v_add_f32_e32 v25, v14, v19
	v_add_f32_e32 v14, v18, v20
	v_sub_f32_e32 v19, v15, v14
	v_pk_add_f32 v[22:23], v[14:15], v[18:19] neg_lo:[0,1] neg_hi:[0,1]
	v_mov_b32_e32 v21, v14
	v_pk_add_f32 v[14:15], v[22:23], v[20:21] neg_lo:[0,1] neg_hi:[0,1]
	v_cvt_f32_i32_e32 v18, v24
	v_add_f32_e32 v15, v25, v15
	v_add_f32_e32 v14, v14, v15
	v_add_f32_e32 v14, v19, v14
	v_add_f32_e32 v19, v34, v33
	v_sub_f32_e32 v15, v19, v34
	v_mul_f32_e32 v14, v28, v14
	v_sub_f32_e32 v15, v33, v15
	v_add_f32_e32 v14, v15, v14
	v_add_f32_e32 v20, v19, v14
	v_mul_f32_e32 v22, v20, v20
	v_mov_b32_e32 v15, 0x3ecc95a3
	v_sub_f32_e32 v19, v20, v19
	v_fmac_f32_e32 v15, 0x3e9b6dac, v22
	v_sub_f32_e32 v14, v14, v19
	v_fmaak_f32 v15, v22, v15, 0x3f2aaada
	v_ldexp_f32 v23, v14, 1
	v_mul_f32_e32 v19, v20, v22
	v_mov_b32_e32 v14, 0x3f317218
	v_pk_mul_f32 v[14:15], v[18:19], v[14:15]
	v_ldexp_f32 v21, v20, 1
	v_fma_f32 v19, v18, s38, -v14
	v_fmamk_f32 v20, v18, 0xb102e308, v19
	v_pk_add_f32 v[18:19], v[14:15], v[20:21]
	v_mov_b32_e32 v22, v14
	v_sub_f32_e32 v21, v19, v21
	v_sub_f32_e32 v21, v15, v21
	v_add_f32_e32 v23, v23, v21
	v_pk_add_f32 v[14:15], v[18:19], v[14:15] neg_lo:[0,1] neg_hi:[0,1]
	v_pk_add_f32 v[24:25], v[18:19], v[22:23]
	v_mov_b32_e32 v21, v18
	v_mov_b32_e32 v15, v25
	v_pk_add_f32 v[34:35], v[20:21], v[14:15] neg_lo:[0,1] neg_hi:[0,1]
	v_pk_add_f32 v[14:15], v[20:21], v[14:15]
	v_mov_b32_e32 v22, v23
	v_pk_add_f32 v[20:21], v[14:15], v[18:19] op_sel:[1,0] op_sel_hi:[0,1] neg_lo:[0,1] neg_hi:[0,1]
	v_pk_add_f32 v[36:37], v[24:25], v[20:21] op_sel_hi:[1,0] neg_lo:[0,1] neg_hi:[0,1]
	v_mov_b32_e32 v24, v25
	v_mov_b32_e32 v25, v15
	v_pk_mov_b32 v[20:21], v[18:19], v[20:21] op_sel:[1,0]
	v_mov_b32_e32 v23, v18
	v_pk_add_f32 v[20:21], v[24:25], v[20:21] neg_lo:[0,1] neg_hi:[0,1]
	v_mov_b32_e32 v36, v34
	v_pk_add_f32 v[18:19], v[22:23], v[20:21] neg_lo:[0,1] neg_hi:[0,1]
	v_mov_b32_e32 v35, v15
	v_pk_add_f32 v[20:21], v[36:37], v[18:19]
	s_mov_b32 s38, 0x33800000
	v_pk_add_f32 v[22:23], v[20:21], v[20:21] op_sel:[0,1] op_sel_hi:[1,0]
	s_nop 0
	v_pk_add_f32 v[14:15], v[14:15], v[22:23] op_sel:[1,0] op_sel_hi:[0,1]
	v_mov_b32_e32 v21, v14
	v_pk_add_f32 v[24:25], v[20:21], v[34:35] neg_lo:[0,1] neg_hi:[0,1]
	v_mov_b32_e32 v19, v22
	v_sub_f32_e32 v15, v20, v24
	v_pk_add_f32 v[18:19], v[18:19], v[24:25] neg_lo:[0,1] neg_hi:[0,1]
	v_sub_f32_e32 v15, v34, v15
	v_add_f32_e32 v15, v18, v15
	v_add_f32_e32 v15, v15, v19
	;; [unrolled: 1-line block ×3, first 2 shown]
	v_cndmask_b32_e32 v14, v17, v14, vcc
	v_cmp_lt_f32_e64 vcc, |v13|, s38
	s_nop 1
	v_cndmask_b32_e32 v13, v14, v13, vcc
	v_add_f32_e32 v13, v11, v13
.LBB474_34:
	s_or_b64 exec, exec, s[36:37]
	v_bfe_u32 v11, v13, 16, 1
	s_movk_i32 s40, 0x7fff
	v_add3_u32 v11, v13, v11, s40
	v_and_b32_e32 v11, 0xffff0000, v11
	v_mov_b32_e32 v14, 0x7fc00000
	v_cmp_o_f32_e32 vcc, v13, v13
	s_nop 1
	v_cndmask_b32_e32 v17, v14, v11, vcc
	v_lshlrev_b32_e32 v11, 16, v6
	v_max_f32_e32 v15, v17, v17
	v_max_f32_e32 v13, v11, v11
	v_min_f32_e32 v18, v15, v13
	v_cmp_u_f32_e32 vcc, v17, v17
	v_max_f32_e32 v15, v15, v13
	v_cmp_u_f32_e64 s[36:37], v11, v11
	v_cndmask_b32_e32 v18, v18, v17, vcc
	v_cndmask_b32_e32 v15, v15, v17, vcc
	v_cndmask_b32_e64 v18, v18, v11, s[36:37]
	v_cndmask_b32_e64 v15, v15, v11, s[36:37]
	v_cmp_neq_f32_e32 vcc, v18, v15
	v_cmp_class_f32_e64 s[38:39], v18, s33
	s_or_b64 s[42:43], vcc, s[38:39]
	s_and_saveexec_b64 s[38:39], s[42:43]
	s_cbranch_execz .LBB474_36
; %bb.35:
	v_sub_f32_e32 v17, v18, v15
	s_mov_b32 s33, 0x3fb8aa3b
	v_mul_f32_e32 v18, 0x3fb8aa3b, v17
	v_fma_f32 v19, v17, s33, -v18
	v_rndne_f32_e32 v20, v18
	v_fmamk_f32 v19, v17, 0x32a5705f, v19
	v_sub_f32_e32 v18, v18, v20
	v_add_f32_e32 v18, v18, v19
	v_exp_f32_e32 v18, v18
	v_cvt_i32_f32_e32 v19, v20
	s_mov_b32 s33, 0xc2ce8ed0
	v_cmp_ngt_f32_e32 vcc, s33, v17
	s_mov_b32 s33, 0x42b17218
	v_ldexp_f32 v18, v18, v19
	v_cndmask_b32_e32 v18, 0, v18, vcc
	v_mov_b32_e32 v27, 0x7f800000
	v_cmp_nlt_f32_e32 vcc, s33, v17
	s_mov_b32 s33, 0x3f2aaaab
	s_mov_b32 s41, 0x7f800000
	v_cndmask_b32_e32 v17, v27, v18, vcc
	v_add_f32_e32 v20, 1.0, v17
	v_add_f32_e32 v18, -1.0, v20
	v_sub_f32_e32 v19, v18, v20
	v_add_f32_e32 v19, 1.0, v19
	v_sub_f32_e32 v18, v17, v18
	v_add_f32_e32 v21, v18, v19
	v_frexp_mant_f32_e32 v22, v20
	v_cvt_f64_f32_e32 v[18:19], v20
	v_frexp_exp_i32_f64_e32 v18, v[18:19]
	v_cmp_gt_f32_e32 vcc, s33, v22
	s_mov_b32 s33, 0x3f317218
	s_nop 0
	v_subbrev_co_u32_e32 v28, vcc, 0, v18, vcc
	v_sub_u32_e32 v18, 0, v28
	v_ldexp_f32 v19, v20, v18
	v_add_f32_e32 v20, -1.0, v19
	v_add_f32_e32 v22, 1.0, v19
	v_ldexp_f32 v18, v21, v18
	v_add_f32_e32 v21, 1.0, v20
	v_add_f32_e32 v23, -1.0, v22
	v_sub_f32_e32 v21, v19, v21
	v_sub_f32_e32 v19, v19, v23
	v_add_f32_e32 v21, v18, v21
	v_add_f32_e32 v18, v18, v19
	;; [unrolled: 1-line block ×3, first 2 shown]
	v_rcp_f32_e32 v35, v33
	v_sub_f32_e32 v19, v22, v33
	v_add_f32_e32 v34, v18, v19
	v_add_f32_e32 v19, v20, v21
	v_mul_f32_e32 v37, v19, v35
	v_sub_f32_e32 v18, v20, v19
	v_mul_f32_e32 v20, v33, v37
	v_fma_f32 v22, v37, v33, -v20
	v_fmac_f32_e32 v22, v37, v34
	v_add_f32_e32 v36, v21, v18
	v_add_f32_e32 v18, v20, v22
	v_sub_f32_e32 v21, v19, v18
	v_pk_add_f32 v[24:25], v[18:19], v[20:21] neg_lo:[0,1] neg_hi:[0,1]
	v_mov_b32_e32 v23, v18
	v_pk_add_f32 v[18:19], v[24:25], v[22:23] neg_lo:[0,1] neg_hi:[0,1]
	v_cmp_neq_f32_e32 vcc, s41, v17
	v_add_f32_e32 v19, v36, v19
	v_add_f32_e32 v18, v18, v19
	;; [unrolled: 1-line block ×3, first 2 shown]
	v_mul_f32_e32 v36, v35, v19
	v_mul_f32_e32 v20, v33, v36
	v_fma_f32 v22, v36, v33, -v20
	v_fmac_f32_e32 v22, v36, v34
	v_sub_f32_e32 v21, v21, v19
	v_add_f32_e32 v33, v18, v21
	v_add_f32_e32 v18, v20, v22
	v_sub_f32_e32 v21, v19, v18
	v_pk_add_f32 v[24:25], v[18:19], v[20:21] neg_lo:[0,1] neg_hi:[0,1]
	v_mov_b32_e32 v23, v18
	v_pk_add_f32 v[18:19], v[24:25], v[22:23] neg_lo:[0,1] neg_hi:[0,1]
	v_cvt_f32_i32_e32 v20, v28
	v_add_f32_e32 v19, v33, v19
	v_add_f32_e32 v18, v18, v19
	;; [unrolled: 1-line block ×4, first 2 shown]
	v_sub_f32_e32 v19, v21, v37
	v_mul_f32_e32 v18, v35, v18
	v_sub_f32_e32 v19, v36, v19
	v_add_f32_e32 v18, v19, v18
	v_add_f32_e32 v22, v21, v18
	v_mul_f32_e32 v24, v22, v22
	v_mov_b32_e32 v19, 0x3ecc95a3
	v_sub_f32_e32 v21, v22, v21
	v_fmac_f32_e32 v19, 0x3e9b6dac, v24
	v_sub_f32_e32 v18, v18, v21
	v_fmaak_f32 v19, v24, v19, 0x3f2aaada
	v_ldexp_f32 v25, v18, 1
	v_mul_f32_e32 v21, v22, v24
	v_mov_b32_e32 v18, 0x3f317218
	v_pk_mul_f32 v[18:19], v[20:21], v[18:19]
	v_ldexp_f32 v23, v22, 1
	v_fma_f32 v21, v20, s33, -v18
	v_fmamk_f32 v22, v20, 0xb102e308, v21
	v_pk_add_f32 v[20:21], v[18:19], v[22:23]
	v_mov_b32_e32 v24, v18
	v_sub_f32_e32 v23, v21, v23
	v_sub_f32_e32 v23, v19, v23
	v_add_f32_e32 v25, v25, v23
	v_pk_add_f32 v[18:19], v[20:21], v[18:19] neg_lo:[0,1] neg_hi:[0,1]
	v_pk_add_f32 v[34:35], v[20:21], v[24:25]
	v_mov_b32_e32 v23, v20
	v_mov_b32_e32 v19, v35
	v_pk_add_f32 v[36:37], v[22:23], v[18:19] neg_lo:[0,1] neg_hi:[0,1]
	v_pk_add_f32 v[18:19], v[22:23], v[18:19]
	v_mov_b32_e32 v24, v25
	v_pk_add_f32 v[22:23], v[18:19], v[20:21] op_sel:[1,0] op_sel_hi:[0,1] neg_lo:[0,1] neg_hi:[0,1]
	v_pk_add_f32 v[38:39], v[34:35], v[22:23] op_sel_hi:[1,0] neg_lo:[0,1] neg_hi:[0,1]
	v_mov_b32_e32 v34, v35
	v_mov_b32_e32 v35, v19
	v_pk_mov_b32 v[22:23], v[20:21], v[22:23] op_sel:[1,0]
	v_mov_b32_e32 v25, v20
	v_pk_add_f32 v[22:23], v[34:35], v[22:23] neg_lo:[0,1] neg_hi:[0,1]
	v_mov_b32_e32 v38, v36
	v_pk_add_f32 v[20:21], v[24:25], v[22:23] neg_lo:[0,1] neg_hi:[0,1]
	v_mov_b32_e32 v37, v19
	v_pk_add_f32 v[22:23], v[38:39], v[20:21]
	s_mov_b32 s33, 0x33800000
	v_pk_add_f32 v[24:25], v[22:23], v[22:23] op_sel:[0,1] op_sel_hi:[1,0]
	s_nop 0
	v_pk_add_f32 v[18:19], v[18:19], v[24:25] op_sel:[1,0] op_sel_hi:[0,1]
	v_mov_b32_e32 v23, v18
	v_pk_add_f32 v[34:35], v[22:23], v[36:37] neg_lo:[0,1] neg_hi:[0,1]
	v_mov_b32_e32 v21, v24
	v_sub_f32_e32 v19, v22, v34
	v_pk_add_f32 v[20:21], v[20:21], v[34:35] neg_lo:[0,1] neg_hi:[0,1]
	v_sub_f32_e32 v19, v36, v19
	v_add_f32_e32 v19, v20, v19
	v_add_f32_e32 v19, v19, v21
	;; [unrolled: 1-line block ×3, first 2 shown]
	v_cndmask_b32_e32 v18, v27, v18, vcc
	v_cmp_lt_f32_e64 vcc, |v17|, s33
	s_nop 1
	v_cndmask_b32_e32 v17, v18, v17, vcc
	v_add_f32_e32 v17, v15, v17
.LBB474_36:
	s_or_b64 exec, exec, s[38:39]
	v_bfe_u32 v15, v17, 16, 1
	v_add3_u32 v15, v17, v15, s40
	v_and_b32_e32 v15, 0xffff0000, v15
	v_cmp_o_f32_e32 vcc, v17, v17
	v_and_b32_e32 v6, 0xffff0000, v6
	v_cmp_u_f32_e64 s[38:39], v6, v6
	v_cndmask_b32_e32 v17, v14, v15, vcc
	v_max_f32_e32 v14, v17, v17
	v_max_f32_e32 v15, v6, v6
	v_min_f32_e32 v18, v14, v15
	v_cmp_u_f32_e32 vcc, v17, v17
	v_max_f32_e32 v14, v14, v15
	s_movk_i32 s33, 0x1f8
	v_cndmask_b32_e32 v18, v18, v17, vcc
	v_cndmask_b32_e32 v14, v14, v17, vcc
	v_cndmask_b32_e64 v18, v18, v6, s[38:39]
	v_cndmask_b32_e64 v14, v14, v6, s[38:39]
	v_cmp_neq_f32_e32 vcc, v18, v14
	v_cmp_class_f32_e64 s[40:41], v18, s33
	s_or_b64 s[42:43], vcc, s[40:41]
	s_and_saveexec_b64 s[40:41], s[42:43]
	s_cbranch_execz .LBB474_38
; %bb.37:
	v_sub_f32_e32 v17, v18, v14
	s_mov_b32 s42, 0x3fb8aa3b
	v_mul_f32_e32 v18, 0x3fb8aa3b, v17
	v_fma_f32 v19, v17, s42, -v18
	v_rndne_f32_e32 v20, v18
	v_fmamk_f32 v19, v17, 0x32a5705f, v19
	v_sub_f32_e32 v18, v18, v20
	v_add_f32_e32 v18, v18, v19
	v_exp_f32_e32 v18, v18
	v_cvt_i32_f32_e32 v19, v20
	s_mov_b32 s42, 0xc2ce8ed0
	v_cmp_ngt_f32_e32 vcc, s42, v17
	s_mov_b32 s42, 0x42b17218
	v_ldexp_f32 v18, v18, v19
	v_cndmask_b32_e32 v18, 0, v18, vcc
	v_mov_b32_e32 v27, 0x7f800000
	v_cmp_nlt_f32_e32 vcc, s42, v17
	s_mov_b32 s42, 0x3f2aaaab
	s_mov_b32 s43, 0x7f800000
	v_cndmask_b32_e32 v17, v27, v18, vcc
	v_add_f32_e32 v20, 1.0, v17
	v_add_f32_e32 v18, -1.0, v20
	v_sub_f32_e32 v19, v18, v20
	v_add_f32_e32 v19, 1.0, v19
	v_sub_f32_e32 v18, v17, v18
	v_add_f32_e32 v21, v18, v19
	v_frexp_mant_f32_e32 v22, v20
	v_cvt_f64_f32_e32 v[18:19], v20
	v_frexp_exp_i32_f64_e32 v18, v[18:19]
	v_cmp_gt_f32_e32 vcc, s42, v22
	s_mov_b32 s42, 0x3f317218
	s_nop 0
	v_subbrev_co_u32_e32 v28, vcc, 0, v18, vcc
	v_sub_u32_e32 v18, 0, v28
	v_ldexp_f32 v19, v20, v18
	v_add_f32_e32 v20, -1.0, v19
	v_add_f32_e32 v22, 1.0, v19
	v_ldexp_f32 v18, v21, v18
	v_add_f32_e32 v21, 1.0, v20
	v_add_f32_e32 v23, -1.0, v22
	v_sub_f32_e32 v21, v19, v21
	v_sub_f32_e32 v19, v19, v23
	v_add_f32_e32 v21, v18, v21
	v_add_f32_e32 v18, v18, v19
	;; [unrolled: 1-line block ×3, first 2 shown]
	v_rcp_f32_e32 v35, v33
	v_sub_f32_e32 v19, v22, v33
	v_add_f32_e32 v34, v18, v19
	v_add_f32_e32 v19, v20, v21
	v_mul_f32_e32 v37, v19, v35
	v_sub_f32_e32 v18, v20, v19
	v_mul_f32_e32 v20, v33, v37
	v_fma_f32 v22, v37, v33, -v20
	v_fmac_f32_e32 v22, v37, v34
	v_add_f32_e32 v36, v21, v18
	v_add_f32_e32 v18, v20, v22
	v_sub_f32_e32 v21, v19, v18
	v_pk_add_f32 v[24:25], v[18:19], v[20:21] neg_lo:[0,1] neg_hi:[0,1]
	v_mov_b32_e32 v23, v18
	v_pk_add_f32 v[18:19], v[24:25], v[22:23] neg_lo:[0,1] neg_hi:[0,1]
	v_cmp_neq_f32_e32 vcc, s43, v17
	v_add_f32_e32 v19, v36, v19
	v_add_f32_e32 v18, v18, v19
	;; [unrolled: 1-line block ×3, first 2 shown]
	v_mul_f32_e32 v36, v35, v19
	v_mul_f32_e32 v20, v33, v36
	v_fma_f32 v22, v36, v33, -v20
	v_fmac_f32_e32 v22, v36, v34
	v_sub_f32_e32 v21, v21, v19
	v_add_f32_e32 v33, v18, v21
	v_add_f32_e32 v18, v20, v22
	v_sub_f32_e32 v21, v19, v18
	v_pk_add_f32 v[24:25], v[18:19], v[20:21] neg_lo:[0,1] neg_hi:[0,1]
	v_mov_b32_e32 v23, v18
	v_pk_add_f32 v[18:19], v[24:25], v[22:23] neg_lo:[0,1] neg_hi:[0,1]
	v_cvt_f32_i32_e32 v20, v28
	v_add_f32_e32 v19, v33, v19
	v_add_f32_e32 v18, v18, v19
	;; [unrolled: 1-line block ×4, first 2 shown]
	v_sub_f32_e32 v19, v21, v37
	v_mul_f32_e32 v18, v35, v18
	v_sub_f32_e32 v19, v36, v19
	v_add_f32_e32 v18, v19, v18
	v_add_f32_e32 v22, v21, v18
	v_mul_f32_e32 v24, v22, v22
	v_mov_b32_e32 v19, 0x3ecc95a3
	v_sub_f32_e32 v21, v22, v21
	v_fmac_f32_e32 v19, 0x3e9b6dac, v24
	v_sub_f32_e32 v18, v18, v21
	v_fmaak_f32 v19, v24, v19, 0x3f2aaada
	v_ldexp_f32 v25, v18, 1
	v_mul_f32_e32 v21, v22, v24
	v_mov_b32_e32 v18, 0x3f317218
	v_pk_mul_f32 v[18:19], v[20:21], v[18:19]
	v_ldexp_f32 v23, v22, 1
	v_fma_f32 v21, v20, s42, -v18
	v_fmamk_f32 v22, v20, 0xb102e308, v21
	v_pk_add_f32 v[20:21], v[18:19], v[22:23]
	v_mov_b32_e32 v24, v18
	v_sub_f32_e32 v23, v21, v23
	v_sub_f32_e32 v23, v19, v23
	v_add_f32_e32 v25, v25, v23
	v_pk_add_f32 v[18:19], v[20:21], v[18:19] neg_lo:[0,1] neg_hi:[0,1]
	v_pk_add_f32 v[34:35], v[20:21], v[24:25]
	v_mov_b32_e32 v23, v20
	v_mov_b32_e32 v19, v35
	v_pk_add_f32 v[36:37], v[22:23], v[18:19] neg_lo:[0,1] neg_hi:[0,1]
	v_pk_add_f32 v[18:19], v[22:23], v[18:19]
	v_mov_b32_e32 v24, v25
	v_pk_add_f32 v[22:23], v[18:19], v[20:21] op_sel:[1,0] op_sel_hi:[0,1] neg_lo:[0,1] neg_hi:[0,1]
	v_pk_add_f32 v[38:39], v[34:35], v[22:23] op_sel_hi:[1,0] neg_lo:[0,1] neg_hi:[0,1]
	v_mov_b32_e32 v34, v35
	v_mov_b32_e32 v35, v19
	v_pk_mov_b32 v[22:23], v[20:21], v[22:23] op_sel:[1,0]
	v_mov_b32_e32 v25, v20
	v_pk_add_f32 v[22:23], v[34:35], v[22:23] neg_lo:[0,1] neg_hi:[0,1]
	v_mov_b32_e32 v38, v36
	v_pk_add_f32 v[20:21], v[24:25], v[22:23] neg_lo:[0,1] neg_hi:[0,1]
	v_mov_b32_e32 v37, v19
	v_pk_add_f32 v[22:23], v[38:39], v[20:21]
	s_mov_b32 s42, 0x33800000
	v_pk_add_f32 v[24:25], v[22:23], v[22:23] op_sel:[0,1] op_sel_hi:[1,0]
	s_nop 0
	v_pk_add_f32 v[18:19], v[18:19], v[24:25] op_sel:[1,0] op_sel_hi:[0,1]
	v_mov_b32_e32 v23, v18
	v_pk_add_f32 v[34:35], v[22:23], v[36:37] neg_lo:[0,1] neg_hi:[0,1]
	v_mov_b32_e32 v21, v24
	v_sub_f32_e32 v19, v22, v34
	v_pk_add_f32 v[20:21], v[20:21], v[34:35] neg_lo:[0,1] neg_hi:[0,1]
	v_sub_f32_e32 v19, v36, v19
	v_add_f32_e32 v19, v20, v19
	v_add_f32_e32 v19, v19, v21
	v_add_f32_e32 v18, v18, v19
	v_cndmask_b32_e32 v18, v27, v18, vcc
	v_cmp_lt_f32_e64 vcc, |v17|, s42
	s_nop 1
	v_cndmask_b32_e32 v17, v18, v17, vcc
	v_add_f32_e32 v17, v14, v17
.LBB474_38:
	s_or_b64 exec, exec, s[40:41]
	v_bfe_u32 v14, v17, 16, 1
	s_movk_i32 s44, 0x7fff
	v_add3_u32 v14, v17, v14, s44
	v_and_b32_e32 v14, 0xffff0000, v14
	v_mov_b32_e32 v18, 0x7fc00000
	v_cmp_o_f32_e32 vcc, v17, v17
	s_nop 1
	v_cndmask_b32_e32 v20, v18, v14, vcc
	v_lshlrev_b32_e32 v14, 16, v7
	v_max_f32_e32 v19, v20, v20
	v_max_f32_e32 v17, v14, v14
	v_min_f32_e32 v21, v19, v17
	v_cmp_u_f32_e32 vcc, v20, v20
	v_max_f32_e32 v19, v19, v17
	v_cmp_u_f32_e64 s[40:41], v14, v14
	v_cndmask_b32_e32 v21, v21, v20, vcc
	v_cndmask_b32_e32 v19, v19, v20, vcc
	v_cndmask_b32_e64 v21, v21, v14, s[40:41]
	v_cndmask_b32_e64 v19, v19, v14, s[40:41]
	v_cmp_neq_f32_e32 vcc, v21, v19
	v_cmp_class_f32_e64 s[42:43], v21, s33
	s_or_b64 s[46:47], vcc, s[42:43]
	s_and_saveexec_b64 s[42:43], s[46:47]
	s_cbranch_execz .LBB474_40
; %bb.39:
	v_sub_f32_e32 v20, v21, v19
	s_mov_b32 s33, 0x3fb8aa3b
	v_mul_f32_e32 v21, 0x3fb8aa3b, v20
	v_fma_f32 v22, v20, s33, -v21
	v_rndne_f32_e32 v23, v21
	v_fmamk_f32 v22, v20, 0x32a5705f, v22
	v_sub_f32_e32 v21, v21, v23
	v_add_f32_e32 v21, v21, v22
	v_exp_f32_e32 v21, v21
	v_cvt_i32_f32_e32 v22, v23
	s_mov_b32 s33, 0xc2ce8ed0
	v_cmp_ngt_f32_e32 vcc, s33, v20
	s_mov_b32 s33, 0x42b17218
	v_ldexp_f32 v21, v21, v22
	v_cndmask_b32_e32 v21, 0, v21, vcc
	v_mov_b32_e32 v27, 0x7f800000
	v_cmp_nlt_f32_e32 vcc, s33, v20
	s_mov_b32 s33, 0x3f2aaaab
	s_mov_b32 s45, 0x7f800000
	v_cndmask_b32_e32 v28, v27, v21, vcc
	v_add_f32_e32 v22, 1.0, v28
	v_add_f32_e32 v20, -1.0, v22
	v_sub_f32_e32 v21, v20, v22
	v_add_f32_e32 v21, 1.0, v21
	v_sub_f32_e32 v20, v28, v20
	v_add_f32_e32 v23, v20, v21
	v_frexp_mant_f32_e32 v24, v22
	v_cvt_f64_f32_e32 v[20:21], v22
	v_frexp_exp_i32_f64_e32 v20, v[20:21]
	v_cmp_gt_f32_e32 vcc, s33, v24
	s_mov_b32 s33, 0x3f317218
	s_nop 0
	v_subbrev_co_u32_e32 v33, vcc, 0, v20, vcc
	v_sub_u32_e32 v20, 0, v33
	v_ldexp_f32 v21, v22, v20
	v_add_f32_e32 v22, -1.0, v21
	v_add_f32_e32 v24, 1.0, v21
	v_ldexp_f32 v20, v23, v20
	v_add_f32_e32 v23, 1.0, v22
	v_add_f32_e32 v25, -1.0, v24
	v_sub_f32_e32 v23, v21, v23
	v_sub_f32_e32 v21, v21, v25
	v_add_f32_e32 v23, v20, v23
	v_add_f32_e32 v20, v20, v21
	;; [unrolled: 1-line block ×3, first 2 shown]
	v_rcp_f32_e32 v38, v36
	v_sub_f32_e32 v21, v24, v36
	v_add_f32_e32 v37, v20, v21
	v_add_f32_e32 v21, v22, v23
	v_mul_f32_e32 v40, v21, v38
	v_sub_f32_e32 v20, v22, v21
	v_mul_f32_e32 v22, v36, v40
	v_fma_f32 v24, v40, v36, -v22
	v_fmac_f32_e32 v24, v40, v37
	v_add_f32_e32 v39, v23, v20
	v_add_f32_e32 v20, v22, v24
	v_sub_f32_e32 v23, v21, v20
	v_pk_add_f32 v[34:35], v[20:21], v[22:23] neg_lo:[0,1] neg_hi:[0,1]
	v_mov_b32_e32 v25, v20
	v_pk_add_f32 v[20:21], v[34:35], v[24:25] neg_lo:[0,1] neg_hi:[0,1]
	v_cmp_neq_f32_e32 vcc, s45, v28
	v_add_f32_e32 v21, v39, v21
	v_add_f32_e32 v20, v20, v21
	;; [unrolled: 1-line block ×3, first 2 shown]
	v_mul_f32_e32 v39, v38, v21
	v_mul_f32_e32 v22, v36, v39
	v_fma_f32 v24, v39, v36, -v22
	v_fmac_f32_e32 v24, v39, v37
	v_sub_f32_e32 v23, v23, v21
	v_add_f32_e32 v36, v20, v23
	v_add_f32_e32 v20, v22, v24
	v_sub_f32_e32 v23, v21, v20
	v_pk_add_f32 v[34:35], v[20:21], v[22:23] neg_lo:[0,1] neg_hi:[0,1]
	v_mov_b32_e32 v25, v20
	v_pk_add_f32 v[20:21], v[34:35], v[24:25] neg_lo:[0,1] neg_hi:[0,1]
	v_cvt_f32_i32_e32 v22, v33
	v_add_f32_e32 v21, v36, v21
	v_add_f32_e32 v20, v20, v21
	;; [unrolled: 1-line block ×4, first 2 shown]
	v_sub_f32_e32 v21, v23, v40
	v_mul_f32_e32 v20, v38, v20
	v_sub_f32_e32 v21, v39, v21
	v_add_f32_e32 v20, v21, v20
	v_add_f32_e32 v24, v23, v20
	v_mul_f32_e32 v34, v24, v24
	v_mov_b32_e32 v21, 0x3ecc95a3
	v_sub_f32_e32 v23, v24, v23
	v_fmac_f32_e32 v21, 0x3e9b6dac, v34
	v_sub_f32_e32 v20, v20, v23
	v_fmaak_f32 v21, v34, v21, 0x3f2aaada
	v_ldexp_f32 v33, v20, 1
	v_mul_f32_e32 v23, v24, v34
	v_mov_b32_e32 v20, 0x3f317218
	v_pk_mul_f32 v[20:21], v[22:23], v[20:21]
	v_ldexp_f32 v25, v24, 1
	v_fma_f32 v23, v22, s33, -v20
	v_fmamk_f32 v24, v22, 0xb102e308, v23
	v_pk_add_f32 v[22:23], v[20:21], v[24:25]
	v_mov_b32_e32 v34, v20
	v_sub_f32_e32 v25, v23, v25
	v_sub_f32_e32 v25, v21, v25
	v_add_f32_e32 v35, v33, v25
	v_pk_add_f32 v[20:21], v[22:23], v[20:21] neg_lo:[0,1] neg_hi:[0,1]
	v_pk_add_f32 v[36:37], v[22:23], v[34:35]
	v_mov_b32_e32 v25, v22
	v_mov_b32_e32 v21, v37
	v_pk_add_f32 v[38:39], v[24:25], v[20:21] neg_lo:[0,1] neg_hi:[0,1]
	v_pk_add_f32 v[20:21], v[24:25], v[20:21]
	v_mov_b32_e32 v34, v35
	v_pk_add_f32 v[24:25], v[20:21], v[22:23] op_sel:[1,0] op_sel_hi:[0,1] neg_lo:[0,1] neg_hi:[0,1]
	v_pk_add_f32 v[40:41], v[36:37], v[24:25] op_sel_hi:[1,0] neg_lo:[0,1] neg_hi:[0,1]
	v_mov_b32_e32 v36, v37
	v_mov_b32_e32 v37, v21
	v_pk_mov_b32 v[24:25], v[22:23], v[24:25] op_sel:[1,0]
	v_mov_b32_e32 v35, v22
	v_pk_add_f32 v[24:25], v[36:37], v[24:25] neg_lo:[0,1] neg_hi:[0,1]
	v_mov_b32_e32 v40, v38
	v_pk_add_f32 v[22:23], v[34:35], v[24:25] neg_lo:[0,1] neg_hi:[0,1]
	v_mov_b32_e32 v39, v21
	v_pk_add_f32 v[24:25], v[40:41], v[22:23]
	s_mov_b32 s33, 0x33800000
	v_pk_add_f32 v[34:35], v[24:25], v[24:25] op_sel:[0,1] op_sel_hi:[1,0]
	s_nop 0
	v_pk_add_f32 v[20:21], v[20:21], v[34:35] op_sel:[1,0] op_sel_hi:[0,1]
	v_mov_b32_e32 v25, v20
	v_pk_add_f32 v[36:37], v[24:25], v[38:39] neg_lo:[0,1] neg_hi:[0,1]
	v_mov_b32_e32 v23, v34
	v_sub_f32_e32 v21, v24, v36
	v_pk_add_f32 v[22:23], v[22:23], v[36:37] neg_lo:[0,1] neg_hi:[0,1]
	v_sub_f32_e32 v21, v38, v21
	v_add_f32_e32 v21, v22, v21
	v_add_f32_e32 v21, v21, v23
	;; [unrolled: 1-line block ×3, first 2 shown]
	v_cndmask_b32_e32 v20, v27, v20, vcc
	v_cmp_lt_f32_e64 vcc, |v28|, s33
	s_nop 1
	v_cndmask_b32_e32 v20, v20, v28, vcc
	v_add_f32_e32 v20, v19, v20
.LBB474_40:
	s_or_b64 exec, exec, s[42:43]
	v_bfe_u32 v19, v20, 16, 1
	v_add3_u32 v19, v20, v19, s44
	v_and_b32_e32 v19, 0xffff0000, v19
	v_cmp_o_f32_e32 vcc, v20, v20
	v_and_b32_e32 v7, 0xffff0000, v7
	v_cmp_u_f32_e64 s[42:43], v7, v7
	v_cndmask_b32_e32 v20, v18, v19, vcc
	v_max_f32_e32 v18, v20, v20
	v_max_f32_e32 v19, v7, v7
	v_min_f32_e32 v21, v18, v19
	v_cmp_u_f32_e32 vcc, v20, v20
	v_max_f32_e32 v18, v18, v19
	s_movk_i32 s33, 0x1f8
	v_cndmask_b32_e32 v21, v21, v20, vcc
	v_cndmask_b32_e32 v18, v18, v20, vcc
	v_cndmask_b32_e64 v21, v21, v7, s[42:43]
	v_cndmask_b32_e64 v18, v18, v7, s[42:43]
	v_cmp_neq_f32_e32 vcc, v21, v18
	v_cmp_class_f32_e64 s[44:45], v21, s33
	s_or_b64 s[46:47], vcc, s[44:45]
	s_and_saveexec_b64 s[44:45], s[46:47]
	s_cbranch_execz .LBB474_42
; %bb.41:
	v_sub_f32_e32 v20, v21, v18
	s_mov_b32 s46, 0x3fb8aa3b
	v_mul_f32_e32 v21, 0x3fb8aa3b, v20
	v_fma_f32 v22, v20, s46, -v21
	v_rndne_f32_e32 v23, v21
	v_fmamk_f32 v22, v20, 0x32a5705f, v22
	v_sub_f32_e32 v21, v21, v23
	v_add_f32_e32 v21, v21, v22
	v_exp_f32_e32 v21, v21
	v_cvt_i32_f32_e32 v22, v23
	s_mov_b32 s46, 0xc2ce8ed0
	v_cmp_ngt_f32_e32 vcc, s46, v20
	s_mov_b32 s46, 0x42b17218
	v_ldexp_f32 v21, v21, v22
	v_cndmask_b32_e32 v21, 0, v21, vcc
	v_mov_b32_e32 v27, 0x7f800000
	v_cmp_nlt_f32_e32 vcc, s46, v20
	s_mov_b32 s46, 0x3f2aaaab
	s_mov_b32 s47, 0x7f800000
	v_cndmask_b32_e32 v28, v27, v21, vcc
	v_add_f32_e32 v22, 1.0, v28
	v_add_f32_e32 v20, -1.0, v22
	v_sub_f32_e32 v21, v20, v22
	v_add_f32_e32 v21, 1.0, v21
	v_sub_f32_e32 v20, v28, v20
	v_add_f32_e32 v23, v20, v21
	v_frexp_mant_f32_e32 v24, v22
	v_cvt_f64_f32_e32 v[20:21], v22
	v_frexp_exp_i32_f64_e32 v20, v[20:21]
	v_cmp_gt_f32_e32 vcc, s46, v24
	s_mov_b32 s46, 0x3f317218
	s_nop 0
	v_subbrev_co_u32_e32 v33, vcc, 0, v20, vcc
	v_sub_u32_e32 v20, 0, v33
	v_ldexp_f32 v21, v22, v20
	v_add_f32_e32 v22, -1.0, v21
	v_add_f32_e32 v24, 1.0, v21
	v_ldexp_f32 v20, v23, v20
	v_add_f32_e32 v23, 1.0, v22
	v_add_f32_e32 v25, -1.0, v24
	v_sub_f32_e32 v23, v21, v23
	v_sub_f32_e32 v21, v21, v25
	v_add_f32_e32 v23, v20, v23
	v_add_f32_e32 v20, v20, v21
	;; [unrolled: 1-line block ×3, first 2 shown]
	v_rcp_f32_e32 v38, v36
	v_sub_f32_e32 v21, v24, v36
	v_add_f32_e32 v37, v20, v21
	v_add_f32_e32 v21, v22, v23
	v_mul_f32_e32 v40, v21, v38
	v_sub_f32_e32 v20, v22, v21
	v_mul_f32_e32 v22, v36, v40
	v_fma_f32 v24, v40, v36, -v22
	v_fmac_f32_e32 v24, v40, v37
	v_add_f32_e32 v39, v23, v20
	v_add_f32_e32 v20, v22, v24
	v_sub_f32_e32 v23, v21, v20
	v_pk_add_f32 v[34:35], v[20:21], v[22:23] neg_lo:[0,1] neg_hi:[0,1]
	v_mov_b32_e32 v25, v20
	v_pk_add_f32 v[20:21], v[34:35], v[24:25] neg_lo:[0,1] neg_hi:[0,1]
	v_cmp_neq_f32_e32 vcc, s47, v28
	v_add_f32_e32 v21, v39, v21
	v_add_f32_e32 v20, v20, v21
	;; [unrolled: 1-line block ×3, first 2 shown]
	v_mul_f32_e32 v39, v38, v21
	v_mul_f32_e32 v22, v36, v39
	v_fma_f32 v24, v39, v36, -v22
	v_fmac_f32_e32 v24, v39, v37
	v_sub_f32_e32 v23, v23, v21
	v_add_f32_e32 v36, v20, v23
	v_add_f32_e32 v20, v22, v24
	v_sub_f32_e32 v23, v21, v20
	v_pk_add_f32 v[34:35], v[20:21], v[22:23] neg_lo:[0,1] neg_hi:[0,1]
	v_mov_b32_e32 v25, v20
	v_pk_add_f32 v[20:21], v[34:35], v[24:25] neg_lo:[0,1] neg_hi:[0,1]
	v_cvt_f32_i32_e32 v22, v33
	v_add_f32_e32 v21, v36, v21
	v_add_f32_e32 v20, v20, v21
	v_add_f32_e32 v20, v23, v20
	v_add_f32_e32 v23, v40, v39
	v_sub_f32_e32 v21, v23, v40
	v_mul_f32_e32 v20, v38, v20
	v_sub_f32_e32 v21, v39, v21
	v_add_f32_e32 v20, v21, v20
	v_add_f32_e32 v24, v23, v20
	v_mul_f32_e32 v34, v24, v24
	v_mov_b32_e32 v21, 0x3ecc95a3
	v_sub_f32_e32 v23, v24, v23
	v_fmac_f32_e32 v21, 0x3e9b6dac, v34
	v_sub_f32_e32 v20, v20, v23
	v_fmaak_f32 v21, v34, v21, 0x3f2aaada
	v_ldexp_f32 v33, v20, 1
	v_mul_f32_e32 v23, v24, v34
	v_mov_b32_e32 v20, 0x3f317218
	v_pk_mul_f32 v[20:21], v[22:23], v[20:21]
	v_ldexp_f32 v25, v24, 1
	v_fma_f32 v23, v22, s46, -v20
	v_fmamk_f32 v24, v22, 0xb102e308, v23
	v_pk_add_f32 v[22:23], v[20:21], v[24:25]
	v_mov_b32_e32 v34, v20
	v_sub_f32_e32 v25, v23, v25
	v_sub_f32_e32 v25, v21, v25
	v_add_f32_e32 v35, v33, v25
	v_pk_add_f32 v[20:21], v[22:23], v[20:21] neg_lo:[0,1] neg_hi:[0,1]
	v_pk_add_f32 v[36:37], v[22:23], v[34:35]
	v_mov_b32_e32 v25, v22
	v_mov_b32_e32 v21, v37
	v_pk_add_f32 v[38:39], v[24:25], v[20:21] neg_lo:[0,1] neg_hi:[0,1]
	v_pk_add_f32 v[20:21], v[24:25], v[20:21]
	v_mov_b32_e32 v34, v35
	v_pk_add_f32 v[24:25], v[20:21], v[22:23] op_sel:[1,0] op_sel_hi:[0,1] neg_lo:[0,1] neg_hi:[0,1]
	v_pk_add_f32 v[40:41], v[36:37], v[24:25] op_sel_hi:[1,0] neg_lo:[0,1] neg_hi:[0,1]
	v_mov_b32_e32 v36, v37
	v_mov_b32_e32 v37, v21
	v_pk_mov_b32 v[24:25], v[22:23], v[24:25] op_sel:[1,0]
	v_mov_b32_e32 v35, v22
	v_pk_add_f32 v[24:25], v[36:37], v[24:25] neg_lo:[0,1] neg_hi:[0,1]
	v_mov_b32_e32 v40, v38
	v_pk_add_f32 v[22:23], v[34:35], v[24:25] neg_lo:[0,1] neg_hi:[0,1]
	v_mov_b32_e32 v39, v21
	v_pk_add_f32 v[24:25], v[40:41], v[22:23]
	s_mov_b32 s46, 0x33800000
	v_pk_add_f32 v[34:35], v[24:25], v[24:25] op_sel:[0,1] op_sel_hi:[1,0]
	s_nop 0
	v_pk_add_f32 v[20:21], v[20:21], v[34:35] op_sel:[1,0] op_sel_hi:[0,1]
	v_mov_b32_e32 v25, v20
	v_pk_add_f32 v[36:37], v[24:25], v[38:39] neg_lo:[0,1] neg_hi:[0,1]
	v_mov_b32_e32 v23, v34
	v_sub_f32_e32 v21, v24, v36
	v_pk_add_f32 v[22:23], v[22:23], v[36:37] neg_lo:[0,1] neg_hi:[0,1]
	v_sub_f32_e32 v21, v38, v21
	v_add_f32_e32 v21, v22, v21
	v_add_f32_e32 v21, v21, v23
	;; [unrolled: 1-line block ×3, first 2 shown]
	v_cndmask_b32_e32 v20, v27, v20, vcc
	v_cmp_lt_f32_e64 vcc, |v28|, s46
	s_nop 1
	v_cndmask_b32_e32 v20, v20, v28, vcc
	v_add_f32_e32 v20, v18, v20
.LBB474_42:
	s_or_b64 exec, exec, s[44:45]
	v_bfe_u32 v18, v20, 16, 1
	s_movk_i32 s48, 0x7fff
	v_add3_u32 v18, v20, v18, s48
	v_and_b32_e32 v18, 0xffff0000, v18
	v_mov_b32_e32 v21, 0x7fc00000
	v_cmp_o_f32_e32 vcc, v20, v20
	s_nop 1
	v_cndmask_b32_e32 v23, v21, v18, vcc
	v_lshlrev_b32_e32 v18, 16, v4
	v_max_f32_e32 v22, v23, v23
	v_max_f32_e32 v20, v18, v18
	v_min_f32_e32 v24, v22, v20
	v_cmp_u_f32_e32 vcc, v23, v23
	v_max_f32_e32 v22, v22, v20
	v_cmp_u_f32_e64 s[44:45], v18, v18
	v_cndmask_b32_e32 v24, v24, v23, vcc
	v_cndmask_b32_e32 v22, v22, v23, vcc
	v_cndmask_b32_e64 v24, v24, v18, s[44:45]
	v_cndmask_b32_e64 v22, v22, v18, s[44:45]
	v_cmp_neq_f32_e32 vcc, v24, v22
	v_cmp_class_f32_e64 s[46:47], v24, s33
	s_or_b64 s[50:51], vcc, s[46:47]
	s_and_saveexec_b64 s[46:47], s[50:51]
	s_cbranch_execz .LBB474_44
; %bb.43:
	v_sub_f32_e32 v23, v24, v22
	s_mov_b32 s33, 0x3fb8aa3b
	v_mul_f32_e32 v24, 0x3fb8aa3b, v23
	v_fma_f32 v25, v23, s33, -v24
	v_rndne_f32_e32 v27, v24
	v_fmamk_f32 v25, v23, 0x32a5705f, v25
	v_sub_f32_e32 v24, v24, v27
	v_add_f32_e32 v24, v24, v25
	v_exp_f32_e32 v24, v24
	v_cvt_i32_f32_e32 v25, v27
	s_mov_b32 s33, 0xc2ce8ed0
	v_cmp_ngt_f32_e32 vcc, s33, v23
	s_mov_b32 s33, 0x42b17218
	v_ldexp_f32 v24, v24, v25
	v_cndmask_b32_e32 v24, 0, v24, vcc
	v_mov_b32_e32 v27, 0x7f800000
	v_cmp_nlt_f32_e32 vcc, s33, v23
	s_mov_b32 s33, 0x3f2aaaab
	s_mov_b32 s49, 0x7f800000
	v_cndmask_b32_e32 v23, v27, v24, vcc
	v_add_f32_e32 v28, 1.0, v23
	v_add_f32_e32 v24, -1.0, v28
	v_sub_f32_e32 v25, v24, v28
	v_add_f32_e32 v25, 1.0, v25
	v_sub_f32_e32 v24, v23, v24
	v_add_f32_e32 v33, v24, v25
	v_frexp_mant_f32_e32 v34, v28
	v_cvt_f64_f32_e32 v[24:25], v28
	v_frexp_exp_i32_f64_e32 v24, v[24:25]
	v_cmp_gt_f32_e32 vcc, s33, v34
	s_mov_b32 s33, 0x3f317218
	s_nop 0
	v_subbrev_co_u32_e32 v40, vcc, 0, v24, vcc
	v_sub_u32_e32 v24, 0, v40
	v_ldexp_f32 v25, v28, v24
	v_add_f32_e32 v28, -1.0, v25
	v_add_f32_e32 v34, 1.0, v25
	v_ldexp_f32 v24, v33, v24
	v_add_f32_e32 v33, 1.0, v28
	v_add_f32_e32 v35, -1.0, v34
	v_sub_f32_e32 v33, v25, v33
	v_sub_f32_e32 v25, v25, v35
	v_add_f32_e32 v33, v24, v33
	v_add_f32_e32 v24, v24, v25
	;; [unrolled: 1-line block ×3, first 2 shown]
	v_rcp_f32_e32 v43, v41
	v_sub_f32_e32 v25, v34, v41
	v_add_f32_e32 v42, v24, v25
	v_add_f32_e32 v25, v28, v33
	v_sub_f32_e32 v24, v28, v25
	v_add_f32_e32 v28, v33, v24
	v_mul_f32_e32 v33, v25, v43
	v_mul_f32_e32 v34, v41, v33
	v_fma_f32 v36, v33, v41, -v34
	v_fmac_f32_e32 v36, v33, v42
	v_add_f32_e32 v24, v34, v36
	v_sub_f32_e32 v35, v25, v24
	v_pk_add_f32 v[38:39], v[24:25], v[34:35] neg_lo:[0,1] neg_hi:[0,1]
	v_mov_b32_e32 v37, v24
	v_pk_add_f32 v[24:25], v[38:39], v[36:37] neg_lo:[0,1] neg_hi:[0,1]
	v_cmp_neq_f32_e32 vcc, s49, v23
	v_add_f32_e32 v25, v28, v25
	v_add_f32_e32 v24, v24, v25
	;; [unrolled: 1-line block ×3, first 2 shown]
	v_mul_f32_e32 v28, v43, v25
	v_mul_f32_e32 v34, v41, v28
	v_fma_f32 v36, v28, v41, -v34
	v_fmac_f32_e32 v36, v28, v42
	v_sub_f32_e32 v35, v35, v25
	v_add_f32_e32 v41, v24, v35
	v_add_f32_e32 v24, v34, v36
	v_sub_f32_e32 v35, v25, v24
	v_pk_add_f32 v[38:39], v[24:25], v[34:35] neg_lo:[0,1] neg_hi:[0,1]
	v_mov_b32_e32 v37, v24
	v_pk_add_f32 v[24:25], v[38:39], v[36:37] neg_lo:[0,1] neg_hi:[0,1]
	v_cvt_f32_i32_e32 v34, v40
	v_add_f32_e32 v25, v41, v25
	v_add_f32_e32 v24, v24, v25
	;; [unrolled: 1-line block ×4, first 2 shown]
	v_sub_f32_e32 v25, v35, v33
	v_mul_f32_e32 v24, v43, v24
	v_sub_f32_e32 v25, v28, v25
	v_add_f32_e32 v24, v25, v24
	v_add_f32_e32 v28, v35, v24
	v_mul_f32_e32 v33, v28, v28
	v_mov_b32_e32 v25, 0x3ecc95a3
	v_sub_f32_e32 v35, v28, v35
	v_fmac_f32_e32 v25, 0x3e9b6dac, v33
	v_sub_f32_e32 v24, v24, v35
	v_fmaak_f32 v25, v33, v25, 0x3f2aaada
	v_ldexp_f32 v38, v24, 1
	v_mul_f32_e32 v35, v28, v33
	v_mov_b32_e32 v24, 0x3f317218
	v_pk_mul_f32 v[24:25], v[34:35], v[24:25]
	v_ldexp_f32 v37, v28, 1
	v_fma_f32 v28, v34, s33, -v24
	v_fmamk_f32 v36, v34, 0xb102e308, v28
	v_pk_add_f32 v[34:35], v[24:25], v[36:37]
	s_mov_b32 s33, 0x33800000
	v_sub_f32_e32 v28, v35, v37
	v_sub_f32_e32 v28, v25, v28
	v_add_f32_e32 v39, v38, v28
	v_mov_b32_e32 v38, v24
	v_pk_add_f32 v[24:25], v[34:35], v[24:25] neg_lo:[0,1] neg_hi:[0,1]
	v_pk_add_f32 v[40:41], v[34:35], v[38:39]
	v_mov_b32_e32 v37, v34
	v_mov_b32_e32 v25, v41
	v_pk_add_f32 v[42:43], v[36:37], v[24:25] neg_lo:[0,1] neg_hi:[0,1]
	v_pk_add_f32 v[24:25], v[36:37], v[24:25]
	v_mov_b32_e32 v38, v39
	v_pk_add_f32 v[36:37], v[24:25], v[34:35] op_sel:[1,0] op_sel_hi:[0,1] neg_lo:[0,1] neg_hi:[0,1]
	v_pk_add_f32 v[44:45], v[40:41], v[36:37] op_sel_hi:[1,0] neg_lo:[0,1] neg_hi:[0,1]
	v_mov_b32_e32 v40, v41
	v_mov_b32_e32 v41, v25
	v_pk_mov_b32 v[36:37], v[34:35], v[36:37] op_sel:[1,0]
	v_mov_b32_e32 v39, v34
	v_pk_add_f32 v[36:37], v[40:41], v[36:37] neg_lo:[0,1] neg_hi:[0,1]
	v_mov_b32_e32 v44, v42
	v_pk_add_f32 v[34:35], v[38:39], v[36:37] neg_lo:[0,1] neg_hi:[0,1]
	v_mov_b32_e32 v43, v25
	v_pk_add_f32 v[36:37], v[44:45], v[34:35]
	s_nop 0
	v_pk_add_f32 v[38:39], v[36:37], v[36:37] op_sel:[0,1] op_sel_hi:[1,0]
	s_nop 0
	v_pk_add_f32 v[24:25], v[24:25], v[38:39] op_sel:[1,0] op_sel_hi:[0,1]
	v_mov_b32_e32 v37, v24
	v_pk_add_f32 v[40:41], v[36:37], v[42:43] neg_lo:[0,1] neg_hi:[0,1]
	v_mov_b32_e32 v35, v38
	v_sub_f32_e32 v25, v36, v40
	v_pk_add_f32 v[34:35], v[34:35], v[40:41] neg_lo:[0,1] neg_hi:[0,1]
	v_sub_f32_e32 v25, v42, v25
	v_add_f32_e32 v25, v34, v25
	v_add_f32_e32 v25, v25, v35
	;; [unrolled: 1-line block ×3, first 2 shown]
	v_cndmask_b32_e32 v24, v27, v24, vcc
	v_cmp_lt_f32_e64 vcc, |v23|, s33
	s_nop 1
	v_cndmask_b32_e32 v23, v24, v23, vcc
	v_add_f32_e32 v23, v22, v23
.LBB474_44:
	s_or_b64 exec, exec, s[46:47]
	v_bfe_u32 v22, v23, 16, 1
	v_add3_u32 v22, v23, v22, s48
	v_and_b32_e32 v22, 0xffff0000, v22
	v_cmp_o_f32_e32 vcc, v23, v23
	v_and_b32_e32 v4, 0xffff0000, v4
	v_cmp_u_f32_e64 s[46:47], v4, v4
	v_cndmask_b32_e32 v23, v21, v22, vcc
	v_max_f32_e32 v21, v23, v23
	v_max_f32_e32 v22, v4, v4
	v_min_f32_e32 v24, v21, v22
	v_cmp_u_f32_e32 vcc, v23, v23
	v_max_f32_e32 v21, v21, v22
	s_movk_i32 s33, 0x1f8
	v_cndmask_b32_e32 v24, v24, v23, vcc
	v_cndmask_b32_e32 v21, v21, v23, vcc
	v_cndmask_b32_e64 v24, v24, v4, s[46:47]
	v_cndmask_b32_e64 v21, v21, v4, s[46:47]
	v_cmp_neq_f32_e32 vcc, v24, v21
	v_cmp_class_f32_e64 s[48:49], v24, s33
	s_or_b64 s[50:51], vcc, s[48:49]
	s_and_saveexec_b64 s[48:49], s[50:51]
	s_cbranch_execz .LBB474_46
; %bb.45:
	v_sub_f32_e32 v23, v24, v21
	s_mov_b32 s50, 0x3fb8aa3b
	v_mul_f32_e32 v24, 0x3fb8aa3b, v23
	v_fma_f32 v25, v23, s50, -v24
	v_rndne_f32_e32 v27, v24
	v_fmamk_f32 v25, v23, 0x32a5705f, v25
	v_sub_f32_e32 v24, v24, v27
	v_add_f32_e32 v24, v24, v25
	v_exp_f32_e32 v24, v24
	v_cvt_i32_f32_e32 v25, v27
	s_mov_b32 s50, 0xc2ce8ed0
	v_cmp_ngt_f32_e32 vcc, s50, v23
	s_mov_b32 s50, 0x42b17218
	v_ldexp_f32 v24, v24, v25
	v_cndmask_b32_e32 v24, 0, v24, vcc
	v_mov_b32_e32 v27, 0x7f800000
	v_cmp_nlt_f32_e32 vcc, s50, v23
	s_mov_b32 s50, 0x3f2aaaab
	s_mov_b32 s51, 0x7f800000
	v_cndmask_b32_e32 v23, v27, v24, vcc
	v_add_f32_e32 v28, 1.0, v23
	v_add_f32_e32 v24, -1.0, v28
	v_sub_f32_e32 v25, v24, v28
	v_add_f32_e32 v25, 1.0, v25
	v_sub_f32_e32 v24, v23, v24
	v_add_f32_e32 v33, v24, v25
	v_frexp_mant_f32_e32 v34, v28
	v_cvt_f64_f32_e32 v[24:25], v28
	v_frexp_exp_i32_f64_e32 v24, v[24:25]
	v_cmp_gt_f32_e32 vcc, s50, v34
	s_mov_b32 s50, 0x3f317218
	s_nop 0
	v_subbrev_co_u32_e32 v40, vcc, 0, v24, vcc
	v_sub_u32_e32 v24, 0, v40
	v_ldexp_f32 v25, v28, v24
	v_add_f32_e32 v28, -1.0, v25
	v_add_f32_e32 v34, 1.0, v25
	v_ldexp_f32 v24, v33, v24
	v_add_f32_e32 v33, 1.0, v28
	v_add_f32_e32 v35, -1.0, v34
	v_sub_f32_e32 v33, v25, v33
	v_sub_f32_e32 v25, v25, v35
	v_add_f32_e32 v33, v24, v33
	v_add_f32_e32 v24, v24, v25
	v_add_f32_e32 v41, v34, v24
	v_rcp_f32_e32 v43, v41
	v_sub_f32_e32 v25, v34, v41
	v_add_f32_e32 v42, v24, v25
	v_add_f32_e32 v25, v28, v33
	v_sub_f32_e32 v24, v28, v25
	v_add_f32_e32 v28, v33, v24
	v_mul_f32_e32 v33, v25, v43
	v_mul_f32_e32 v34, v41, v33
	v_fma_f32 v36, v33, v41, -v34
	v_fmac_f32_e32 v36, v33, v42
	v_add_f32_e32 v24, v34, v36
	v_sub_f32_e32 v35, v25, v24
	v_pk_add_f32 v[38:39], v[24:25], v[34:35] neg_lo:[0,1] neg_hi:[0,1]
	v_mov_b32_e32 v37, v24
	v_pk_add_f32 v[24:25], v[38:39], v[36:37] neg_lo:[0,1] neg_hi:[0,1]
	v_cmp_neq_f32_e32 vcc, s51, v23
	v_add_f32_e32 v25, v28, v25
	v_add_f32_e32 v24, v24, v25
	;; [unrolled: 1-line block ×3, first 2 shown]
	v_mul_f32_e32 v28, v43, v25
	v_mul_f32_e32 v34, v41, v28
	v_fma_f32 v36, v28, v41, -v34
	v_fmac_f32_e32 v36, v28, v42
	v_sub_f32_e32 v35, v35, v25
	v_add_f32_e32 v41, v24, v35
	v_add_f32_e32 v24, v34, v36
	v_sub_f32_e32 v35, v25, v24
	v_pk_add_f32 v[38:39], v[24:25], v[34:35] neg_lo:[0,1] neg_hi:[0,1]
	v_mov_b32_e32 v37, v24
	v_pk_add_f32 v[24:25], v[38:39], v[36:37] neg_lo:[0,1] neg_hi:[0,1]
	v_cvt_f32_i32_e32 v34, v40
	v_add_f32_e32 v25, v41, v25
	v_add_f32_e32 v24, v24, v25
	;; [unrolled: 1-line block ×4, first 2 shown]
	v_sub_f32_e32 v25, v35, v33
	v_mul_f32_e32 v24, v43, v24
	v_sub_f32_e32 v25, v28, v25
	v_add_f32_e32 v24, v25, v24
	v_add_f32_e32 v28, v35, v24
	v_mul_f32_e32 v33, v28, v28
	v_mov_b32_e32 v25, 0x3ecc95a3
	v_sub_f32_e32 v35, v28, v35
	v_fmac_f32_e32 v25, 0x3e9b6dac, v33
	v_sub_f32_e32 v24, v24, v35
	v_fmaak_f32 v25, v33, v25, 0x3f2aaada
	v_ldexp_f32 v38, v24, 1
	v_mul_f32_e32 v35, v28, v33
	v_mov_b32_e32 v24, 0x3f317218
	v_pk_mul_f32 v[24:25], v[34:35], v[24:25]
	v_ldexp_f32 v37, v28, 1
	v_fma_f32 v28, v34, s50, -v24
	v_fmamk_f32 v36, v34, 0xb102e308, v28
	v_pk_add_f32 v[34:35], v[24:25], v[36:37]
	s_mov_b32 s50, 0x33800000
	v_sub_f32_e32 v28, v35, v37
	v_sub_f32_e32 v28, v25, v28
	v_add_f32_e32 v39, v38, v28
	v_mov_b32_e32 v38, v24
	v_pk_add_f32 v[24:25], v[34:35], v[24:25] neg_lo:[0,1] neg_hi:[0,1]
	v_pk_add_f32 v[40:41], v[34:35], v[38:39]
	v_mov_b32_e32 v37, v34
	v_mov_b32_e32 v25, v41
	v_pk_add_f32 v[42:43], v[36:37], v[24:25] neg_lo:[0,1] neg_hi:[0,1]
	v_pk_add_f32 v[24:25], v[36:37], v[24:25]
	v_mov_b32_e32 v38, v39
	v_pk_add_f32 v[36:37], v[24:25], v[34:35] op_sel:[1,0] op_sel_hi:[0,1] neg_lo:[0,1] neg_hi:[0,1]
	v_pk_add_f32 v[44:45], v[40:41], v[36:37] op_sel_hi:[1,0] neg_lo:[0,1] neg_hi:[0,1]
	v_mov_b32_e32 v40, v41
	v_mov_b32_e32 v41, v25
	v_pk_mov_b32 v[36:37], v[34:35], v[36:37] op_sel:[1,0]
	v_mov_b32_e32 v39, v34
	v_pk_add_f32 v[36:37], v[40:41], v[36:37] neg_lo:[0,1] neg_hi:[0,1]
	v_mov_b32_e32 v44, v42
	v_pk_add_f32 v[34:35], v[38:39], v[36:37] neg_lo:[0,1] neg_hi:[0,1]
	v_mov_b32_e32 v43, v25
	v_pk_add_f32 v[36:37], v[44:45], v[34:35]
	s_nop 0
	v_pk_add_f32 v[38:39], v[36:37], v[36:37] op_sel:[0,1] op_sel_hi:[1,0]
	s_nop 0
	v_pk_add_f32 v[24:25], v[24:25], v[38:39] op_sel:[1,0] op_sel_hi:[0,1]
	v_mov_b32_e32 v37, v24
	v_pk_add_f32 v[40:41], v[36:37], v[42:43] neg_lo:[0,1] neg_hi:[0,1]
	v_mov_b32_e32 v35, v38
	v_sub_f32_e32 v25, v36, v40
	v_pk_add_f32 v[34:35], v[34:35], v[40:41] neg_lo:[0,1] neg_hi:[0,1]
	v_sub_f32_e32 v25, v42, v25
	v_add_f32_e32 v25, v34, v25
	v_add_f32_e32 v25, v25, v35
	;; [unrolled: 1-line block ×3, first 2 shown]
	v_cndmask_b32_e32 v24, v27, v24, vcc
	v_cmp_lt_f32_e64 vcc, |v23|, s50
	s_nop 1
	v_cndmask_b32_e32 v23, v24, v23, vcc
	v_add_f32_e32 v23, v21, v23
.LBB474_46:
	s_or_b64 exec, exec, s[48:49]
	v_bfe_u32 v21, v23, 16, 1
	s_movk_i32 s52, 0x7fff
	v_add3_u32 v21, v23, v21, s52
	v_and_b32_e32 v21, 0xffff0000, v21
	v_mov_b32_e32 v24, 0x7fc00000
	v_cmp_o_f32_e32 vcc, v23, v23
	s_nop 1
	v_cndmask_b32_e32 v27, v24, v21, vcc
	v_lshlrev_b32_e32 v21, 16, v5
	v_max_f32_e32 v25, v27, v27
	v_max_f32_e32 v23, v21, v21
	v_min_f32_e32 v28, v25, v23
	v_cmp_u_f32_e32 vcc, v27, v27
	v_max_f32_e32 v25, v25, v23
	v_cmp_u_f32_e64 s[48:49], v21, v21
	v_cndmask_b32_e32 v28, v28, v27, vcc
	v_cndmask_b32_e32 v25, v25, v27, vcc
	v_cndmask_b32_e64 v28, v28, v21, s[48:49]
	v_cndmask_b32_e64 v25, v25, v21, s[48:49]
	v_cmp_neq_f32_e32 vcc, v28, v25
	v_cmp_class_f32_e64 s[50:51], v28, s33
	s_or_b64 s[54:55], vcc, s[50:51]
	s_and_saveexec_b64 s[50:51], s[54:55]
	s_cbranch_execz .LBB474_48
; %bb.47:
	v_sub_f32_e32 v27, v28, v25
	s_mov_b32 s33, 0x3fb8aa3b
	v_mul_f32_e32 v28, 0x3fb8aa3b, v27
	v_fma_f32 v33, v27, s33, -v28
	v_rndne_f32_e32 v34, v28
	v_fmamk_f32 v33, v27, 0x32a5705f, v33
	v_sub_f32_e32 v28, v28, v34
	v_add_f32_e32 v28, v28, v33
	v_exp_f32_e32 v28, v28
	v_cvt_i32_f32_e32 v33, v34
	s_mov_b32 s33, 0xc2ce8ed0
	v_cmp_ngt_f32_e32 vcc, s33, v27
	s_mov_b32 s33, 0x42b17218
	v_ldexp_f32 v28, v28, v33
	v_cndmask_b32_e32 v28, 0, v28, vcc
	v_mov_b32_e32 v33, 0x7f800000
	v_cmp_nlt_f32_e32 vcc, s33, v27
	s_mov_b32 s33, 0x3f2aaaab
	s_mov_b32 s53, 0x7f800000
	v_cndmask_b32_e32 v27, v33, v28, vcc
	v_add_f32_e32 v28, 1.0, v27
	v_add_f32_e32 v34, -1.0, v28
	v_sub_f32_e32 v35, v34, v28
	v_add_f32_e32 v35, 1.0, v35
	v_sub_f32_e32 v34, v27, v34
	v_add_f32_e32 v36, v34, v35
	v_frexp_mant_f32_e32 v37, v28
	v_cvt_f64_f32_e32 v[34:35], v28
	v_frexp_exp_i32_f64_e32 v34, v[34:35]
	v_cmp_gt_f32_e32 vcc, s33, v37
	s_mov_b32 s33, 0x3f317218
	s_nop 0
	v_subbrev_co_u32_e32 v42, vcc, 0, v34, vcc
	v_sub_u32_e32 v34, 0, v42
	v_ldexp_f32 v28, v28, v34
	v_ldexp_f32 v34, v36, v34
	v_add_f32_e32 v36, -1.0, v28
	v_add_f32_e32 v35, 1.0, v36
	v_sub_f32_e32 v35, v28, v35
	v_add_f32_e32 v37, v34, v35
	v_add_f32_e32 v35, 1.0, v28
	v_add_f32_e32 v38, -1.0, v35
	v_sub_f32_e32 v28, v28, v38
	v_add_f32_e32 v28, v34, v28
	v_add_f32_e32 v43, v35, v28
	v_rcp_f32_e32 v44, v43
	v_sub_f32_e32 v34, v35, v43
	v_add_f32_e32 v35, v36, v37
	v_add_f32_e32 v28, v28, v34
	v_mul_f32_e32 v46, v35, v44
	v_sub_f32_e32 v34, v36, v35
	v_mul_f32_e32 v36, v43, v46
	v_fma_f32 v38, v46, v43, -v36
	v_fmac_f32_e32 v38, v46, v28
	v_add_f32_e32 v45, v37, v34
	v_add_f32_e32 v34, v36, v38
	v_sub_f32_e32 v37, v35, v34
	v_pk_add_f32 v[40:41], v[34:35], v[36:37] neg_lo:[0,1] neg_hi:[0,1]
	v_mov_b32_e32 v39, v34
	v_pk_add_f32 v[34:35], v[40:41], v[38:39] neg_lo:[0,1] neg_hi:[0,1]
	v_cmp_neq_f32_e32 vcc, s53, v27
	v_add_f32_e32 v35, v45, v35
	v_add_f32_e32 v34, v34, v35
	;; [unrolled: 1-line block ×3, first 2 shown]
	v_mul_f32_e32 v45, v44, v35
	v_mul_f32_e32 v36, v43, v45
	v_fma_f32 v38, v45, v43, -v36
	v_fmac_f32_e32 v38, v45, v28
	v_sub_f32_e32 v28, v37, v35
	v_add_f32_e32 v28, v34, v28
	v_add_f32_e32 v34, v36, v38
	v_sub_f32_e32 v37, v35, v34
	v_pk_add_f32 v[40:41], v[34:35], v[36:37] neg_lo:[0,1] neg_hi:[0,1]
	v_mov_b32_e32 v39, v34
	v_pk_add_f32 v[34:35], v[40:41], v[38:39] neg_lo:[0,1] neg_hi:[0,1]
	v_cvt_f32_i32_e32 v36, v42
	v_add_f32_e32 v28, v28, v35
	v_add_f32_e32 v28, v34, v28
	;; [unrolled: 1-line block ×4, first 2 shown]
	v_sub_f32_e32 v35, v34, v46
	v_mul_f32_e32 v28, v44, v28
	v_sub_f32_e32 v35, v45, v35
	v_add_f32_e32 v28, v35, v28
	v_add_f32_e32 v37, v34, v28
	v_mul_f32_e32 v38, v37, v37
	v_mov_b32_e32 v35, 0x3ecc95a3
	v_fmac_f32_e32 v35, 0x3e9b6dac, v38
	v_sub_f32_e32 v34, v37, v34
	v_fmaak_f32 v35, v38, v35, 0x3f2aaada
	v_sub_f32_e32 v28, v28, v34
	v_ldexp_f32 v39, v37, 1
	v_mul_f32_e32 v37, v37, v38
	v_mov_b32_e32 v34, 0x3f317218
	v_pk_mul_f32 v[34:35], v[36:37], v[34:35]
	v_ldexp_f32 v28, v28, 1
	v_fma_f32 v37, v36, s33, -v34
	v_fmamk_f32 v38, v36, 0xb102e308, v37
	v_pk_add_f32 v[36:37], v[34:35], v[38:39]
	v_mov_b32_e32 v40, v34
	v_sub_f32_e32 v39, v37, v39
	v_sub_f32_e32 v39, v35, v39
	v_add_f32_e32 v41, v28, v39
	v_pk_add_f32 v[34:35], v[36:37], v[34:35] neg_lo:[0,1] neg_hi:[0,1]
	v_pk_add_f32 v[42:43], v[36:37], v[40:41]
	v_mov_b32_e32 v39, v36
	v_mov_b32_e32 v35, v43
	v_pk_add_f32 v[44:45], v[38:39], v[34:35] neg_lo:[0,1] neg_hi:[0,1]
	v_pk_add_f32 v[34:35], v[38:39], v[34:35]
	v_mov_b32_e32 v40, v41
	v_pk_add_f32 v[38:39], v[34:35], v[36:37] op_sel:[1,0] op_sel_hi:[0,1] neg_lo:[0,1] neg_hi:[0,1]
	v_pk_add_f32 v[46:47], v[42:43], v[38:39] op_sel_hi:[1,0] neg_lo:[0,1] neg_hi:[0,1]
	v_mov_b32_e32 v42, v43
	v_mov_b32_e32 v43, v35
	v_pk_mov_b32 v[38:39], v[36:37], v[38:39] op_sel:[1,0]
	v_mov_b32_e32 v41, v36
	v_pk_add_f32 v[38:39], v[42:43], v[38:39] neg_lo:[0,1] neg_hi:[0,1]
	v_mov_b32_e32 v46, v44
	v_pk_add_f32 v[36:37], v[40:41], v[38:39] neg_lo:[0,1] neg_hi:[0,1]
	v_mov_b32_e32 v45, v35
	v_pk_add_f32 v[38:39], v[46:47], v[36:37]
	s_mov_b32 s33, 0x33800000
	v_pk_add_f32 v[40:41], v[38:39], v[38:39] op_sel:[0,1] op_sel_hi:[1,0]
	s_nop 0
	v_pk_add_f32 v[34:35], v[34:35], v[40:41] op_sel:[1,0] op_sel_hi:[0,1]
	v_mov_b32_e32 v39, v34
	v_pk_add_f32 v[42:43], v[38:39], v[44:45] neg_lo:[0,1] neg_hi:[0,1]
	v_mov_b32_e32 v37, v40
	v_sub_f32_e32 v28, v38, v42
	v_pk_add_f32 v[36:37], v[36:37], v[42:43] neg_lo:[0,1] neg_hi:[0,1]
	v_sub_f32_e32 v28, v44, v28
	v_add_f32_e32 v28, v36, v28
	v_add_f32_e32 v28, v28, v37
	;; [unrolled: 1-line block ×3, first 2 shown]
	v_cndmask_b32_e32 v28, v33, v28, vcc
	v_cmp_lt_f32_e64 vcc, |v27|, s33
	s_nop 1
	v_cndmask_b32_e32 v27, v28, v27, vcc
	v_add_f32_e32 v27, v25, v27
.LBB474_48:
	s_or_b64 exec, exec, s[50:51]
	v_bfe_u32 v25, v27, 16, 1
	v_add3_u32 v25, v27, v25, s52
	v_and_b32_e32 v25, 0xffff0000, v25
	v_cmp_o_f32_e32 vcc, v27, v27
	v_and_b32_e32 v5, 0xffff0000, v5
	v_cmp_u_f32_e64 s[50:51], v5, v5
	v_cndmask_b32_e32 v27, v24, v25, vcc
	v_max_f32_e32 v24, v27, v27
	v_max_f32_e32 v25, v5, v5
	v_min_f32_e32 v28, v24, v25
	v_cmp_u_f32_e32 vcc, v27, v27
	v_max_f32_e32 v24, v24, v25
	s_movk_i32 s33, 0x1f8
	v_cndmask_b32_e32 v28, v28, v27, vcc
	v_cndmask_b32_e32 v24, v24, v27, vcc
	v_cndmask_b32_e64 v28, v28, v5, s[50:51]
	v_cndmask_b32_e64 v24, v24, v5, s[50:51]
	v_cmp_neq_f32_e32 vcc, v28, v24
	v_cmp_class_f32_e64 s[52:53], v28, s33
	s_or_b64 s[54:55], vcc, s[52:53]
	s_and_saveexec_b64 s[52:53], s[54:55]
	s_cbranch_execz .LBB474_50
; %bb.49:
	v_sub_f32_e32 v27, v28, v24
	s_mov_b32 s54, 0x3fb8aa3b
	v_mul_f32_e32 v28, 0x3fb8aa3b, v27
	v_fma_f32 v33, v27, s54, -v28
	v_rndne_f32_e32 v34, v28
	v_fmamk_f32 v33, v27, 0x32a5705f, v33
	v_sub_f32_e32 v28, v28, v34
	v_add_f32_e32 v28, v28, v33
	v_exp_f32_e32 v28, v28
	v_cvt_i32_f32_e32 v33, v34
	s_mov_b32 s54, 0xc2ce8ed0
	v_cmp_ngt_f32_e32 vcc, s54, v27
	s_mov_b32 s54, 0x42b17218
	v_ldexp_f32 v28, v28, v33
	v_cndmask_b32_e32 v28, 0, v28, vcc
	v_mov_b32_e32 v33, 0x7f800000
	v_cmp_nlt_f32_e32 vcc, s54, v27
	s_mov_b32 s54, 0x3f2aaaab
	s_mov_b32 s55, 0x7f800000
	v_cndmask_b32_e32 v27, v33, v28, vcc
	v_add_f32_e32 v28, 1.0, v27
	v_add_f32_e32 v34, -1.0, v28
	v_sub_f32_e32 v35, v34, v28
	v_add_f32_e32 v35, 1.0, v35
	v_sub_f32_e32 v34, v27, v34
	v_add_f32_e32 v36, v34, v35
	v_frexp_mant_f32_e32 v37, v28
	v_cvt_f64_f32_e32 v[34:35], v28
	v_frexp_exp_i32_f64_e32 v34, v[34:35]
	v_cmp_gt_f32_e32 vcc, s54, v37
	s_mov_b32 s54, 0x3f317218
	s_nop 0
	v_subbrev_co_u32_e32 v42, vcc, 0, v34, vcc
	v_sub_u32_e32 v34, 0, v42
	v_ldexp_f32 v28, v28, v34
	v_ldexp_f32 v34, v36, v34
	v_add_f32_e32 v36, -1.0, v28
	v_add_f32_e32 v35, 1.0, v36
	v_sub_f32_e32 v35, v28, v35
	v_add_f32_e32 v37, v34, v35
	v_add_f32_e32 v35, 1.0, v28
	v_add_f32_e32 v38, -1.0, v35
	v_sub_f32_e32 v28, v28, v38
	v_add_f32_e32 v28, v34, v28
	v_add_f32_e32 v43, v35, v28
	v_rcp_f32_e32 v44, v43
	v_sub_f32_e32 v34, v35, v43
	v_add_f32_e32 v35, v36, v37
	v_add_f32_e32 v28, v28, v34
	v_mul_f32_e32 v46, v35, v44
	v_sub_f32_e32 v34, v36, v35
	v_mul_f32_e32 v36, v43, v46
	v_fma_f32 v38, v46, v43, -v36
	v_fmac_f32_e32 v38, v46, v28
	v_add_f32_e32 v45, v37, v34
	v_add_f32_e32 v34, v36, v38
	v_sub_f32_e32 v37, v35, v34
	v_pk_add_f32 v[40:41], v[34:35], v[36:37] neg_lo:[0,1] neg_hi:[0,1]
	v_mov_b32_e32 v39, v34
	v_pk_add_f32 v[34:35], v[40:41], v[38:39] neg_lo:[0,1] neg_hi:[0,1]
	v_cmp_neq_f32_e32 vcc, s55, v27
	v_add_f32_e32 v35, v45, v35
	v_add_f32_e32 v34, v34, v35
	;; [unrolled: 1-line block ×3, first 2 shown]
	v_mul_f32_e32 v45, v44, v35
	v_mul_f32_e32 v36, v43, v45
	v_fma_f32 v38, v45, v43, -v36
	v_fmac_f32_e32 v38, v45, v28
	v_sub_f32_e32 v28, v37, v35
	v_add_f32_e32 v28, v34, v28
	v_add_f32_e32 v34, v36, v38
	v_sub_f32_e32 v37, v35, v34
	v_pk_add_f32 v[40:41], v[34:35], v[36:37] neg_lo:[0,1] neg_hi:[0,1]
	v_mov_b32_e32 v39, v34
	v_pk_add_f32 v[34:35], v[40:41], v[38:39] neg_lo:[0,1] neg_hi:[0,1]
	v_cvt_f32_i32_e32 v36, v42
	v_add_f32_e32 v28, v28, v35
	v_add_f32_e32 v28, v34, v28
	v_add_f32_e32 v34, v46, v45
	v_add_f32_e32 v28, v37, v28
	v_sub_f32_e32 v35, v34, v46
	v_mul_f32_e32 v28, v44, v28
	v_sub_f32_e32 v35, v45, v35
	v_add_f32_e32 v28, v35, v28
	v_add_f32_e32 v37, v34, v28
	v_mul_f32_e32 v38, v37, v37
	v_mov_b32_e32 v35, 0x3ecc95a3
	v_fmac_f32_e32 v35, 0x3e9b6dac, v38
	v_sub_f32_e32 v34, v37, v34
	v_fmaak_f32 v35, v38, v35, 0x3f2aaada
	v_sub_f32_e32 v28, v28, v34
	v_ldexp_f32 v39, v37, 1
	v_mul_f32_e32 v37, v37, v38
	v_mov_b32_e32 v34, 0x3f317218
	v_pk_mul_f32 v[34:35], v[36:37], v[34:35]
	v_ldexp_f32 v28, v28, 1
	v_fma_f32 v37, v36, s54, -v34
	v_fmamk_f32 v38, v36, 0xb102e308, v37
	v_pk_add_f32 v[36:37], v[34:35], v[38:39]
	v_mov_b32_e32 v40, v34
	v_sub_f32_e32 v39, v37, v39
	v_sub_f32_e32 v39, v35, v39
	v_add_f32_e32 v41, v28, v39
	v_pk_add_f32 v[34:35], v[36:37], v[34:35] neg_lo:[0,1] neg_hi:[0,1]
	v_pk_add_f32 v[42:43], v[36:37], v[40:41]
	v_mov_b32_e32 v39, v36
	v_mov_b32_e32 v35, v43
	v_pk_add_f32 v[44:45], v[38:39], v[34:35] neg_lo:[0,1] neg_hi:[0,1]
	v_pk_add_f32 v[34:35], v[38:39], v[34:35]
	v_mov_b32_e32 v40, v41
	v_pk_add_f32 v[38:39], v[34:35], v[36:37] op_sel:[1,0] op_sel_hi:[0,1] neg_lo:[0,1] neg_hi:[0,1]
	v_pk_add_f32 v[46:47], v[42:43], v[38:39] op_sel_hi:[1,0] neg_lo:[0,1] neg_hi:[0,1]
	v_mov_b32_e32 v42, v43
	v_mov_b32_e32 v43, v35
	v_pk_mov_b32 v[38:39], v[36:37], v[38:39] op_sel:[1,0]
	v_mov_b32_e32 v41, v36
	v_pk_add_f32 v[38:39], v[42:43], v[38:39] neg_lo:[0,1] neg_hi:[0,1]
	v_mov_b32_e32 v46, v44
	v_pk_add_f32 v[36:37], v[40:41], v[38:39] neg_lo:[0,1] neg_hi:[0,1]
	v_mov_b32_e32 v45, v35
	v_pk_add_f32 v[38:39], v[46:47], v[36:37]
	s_mov_b32 s54, 0x33800000
	v_pk_add_f32 v[40:41], v[38:39], v[38:39] op_sel:[0,1] op_sel_hi:[1,0]
	s_nop 0
	v_pk_add_f32 v[34:35], v[34:35], v[40:41] op_sel:[1,0] op_sel_hi:[0,1]
	v_mov_b32_e32 v39, v34
	v_pk_add_f32 v[42:43], v[38:39], v[44:45] neg_lo:[0,1] neg_hi:[0,1]
	v_mov_b32_e32 v37, v40
	v_sub_f32_e32 v28, v38, v42
	v_pk_add_f32 v[36:37], v[36:37], v[42:43] neg_lo:[0,1] neg_hi:[0,1]
	v_sub_f32_e32 v28, v44, v28
	v_add_f32_e32 v28, v36, v28
	v_add_f32_e32 v28, v28, v37
	v_add_f32_e32 v28, v34, v28
	v_cndmask_b32_e32 v28, v33, v28, vcc
	v_cmp_lt_f32_e64 vcc, |v27|, s54
	s_nop 1
	v_cndmask_b32_e32 v27, v28, v27, vcc
	v_add_f32_e32 v27, v24, v27
.LBB474_50:
	s_or_b64 exec, exec, s[52:53]
	v_bfe_u32 v24, v27, 16, 1
	s_movk_i32 s60, 0x7fff
	v_add3_u32 v24, v27, v24, s60
	v_and_b32_e32 v24, 0xffff0000, v24
	v_mov_b32_e32 v28, 0x7fc00000
	v_cmp_o_f32_e32 vcc, v27, v27
	s_nop 1
	v_cndmask_b32_e32 v34, v28, v24, vcc
	v_lshlrev_b32_e32 v24, 16, v26
	v_max_f32_e32 v33, v34, v34
	v_max_f32_e32 v27, v24, v24
	v_min_f32_e32 v35, v33, v27
	v_cmp_u_f32_e32 vcc, v34, v34
	v_max_f32_e32 v33, v33, v27
	v_cmp_u_f32_e64 s[52:53], v24, v24
	v_cndmask_b32_e32 v35, v35, v34, vcc
	v_cndmask_b32_e32 v33, v33, v34, vcc
	v_cndmask_b32_e64 v35, v35, v24, s[52:53]
	v_cndmask_b32_e64 v33, v33, v24, s[52:53]
	v_cmp_neq_f32_e32 vcc, v35, v33
	v_cmp_class_f32_e64 s[54:55], v35, s33
	s_or_b64 s[62:63], vcc, s[54:55]
	s_and_saveexec_b64 s[54:55], s[62:63]
	s_cbranch_execz .LBB474_52
; %bb.51:
	v_sub_f32_e32 v34, v35, v33
	s_mov_b32 s33, 0x3fb8aa3b
	v_mul_f32_e32 v35, 0x3fb8aa3b, v34
	v_fma_f32 v36, v34, s33, -v35
	v_rndne_f32_e32 v37, v35
	v_fmamk_f32 v36, v34, 0x32a5705f, v36
	v_sub_f32_e32 v35, v35, v37
	v_add_f32_e32 v35, v35, v36
	v_exp_f32_e32 v35, v35
	v_cvt_i32_f32_e32 v36, v37
	s_mov_b32 s33, 0xc2ce8ed0
	v_cmp_ngt_f32_e32 vcc, s33, v34
	s_mov_b32 s33, 0x42b17218
	v_ldexp_f32 v35, v35, v36
	v_cndmask_b32_e32 v35, 0, v35, vcc
	v_mov_b32_e32 v48, 0x7f800000
	v_cmp_nlt_f32_e32 vcc, s33, v34
	s_mov_b32 s33, 0x3f2aaaab
	s_mov_b32 s61, 0x7f800000
	v_cndmask_b32_e32 v49, v48, v35, vcc
	v_add_f32_e32 v36, 1.0, v49
	v_add_f32_e32 v34, -1.0, v36
	v_sub_f32_e32 v35, v34, v36
	v_add_f32_e32 v35, 1.0, v35
	v_sub_f32_e32 v34, v49, v34
	v_add_f32_e32 v37, v34, v35
	v_frexp_mant_f32_e32 v38, v36
	v_cvt_f64_f32_e32 v[34:35], v36
	v_frexp_exp_i32_f64_e32 v34, v[34:35]
	v_cmp_gt_f32_e32 vcc, s33, v38
	s_mov_b32 s33, 0x3f317218
	s_nop 0
	v_subbrev_co_u32_e32 v42, vcc, 0, v34, vcc
	v_sub_u32_e32 v34, 0, v42
	v_ldexp_f32 v35, v36, v34
	v_add_f32_e32 v36, -1.0, v35
	v_add_f32_e32 v38, 1.0, v35
	v_ldexp_f32 v34, v37, v34
	v_add_f32_e32 v37, 1.0, v36
	v_add_f32_e32 v39, -1.0, v38
	v_sub_f32_e32 v37, v35, v37
	v_sub_f32_e32 v35, v35, v39
	v_add_f32_e32 v37, v34, v37
	v_add_f32_e32 v34, v34, v35
	;; [unrolled: 1-line block ×3, first 2 shown]
	v_rcp_f32_e32 v45, v43
	v_sub_f32_e32 v35, v38, v43
	v_add_f32_e32 v44, v34, v35
	v_add_f32_e32 v35, v36, v37
	v_mul_f32_e32 v47, v35, v45
	v_sub_f32_e32 v34, v36, v35
	v_mul_f32_e32 v36, v43, v47
	v_fma_f32 v38, v47, v43, -v36
	v_fmac_f32_e32 v38, v47, v44
	v_add_f32_e32 v46, v37, v34
	v_add_f32_e32 v34, v36, v38
	v_sub_f32_e32 v37, v35, v34
	v_pk_add_f32 v[40:41], v[34:35], v[36:37] neg_lo:[0,1] neg_hi:[0,1]
	v_mov_b32_e32 v39, v34
	v_pk_add_f32 v[34:35], v[40:41], v[38:39] neg_lo:[0,1] neg_hi:[0,1]
	v_cmp_neq_f32_e32 vcc, s61, v49
	v_add_f32_e32 v35, v46, v35
	v_add_f32_e32 v34, v34, v35
	;; [unrolled: 1-line block ×3, first 2 shown]
	v_mul_f32_e32 v46, v45, v35
	v_mul_f32_e32 v36, v43, v46
	v_fma_f32 v38, v46, v43, -v36
	v_fmac_f32_e32 v38, v46, v44
	v_sub_f32_e32 v37, v37, v35
	v_add_f32_e32 v43, v34, v37
	v_add_f32_e32 v34, v36, v38
	v_sub_f32_e32 v37, v35, v34
	v_pk_add_f32 v[40:41], v[34:35], v[36:37] neg_lo:[0,1] neg_hi:[0,1]
	v_mov_b32_e32 v39, v34
	v_pk_add_f32 v[34:35], v[40:41], v[38:39] neg_lo:[0,1] neg_hi:[0,1]
	v_cvt_f32_i32_e32 v36, v42
	v_add_f32_e32 v35, v43, v35
	v_add_f32_e32 v34, v34, v35
	;; [unrolled: 1-line block ×4, first 2 shown]
	v_sub_f32_e32 v35, v37, v47
	v_mul_f32_e32 v34, v45, v34
	v_sub_f32_e32 v35, v46, v35
	v_add_f32_e32 v34, v35, v34
	v_add_f32_e32 v38, v37, v34
	v_mul_f32_e32 v40, v38, v38
	v_mov_b32_e32 v35, 0x3ecc95a3
	v_sub_f32_e32 v37, v38, v37
	v_fmac_f32_e32 v35, 0x3e9b6dac, v40
	v_sub_f32_e32 v34, v34, v37
	v_fmaak_f32 v35, v40, v35, 0x3f2aaada
	v_ldexp_f32 v41, v34, 1
	v_mul_f32_e32 v37, v38, v40
	v_mov_b32_e32 v34, 0x3f317218
	v_pk_mul_f32 v[34:35], v[36:37], v[34:35]
	v_ldexp_f32 v39, v38, 1
	v_fma_f32 v37, v36, s33, -v34
	v_fmamk_f32 v38, v36, 0xb102e308, v37
	v_pk_add_f32 v[36:37], v[34:35], v[38:39]
	v_mov_b32_e32 v40, v34
	v_sub_f32_e32 v39, v37, v39
	v_sub_f32_e32 v39, v35, v39
	v_add_f32_e32 v41, v41, v39
	v_pk_add_f32 v[34:35], v[36:37], v[34:35] neg_lo:[0,1] neg_hi:[0,1]
	v_pk_add_f32 v[42:43], v[36:37], v[40:41]
	v_mov_b32_e32 v39, v36
	v_mov_b32_e32 v35, v43
	v_pk_add_f32 v[44:45], v[38:39], v[34:35] neg_lo:[0,1] neg_hi:[0,1]
	v_pk_add_f32 v[34:35], v[38:39], v[34:35]
	v_mov_b32_e32 v40, v41
	v_pk_add_f32 v[38:39], v[34:35], v[36:37] op_sel:[1,0] op_sel_hi:[0,1] neg_lo:[0,1] neg_hi:[0,1]
	v_pk_add_f32 v[46:47], v[42:43], v[38:39] op_sel_hi:[1,0] neg_lo:[0,1] neg_hi:[0,1]
	v_mov_b32_e32 v42, v43
	v_mov_b32_e32 v43, v35
	v_pk_mov_b32 v[38:39], v[36:37], v[38:39] op_sel:[1,0]
	v_mov_b32_e32 v41, v36
	v_pk_add_f32 v[38:39], v[42:43], v[38:39] neg_lo:[0,1] neg_hi:[0,1]
	v_mov_b32_e32 v46, v44
	v_pk_add_f32 v[36:37], v[40:41], v[38:39] neg_lo:[0,1] neg_hi:[0,1]
	v_mov_b32_e32 v45, v35
	v_pk_add_f32 v[38:39], v[46:47], v[36:37]
	s_mov_b32 s33, 0x33800000
	v_pk_add_f32 v[40:41], v[38:39], v[38:39] op_sel:[0,1] op_sel_hi:[1,0]
	s_nop 0
	v_pk_add_f32 v[34:35], v[34:35], v[40:41] op_sel:[1,0] op_sel_hi:[0,1]
	v_mov_b32_e32 v39, v34
	v_pk_add_f32 v[42:43], v[38:39], v[44:45] neg_lo:[0,1] neg_hi:[0,1]
	v_mov_b32_e32 v37, v40
	v_sub_f32_e32 v35, v38, v42
	v_pk_add_f32 v[36:37], v[36:37], v[42:43] neg_lo:[0,1] neg_hi:[0,1]
	v_sub_f32_e32 v35, v44, v35
	v_add_f32_e32 v35, v36, v35
	v_add_f32_e32 v35, v35, v37
	;; [unrolled: 1-line block ×3, first 2 shown]
	v_cndmask_b32_e32 v34, v48, v34, vcc
	v_cmp_lt_f32_e64 vcc, |v49|, s33
	s_nop 1
	v_cndmask_b32_e32 v34, v34, v49, vcc
	v_add_f32_e32 v34, v33, v34
.LBB474_52:
	s_or_b64 exec, exec, s[54:55]
	v_bfe_u32 v33, v34, 16, 1
	v_add3_u32 v33, v34, v33, s60
	v_and_b32_e32 v33, 0xffff0000, v33
	v_cmp_o_f32_e32 vcc, v34, v34
	v_and_b32_e32 v26, 0xffff0000, v26
	v_cmp_u_f32_e64 s[54:55], v26, v26
	v_cndmask_b32_e32 v34, v28, v33, vcc
	v_max_f32_e32 v33, v34, v34
	v_max_f32_e32 v28, v26, v26
	v_min_f32_e32 v35, v33, v28
	v_cmp_u_f32_e32 vcc, v34, v34
	v_max_f32_e32 v33, v33, v28
	s_movk_i32 s33, 0x1f8
	v_cndmask_b32_e32 v35, v35, v34, vcc
	v_cndmask_b32_e32 v33, v33, v34, vcc
	v_cndmask_b32_e64 v35, v35, v26, s[54:55]
	v_cndmask_b32_e64 v33, v33, v26, s[54:55]
	v_cmp_neq_f32_e32 vcc, v35, v33
	v_cmp_class_f32_e64 s[60:61], v35, s33
	s_or_b64 s[62:63], vcc, s[60:61]
	s_and_saveexec_b64 s[60:61], s[62:63]
	s_cbranch_execz .LBB474_54
; %bb.53:
	v_sub_f32_e32 v34, v35, v33
	s_mov_b32 s33, 0x3fb8aa3b
	v_mul_f32_e32 v35, 0x3fb8aa3b, v34
	v_fma_f32 v36, v34, s33, -v35
	v_rndne_f32_e32 v37, v35
	v_fmamk_f32 v36, v34, 0x32a5705f, v36
	v_sub_f32_e32 v35, v35, v37
	v_add_f32_e32 v35, v35, v36
	v_exp_f32_e32 v35, v35
	v_cvt_i32_f32_e32 v36, v37
	s_mov_b32 s33, 0xc2ce8ed0
	v_cmp_ngt_f32_e32 vcc, s33, v34
	s_mov_b32 s33, 0x42b17218
	v_ldexp_f32 v35, v35, v36
	v_cndmask_b32_e32 v35, 0, v35, vcc
	v_mov_b32_e32 v48, 0x7f800000
	v_cmp_nlt_f32_e32 vcc, s33, v34
	s_mov_b32 s33, 0x3f2aaaab
	s_mov_b32 s62, 0x7f800000
	v_cndmask_b32_e32 v49, v48, v35, vcc
	v_add_f32_e32 v36, 1.0, v49
	v_add_f32_e32 v34, -1.0, v36
	v_sub_f32_e32 v35, v34, v36
	v_add_f32_e32 v35, 1.0, v35
	v_sub_f32_e32 v34, v49, v34
	v_add_f32_e32 v37, v34, v35
	v_frexp_mant_f32_e32 v38, v36
	v_cvt_f64_f32_e32 v[34:35], v36
	v_frexp_exp_i32_f64_e32 v34, v[34:35]
	v_cmp_gt_f32_e32 vcc, s33, v38
	s_mov_b32 s33, 0x3f317218
	s_nop 0
	v_subbrev_co_u32_e32 v42, vcc, 0, v34, vcc
	v_sub_u32_e32 v34, 0, v42
	v_ldexp_f32 v35, v36, v34
	v_add_f32_e32 v36, -1.0, v35
	v_add_f32_e32 v38, 1.0, v35
	v_ldexp_f32 v34, v37, v34
	v_add_f32_e32 v37, 1.0, v36
	v_add_f32_e32 v39, -1.0, v38
	v_sub_f32_e32 v37, v35, v37
	v_sub_f32_e32 v35, v35, v39
	v_add_f32_e32 v37, v34, v37
	v_add_f32_e32 v34, v34, v35
	;; [unrolled: 1-line block ×3, first 2 shown]
	v_rcp_f32_e32 v45, v43
	v_sub_f32_e32 v35, v38, v43
	v_add_f32_e32 v44, v34, v35
	v_add_f32_e32 v35, v36, v37
	v_mul_f32_e32 v47, v35, v45
	v_sub_f32_e32 v34, v36, v35
	v_mul_f32_e32 v36, v43, v47
	v_fma_f32 v38, v47, v43, -v36
	v_fmac_f32_e32 v38, v47, v44
	v_add_f32_e32 v46, v37, v34
	v_add_f32_e32 v34, v36, v38
	v_sub_f32_e32 v37, v35, v34
	v_pk_add_f32 v[40:41], v[34:35], v[36:37] neg_lo:[0,1] neg_hi:[0,1]
	v_mov_b32_e32 v39, v34
	v_pk_add_f32 v[34:35], v[40:41], v[38:39] neg_lo:[0,1] neg_hi:[0,1]
	v_cmp_neq_f32_e32 vcc, s62, v49
	v_add_f32_e32 v35, v46, v35
	v_add_f32_e32 v34, v34, v35
	;; [unrolled: 1-line block ×3, first 2 shown]
	v_mul_f32_e32 v46, v45, v35
	v_mul_f32_e32 v36, v43, v46
	v_fma_f32 v38, v46, v43, -v36
	v_fmac_f32_e32 v38, v46, v44
	v_sub_f32_e32 v37, v37, v35
	v_add_f32_e32 v43, v34, v37
	v_add_f32_e32 v34, v36, v38
	v_sub_f32_e32 v37, v35, v34
	v_pk_add_f32 v[40:41], v[34:35], v[36:37] neg_lo:[0,1] neg_hi:[0,1]
	v_mov_b32_e32 v39, v34
	v_pk_add_f32 v[34:35], v[40:41], v[38:39] neg_lo:[0,1] neg_hi:[0,1]
	v_cvt_f32_i32_e32 v36, v42
	v_add_f32_e32 v35, v43, v35
	v_add_f32_e32 v34, v34, v35
	;; [unrolled: 1-line block ×4, first 2 shown]
	v_sub_f32_e32 v35, v37, v47
	v_mul_f32_e32 v34, v45, v34
	v_sub_f32_e32 v35, v46, v35
	v_add_f32_e32 v34, v35, v34
	v_add_f32_e32 v38, v37, v34
	v_mul_f32_e32 v40, v38, v38
	v_mov_b32_e32 v35, 0x3ecc95a3
	v_sub_f32_e32 v37, v38, v37
	v_fmac_f32_e32 v35, 0x3e9b6dac, v40
	v_sub_f32_e32 v34, v34, v37
	v_fmaak_f32 v35, v40, v35, 0x3f2aaada
	v_ldexp_f32 v41, v34, 1
	v_mul_f32_e32 v37, v38, v40
	v_mov_b32_e32 v34, 0x3f317218
	v_pk_mul_f32 v[34:35], v[36:37], v[34:35]
	v_ldexp_f32 v39, v38, 1
	v_fma_f32 v37, v36, s33, -v34
	v_fmamk_f32 v38, v36, 0xb102e308, v37
	v_pk_add_f32 v[36:37], v[34:35], v[38:39]
	v_mov_b32_e32 v40, v34
	v_sub_f32_e32 v39, v37, v39
	v_sub_f32_e32 v39, v35, v39
	v_add_f32_e32 v41, v41, v39
	v_pk_add_f32 v[34:35], v[36:37], v[34:35] neg_lo:[0,1] neg_hi:[0,1]
	v_pk_add_f32 v[42:43], v[36:37], v[40:41]
	v_mov_b32_e32 v39, v36
	v_mov_b32_e32 v35, v43
	v_pk_add_f32 v[44:45], v[38:39], v[34:35] neg_lo:[0,1] neg_hi:[0,1]
	v_pk_add_f32 v[34:35], v[38:39], v[34:35]
	v_mov_b32_e32 v40, v41
	v_pk_add_f32 v[38:39], v[34:35], v[36:37] op_sel:[1,0] op_sel_hi:[0,1] neg_lo:[0,1] neg_hi:[0,1]
	v_pk_add_f32 v[46:47], v[42:43], v[38:39] op_sel_hi:[1,0] neg_lo:[0,1] neg_hi:[0,1]
	v_mov_b32_e32 v42, v43
	v_mov_b32_e32 v43, v35
	v_pk_mov_b32 v[38:39], v[36:37], v[38:39] op_sel:[1,0]
	v_mov_b32_e32 v41, v36
	v_pk_add_f32 v[38:39], v[42:43], v[38:39] neg_lo:[0,1] neg_hi:[0,1]
	v_mov_b32_e32 v46, v44
	v_pk_add_f32 v[36:37], v[40:41], v[38:39] neg_lo:[0,1] neg_hi:[0,1]
	v_mov_b32_e32 v45, v35
	v_pk_add_f32 v[38:39], v[46:47], v[36:37]
	s_mov_b32 s33, 0x33800000
	v_pk_add_f32 v[40:41], v[38:39], v[38:39] op_sel:[0,1] op_sel_hi:[1,0]
	s_nop 0
	v_pk_add_f32 v[34:35], v[34:35], v[40:41] op_sel:[1,0] op_sel_hi:[0,1]
	v_mov_b32_e32 v39, v34
	v_pk_add_f32 v[42:43], v[38:39], v[44:45] neg_lo:[0,1] neg_hi:[0,1]
	v_mov_b32_e32 v37, v40
	v_sub_f32_e32 v35, v38, v42
	v_pk_add_f32 v[36:37], v[36:37], v[42:43] neg_lo:[0,1] neg_hi:[0,1]
	v_sub_f32_e32 v35, v44, v35
	v_add_f32_e32 v35, v36, v35
	v_add_f32_e32 v35, v35, v37
	;; [unrolled: 1-line block ×3, first 2 shown]
	v_cndmask_b32_e32 v34, v48, v34, vcc
	v_cmp_lt_f32_e64 vcc, |v49|, s33
	s_nop 1
	v_cndmask_b32_e32 v34, v34, v49, vcc
	v_add_f32_e32 v34, v33, v34
.LBB474_54:
	s_or_b64 exec, exec, s[60:61]
	v_bfe_u32 v33, v34, 16, 1
	s_movk_i32 s33, 0x7fff
	v_add3_u32 v33, v34, v33, s33
	v_cmp_o_f32_e32 vcc, v34, v34
	v_mov_b32_e32 v34, 0x7fc0
	s_nop 0
	v_cndmask_b32_sdwa v36, v34, v33, vcc dst_sel:DWORD dst_unused:UNUSED_PAD src0_sel:DWORD src1_sel:WORD_1
	v_mbcnt_lo_u32_b32 v33, -1, 0
	v_mbcnt_hi_u32_b32 v34, -1, v33
	v_and_b32_e32 v35, 15, v34
	v_and_b32_e32 v37, 0xffff, v36
	v_cmp_ne_u32_e32 vcc, 0, v35
	s_nop 0
	v_mov_b32_dpp v33, v37 row_shr:1 row_mask:0xf bank_mask:0xf
	s_and_saveexec_b64 s[62:63], vcc
	s_cbranch_execz .LBB474_58
; %bb.55:
	v_lshlrev_b32_e32 v36, 16, v33
	v_lshlrev_b32_e32 v33, 16, v37
	v_max_f32_e32 v38, v33, v33
	v_max_f32_e32 v39, v36, v36
	v_min_f32_e32 v37, v39, v38
	v_cmp_u_f32_e32 vcc, v36, v36
	v_max_f32_e32 v38, v39, v38
	v_cmp_u_f32_e64 s[60:61], v33, v33
	v_cndmask_b32_e32 v37, v37, v36, vcc
	v_cndmask_b32_e32 v38, v38, v36, vcc
	v_cndmask_b32_e64 v37, v37, v33, s[60:61]
	v_cndmask_b32_e64 v33, v38, v33, s[60:61]
	s_movk_i32 s33, 0x1f8
	v_cmp_neq_f32_e32 vcc, v37, v33
	v_cmp_class_f32_e64 s[60:61], v37, s33
	s_or_b64 s[64:65], vcc, s[60:61]
	s_and_saveexec_b64 s[60:61], s[64:65]
	s_cbranch_execz .LBB474_57
; %bb.56:
	v_sub_f32_e32 v36, v37, v33
	s_mov_b32 s33, 0x3fb8aa3b
	v_mul_f32_e32 v37, 0x3fb8aa3b, v36
	v_fma_f32 v38, v36, s33, -v37
	v_rndne_f32_e32 v39, v37
	v_fmamk_f32 v38, v36, 0x32a5705f, v38
	v_sub_f32_e32 v37, v37, v39
	v_add_f32_e32 v37, v37, v38
	v_exp_f32_e32 v37, v37
	v_cvt_i32_f32_e32 v38, v39
	s_mov_b32 s33, 0xc2ce8ed0
	v_cmp_ngt_f32_e32 vcc, s33, v36
	s_mov_b32 s33, 0x42b17218
	v_ldexp_f32 v37, v37, v38
	v_cndmask_b32_e32 v37, 0, v37, vcc
	v_mov_b32_e32 v50, 0x7f800000
	v_cmp_nlt_f32_e32 vcc, s33, v36
	s_mov_b32 s33, 0x3f2aaaab
	s_mov_b32 s64, 0x7f800000
	v_cndmask_b32_e32 v51, v50, v37, vcc
	v_add_f32_e32 v38, 1.0, v51
	v_add_f32_e32 v36, -1.0, v38
	v_sub_f32_e32 v37, v36, v38
	v_add_f32_e32 v37, 1.0, v37
	v_sub_f32_e32 v36, v51, v36
	v_add_f32_e32 v39, v36, v37
	v_frexp_mant_f32_e32 v40, v38
	v_cvt_f64_f32_e32 v[36:37], v38
	v_frexp_exp_i32_f64_e32 v36, v[36:37]
	v_cmp_gt_f32_e32 vcc, s33, v40
	s_mov_b32 s33, 0x3f317218
	s_nop 0
	v_subbrev_co_u32_e32 v44, vcc, 0, v36, vcc
	v_sub_u32_e32 v36, 0, v44
	v_ldexp_f32 v37, v38, v36
	v_add_f32_e32 v38, -1.0, v37
	v_add_f32_e32 v40, 1.0, v37
	v_ldexp_f32 v36, v39, v36
	v_add_f32_e32 v39, 1.0, v38
	v_add_f32_e32 v41, -1.0, v40
	v_sub_f32_e32 v39, v37, v39
	v_sub_f32_e32 v37, v37, v41
	v_add_f32_e32 v39, v36, v39
	v_add_f32_e32 v36, v36, v37
	;; [unrolled: 1-line block ×3, first 2 shown]
	v_rcp_f32_e32 v47, v45
	v_sub_f32_e32 v37, v40, v45
	v_add_f32_e32 v46, v36, v37
	v_add_f32_e32 v37, v38, v39
	v_mul_f32_e32 v49, v37, v47
	v_sub_f32_e32 v36, v38, v37
	v_mul_f32_e32 v38, v45, v49
	v_fma_f32 v40, v49, v45, -v38
	v_fmac_f32_e32 v40, v49, v46
	v_add_f32_e32 v48, v39, v36
	v_add_f32_e32 v36, v38, v40
	v_sub_f32_e32 v39, v37, v36
	v_pk_add_f32 v[42:43], v[36:37], v[38:39] neg_lo:[0,1] neg_hi:[0,1]
	v_mov_b32_e32 v41, v36
	v_pk_add_f32 v[36:37], v[42:43], v[40:41] neg_lo:[0,1] neg_hi:[0,1]
	v_cmp_neq_f32_e32 vcc, s64, v51
	v_add_f32_e32 v37, v48, v37
	v_add_f32_e32 v36, v36, v37
	v_add_f32_e32 v37, v39, v36
	v_mul_f32_e32 v48, v47, v37
	v_mul_f32_e32 v38, v45, v48
	v_fma_f32 v40, v48, v45, -v38
	v_fmac_f32_e32 v40, v48, v46
	v_sub_f32_e32 v39, v39, v37
	v_add_f32_e32 v45, v36, v39
	v_add_f32_e32 v36, v38, v40
	v_sub_f32_e32 v39, v37, v36
	v_pk_add_f32 v[42:43], v[36:37], v[38:39] neg_lo:[0,1] neg_hi:[0,1]
	v_mov_b32_e32 v41, v36
	v_pk_add_f32 v[36:37], v[42:43], v[40:41] neg_lo:[0,1] neg_hi:[0,1]
	v_cvt_f32_i32_e32 v38, v44
	v_add_f32_e32 v37, v45, v37
	v_add_f32_e32 v36, v36, v37
	;; [unrolled: 1-line block ×4, first 2 shown]
	v_sub_f32_e32 v37, v39, v49
	v_mul_f32_e32 v36, v47, v36
	v_sub_f32_e32 v37, v48, v37
	v_add_f32_e32 v36, v37, v36
	v_add_f32_e32 v40, v39, v36
	v_mul_f32_e32 v42, v40, v40
	v_mov_b32_e32 v37, 0x3ecc95a3
	v_sub_f32_e32 v39, v40, v39
	v_fmac_f32_e32 v37, 0x3e9b6dac, v42
	v_sub_f32_e32 v36, v36, v39
	v_fmaak_f32 v37, v42, v37, 0x3f2aaada
	v_ldexp_f32 v43, v36, 1
	v_mul_f32_e32 v39, v40, v42
	v_mov_b32_e32 v36, 0x3f317218
	v_pk_mul_f32 v[36:37], v[38:39], v[36:37]
	v_ldexp_f32 v41, v40, 1
	v_fma_f32 v39, v38, s33, -v36
	v_fmamk_f32 v40, v38, 0xb102e308, v39
	v_pk_add_f32 v[38:39], v[36:37], v[40:41]
	v_mov_b32_e32 v42, v36
	v_sub_f32_e32 v41, v39, v41
	v_sub_f32_e32 v41, v37, v41
	v_add_f32_e32 v43, v43, v41
	v_pk_add_f32 v[36:37], v[38:39], v[36:37] neg_lo:[0,1] neg_hi:[0,1]
	v_pk_add_f32 v[44:45], v[38:39], v[42:43]
	v_mov_b32_e32 v41, v38
	v_mov_b32_e32 v37, v45
	v_pk_add_f32 v[46:47], v[40:41], v[36:37] neg_lo:[0,1] neg_hi:[0,1]
	v_pk_add_f32 v[36:37], v[40:41], v[36:37]
	v_mov_b32_e32 v42, v43
	v_pk_add_f32 v[40:41], v[36:37], v[38:39] op_sel:[1,0] op_sel_hi:[0,1] neg_lo:[0,1] neg_hi:[0,1]
	v_pk_add_f32 v[48:49], v[44:45], v[40:41] op_sel_hi:[1,0] neg_lo:[0,1] neg_hi:[0,1]
	v_mov_b32_e32 v44, v45
	v_mov_b32_e32 v45, v37
	v_pk_mov_b32 v[40:41], v[38:39], v[40:41] op_sel:[1,0]
	v_mov_b32_e32 v43, v38
	v_pk_add_f32 v[40:41], v[44:45], v[40:41] neg_lo:[0,1] neg_hi:[0,1]
	v_mov_b32_e32 v48, v46
	v_pk_add_f32 v[38:39], v[42:43], v[40:41] neg_lo:[0,1] neg_hi:[0,1]
	v_mov_b32_e32 v47, v37
	v_pk_add_f32 v[40:41], v[48:49], v[38:39]
	s_mov_b32 s33, 0x33800000
	v_pk_add_f32 v[42:43], v[40:41], v[40:41] op_sel:[0,1] op_sel_hi:[1,0]
	s_nop 0
	v_pk_add_f32 v[36:37], v[36:37], v[42:43] op_sel:[1,0] op_sel_hi:[0,1]
	v_mov_b32_e32 v41, v36
	v_pk_add_f32 v[44:45], v[40:41], v[46:47] neg_lo:[0,1] neg_hi:[0,1]
	v_mov_b32_e32 v39, v42
	v_sub_f32_e32 v37, v40, v44
	v_pk_add_f32 v[38:39], v[38:39], v[44:45] neg_lo:[0,1] neg_hi:[0,1]
	v_sub_f32_e32 v37, v46, v37
	v_add_f32_e32 v37, v38, v37
	v_add_f32_e32 v37, v37, v39
	;; [unrolled: 1-line block ×3, first 2 shown]
	v_cndmask_b32_e32 v36, v50, v36, vcc
	v_cmp_lt_f32_e64 vcc, |v51|, s33
	s_nop 1
	v_cndmask_b32_e32 v36, v36, v51, vcc
	v_add_f32_e32 v36, v33, v36
.LBB474_57:
	s_or_b64 exec, exec, s[60:61]
	v_bfe_u32 v33, v36, 16, 1
	s_movk_i32 s33, 0x7fff
	v_add3_u32 v33, v36, v33, s33
	v_cmp_o_f32_e32 vcc, v36, v36
	v_mov_b32_e32 v36, 0x7fc0
	s_nop 0
	v_cndmask_b32_sdwa v36, v36, v33, vcc dst_sel:DWORD dst_unused:UNUSED_PAD src0_sel:DWORD src1_sel:WORD_1
	v_and_b32_e32 v37, 0xffff, v36
.LBB474_58:
	s_or_b64 exec, exec, s[62:63]
	s_load_dwordx2 s[60:61], s[0:1], 0x18
	v_mul_u32_u24_e32 v33, 26, v0
	v_mov_b32_dpp v38, v37 row_shr:2 row_mask:0xf bank_mask:0xf
	v_cmp_lt_u32_e32 vcc, 1, v35
	s_and_saveexec_b64 s[62:63], vcc
	s_cbranch_execz .LBB474_62
; %bb.59:
	v_lshlrev_b32_e32 v38, 16, v38
	v_lshlrev_b32_e32 v36, 16, v37
	v_max_f32_e32 v39, v36, v36
	v_max_f32_e32 v40, v38, v38
	v_min_f32_e32 v37, v40, v39
	v_cmp_u_f32_e32 vcc, v38, v38
	v_max_f32_e32 v39, v40, v39
	v_cmp_u_f32_e64 s[0:1], v36, v36
	v_cndmask_b32_e32 v37, v37, v38, vcc
	v_cndmask_b32_e32 v39, v39, v38, vcc
	v_cndmask_b32_e64 v37, v37, v36, s[0:1]
	v_cndmask_b32_e64 v36, v39, v36, s[0:1]
	s_movk_i32 s0, 0x1f8
	v_cmp_neq_f32_e32 vcc, v37, v36
	v_cmp_class_f32_e64 s[0:1], v37, s0
	s_or_b64 s[64:65], vcc, s[0:1]
	s_and_saveexec_b64 s[0:1], s[64:65]
	s_cbranch_execz .LBB474_61
; %bb.60:
	v_sub_f32_e32 v37, v37, v36
	s_mov_b32 s33, 0x3fb8aa3b
	v_mul_f32_e32 v38, 0x3fb8aa3b, v37
	v_fma_f32 v39, v37, s33, -v38
	v_rndne_f32_e32 v40, v38
	v_fmamk_f32 v39, v37, 0x32a5705f, v39
	v_sub_f32_e32 v38, v38, v40
	v_add_f32_e32 v38, v38, v39
	v_exp_f32_e32 v38, v38
	v_cvt_i32_f32_e32 v39, v40
	s_mov_b32 s33, 0xc2ce8ed0
	v_cmp_ngt_f32_e32 vcc, s33, v37
	s_mov_b32 s33, 0x42b17218
	v_ldexp_f32 v38, v38, v39
	v_cndmask_b32_e32 v38, 0, v38, vcc
	v_mov_b32_e32 v52, 0x7f800000
	v_cmp_nlt_f32_e32 vcc, s33, v37
	s_mov_b32 s33, 0x3f2aaaab
	s_mov_b32 s64, 0x7f800000
	v_cndmask_b32_e32 v37, v52, v38, vcc
	v_add_f32_e32 v40, 1.0, v37
	v_add_f32_e32 v38, -1.0, v40
	v_sub_f32_e32 v39, v38, v40
	v_add_f32_e32 v39, 1.0, v39
	v_sub_f32_e32 v38, v37, v38
	v_add_f32_e32 v41, v38, v39
	v_frexp_mant_f32_e32 v42, v40
	v_cvt_f64_f32_e32 v[38:39], v40
	v_frexp_exp_i32_f64_e32 v38, v[38:39]
	v_cmp_gt_f32_e32 vcc, s33, v42
	s_mov_b32 s33, 0x3f317218
	s_nop 0
	v_subbrev_co_u32_e32 v46, vcc, 0, v38, vcc
	v_sub_u32_e32 v38, 0, v46
	v_ldexp_f32 v39, v40, v38
	v_add_f32_e32 v40, -1.0, v39
	v_add_f32_e32 v42, 1.0, v39
	v_ldexp_f32 v38, v41, v38
	v_add_f32_e32 v41, 1.0, v40
	v_add_f32_e32 v43, -1.0, v42
	v_sub_f32_e32 v41, v39, v41
	v_sub_f32_e32 v39, v39, v43
	v_add_f32_e32 v41, v38, v41
	v_add_f32_e32 v38, v38, v39
	;; [unrolled: 1-line block ×3, first 2 shown]
	v_rcp_f32_e32 v49, v47
	v_sub_f32_e32 v39, v42, v47
	v_add_f32_e32 v48, v38, v39
	v_add_f32_e32 v39, v40, v41
	v_mul_f32_e32 v51, v39, v49
	v_sub_f32_e32 v38, v40, v39
	v_mul_f32_e32 v40, v47, v51
	v_fma_f32 v42, v51, v47, -v40
	v_fmac_f32_e32 v42, v51, v48
	v_add_f32_e32 v50, v41, v38
	v_add_f32_e32 v38, v40, v42
	v_sub_f32_e32 v41, v39, v38
	v_pk_add_f32 v[44:45], v[38:39], v[40:41] neg_lo:[0,1] neg_hi:[0,1]
	v_mov_b32_e32 v43, v38
	v_pk_add_f32 v[38:39], v[44:45], v[42:43] neg_lo:[0,1] neg_hi:[0,1]
	v_cmp_neq_f32_e32 vcc, s64, v37
	v_add_f32_e32 v39, v50, v39
	v_add_f32_e32 v38, v38, v39
	;; [unrolled: 1-line block ×3, first 2 shown]
	v_mul_f32_e32 v50, v49, v39
	v_mul_f32_e32 v40, v47, v50
	v_fma_f32 v42, v50, v47, -v40
	v_fmac_f32_e32 v42, v50, v48
	v_sub_f32_e32 v41, v41, v39
	v_add_f32_e32 v47, v38, v41
	v_add_f32_e32 v38, v40, v42
	v_sub_f32_e32 v41, v39, v38
	v_pk_add_f32 v[44:45], v[38:39], v[40:41] neg_lo:[0,1] neg_hi:[0,1]
	v_mov_b32_e32 v43, v38
	v_pk_add_f32 v[38:39], v[44:45], v[42:43] neg_lo:[0,1] neg_hi:[0,1]
	v_cvt_f32_i32_e32 v40, v46
	v_add_f32_e32 v39, v47, v39
	v_add_f32_e32 v38, v38, v39
	;; [unrolled: 1-line block ×4, first 2 shown]
	v_sub_f32_e32 v39, v41, v51
	v_mul_f32_e32 v38, v49, v38
	v_sub_f32_e32 v39, v50, v39
	v_add_f32_e32 v38, v39, v38
	v_add_f32_e32 v42, v41, v38
	v_mul_f32_e32 v44, v42, v42
	v_mov_b32_e32 v39, 0x3ecc95a3
	v_sub_f32_e32 v41, v42, v41
	v_fmac_f32_e32 v39, 0x3e9b6dac, v44
	v_sub_f32_e32 v38, v38, v41
	v_fmaak_f32 v39, v44, v39, 0x3f2aaada
	v_ldexp_f32 v45, v38, 1
	v_mul_f32_e32 v41, v42, v44
	v_mov_b32_e32 v38, 0x3f317218
	v_pk_mul_f32 v[38:39], v[40:41], v[38:39]
	v_ldexp_f32 v43, v42, 1
	v_fma_f32 v41, v40, s33, -v38
	v_fmamk_f32 v42, v40, 0xb102e308, v41
	v_pk_add_f32 v[40:41], v[38:39], v[42:43]
	v_mov_b32_e32 v44, v38
	v_sub_f32_e32 v43, v41, v43
	v_sub_f32_e32 v43, v39, v43
	v_add_f32_e32 v45, v45, v43
	v_pk_add_f32 v[38:39], v[40:41], v[38:39] neg_lo:[0,1] neg_hi:[0,1]
	v_pk_add_f32 v[46:47], v[40:41], v[44:45]
	v_mov_b32_e32 v43, v40
	v_mov_b32_e32 v39, v47
	v_pk_add_f32 v[48:49], v[42:43], v[38:39] neg_lo:[0,1] neg_hi:[0,1]
	v_pk_add_f32 v[38:39], v[42:43], v[38:39]
	v_mov_b32_e32 v44, v45
	v_pk_add_f32 v[42:43], v[38:39], v[40:41] op_sel:[1,0] op_sel_hi:[0,1] neg_lo:[0,1] neg_hi:[0,1]
	v_pk_add_f32 v[50:51], v[46:47], v[42:43] op_sel_hi:[1,0] neg_lo:[0,1] neg_hi:[0,1]
	v_mov_b32_e32 v46, v47
	v_mov_b32_e32 v47, v39
	v_pk_mov_b32 v[42:43], v[40:41], v[42:43] op_sel:[1,0]
	v_mov_b32_e32 v45, v40
	v_pk_add_f32 v[42:43], v[46:47], v[42:43] neg_lo:[0,1] neg_hi:[0,1]
	v_mov_b32_e32 v50, v48
	v_pk_add_f32 v[40:41], v[44:45], v[42:43] neg_lo:[0,1] neg_hi:[0,1]
	v_mov_b32_e32 v49, v39
	v_pk_add_f32 v[42:43], v[50:51], v[40:41]
	s_mov_b32 s33, 0x33800000
	v_pk_add_f32 v[44:45], v[42:43], v[42:43] op_sel:[0,1] op_sel_hi:[1,0]
	s_nop 0
	v_pk_add_f32 v[38:39], v[38:39], v[44:45] op_sel:[1,0] op_sel_hi:[0,1]
	v_mov_b32_e32 v43, v38
	v_pk_add_f32 v[46:47], v[42:43], v[48:49] neg_lo:[0,1] neg_hi:[0,1]
	v_mov_b32_e32 v41, v44
	v_sub_f32_e32 v39, v42, v46
	v_pk_add_f32 v[40:41], v[40:41], v[46:47] neg_lo:[0,1] neg_hi:[0,1]
	v_sub_f32_e32 v39, v48, v39
	v_add_f32_e32 v39, v40, v39
	v_add_f32_e32 v39, v39, v41
	;; [unrolled: 1-line block ×3, first 2 shown]
	v_cndmask_b32_e32 v38, v52, v38, vcc
	v_cmp_lt_f32_e64 vcc, |v37|, s33
	s_nop 1
	v_cndmask_b32_e32 v37, v38, v37, vcc
	v_add_f32_e32 v38, v36, v37
.LBB474_61:
	s_or_b64 exec, exec, s[0:1]
	v_bfe_u32 v36, v38, 16, 1
	s_movk_i32 s0, 0x7fff
	v_add3_u32 v36, v38, v36, s0
	v_cmp_o_f32_e32 vcc, v38, v38
	v_mov_b32_e32 v37, 0x7fc0
	s_nop 0
	v_cndmask_b32_sdwa v36, v37, v36, vcc dst_sel:DWORD dst_unused:UNUSED_PAD src0_sel:DWORD src1_sel:WORD_1
	v_and_b32_e32 v37, 0xffff, v36
.LBB474_62:
	s_or_b64 exec, exec, s[62:63]
	s_nop 0
	v_mov_b32_dpp v38, v37 row_shr:4 row_mask:0xf bank_mask:0xf
	v_cmp_lt_u32_e32 vcc, 3, v35
	s_and_saveexec_b64 s[62:63], vcc
	s_cbranch_execz .LBB474_66
; %bb.63:
	v_lshlrev_b32_e32 v38, 16, v38
	v_lshlrev_b32_e32 v36, 16, v37
	v_max_f32_e32 v39, v36, v36
	v_max_f32_e32 v40, v38, v38
	v_min_f32_e32 v37, v40, v39
	v_cmp_u_f32_e32 vcc, v38, v38
	v_max_f32_e32 v39, v40, v39
	v_cmp_u_f32_e64 s[0:1], v36, v36
	v_cndmask_b32_e32 v37, v37, v38, vcc
	v_cndmask_b32_e32 v39, v39, v38, vcc
	v_cndmask_b32_e64 v37, v37, v36, s[0:1]
	v_cndmask_b32_e64 v36, v39, v36, s[0:1]
	s_movk_i32 s0, 0x1f8
	v_cmp_neq_f32_e32 vcc, v37, v36
	v_cmp_class_f32_e64 s[0:1], v37, s0
	s_or_b64 s[64:65], vcc, s[0:1]
	s_and_saveexec_b64 s[0:1], s[64:65]
	s_cbranch_execz .LBB474_65
; %bb.64:
	v_sub_f32_e32 v37, v37, v36
	s_mov_b32 s33, 0x3fb8aa3b
	v_mul_f32_e32 v38, 0x3fb8aa3b, v37
	v_fma_f32 v39, v37, s33, -v38
	v_rndne_f32_e32 v40, v38
	v_fmamk_f32 v39, v37, 0x32a5705f, v39
	v_sub_f32_e32 v38, v38, v40
	v_add_f32_e32 v38, v38, v39
	v_exp_f32_e32 v38, v38
	v_cvt_i32_f32_e32 v39, v40
	s_mov_b32 s33, 0xc2ce8ed0
	v_cmp_ngt_f32_e32 vcc, s33, v37
	s_mov_b32 s33, 0x42b17218
	v_ldexp_f32 v38, v38, v39
	v_cndmask_b32_e32 v38, 0, v38, vcc
	v_mov_b32_e32 v52, 0x7f800000
	v_cmp_nlt_f32_e32 vcc, s33, v37
	s_mov_b32 s33, 0x3f2aaaab
	s_mov_b32 s64, 0x7f800000
	v_cndmask_b32_e32 v37, v52, v38, vcc
	v_add_f32_e32 v40, 1.0, v37
	v_add_f32_e32 v38, -1.0, v40
	v_sub_f32_e32 v39, v38, v40
	v_add_f32_e32 v39, 1.0, v39
	v_sub_f32_e32 v38, v37, v38
	v_add_f32_e32 v41, v38, v39
	v_frexp_mant_f32_e32 v42, v40
	v_cvt_f64_f32_e32 v[38:39], v40
	v_frexp_exp_i32_f64_e32 v38, v[38:39]
	v_cmp_gt_f32_e32 vcc, s33, v42
	s_mov_b32 s33, 0x3f317218
	s_nop 0
	v_subbrev_co_u32_e32 v46, vcc, 0, v38, vcc
	v_sub_u32_e32 v38, 0, v46
	v_ldexp_f32 v39, v40, v38
	v_add_f32_e32 v40, -1.0, v39
	v_add_f32_e32 v42, 1.0, v39
	v_ldexp_f32 v38, v41, v38
	v_add_f32_e32 v41, 1.0, v40
	v_add_f32_e32 v43, -1.0, v42
	v_sub_f32_e32 v41, v39, v41
	v_sub_f32_e32 v39, v39, v43
	v_add_f32_e32 v41, v38, v41
	v_add_f32_e32 v38, v38, v39
	;; [unrolled: 1-line block ×3, first 2 shown]
	v_rcp_f32_e32 v49, v47
	v_sub_f32_e32 v39, v42, v47
	v_add_f32_e32 v48, v38, v39
	v_add_f32_e32 v39, v40, v41
	v_mul_f32_e32 v51, v39, v49
	v_sub_f32_e32 v38, v40, v39
	v_mul_f32_e32 v40, v47, v51
	v_fma_f32 v42, v51, v47, -v40
	v_fmac_f32_e32 v42, v51, v48
	v_add_f32_e32 v50, v41, v38
	v_add_f32_e32 v38, v40, v42
	v_sub_f32_e32 v41, v39, v38
	v_pk_add_f32 v[44:45], v[38:39], v[40:41] neg_lo:[0,1] neg_hi:[0,1]
	v_mov_b32_e32 v43, v38
	v_pk_add_f32 v[38:39], v[44:45], v[42:43] neg_lo:[0,1] neg_hi:[0,1]
	v_cmp_neq_f32_e32 vcc, s64, v37
	v_add_f32_e32 v39, v50, v39
	v_add_f32_e32 v38, v38, v39
	;; [unrolled: 1-line block ×3, first 2 shown]
	v_mul_f32_e32 v50, v49, v39
	v_mul_f32_e32 v40, v47, v50
	v_fma_f32 v42, v50, v47, -v40
	v_fmac_f32_e32 v42, v50, v48
	v_sub_f32_e32 v41, v41, v39
	v_add_f32_e32 v47, v38, v41
	v_add_f32_e32 v38, v40, v42
	v_sub_f32_e32 v41, v39, v38
	v_pk_add_f32 v[44:45], v[38:39], v[40:41] neg_lo:[0,1] neg_hi:[0,1]
	v_mov_b32_e32 v43, v38
	v_pk_add_f32 v[38:39], v[44:45], v[42:43] neg_lo:[0,1] neg_hi:[0,1]
	v_cvt_f32_i32_e32 v40, v46
	v_add_f32_e32 v39, v47, v39
	v_add_f32_e32 v38, v38, v39
	;; [unrolled: 1-line block ×4, first 2 shown]
	v_sub_f32_e32 v39, v41, v51
	v_mul_f32_e32 v38, v49, v38
	v_sub_f32_e32 v39, v50, v39
	v_add_f32_e32 v38, v39, v38
	v_add_f32_e32 v42, v41, v38
	v_mul_f32_e32 v44, v42, v42
	v_mov_b32_e32 v39, 0x3ecc95a3
	v_sub_f32_e32 v41, v42, v41
	v_fmac_f32_e32 v39, 0x3e9b6dac, v44
	v_sub_f32_e32 v38, v38, v41
	v_fmaak_f32 v39, v44, v39, 0x3f2aaada
	v_ldexp_f32 v45, v38, 1
	v_mul_f32_e32 v41, v42, v44
	v_mov_b32_e32 v38, 0x3f317218
	v_pk_mul_f32 v[38:39], v[40:41], v[38:39]
	v_ldexp_f32 v43, v42, 1
	v_fma_f32 v41, v40, s33, -v38
	v_fmamk_f32 v42, v40, 0xb102e308, v41
	v_pk_add_f32 v[40:41], v[38:39], v[42:43]
	v_mov_b32_e32 v44, v38
	v_sub_f32_e32 v43, v41, v43
	v_sub_f32_e32 v43, v39, v43
	v_add_f32_e32 v45, v45, v43
	v_pk_add_f32 v[38:39], v[40:41], v[38:39] neg_lo:[0,1] neg_hi:[0,1]
	v_pk_add_f32 v[46:47], v[40:41], v[44:45]
	v_mov_b32_e32 v43, v40
	v_mov_b32_e32 v39, v47
	v_pk_add_f32 v[48:49], v[42:43], v[38:39] neg_lo:[0,1] neg_hi:[0,1]
	v_pk_add_f32 v[38:39], v[42:43], v[38:39]
	v_mov_b32_e32 v44, v45
	v_pk_add_f32 v[42:43], v[38:39], v[40:41] op_sel:[1,0] op_sel_hi:[0,1] neg_lo:[0,1] neg_hi:[0,1]
	v_pk_add_f32 v[50:51], v[46:47], v[42:43] op_sel_hi:[1,0] neg_lo:[0,1] neg_hi:[0,1]
	v_mov_b32_e32 v46, v47
	v_mov_b32_e32 v47, v39
	v_pk_mov_b32 v[42:43], v[40:41], v[42:43] op_sel:[1,0]
	v_mov_b32_e32 v45, v40
	v_pk_add_f32 v[42:43], v[46:47], v[42:43] neg_lo:[0,1] neg_hi:[0,1]
	v_mov_b32_e32 v50, v48
	v_pk_add_f32 v[40:41], v[44:45], v[42:43] neg_lo:[0,1] neg_hi:[0,1]
	v_mov_b32_e32 v49, v39
	v_pk_add_f32 v[42:43], v[50:51], v[40:41]
	s_mov_b32 s33, 0x33800000
	v_pk_add_f32 v[44:45], v[42:43], v[42:43] op_sel:[0,1] op_sel_hi:[1,0]
	s_nop 0
	v_pk_add_f32 v[38:39], v[38:39], v[44:45] op_sel:[1,0] op_sel_hi:[0,1]
	v_mov_b32_e32 v43, v38
	v_pk_add_f32 v[46:47], v[42:43], v[48:49] neg_lo:[0,1] neg_hi:[0,1]
	v_mov_b32_e32 v41, v44
	v_sub_f32_e32 v39, v42, v46
	v_pk_add_f32 v[40:41], v[40:41], v[46:47] neg_lo:[0,1] neg_hi:[0,1]
	v_sub_f32_e32 v39, v48, v39
	v_add_f32_e32 v39, v40, v39
	v_add_f32_e32 v39, v39, v41
	;; [unrolled: 1-line block ×3, first 2 shown]
	v_cndmask_b32_e32 v38, v52, v38, vcc
	v_cmp_lt_f32_e64 vcc, |v37|, s33
	s_nop 1
	v_cndmask_b32_e32 v37, v38, v37, vcc
	v_add_f32_e32 v38, v36, v37
.LBB474_65:
	s_or_b64 exec, exec, s[0:1]
	v_bfe_u32 v36, v38, 16, 1
	s_movk_i32 s0, 0x7fff
	v_add3_u32 v36, v38, v36, s0
	v_cmp_o_f32_e32 vcc, v38, v38
	v_mov_b32_e32 v37, 0x7fc0
	s_nop 0
	v_cndmask_b32_sdwa v36, v37, v36, vcc dst_sel:DWORD dst_unused:UNUSED_PAD src0_sel:DWORD src1_sel:WORD_1
	v_and_b32_e32 v37, 0xffff, v36
.LBB474_66:
	s_or_b64 exec, exec, s[62:63]
	s_nop 0
	v_mov_b32_dpp v38, v37 row_shr:8 row_mask:0xf bank_mask:0xf
	v_cmp_lt_u32_e32 vcc, 7, v35
	s_and_saveexec_b64 s[62:63], vcc
	s_cbranch_execz .LBB474_70
; %bb.67:
	v_lshlrev_b32_e32 v36, 16, v38
	v_lshlrev_b32_e32 v35, 16, v37
	v_max_f32_e32 v38, v35, v35
	v_max_f32_e32 v39, v36, v36
	v_min_f32_e32 v37, v39, v38
	v_cmp_u_f32_e32 vcc, v36, v36
	v_max_f32_e32 v38, v39, v38
	v_cmp_u_f32_e64 s[0:1], v35, v35
	v_cndmask_b32_e32 v37, v37, v36, vcc
	v_cndmask_b32_e32 v38, v38, v36, vcc
	v_cndmask_b32_e64 v37, v37, v35, s[0:1]
	v_cndmask_b32_e64 v35, v38, v35, s[0:1]
	s_movk_i32 s0, 0x1f8
	v_cmp_neq_f32_e32 vcc, v37, v35
	v_cmp_class_f32_e64 s[0:1], v37, s0
	s_or_b64 s[64:65], vcc, s[0:1]
	s_and_saveexec_b64 s[0:1], s[64:65]
	s_cbranch_execz .LBB474_69
; %bb.68:
	v_sub_f32_e32 v36, v37, v35
	s_mov_b32 s33, 0x3fb8aa3b
	v_mul_f32_e32 v37, 0x3fb8aa3b, v36
	v_fma_f32 v38, v36, s33, -v37
	v_rndne_f32_e32 v39, v37
	v_fmamk_f32 v38, v36, 0x32a5705f, v38
	v_sub_f32_e32 v37, v37, v39
	v_add_f32_e32 v37, v37, v38
	v_exp_f32_e32 v37, v37
	v_cvt_i32_f32_e32 v38, v39
	s_mov_b32 s33, 0xc2ce8ed0
	v_cmp_ngt_f32_e32 vcc, s33, v36
	s_mov_b32 s33, 0x42b17218
	v_ldexp_f32 v37, v37, v38
	v_cndmask_b32_e32 v37, 0, v37, vcc
	v_mov_b32_e32 v50, 0x7f800000
	v_cmp_nlt_f32_e32 vcc, s33, v36
	s_mov_b32 s33, 0x3f2aaaab
	s_mov_b32 s64, 0x7f800000
	v_cndmask_b32_e32 v51, v50, v37, vcc
	v_add_f32_e32 v38, 1.0, v51
	v_add_f32_e32 v36, -1.0, v38
	v_sub_f32_e32 v37, v36, v38
	v_add_f32_e32 v37, 1.0, v37
	v_sub_f32_e32 v36, v51, v36
	v_add_f32_e32 v39, v36, v37
	v_frexp_mant_f32_e32 v40, v38
	v_cvt_f64_f32_e32 v[36:37], v38
	v_frexp_exp_i32_f64_e32 v36, v[36:37]
	v_cmp_gt_f32_e32 vcc, s33, v40
	s_mov_b32 s33, 0x3f317218
	s_nop 0
	v_subbrev_co_u32_e32 v44, vcc, 0, v36, vcc
	v_sub_u32_e32 v36, 0, v44
	v_ldexp_f32 v37, v38, v36
	v_add_f32_e32 v38, -1.0, v37
	v_add_f32_e32 v40, 1.0, v37
	v_ldexp_f32 v36, v39, v36
	v_add_f32_e32 v39, 1.0, v38
	v_add_f32_e32 v41, -1.0, v40
	v_sub_f32_e32 v39, v37, v39
	v_sub_f32_e32 v37, v37, v41
	v_add_f32_e32 v39, v36, v39
	v_add_f32_e32 v36, v36, v37
	;; [unrolled: 1-line block ×3, first 2 shown]
	v_rcp_f32_e32 v47, v45
	v_sub_f32_e32 v37, v40, v45
	v_add_f32_e32 v46, v36, v37
	v_add_f32_e32 v37, v38, v39
	v_mul_f32_e32 v49, v37, v47
	v_sub_f32_e32 v36, v38, v37
	v_mul_f32_e32 v38, v45, v49
	v_fma_f32 v40, v49, v45, -v38
	v_fmac_f32_e32 v40, v49, v46
	v_add_f32_e32 v48, v39, v36
	v_add_f32_e32 v36, v38, v40
	v_sub_f32_e32 v39, v37, v36
	v_pk_add_f32 v[42:43], v[36:37], v[38:39] neg_lo:[0,1] neg_hi:[0,1]
	v_mov_b32_e32 v41, v36
	v_pk_add_f32 v[36:37], v[42:43], v[40:41] neg_lo:[0,1] neg_hi:[0,1]
	v_cmp_neq_f32_e32 vcc, s64, v51
	v_add_f32_e32 v37, v48, v37
	v_add_f32_e32 v36, v36, v37
	;; [unrolled: 1-line block ×3, first 2 shown]
	v_mul_f32_e32 v48, v47, v37
	v_mul_f32_e32 v38, v45, v48
	v_fma_f32 v40, v48, v45, -v38
	v_fmac_f32_e32 v40, v48, v46
	v_sub_f32_e32 v39, v39, v37
	v_add_f32_e32 v45, v36, v39
	v_add_f32_e32 v36, v38, v40
	v_sub_f32_e32 v39, v37, v36
	v_pk_add_f32 v[42:43], v[36:37], v[38:39] neg_lo:[0,1] neg_hi:[0,1]
	v_mov_b32_e32 v41, v36
	v_pk_add_f32 v[36:37], v[42:43], v[40:41] neg_lo:[0,1] neg_hi:[0,1]
	v_cvt_f32_i32_e32 v38, v44
	v_add_f32_e32 v37, v45, v37
	v_add_f32_e32 v36, v36, v37
	;; [unrolled: 1-line block ×4, first 2 shown]
	v_sub_f32_e32 v37, v39, v49
	v_mul_f32_e32 v36, v47, v36
	v_sub_f32_e32 v37, v48, v37
	v_add_f32_e32 v36, v37, v36
	v_add_f32_e32 v40, v39, v36
	v_mul_f32_e32 v42, v40, v40
	v_mov_b32_e32 v37, 0x3ecc95a3
	v_sub_f32_e32 v39, v40, v39
	v_fmac_f32_e32 v37, 0x3e9b6dac, v42
	v_sub_f32_e32 v36, v36, v39
	v_fmaak_f32 v37, v42, v37, 0x3f2aaada
	v_ldexp_f32 v43, v36, 1
	v_mul_f32_e32 v39, v40, v42
	v_mov_b32_e32 v36, 0x3f317218
	v_pk_mul_f32 v[36:37], v[38:39], v[36:37]
	v_ldexp_f32 v41, v40, 1
	v_fma_f32 v39, v38, s33, -v36
	v_fmamk_f32 v40, v38, 0xb102e308, v39
	v_pk_add_f32 v[38:39], v[36:37], v[40:41]
	v_mov_b32_e32 v42, v36
	v_sub_f32_e32 v41, v39, v41
	v_sub_f32_e32 v41, v37, v41
	v_add_f32_e32 v43, v43, v41
	v_pk_add_f32 v[36:37], v[38:39], v[36:37] neg_lo:[0,1] neg_hi:[0,1]
	v_pk_add_f32 v[44:45], v[38:39], v[42:43]
	v_mov_b32_e32 v41, v38
	v_mov_b32_e32 v37, v45
	v_pk_add_f32 v[46:47], v[40:41], v[36:37] neg_lo:[0,1] neg_hi:[0,1]
	v_pk_add_f32 v[36:37], v[40:41], v[36:37]
	v_mov_b32_e32 v42, v43
	v_pk_add_f32 v[40:41], v[36:37], v[38:39] op_sel:[1,0] op_sel_hi:[0,1] neg_lo:[0,1] neg_hi:[0,1]
	v_pk_add_f32 v[48:49], v[44:45], v[40:41] op_sel_hi:[1,0] neg_lo:[0,1] neg_hi:[0,1]
	v_mov_b32_e32 v44, v45
	v_mov_b32_e32 v45, v37
	v_pk_mov_b32 v[40:41], v[38:39], v[40:41] op_sel:[1,0]
	v_mov_b32_e32 v43, v38
	v_pk_add_f32 v[40:41], v[44:45], v[40:41] neg_lo:[0,1] neg_hi:[0,1]
	v_mov_b32_e32 v48, v46
	v_pk_add_f32 v[38:39], v[42:43], v[40:41] neg_lo:[0,1] neg_hi:[0,1]
	v_mov_b32_e32 v47, v37
	v_pk_add_f32 v[40:41], v[48:49], v[38:39]
	s_mov_b32 s33, 0x33800000
	v_pk_add_f32 v[42:43], v[40:41], v[40:41] op_sel:[0,1] op_sel_hi:[1,0]
	s_nop 0
	v_pk_add_f32 v[36:37], v[36:37], v[42:43] op_sel:[1,0] op_sel_hi:[0,1]
	v_mov_b32_e32 v41, v36
	v_pk_add_f32 v[44:45], v[40:41], v[46:47] neg_lo:[0,1] neg_hi:[0,1]
	v_mov_b32_e32 v39, v42
	v_sub_f32_e32 v37, v40, v44
	v_pk_add_f32 v[38:39], v[38:39], v[44:45] neg_lo:[0,1] neg_hi:[0,1]
	v_sub_f32_e32 v37, v46, v37
	v_add_f32_e32 v37, v38, v37
	v_add_f32_e32 v37, v37, v39
	v_add_f32_e32 v36, v36, v37
	v_cndmask_b32_e32 v36, v50, v36, vcc
	v_cmp_lt_f32_e64 vcc, |v51|, s33
	s_nop 1
	v_cndmask_b32_e32 v36, v36, v51, vcc
	v_add_f32_e32 v36, v35, v36
.LBB474_69:
	s_or_b64 exec, exec, s[0:1]
	v_bfe_u32 v35, v36, 16, 1
	s_movk_i32 s0, 0x7fff
	v_add3_u32 v35, v36, v35, s0
	v_cmp_o_f32_e32 vcc, v36, v36
	v_mov_b32_e32 v36, 0x7fc0
	s_nop 0
	v_cndmask_b32_sdwa v36, v36, v35, vcc dst_sel:DWORD dst_unused:UNUSED_PAD src0_sel:DWORD src1_sel:WORD_1
	v_and_b32_e32 v37, 0xffff, v36
.LBB474_70:
	s_or_b64 exec, exec, s[62:63]
	v_and_b32_e32 v38, 16, v34
	v_mov_b32_dpp v35, v37 row_bcast:15 row_mask:0xf bank_mask:0xf
	v_cmp_ne_u32_e32 vcc, 0, v38
	s_and_saveexec_b64 s[62:63], vcc
	s_cbranch_execz .LBB474_74
; %bb.71:
	v_lshlrev_b32_e32 v36, 16, v35
	v_lshlrev_b32_e32 v35, 16, v37
	v_max_f32_e32 v38, v35, v35
	v_max_f32_e32 v39, v36, v36
	v_min_f32_e32 v37, v39, v38
	v_cmp_u_f32_e32 vcc, v36, v36
	v_max_f32_e32 v38, v39, v38
	v_cmp_u_f32_e64 s[0:1], v35, v35
	v_cndmask_b32_e32 v37, v37, v36, vcc
	v_cndmask_b32_e32 v38, v38, v36, vcc
	v_cndmask_b32_e64 v37, v37, v35, s[0:1]
	v_cndmask_b32_e64 v35, v38, v35, s[0:1]
	s_movk_i32 s0, 0x1f8
	v_cmp_neq_f32_e32 vcc, v37, v35
	v_cmp_class_f32_e64 s[0:1], v37, s0
	s_or_b64 s[64:65], vcc, s[0:1]
	s_and_saveexec_b64 s[0:1], s[64:65]
	s_cbranch_execz .LBB474_73
; %bb.72:
	v_sub_f32_e32 v36, v37, v35
	s_mov_b32 s33, 0x3fb8aa3b
	v_mul_f32_e32 v37, 0x3fb8aa3b, v36
	v_fma_f32 v38, v36, s33, -v37
	v_rndne_f32_e32 v39, v37
	v_fmamk_f32 v38, v36, 0x32a5705f, v38
	v_sub_f32_e32 v37, v37, v39
	v_add_f32_e32 v37, v37, v38
	v_exp_f32_e32 v37, v37
	v_cvt_i32_f32_e32 v38, v39
	s_mov_b32 s33, 0xc2ce8ed0
	v_cmp_ngt_f32_e32 vcc, s33, v36
	s_mov_b32 s33, 0x42b17218
	v_ldexp_f32 v37, v37, v38
	v_cndmask_b32_e32 v37, 0, v37, vcc
	v_mov_b32_e32 v50, 0x7f800000
	v_cmp_nlt_f32_e32 vcc, s33, v36
	s_mov_b32 s33, 0x3f2aaaab
	s_mov_b32 s64, 0x7f800000
	v_cndmask_b32_e32 v51, v50, v37, vcc
	v_add_f32_e32 v38, 1.0, v51
	v_add_f32_e32 v36, -1.0, v38
	v_sub_f32_e32 v37, v36, v38
	v_add_f32_e32 v37, 1.0, v37
	v_sub_f32_e32 v36, v51, v36
	v_add_f32_e32 v39, v36, v37
	v_frexp_mant_f32_e32 v40, v38
	v_cvt_f64_f32_e32 v[36:37], v38
	v_frexp_exp_i32_f64_e32 v36, v[36:37]
	v_cmp_gt_f32_e32 vcc, s33, v40
	s_mov_b32 s33, 0x3f317218
	s_nop 0
	v_subbrev_co_u32_e32 v44, vcc, 0, v36, vcc
	v_sub_u32_e32 v36, 0, v44
	v_ldexp_f32 v37, v38, v36
	v_add_f32_e32 v38, -1.0, v37
	v_add_f32_e32 v40, 1.0, v37
	v_ldexp_f32 v36, v39, v36
	v_add_f32_e32 v39, 1.0, v38
	v_add_f32_e32 v41, -1.0, v40
	v_sub_f32_e32 v39, v37, v39
	v_sub_f32_e32 v37, v37, v41
	v_add_f32_e32 v39, v36, v39
	v_add_f32_e32 v36, v36, v37
	;; [unrolled: 1-line block ×3, first 2 shown]
	v_rcp_f32_e32 v47, v45
	v_sub_f32_e32 v37, v40, v45
	v_add_f32_e32 v46, v36, v37
	v_add_f32_e32 v37, v38, v39
	v_mul_f32_e32 v49, v37, v47
	v_sub_f32_e32 v36, v38, v37
	v_mul_f32_e32 v38, v45, v49
	v_fma_f32 v40, v49, v45, -v38
	v_fmac_f32_e32 v40, v49, v46
	v_add_f32_e32 v48, v39, v36
	v_add_f32_e32 v36, v38, v40
	v_sub_f32_e32 v39, v37, v36
	v_pk_add_f32 v[42:43], v[36:37], v[38:39] neg_lo:[0,1] neg_hi:[0,1]
	v_mov_b32_e32 v41, v36
	v_pk_add_f32 v[36:37], v[42:43], v[40:41] neg_lo:[0,1] neg_hi:[0,1]
	v_cmp_neq_f32_e32 vcc, s64, v51
	v_add_f32_e32 v37, v48, v37
	v_add_f32_e32 v36, v36, v37
	;; [unrolled: 1-line block ×3, first 2 shown]
	v_mul_f32_e32 v48, v47, v37
	v_mul_f32_e32 v38, v45, v48
	v_fma_f32 v40, v48, v45, -v38
	v_fmac_f32_e32 v40, v48, v46
	v_sub_f32_e32 v39, v39, v37
	v_add_f32_e32 v45, v36, v39
	v_add_f32_e32 v36, v38, v40
	v_sub_f32_e32 v39, v37, v36
	v_pk_add_f32 v[42:43], v[36:37], v[38:39] neg_lo:[0,1] neg_hi:[0,1]
	v_mov_b32_e32 v41, v36
	v_pk_add_f32 v[36:37], v[42:43], v[40:41] neg_lo:[0,1] neg_hi:[0,1]
	v_cvt_f32_i32_e32 v38, v44
	v_add_f32_e32 v37, v45, v37
	v_add_f32_e32 v36, v36, v37
	;; [unrolled: 1-line block ×4, first 2 shown]
	v_sub_f32_e32 v37, v39, v49
	v_mul_f32_e32 v36, v47, v36
	v_sub_f32_e32 v37, v48, v37
	v_add_f32_e32 v36, v37, v36
	v_add_f32_e32 v40, v39, v36
	v_mul_f32_e32 v42, v40, v40
	v_mov_b32_e32 v37, 0x3ecc95a3
	v_sub_f32_e32 v39, v40, v39
	v_fmac_f32_e32 v37, 0x3e9b6dac, v42
	v_sub_f32_e32 v36, v36, v39
	v_fmaak_f32 v37, v42, v37, 0x3f2aaada
	v_ldexp_f32 v43, v36, 1
	v_mul_f32_e32 v39, v40, v42
	v_mov_b32_e32 v36, 0x3f317218
	v_pk_mul_f32 v[36:37], v[38:39], v[36:37]
	v_ldexp_f32 v41, v40, 1
	v_fma_f32 v39, v38, s33, -v36
	v_fmamk_f32 v40, v38, 0xb102e308, v39
	v_pk_add_f32 v[38:39], v[36:37], v[40:41]
	v_mov_b32_e32 v42, v36
	v_sub_f32_e32 v41, v39, v41
	v_sub_f32_e32 v41, v37, v41
	v_add_f32_e32 v43, v43, v41
	v_pk_add_f32 v[36:37], v[38:39], v[36:37] neg_lo:[0,1] neg_hi:[0,1]
	v_pk_add_f32 v[44:45], v[38:39], v[42:43]
	v_mov_b32_e32 v41, v38
	v_mov_b32_e32 v37, v45
	v_pk_add_f32 v[46:47], v[40:41], v[36:37] neg_lo:[0,1] neg_hi:[0,1]
	v_pk_add_f32 v[36:37], v[40:41], v[36:37]
	v_mov_b32_e32 v42, v43
	v_pk_add_f32 v[40:41], v[36:37], v[38:39] op_sel:[1,0] op_sel_hi:[0,1] neg_lo:[0,1] neg_hi:[0,1]
	v_pk_add_f32 v[48:49], v[44:45], v[40:41] op_sel_hi:[1,0] neg_lo:[0,1] neg_hi:[0,1]
	v_mov_b32_e32 v44, v45
	v_mov_b32_e32 v45, v37
	v_pk_mov_b32 v[40:41], v[38:39], v[40:41] op_sel:[1,0]
	v_mov_b32_e32 v43, v38
	v_pk_add_f32 v[40:41], v[44:45], v[40:41] neg_lo:[0,1] neg_hi:[0,1]
	v_mov_b32_e32 v48, v46
	v_pk_add_f32 v[38:39], v[42:43], v[40:41] neg_lo:[0,1] neg_hi:[0,1]
	v_mov_b32_e32 v47, v37
	v_pk_add_f32 v[40:41], v[48:49], v[38:39]
	s_mov_b32 s33, 0x33800000
	v_pk_add_f32 v[42:43], v[40:41], v[40:41] op_sel:[0,1] op_sel_hi:[1,0]
	s_nop 0
	v_pk_add_f32 v[36:37], v[36:37], v[42:43] op_sel:[1,0] op_sel_hi:[0,1]
	v_mov_b32_e32 v41, v36
	v_pk_add_f32 v[44:45], v[40:41], v[46:47] neg_lo:[0,1] neg_hi:[0,1]
	v_mov_b32_e32 v39, v42
	v_sub_f32_e32 v37, v40, v44
	v_pk_add_f32 v[38:39], v[38:39], v[44:45] neg_lo:[0,1] neg_hi:[0,1]
	v_sub_f32_e32 v37, v46, v37
	v_add_f32_e32 v37, v38, v37
	v_add_f32_e32 v37, v37, v39
	;; [unrolled: 1-line block ×3, first 2 shown]
	v_cndmask_b32_e32 v36, v50, v36, vcc
	v_cmp_lt_f32_e64 vcc, |v51|, s33
	s_nop 1
	v_cndmask_b32_e32 v36, v36, v51, vcc
	v_add_f32_e32 v36, v35, v36
.LBB474_73:
	s_or_b64 exec, exec, s[0:1]
	v_bfe_u32 v35, v36, 16, 1
	s_movk_i32 s0, 0x7fff
	v_add3_u32 v35, v36, v35, s0
	v_cmp_o_f32_e32 vcc, v36, v36
	v_mov_b32_e32 v36, 0x7fc0
	s_nop 0
	v_cndmask_b32_sdwa v36, v36, v35, vcc dst_sel:DWORD dst_unused:UNUSED_PAD src0_sel:DWORD src1_sel:WORD_1
	v_and_b32_e32 v37, 0xffff, v36
.LBB474_74:
	s_or_b64 exec, exec, s[62:63]
	s_nop 0
	v_mov_b32_dpp v35, v37 row_bcast:31 row_mask:0xf bank_mask:0xf
	v_cmp_lt_u32_e32 vcc, 31, v34
	s_and_saveexec_b64 s[62:63], vcc
	s_cbranch_execz .LBB474_78
; %bb.75:
	v_lshlrev_b32_e32 v36, 16, v35
	v_lshlrev_b32_e32 v35, 16, v37
	v_max_f32_e32 v38, v35, v35
	v_max_f32_e32 v39, v36, v36
	v_min_f32_e32 v37, v39, v38
	v_cmp_u_f32_e32 vcc, v36, v36
	v_max_f32_e32 v38, v39, v38
	v_cmp_u_f32_e64 s[0:1], v35, v35
	v_cndmask_b32_e32 v37, v37, v36, vcc
	v_cndmask_b32_e32 v38, v38, v36, vcc
	v_cndmask_b32_e64 v37, v37, v35, s[0:1]
	v_cndmask_b32_e64 v35, v38, v35, s[0:1]
	s_movk_i32 s0, 0x1f8
	v_cmp_neq_f32_e32 vcc, v37, v35
	v_cmp_class_f32_e64 s[0:1], v37, s0
	s_or_b64 s[64:65], vcc, s[0:1]
	s_and_saveexec_b64 s[0:1], s[64:65]
	s_cbranch_execz .LBB474_77
; %bb.76:
	v_sub_f32_e32 v36, v37, v35
	s_mov_b32 s33, 0x3fb8aa3b
	v_mul_f32_e32 v37, 0x3fb8aa3b, v36
	v_fma_f32 v38, v36, s33, -v37
	v_rndne_f32_e32 v39, v37
	v_fmamk_f32 v38, v36, 0x32a5705f, v38
	v_sub_f32_e32 v37, v37, v39
	v_add_f32_e32 v37, v37, v38
	v_exp_f32_e32 v37, v37
	v_cvt_i32_f32_e32 v38, v39
	s_mov_b32 s33, 0xc2ce8ed0
	v_cmp_ngt_f32_e32 vcc, s33, v36
	s_mov_b32 s33, 0x42b17218
	v_ldexp_f32 v37, v37, v38
	v_cndmask_b32_e32 v37, 0, v37, vcc
	v_mov_b32_e32 v50, 0x7f800000
	v_cmp_nlt_f32_e32 vcc, s33, v36
	s_mov_b32 s33, 0x3f2aaaab
	s_mov_b32 s64, 0x7f800000
	v_cndmask_b32_e32 v51, v50, v37, vcc
	v_add_f32_e32 v38, 1.0, v51
	v_add_f32_e32 v36, -1.0, v38
	v_sub_f32_e32 v37, v36, v38
	v_add_f32_e32 v37, 1.0, v37
	v_sub_f32_e32 v36, v51, v36
	v_add_f32_e32 v39, v36, v37
	v_frexp_mant_f32_e32 v40, v38
	v_cvt_f64_f32_e32 v[36:37], v38
	v_frexp_exp_i32_f64_e32 v36, v[36:37]
	v_cmp_gt_f32_e32 vcc, s33, v40
	s_mov_b32 s33, 0x3f317218
	s_nop 0
	v_subbrev_co_u32_e32 v44, vcc, 0, v36, vcc
	v_sub_u32_e32 v36, 0, v44
	v_ldexp_f32 v37, v38, v36
	v_add_f32_e32 v38, -1.0, v37
	v_add_f32_e32 v40, 1.0, v37
	v_ldexp_f32 v36, v39, v36
	v_add_f32_e32 v39, 1.0, v38
	v_add_f32_e32 v41, -1.0, v40
	v_sub_f32_e32 v39, v37, v39
	v_sub_f32_e32 v37, v37, v41
	v_add_f32_e32 v39, v36, v39
	v_add_f32_e32 v36, v36, v37
	;; [unrolled: 1-line block ×3, first 2 shown]
	v_rcp_f32_e32 v47, v45
	v_sub_f32_e32 v37, v40, v45
	v_add_f32_e32 v46, v36, v37
	v_add_f32_e32 v37, v38, v39
	v_mul_f32_e32 v49, v37, v47
	v_sub_f32_e32 v36, v38, v37
	v_mul_f32_e32 v38, v45, v49
	v_fma_f32 v40, v49, v45, -v38
	v_fmac_f32_e32 v40, v49, v46
	v_add_f32_e32 v48, v39, v36
	v_add_f32_e32 v36, v38, v40
	v_sub_f32_e32 v39, v37, v36
	v_pk_add_f32 v[42:43], v[36:37], v[38:39] neg_lo:[0,1] neg_hi:[0,1]
	v_mov_b32_e32 v41, v36
	v_pk_add_f32 v[36:37], v[42:43], v[40:41] neg_lo:[0,1] neg_hi:[0,1]
	v_cmp_neq_f32_e32 vcc, s64, v51
	v_add_f32_e32 v37, v48, v37
	v_add_f32_e32 v36, v36, v37
	;; [unrolled: 1-line block ×3, first 2 shown]
	v_mul_f32_e32 v48, v47, v37
	v_mul_f32_e32 v38, v45, v48
	v_fma_f32 v40, v48, v45, -v38
	v_fmac_f32_e32 v40, v48, v46
	v_sub_f32_e32 v39, v39, v37
	v_add_f32_e32 v45, v36, v39
	v_add_f32_e32 v36, v38, v40
	v_sub_f32_e32 v39, v37, v36
	v_pk_add_f32 v[42:43], v[36:37], v[38:39] neg_lo:[0,1] neg_hi:[0,1]
	v_mov_b32_e32 v41, v36
	v_pk_add_f32 v[36:37], v[42:43], v[40:41] neg_lo:[0,1] neg_hi:[0,1]
	v_cvt_f32_i32_e32 v38, v44
	v_add_f32_e32 v37, v45, v37
	v_add_f32_e32 v36, v36, v37
	;; [unrolled: 1-line block ×4, first 2 shown]
	v_sub_f32_e32 v37, v39, v49
	v_mul_f32_e32 v36, v47, v36
	v_sub_f32_e32 v37, v48, v37
	v_add_f32_e32 v36, v37, v36
	v_add_f32_e32 v40, v39, v36
	v_mul_f32_e32 v42, v40, v40
	v_mov_b32_e32 v37, 0x3ecc95a3
	v_sub_f32_e32 v39, v40, v39
	v_fmac_f32_e32 v37, 0x3e9b6dac, v42
	v_sub_f32_e32 v36, v36, v39
	v_fmaak_f32 v37, v42, v37, 0x3f2aaada
	v_ldexp_f32 v43, v36, 1
	v_mul_f32_e32 v39, v40, v42
	v_mov_b32_e32 v36, 0x3f317218
	v_pk_mul_f32 v[36:37], v[38:39], v[36:37]
	v_ldexp_f32 v41, v40, 1
	v_fma_f32 v39, v38, s33, -v36
	v_fmamk_f32 v40, v38, 0xb102e308, v39
	v_pk_add_f32 v[38:39], v[36:37], v[40:41]
	v_mov_b32_e32 v42, v36
	v_sub_f32_e32 v41, v39, v41
	v_sub_f32_e32 v41, v37, v41
	v_add_f32_e32 v43, v43, v41
	v_pk_add_f32 v[36:37], v[38:39], v[36:37] neg_lo:[0,1] neg_hi:[0,1]
	v_pk_add_f32 v[44:45], v[38:39], v[42:43]
	v_mov_b32_e32 v41, v38
	v_mov_b32_e32 v37, v45
	v_pk_add_f32 v[46:47], v[40:41], v[36:37] neg_lo:[0,1] neg_hi:[0,1]
	v_pk_add_f32 v[36:37], v[40:41], v[36:37]
	v_mov_b32_e32 v42, v43
	v_pk_add_f32 v[40:41], v[36:37], v[38:39] op_sel:[1,0] op_sel_hi:[0,1] neg_lo:[0,1] neg_hi:[0,1]
	v_pk_add_f32 v[48:49], v[44:45], v[40:41] op_sel_hi:[1,0] neg_lo:[0,1] neg_hi:[0,1]
	v_mov_b32_e32 v44, v45
	v_mov_b32_e32 v45, v37
	v_pk_mov_b32 v[40:41], v[38:39], v[40:41] op_sel:[1,0]
	v_mov_b32_e32 v43, v38
	v_pk_add_f32 v[40:41], v[44:45], v[40:41] neg_lo:[0,1] neg_hi:[0,1]
	v_mov_b32_e32 v48, v46
	v_pk_add_f32 v[38:39], v[42:43], v[40:41] neg_lo:[0,1] neg_hi:[0,1]
	v_mov_b32_e32 v47, v37
	v_pk_add_f32 v[40:41], v[48:49], v[38:39]
	s_mov_b32 s33, 0x33800000
	v_pk_add_f32 v[42:43], v[40:41], v[40:41] op_sel:[0,1] op_sel_hi:[1,0]
	s_nop 0
	v_pk_add_f32 v[36:37], v[36:37], v[42:43] op_sel:[1,0] op_sel_hi:[0,1]
	v_mov_b32_e32 v41, v36
	v_pk_add_f32 v[44:45], v[40:41], v[46:47] neg_lo:[0,1] neg_hi:[0,1]
	v_mov_b32_e32 v39, v42
	v_sub_f32_e32 v37, v40, v44
	v_pk_add_f32 v[38:39], v[38:39], v[44:45] neg_lo:[0,1] neg_hi:[0,1]
	v_sub_f32_e32 v37, v46, v37
	v_add_f32_e32 v37, v38, v37
	v_add_f32_e32 v37, v37, v39
	;; [unrolled: 1-line block ×3, first 2 shown]
	v_cndmask_b32_e32 v36, v50, v36, vcc
	v_cmp_lt_f32_e64 vcc, |v51|, s33
	s_nop 1
	v_cndmask_b32_e32 v36, v36, v51, vcc
	v_add_f32_e32 v36, v35, v36
.LBB474_77:
	s_or_b64 exec, exec, s[0:1]
	v_bfe_u32 v35, v36, 16, 1
	s_movk_i32 s0, 0x7fff
	v_add3_u32 v35, v36, v35, s0
	v_cmp_o_f32_e32 vcc, v36, v36
	v_mov_b32_e32 v36, 0x7fc0
	s_nop 0
	v_cndmask_b32_sdwa v36, v36, v35, vcc dst_sel:DWORD dst_unused:UNUSED_PAD src0_sel:DWORD src1_sel:WORD_1
.LBB474_78:
	s_or_b64 exec, exec, s[62:63]
	v_or_b32_e32 v37, 63, v0
	v_lshrrev_b32_e32 v35, 6, v0
	v_cmp_eq_u32_e32 vcc, v0, v37
	s_and_saveexec_b64 s[0:1], vcc
; %bb.79:
	v_lshlrev_b32_e32 v37, 1, v35
	ds_write_b16 v37, v36
; %bb.80:
	s_or_b64 exec, exec, s[0:1]
	v_cmp_gt_u32_e32 vcc, 2, v0
	s_waitcnt lgkmcnt(0)
	s_barrier
	s_and_saveexec_b64 s[62:63], vcc
	s_cbranch_execz .LBB474_86
; %bb.81:
	ds_read_u16 v37, v8
	v_and_b32_e32 v40, 1, v34
	v_cmp_eq_u32_e32 vcc, 1, v40
	s_waitcnt lgkmcnt(0)
	v_and_b32_e32 v39, 0xffff, v37
	s_nop 1
	v_mov_b32_dpp v38, v39 row_shr:1 row_mask:0xf bank_mask:0xf
	s_and_saveexec_b64 s[64:65], vcc
	s_cbranch_execz .LBB474_85
; %bb.82:
	v_lshlrev_b32_e32 v38, 16, v38
	v_lshlrev_b32_e32 v37, 16, v39
	v_max_f32_e32 v40, v37, v37
	v_max_f32_e32 v41, v38, v38
	v_min_f32_e32 v39, v41, v40
	v_cmp_u_f32_e32 vcc, v38, v38
	v_max_f32_e32 v40, v41, v40
	v_cmp_u_f32_e64 s[0:1], v37, v37
	v_cndmask_b32_e32 v39, v39, v38, vcc
	v_cndmask_b32_e32 v40, v40, v38, vcc
	v_cndmask_b32_e64 v39, v39, v37, s[0:1]
	v_cndmask_b32_e64 v37, v40, v37, s[0:1]
	s_movk_i32 s0, 0x1f8
	v_cmp_neq_f32_e32 vcc, v39, v37
	v_cmp_class_f32_e64 s[0:1], v39, s0
	s_or_b64 s[66:67], vcc, s[0:1]
	s_and_saveexec_b64 s[0:1], s[66:67]
	s_cbranch_execz .LBB474_84
; %bb.83:
	v_sub_f32_e32 v38, v39, v37
	s_mov_b32 s33, 0x3fb8aa3b
	v_mul_f32_e32 v39, 0x3fb8aa3b, v38
	v_fma_f32 v40, v38, s33, -v39
	v_rndne_f32_e32 v41, v39
	v_fmamk_f32 v40, v38, 0x32a5705f, v40
	v_sub_f32_e32 v39, v39, v41
	v_add_f32_e32 v39, v39, v40
	v_exp_f32_e32 v39, v39
	v_cvt_i32_f32_e32 v40, v41
	s_mov_b32 s33, 0xc2ce8ed0
	v_cmp_ngt_f32_e32 vcc, s33, v38
	s_mov_b32 s33, 0x42b17218
	v_ldexp_f32 v39, v39, v40
	v_cndmask_b32_e32 v39, 0, v39, vcc
	v_mov_b32_e32 v52, 0x7f800000
	v_cmp_nlt_f32_e32 vcc, s33, v38
	s_mov_b32 s33, 0x3f2aaaab
	s_mov_b32 s66, 0x7f800000
	v_cndmask_b32_e32 v53, v52, v39, vcc
	v_add_f32_e32 v40, 1.0, v53
	v_add_f32_e32 v38, -1.0, v40
	v_sub_f32_e32 v39, v38, v40
	v_add_f32_e32 v39, 1.0, v39
	v_sub_f32_e32 v38, v53, v38
	v_add_f32_e32 v41, v38, v39
	v_frexp_mant_f32_e32 v42, v40
	v_cvt_f64_f32_e32 v[38:39], v40
	v_frexp_exp_i32_f64_e32 v38, v[38:39]
	v_cmp_gt_f32_e32 vcc, s33, v42
	s_mov_b32 s33, 0x3f317218
	s_nop 0
	v_subbrev_co_u32_e32 v46, vcc, 0, v38, vcc
	v_sub_u32_e32 v38, 0, v46
	v_ldexp_f32 v39, v40, v38
	v_add_f32_e32 v40, -1.0, v39
	v_add_f32_e32 v42, 1.0, v39
	v_ldexp_f32 v38, v41, v38
	v_add_f32_e32 v41, 1.0, v40
	v_add_f32_e32 v43, -1.0, v42
	v_sub_f32_e32 v41, v39, v41
	v_sub_f32_e32 v39, v39, v43
	v_add_f32_e32 v41, v38, v41
	v_add_f32_e32 v38, v38, v39
	v_add_f32_e32 v47, v42, v38
	v_rcp_f32_e32 v49, v47
	v_sub_f32_e32 v39, v42, v47
	v_add_f32_e32 v48, v38, v39
	v_add_f32_e32 v39, v40, v41
	v_mul_f32_e32 v51, v39, v49
	v_sub_f32_e32 v38, v40, v39
	v_mul_f32_e32 v40, v47, v51
	v_fma_f32 v42, v51, v47, -v40
	v_fmac_f32_e32 v42, v51, v48
	v_add_f32_e32 v50, v41, v38
	v_add_f32_e32 v38, v40, v42
	v_sub_f32_e32 v41, v39, v38
	v_pk_add_f32 v[44:45], v[38:39], v[40:41] neg_lo:[0,1] neg_hi:[0,1]
	v_mov_b32_e32 v43, v38
	v_pk_add_f32 v[38:39], v[44:45], v[42:43] neg_lo:[0,1] neg_hi:[0,1]
	v_cmp_neq_f32_e32 vcc, s66, v53
	v_add_f32_e32 v39, v50, v39
	v_add_f32_e32 v38, v38, v39
	;; [unrolled: 1-line block ×3, first 2 shown]
	v_mul_f32_e32 v50, v49, v39
	v_mul_f32_e32 v40, v47, v50
	v_fma_f32 v42, v50, v47, -v40
	v_fmac_f32_e32 v42, v50, v48
	v_sub_f32_e32 v41, v41, v39
	v_add_f32_e32 v47, v38, v41
	v_add_f32_e32 v38, v40, v42
	v_sub_f32_e32 v41, v39, v38
	v_pk_add_f32 v[44:45], v[38:39], v[40:41] neg_lo:[0,1] neg_hi:[0,1]
	v_mov_b32_e32 v43, v38
	v_pk_add_f32 v[38:39], v[44:45], v[42:43] neg_lo:[0,1] neg_hi:[0,1]
	v_cvt_f32_i32_e32 v40, v46
	v_add_f32_e32 v39, v47, v39
	v_add_f32_e32 v38, v38, v39
	;; [unrolled: 1-line block ×4, first 2 shown]
	v_sub_f32_e32 v39, v41, v51
	v_mul_f32_e32 v38, v49, v38
	v_sub_f32_e32 v39, v50, v39
	v_add_f32_e32 v38, v39, v38
	v_add_f32_e32 v42, v41, v38
	v_mul_f32_e32 v44, v42, v42
	v_mov_b32_e32 v39, 0x3ecc95a3
	v_sub_f32_e32 v41, v42, v41
	v_fmac_f32_e32 v39, 0x3e9b6dac, v44
	v_sub_f32_e32 v38, v38, v41
	v_fmaak_f32 v39, v44, v39, 0x3f2aaada
	v_ldexp_f32 v45, v38, 1
	v_mul_f32_e32 v41, v42, v44
	v_mov_b32_e32 v38, 0x3f317218
	v_pk_mul_f32 v[38:39], v[40:41], v[38:39]
	v_ldexp_f32 v43, v42, 1
	v_fma_f32 v41, v40, s33, -v38
	v_fmamk_f32 v42, v40, 0xb102e308, v41
	v_pk_add_f32 v[40:41], v[38:39], v[42:43]
	v_mov_b32_e32 v44, v38
	v_sub_f32_e32 v43, v41, v43
	v_sub_f32_e32 v43, v39, v43
	v_add_f32_e32 v45, v45, v43
	v_pk_add_f32 v[38:39], v[40:41], v[38:39] neg_lo:[0,1] neg_hi:[0,1]
	v_pk_add_f32 v[46:47], v[40:41], v[44:45]
	v_mov_b32_e32 v43, v40
	v_mov_b32_e32 v39, v47
	v_pk_add_f32 v[48:49], v[42:43], v[38:39] neg_lo:[0,1] neg_hi:[0,1]
	v_pk_add_f32 v[38:39], v[42:43], v[38:39]
	v_mov_b32_e32 v44, v45
	v_pk_add_f32 v[42:43], v[38:39], v[40:41] op_sel:[1,0] op_sel_hi:[0,1] neg_lo:[0,1] neg_hi:[0,1]
	v_pk_add_f32 v[50:51], v[46:47], v[42:43] op_sel_hi:[1,0] neg_lo:[0,1] neg_hi:[0,1]
	v_mov_b32_e32 v46, v47
	v_mov_b32_e32 v47, v39
	v_pk_mov_b32 v[42:43], v[40:41], v[42:43] op_sel:[1,0]
	v_mov_b32_e32 v45, v40
	v_pk_add_f32 v[42:43], v[46:47], v[42:43] neg_lo:[0,1] neg_hi:[0,1]
	v_mov_b32_e32 v50, v48
	v_pk_add_f32 v[40:41], v[44:45], v[42:43] neg_lo:[0,1] neg_hi:[0,1]
	v_mov_b32_e32 v49, v39
	v_pk_add_f32 v[42:43], v[50:51], v[40:41]
	s_mov_b32 s33, 0x33800000
	v_pk_add_f32 v[44:45], v[42:43], v[42:43] op_sel:[0,1] op_sel_hi:[1,0]
	s_nop 0
	v_pk_add_f32 v[38:39], v[38:39], v[44:45] op_sel:[1,0] op_sel_hi:[0,1]
	v_mov_b32_e32 v43, v38
	v_pk_add_f32 v[46:47], v[42:43], v[48:49] neg_lo:[0,1] neg_hi:[0,1]
	v_mov_b32_e32 v41, v44
	v_sub_f32_e32 v39, v42, v46
	v_pk_add_f32 v[40:41], v[40:41], v[46:47] neg_lo:[0,1] neg_hi:[0,1]
	v_sub_f32_e32 v39, v48, v39
	v_add_f32_e32 v39, v40, v39
	v_add_f32_e32 v39, v39, v41
	;; [unrolled: 1-line block ×3, first 2 shown]
	v_cndmask_b32_e32 v38, v52, v38, vcc
	v_cmp_lt_f32_e64 vcc, |v53|, s33
	s_nop 1
	v_cndmask_b32_e32 v38, v38, v53, vcc
	v_add_f32_e32 v38, v37, v38
.LBB474_84:
	s_or_b64 exec, exec, s[0:1]
	v_bfe_u32 v37, v38, 16, 1
	s_movk_i32 s0, 0x7fff
	v_add3_u32 v37, v38, v37, s0
	v_cmp_o_f32_e32 vcc, v38, v38
	v_mov_b32_e32 v38, 0x7fc0
	s_nop 0
	v_cndmask_b32_sdwa v37, v38, v37, vcc dst_sel:DWORD dst_unused:UNUSED_PAD src0_sel:DWORD src1_sel:WORD_1
.LBB474_85:
	s_or_b64 exec, exec, s[64:65]
	ds_write_b16 v8, v37
.LBB474_86:
	s_or_b64 exec, exec, s[62:63]
	v_cmp_lt_u32_e32 vcc, 63, v0
	s_waitcnt lgkmcnt(0)
	s_barrier
                                        ; implicit-def: $vgpr37
	s_and_saveexec_b64 s[62:63], vcc
	s_cbranch_execz .LBB474_90
; %bb.87:
	v_lshl_add_u32 v35, v35, 1, -2
	ds_read_u16 v37, v35
	v_lshlrev_b32_e32 v35, 16, v36
	v_max_f32_e32 v39, v35, v35
	v_cmp_u_f32_e64 s[0:1], v35, v35
	s_waitcnt lgkmcnt(0)
	v_lshlrev_b32_e32 v36, 16, v37
	v_max_f32_e32 v40, v36, v36
	v_min_f32_e32 v38, v40, v39
	v_cmp_u_f32_e32 vcc, v36, v36
	v_max_f32_e32 v39, v40, v39
	s_nop 0
	v_cndmask_b32_e32 v38, v38, v36, vcc
	v_cndmask_b32_e32 v39, v39, v36, vcc
	v_cndmask_b32_e64 v38, v38, v35, s[0:1]
	v_cndmask_b32_e64 v35, v39, v35, s[0:1]
	s_movk_i32 s0, 0x1f8
	v_cmp_neq_f32_e32 vcc, v38, v35
	v_cmp_class_f32_e64 s[0:1], v38, s0
	s_or_b64 s[64:65], vcc, s[0:1]
	s_and_saveexec_b64 s[0:1], s[64:65]
	s_cbranch_execz .LBB474_89
; %bb.88:
	v_sub_f32_e32 v36, v38, v35
	s_mov_b32 s33, 0x3fb8aa3b
	v_mul_f32_e32 v38, 0x3fb8aa3b, v36
	v_fma_f32 v39, v36, s33, -v38
	v_rndne_f32_e32 v40, v38
	v_fmamk_f32 v39, v36, 0x32a5705f, v39
	v_sub_f32_e32 v38, v38, v40
	v_add_f32_e32 v38, v38, v39
	v_exp_f32_e32 v38, v38
	v_cvt_i32_f32_e32 v39, v40
	s_mov_b32 s33, 0xc2ce8ed0
	v_cmp_ngt_f32_e32 vcc, s33, v36
	s_mov_b32 s33, 0x42b17218
	v_ldexp_f32 v38, v38, v39
	v_cndmask_b32_e32 v38, 0, v38, vcc
	v_mov_b32_e32 v52, 0x7f800000
	v_cmp_nlt_f32_e32 vcc, s33, v36
	s_mov_b32 s33, 0x3f2aaaab
	s_mov_b32 s64, 0x7f800000
	v_cndmask_b32_e32 v36, v52, v38, vcc
	v_add_f32_e32 v40, 1.0, v36
	v_add_f32_e32 v38, -1.0, v40
	v_sub_f32_e32 v39, v38, v40
	v_add_f32_e32 v39, 1.0, v39
	v_sub_f32_e32 v38, v36, v38
	v_add_f32_e32 v41, v38, v39
	v_frexp_mant_f32_e32 v42, v40
	v_cvt_f64_f32_e32 v[38:39], v40
	v_frexp_exp_i32_f64_e32 v38, v[38:39]
	v_cmp_gt_f32_e32 vcc, s33, v42
	s_mov_b32 s33, 0x3f317218
	s_nop 0
	v_subbrev_co_u32_e32 v46, vcc, 0, v38, vcc
	v_sub_u32_e32 v38, 0, v46
	v_ldexp_f32 v39, v40, v38
	v_add_f32_e32 v40, -1.0, v39
	v_add_f32_e32 v42, 1.0, v39
	v_ldexp_f32 v38, v41, v38
	v_add_f32_e32 v41, 1.0, v40
	v_add_f32_e32 v43, -1.0, v42
	v_sub_f32_e32 v41, v39, v41
	v_sub_f32_e32 v39, v39, v43
	v_add_f32_e32 v41, v38, v41
	v_add_f32_e32 v38, v38, v39
	;; [unrolled: 1-line block ×3, first 2 shown]
	v_rcp_f32_e32 v49, v47
	v_sub_f32_e32 v39, v42, v47
	v_add_f32_e32 v48, v38, v39
	v_add_f32_e32 v39, v40, v41
	v_mul_f32_e32 v51, v39, v49
	v_sub_f32_e32 v38, v40, v39
	v_mul_f32_e32 v40, v47, v51
	v_fma_f32 v42, v51, v47, -v40
	v_fmac_f32_e32 v42, v51, v48
	v_add_f32_e32 v50, v41, v38
	v_add_f32_e32 v38, v40, v42
	v_sub_f32_e32 v41, v39, v38
	v_pk_add_f32 v[44:45], v[38:39], v[40:41] neg_lo:[0,1] neg_hi:[0,1]
	v_mov_b32_e32 v43, v38
	v_pk_add_f32 v[38:39], v[44:45], v[42:43] neg_lo:[0,1] neg_hi:[0,1]
	v_cmp_neq_f32_e32 vcc, s64, v36
	v_add_f32_e32 v39, v50, v39
	v_add_f32_e32 v38, v38, v39
	;; [unrolled: 1-line block ×3, first 2 shown]
	v_mul_f32_e32 v50, v49, v39
	v_mul_f32_e32 v40, v47, v50
	v_fma_f32 v42, v50, v47, -v40
	v_fmac_f32_e32 v42, v50, v48
	v_sub_f32_e32 v41, v41, v39
	v_add_f32_e32 v47, v38, v41
	v_add_f32_e32 v38, v40, v42
	v_sub_f32_e32 v41, v39, v38
	v_pk_add_f32 v[44:45], v[38:39], v[40:41] neg_lo:[0,1] neg_hi:[0,1]
	v_mov_b32_e32 v43, v38
	v_pk_add_f32 v[38:39], v[44:45], v[42:43] neg_lo:[0,1] neg_hi:[0,1]
	v_cvt_f32_i32_e32 v40, v46
	v_add_f32_e32 v39, v47, v39
	v_add_f32_e32 v38, v38, v39
	;; [unrolled: 1-line block ×4, first 2 shown]
	v_sub_f32_e32 v39, v41, v51
	v_mul_f32_e32 v38, v49, v38
	v_sub_f32_e32 v39, v50, v39
	v_add_f32_e32 v38, v39, v38
	v_add_f32_e32 v42, v41, v38
	v_mul_f32_e32 v44, v42, v42
	v_mov_b32_e32 v39, 0x3ecc95a3
	v_sub_f32_e32 v41, v42, v41
	v_fmac_f32_e32 v39, 0x3e9b6dac, v44
	v_sub_f32_e32 v38, v38, v41
	v_fmaak_f32 v39, v44, v39, 0x3f2aaada
	v_ldexp_f32 v45, v38, 1
	v_mul_f32_e32 v41, v42, v44
	v_mov_b32_e32 v38, 0x3f317218
	v_pk_mul_f32 v[38:39], v[40:41], v[38:39]
	v_ldexp_f32 v43, v42, 1
	v_fma_f32 v41, v40, s33, -v38
	v_fmamk_f32 v42, v40, 0xb102e308, v41
	v_pk_add_f32 v[40:41], v[38:39], v[42:43]
	v_mov_b32_e32 v44, v38
	v_sub_f32_e32 v43, v41, v43
	v_sub_f32_e32 v43, v39, v43
	v_add_f32_e32 v45, v45, v43
	v_pk_add_f32 v[38:39], v[40:41], v[38:39] neg_lo:[0,1] neg_hi:[0,1]
	v_pk_add_f32 v[46:47], v[40:41], v[44:45]
	v_mov_b32_e32 v43, v40
	v_mov_b32_e32 v39, v47
	v_pk_add_f32 v[48:49], v[42:43], v[38:39] neg_lo:[0,1] neg_hi:[0,1]
	v_pk_add_f32 v[38:39], v[42:43], v[38:39]
	v_mov_b32_e32 v44, v45
	v_pk_add_f32 v[42:43], v[38:39], v[40:41] op_sel:[1,0] op_sel_hi:[0,1] neg_lo:[0,1] neg_hi:[0,1]
	v_pk_add_f32 v[50:51], v[46:47], v[42:43] op_sel_hi:[1,0] neg_lo:[0,1] neg_hi:[0,1]
	v_mov_b32_e32 v46, v47
	v_mov_b32_e32 v47, v39
	v_pk_mov_b32 v[42:43], v[40:41], v[42:43] op_sel:[1,0]
	v_mov_b32_e32 v45, v40
	v_pk_add_f32 v[42:43], v[46:47], v[42:43] neg_lo:[0,1] neg_hi:[0,1]
	v_mov_b32_e32 v50, v48
	v_pk_add_f32 v[40:41], v[44:45], v[42:43] neg_lo:[0,1] neg_hi:[0,1]
	v_mov_b32_e32 v49, v39
	v_pk_add_f32 v[42:43], v[50:51], v[40:41]
	s_mov_b32 s33, 0x33800000
	v_pk_add_f32 v[44:45], v[42:43], v[42:43] op_sel:[0,1] op_sel_hi:[1,0]
	s_nop 0
	v_pk_add_f32 v[38:39], v[38:39], v[44:45] op_sel:[1,0] op_sel_hi:[0,1]
	v_mov_b32_e32 v43, v38
	v_pk_add_f32 v[46:47], v[42:43], v[48:49] neg_lo:[0,1] neg_hi:[0,1]
	v_mov_b32_e32 v41, v44
	v_sub_f32_e32 v39, v42, v46
	v_pk_add_f32 v[40:41], v[40:41], v[46:47] neg_lo:[0,1] neg_hi:[0,1]
	v_sub_f32_e32 v39, v48, v39
	v_add_f32_e32 v39, v40, v39
	v_add_f32_e32 v39, v39, v41
	;; [unrolled: 1-line block ×3, first 2 shown]
	v_cndmask_b32_e32 v38, v52, v38, vcc
	v_cmp_lt_f32_e64 vcc, |v36|, s33
	s_nop 1
	v_cndmask_b32_e32 v36, v38, v36, vcc
	v_add_f32_e32 v36, v35, v36
.LBB474_89:
	s_or_b64 exec, exec, s[0:1]
	v_bfe_u32 v35, v36, 16, 1
	s_movk_i32 s0, 0x7fff
	v_add3_u32 v35, v36, v35, s0
	v_cmp_o_f32_e32 vcc, v36, v36
	v_mov_b32_e32 v36, 0x7fc0
	s_nop 0
	v_cndmask_b32_sdwa v36, v36, v35, vcc dst_sel:DWORD dst_unused:UNUSED_PAD src0_sel:DWORD src1_sel:WORD_1
.LBB474_90:
	s_or_b64 exec, exec, s[62:63]
	v_add_u32_e32 v35, -1, v34
	v_and_b32_e32 v38, 64, v34
	v_cmp_lt_i32_e32 vcc, v35, v38
	v_and_b32_e32 v36, 0xffff, v36
	s_nop 0
	v_cndmask_b32_e32 v35, v35, v34, vcc
	v_lshlrev_b32_e32 v35, 2, v35
	ds_bpermute_b32 v35, v35, v36
	v_cmp_ne_u32_e32 vcc, 0, v0
	s_and_saveexec_b64 s[0:1], vcc
	s_cbranch_execz .LBB474_94
; %bb.91:
	v_cmp_eq_u32_e32 vcc, 0, v34
	s_movk_i32 s33, 0x1f8
	s_waitcnt lgkmcnt(0)
	v_cndmask_b32_sdwa v30, v35, v37, vcc dst_sel:WORD_1 dst_unused:UNUSED_PAD src0_sel:DWORD src1_sel:DWORD
	s_nop 0
	v_max_f32_e32 v2, v30, v30
	v_min_f32_e32 v32, v2, v31
	v_cmp_u_f32_e32 vcc, v30, v30
	v_max_f32_e32 v2, v2, v31
	s_nop 0
	v_cndmask_b32_e32 v32, v32, v30, vcc
	v_cndmask_b32_e32 v2, v2, v30, vcc
	v_cndmask_b32_e64 v32, v32, v29, s[56:57]
	v_cndmask_b32_e64 v2, v2, v29, s[56:57]
	v_cmp_neq_f32_e32 vcc, v32, v2
	v_cmp_class_f32_e64 s[56:57], v32, s33
	s_or_b64 s[62:63], vcc, s[56:57]
	s_and_saveexec_b64 s[56:57], s[62:63]
	s_cbranch_execz .LBB474_93
; %bb.92:
	v_sub_f32_e32 v29, v32, v2
	s_mov_b32 s33, 0x3fb8aa3b
	v_mul_f32_e32 v30, 0x3fb8aa3b, v29
	v_fma_f32 v31, v29, s33, -v30
	v_rndne_f32_e32 v32, v30
	v_fmamk_f32 v31, v29, 0x32a5705f, v31
	v_sub_f32_e32 v30, v30, v32
	v_add_f32_e32 v30, v30, v31
	v_exp_f32_e32 v30, v30
	v_cvt_i32_f32_e32 v31, v32
	s_mov_b32 s33, 0xc2ce8ed0
	v_cmp_ngt_f32_e32 vcc, s33, v29
	s_mov_b32 s33, 0x42b17218
	v_ldexp_f32 v30, v30, v31
	v_cndmask_b32_e32 v30, 0, v30, vcc
	v_mov_b32_e32 v32, 0x7f800000
	v_cmp_nlt_f32_e32 vcc, s33, v29
	s_mov_b32 s33, 0x3f2aaaab
	s_mov_b32 s62, 0x7f800000
	v_cndmask_b32_e32 v29, v32, v30, vcc
	v_add_f32_e32 v34, 1.0, v29
	v_add_f32_e32 v30, -1.0, v34
	v_sub_f32_e32 v31, v30, v34
	v_add_f32_e32 v31, 1.0, v31
	v_sub_f32_e32 v30, v29, v30
	v_add_f32_e32 v35, v30, v31
	v_frexp_mant_f32_e32 v36, v34
	v_cvt_f64_f32_e32 v[30:31], v34
	v_frexp_exp_i32_f64_e32 v30, v[30:31]
	v_cmp_gt_f32_e32 vcc, s33, v36
	s_mov_b32 s33, 0x3f317218
	s_nop 0
	v_subbrev_co_u32_e32 v40, vcc, 0, v30, vcc
	v_sub_u32_e32 v30, 0, v40
	v_ldexp_f32 v31, v34, v30
	v_add_f32_e32 v34, -1.0, v31
	v_add_f32_e32 v36, 1.0, v31
	v_ldexp_f32 v30, v35, v30
	v_add_f32_e32 v35, 1.0, v34
	v_add_f32_e32 v37, -1.0, v36
	v_sub_f32_e32 v35, v31, v35
	v_sub_f32_e32 v31, v31, v37
	v_add_f32_e32 v35, v30, v35
	v_add_f32_e32 v30, v30, v31
	;; [unrolled: 1-line block ×3, first 2 shown]
	v_rcp_f32_e32 v43, v41
	v_sub_f32_e32 v31, v36, v41
	v_add_f32_e32 v42, v30, v31
	v_add_f32_e32 v31, v34, v35
	v_mul_f32_e32 v45, v31, v43
	v_sub_f32_e32 v30, v34, v31
	v_mul_f32_e32 v34, v41, v45
	v_fma_f32 v36, v45, v41, -v34
	v_fmac_f32_e32 v36, v45, v42
	v_add_f32_e32 v44, v35, v30
	v_add_f32_e32 v30, v34, v36
	v_sub_f32_e32 v35, v31, v30
	v_pk_add_f32 v[38:39], v[30:31], v[34:35] neg_lo:[0,1] neg_hi:[0,1]
	v_mov_b32_e32 v37, v30
	v_pk_add_f32 v[30:31], v[38:39], v[36:37] neg_lo:[0,1] neg_hi:[0,1]
	v_cmp_neq_f32_e32 vcc, s62, v29
	v_add_f32_e32 v31, v44, v31
	v_add_f32_e32 v30, v30, v31
	;; [unrolled: 1-line block ×3, first 2 shown]
	v_mul_f32_e32 v44, v43, v31
	v_mul_f32_e32 v34, v41, v44
	v_fma_f32 v36, v44, v41, -v34
	v_fmac_f32_e32 v36, v44, v42
	v_sub_f32_e32 v35, v35, v31
	v_add_f32_e32 v41, v30, v35
	v_add_f32_e32 v30, v34, v36
	v_sub_f32_e32 v35, v31, v30
	v_pk_add_f32 v[38:39], v[30:31], v[34:35] neg_lo:[0,1] neg_hi:[0,1]
	v_mov_b32_e32 v37, v30
	v_pk_add_f32 v[30:31], v[38:39], v[36:37] neg_lo:[0,1] neg_hi:[0,1]
	v_cvt_f32_i32_e32 v34, v40
	v_add_f32_e32 v31, v41, v31
	v_add_f32_e32 v30, v30, v31
	;; [unrolled: 1-line block ×4, first 2 shown]
	v_sub_f32_e32 v31, v35, v45
	v_mul_f32_e32 v30, v43, v30
	v_sub_f32_e32 v31, v44, v31
	v_add_f32_e32 v30, v31, v30
	v_add_f32_e32 v36, v35, v30
	v_mul_f32_e32 v38, v36, v36
	v_mov_b32_e32 v31, 0x3ecc95a3
	v_sub_f32_e32 v35, v36, v35
	v_fmac_f32_e32 v31, 0x3e9b6dac, v38
	v_sub_f32_e32 v30, v30, v35
	v_fmaak_f32 v31, v38, v31, 0x3f2aaada
	v_ldexp_f32 v39, v30, 1
	v_mul_f32_e32 v35, v36, v38
	v_mov_b32_e32 v30, 0x3f317218
	v_pk_mul_f32 v[30:31], v[34:35], v[30:31]
	v_ldexp_f32 v37, v36, 1
	v_fma_f32 v35, v34, s33, -v30
	v_fmamk_f32 v36, v34, 0xb102e308, v35
	v_pk_add_f32 v[34:35], v[30:31], v[36:37]
	v_mov_b32_e32 v38, v30
	v_sub_f32_e32 v37, v35, v37
	v_sub_f32_e32 v37, v31, v37
	v_add_f32_e32 v39, v39, v37
	v_pk_add_f32 v[30:31], v[34:35], v[30:31] neg_lo:[0,1] neg_hi:[0,1]
	v_pk_add_f32 v[40:41], v[34:35], v[38:39]
	v_mov_b32_e32 v37, v34
	v_mov_b32_e32 v31, v41
	v_pk_add_f32 v[42:43], v[36:37], v[30:31] neg_lo:[0,1] neg_hi:[0,1]
	v_pk_add_f32 v[30:31], v[36:37], v[30:31]
	v_mov_b32_e32 v38, v39
	v_pk_add_f32 v[36:37], v[30:31], v[34:35] op_sel:[1,0] op_sel_hi:[0,1] neg_lo:[0,1] neg_hi:[0,1]
	v_pk_add_f32 v[44:45], v[40:41], v[36:37] op_sel_hi:[1,0] neg_lo:[0,1] neg_hi:[0,1]
	v_mov_b32_e32 v40, v41
	v_mov_b32_e32 v41, v31
	v_pk_mov_b32 v[36:37], v[34:35], v[36:37] op_sel:[1,0]
	v_mov_b32_e32 v39, v34
	v_pk_add_f32 v[36:37], v[40:41], v[36:37] neg_lo:[0,1] neg_hi:[0,1]
	v_mov_b32_e32 v44, v42
	v_pk_add_f32 v[34:35], v[38:39], v[36:37] neg_lo:[0,1] neg_hi:[0,1]
	v_mov_b32_e32 v43, v31
	v_pk_add_f32 v[36:37], v[44:45], v[34:35]
	s_mov_b32 s33, 0x33800000
	v_pk_add_f32 v[38:39], v[36:37], v[36:37] op_sel:[0,1] op_sel_hi:[1,0]
	s_nop 0
	v_pk_add_f32 v[30:31], v[30:31], v[38:39] op_sel:[1,0] op_sel_hi:[0,1]
	v_mov_b32_e32 v37, v30
	v_pk_add_f32 v[40:41], v[36:37], v[42:43] neg_lo:[0,1] neg_hi:[0,1]
	v_mov_b32_e32 v35, v38
	v_sub_f32_e32 v31, v36, v40
	v_pk_add_f32 v[34:35], v[34:35], v[40:41] neg_lo:[0,1] neg_hi:[0,1]
	v_sub_f32_e32 v31, v42, v31
	v_add_f32_e32 v31, v34, v31
	v_add_f32_e32 v31, v31, v35
	;; [unrolled: 1-line block ×3, first 2 shown]
	v_cndmask_b32_e32 v30, v32, v30, vcc
	v_cmp_lt_f32_e64 vcc, |v29|, s33
	s_nop 1
	v_cndmask_b32_e32 v29, v30, v29, vcc
	v_add_f32_e32 v30, v2, v29
.LBB474_93:
	s_or_b64 exec, exec, s[56:57]
	v_bfe_u32 v2, v30, 16, 1
	s_movk_i32 s33, 0x7fff
	v_add3_u32 v2, v30, v2, s33
	v_cmp_o_f32_e32 vcc, v30, v30
	v_mov_b32_e32 v29, 0x7fc0
	;;#ASMSTART
	;;#ASMEND
	s_nop 0
	v_cndmask_b32_sdwa v2, v29, v2, vcc dst_sel:DWORD dst_unused:UNUSED_PAD src0_sel:DWORD src1_sel:WORD_1
	v_lshlrev_b32_e32 v29, 16, v2
	v_max_f32_e32 v31, v29, v29
	v_min_f32_e32 v30, v31, v16
	v_max_f32_e32 v32, v31, v16
.LBB474_94:
	s_or_b64 exec, exec, s[0:1]
	v_cmp_u_f32_e32 vcc, v29, v29
	s_nop 1
	v_cndmask_b32_e32 v16, v30, v29, vcc
	v_cndmask_b32_e32 v30, v32, v29, vcc
	v_cndmask_b32_e64 v16, v16, v1, s[28:29]
	v_cndmask_b32_e64 v1, v30, v1, s[28:29]
	s_movk_i32 s28, 0x1f8
	v_cmp_neq_f32_e32 vcc, v16, v1
	v_cmp_class_f32_e64 s[0:1], v16, s28
	s_or_b64 s[56:57], vcc, s[0:1]
	s_and_saveexec_b64 s[0:1], s[56:57]
	s_cbranch_execz .LBB474_96
; %bb.95:
	v_sub_f32_e32 v16, v16, v1
	s_mov_b32 s29, 0x3fb8aa3b
	v_mul_f32_e32 v29, 0x3fb8aa3b, v16
	v_fma_f32 v30, v16, s29, -v29
	v_rndne_f32_e32 v31, v29
	v_fmamk_f32 v30, v16, 0x32a5705f, v30
	v_sub_f32_e32 v29, v29, v31
	v_add_f32_e32 v29, v29, v30
	v_exp_f32_e32 v29, v29
	v_cvt_i32_f32_e32 v30, v31
	s_mov_b32 s29, 0xc2ce8ed0
	v_cmp_ngt_f32_e32 vcc, s29, v16
	s_mov_b32 s29, 0x42b17218
	v_ldexp_f32 v29, v29, v30
	v_cndmask_b32_e32 v29, 0, v29, vcc
	v_mov_b32_e32 v32, 0x7f800000
	v_cmp_nlt_f32_e32 vcc, s29, v16
	s_mov_b32 s29, 0x3f2aaaab
	s_mov_b32 s33, 0x7f800000
	v_cndmask_b32_e32 v16, v32, v29, vcc
	v_add_f32_e32 v29, 1.0, v16
	v_add_f32_e32 v30, -1.0, v29
	v_sub_f32_e32 v31, v30, v29
	v_add_f32_e32 v31, 1.0, v31
	v_sub_f32_e32 v30, v16, v30
	v_add_f32_e32 v34, v30, v31
	s_waitcnt lgkmcnt(0)
	v_frexp_mant_f32_e32 v35, v29
	v_cvt_f64_f32_e32 v[30:31], v29
	v_frexp_exp_i32_f64_e32 v30, v[30:31]
	v_cmp_gt_f32_e32 vcc, s29, v35
	s_mov_b32 s29, 0x3f317218
	s_nop 0
	v_subbrev_co_u32_e32 v40, vcc, 0, v30, vcc
	v_sub_u32_e32 v30, 0, v40
	v_ldexp_f32 v29, v29, v30
	v_ldexp_f32 v30, v34, v30
	v_add_f32_e32 v34, -1.0, v29
	v_add_f32_e32 v31, 1.0, v34
	v_sub_f32_e32 v31, v29, v31
	v_add_f32_e32 v35, v30, v31
	v_add_f32_e32 v31, 1.0, v29
	v_add_f32_e32 v36, -1.0, v31
	v_sub_f32_e32 v29, v29, v36
	v_add_f32_e32 v29, v30, v29
	v_add_f32_e32 v41, v31, v29
	v_rcp_f32_e32 v42, v41
	v_sub_f32_e32 v30, v31, v41
	v_add_f32_e32 v31, v34, v35
	v_add_f32_e32 v29, v29, v30
	v_mul_f32_e32 v44, v31, v42
	v_sub_f32_e32 v30, v34, v31
	v_mul_f32_e32 v34, v41, v44
	v_fma_f32 v36, v44, v41, -v34
	v_fmac_f32_e32 v36, v44, v29
	v_add_f32_e32 v43, v35, v30
	v_add_f32_e32 v30, v34, v36
	v_sub_f32_e32 v35, v31, v30
	v_pk_add_f32 v[38:39], v[30:31], v[34:35] neg_lo:[0,1] neg_hi:[0,1]
	v_mov_b32_e32 v37, v30
	v_pk_add_f32 v[30:31], v[38:39], v[36:37] neg_lo:[0,1] neg_hi:[0,1]
	v_cmp_neq_f32_e32 vcc, s33, v16
	v_add_f32_e32 v31, v43, v31
	v_add_f32_e32 v30, v30, v31
	v_add_f32_e32 v31, v35, v30
	v_mul_f32_e32 v43, v42, v31
	v_mul_f32_e32 v34, v41, v43
	v_fma_f32 v36, v43, v41, -v34
	v_fmac_f32_e32 v36, v43, v29
	v_sub_f32_e32 v29, v35, v31
	v_add_f32_e32 v29, v30, v29
	v_add_f32_e32 v30, v34, v36
	v_sub_f32_e32 v35, v31, v30
	v_pk_add_f32 v[38:39], v[30:31], v[34:35] neg_lo:[0,1] neg_hi:[0,1]
	v_mov_b32_e32 v37, v30
	v_pk_add_f32 v[30:31], v[38:39], v[36:37] neg_lo:[0,1] neg_hi:[0,1]
	v_cvt_f32_i32_e32 v34, v40
	v_add_f32_e32 v29, v29, v31
	v_add_f32_e32 v29, v30, v29
	v_add_f32_e32 v30, v44, v43
	v_add_f32_e32 v29, v35, v29
	v_sub_f32_e32 v31, v30, v44
	v_mul_f32_e32 v29, v42, v29
	v_sub_f32_e32 v31, v43, v31
	v_add_f32_e32 v29, v31, v29
	v_add_f32_e32 v35, v30, v29
	v_mul_f32_e32 v36, v35, v35
	v_mov_b32_e32 v31, 0x3ecc95a3
	v_fmac_f32_e32 v31, 0x3e9b6dac, v36
	v_sub_f32_e32 v30, v35, v30
	v_fmaak_f32 v31, v36, v31, 0x3f2aaada
	v_sub_f32_e32 v29, v29, v30
	v_ldexp_f32 v37, v35, 1
	v_mul_f32_e32 v35, v35, v36
	v_mov_b32_e32 v30, 0x3f317218
	v_pk_mul_f32 v[30:31], v[34:35], v[30:31]
	v_ldexp_f32 v29, v29, 1
	v_fma_f32 v35, v34, s29, -v30
	v_fmamk_f32 v36, v34, 0xb102e308, v35
	v_pk_add_f32 v[34:35], v[30:31], v[36:37]
	v_mov_b32_e32 v38, v30
	v_sub_f32_e32 v37, v35, v37
	v_sub_f32_e32 v37, v31, v37
	v_add_f32_e32 v39, v29, v37
	v_pk_add_f32 v[30:31], v[34:35], v[30:31] neg_lo:[0,1] neg_hi:[0,1]
	v_pk_add_f32 v[40:41], v[34:35], v[38:39]
	v_mov_b32_e32 v37, v34
	v_mov_b32_e32 v31, v41
	v_pk_add_f32 v[42:43], v[36:37], v[30:31] neg_lo:[0,1] neg_hi:[0,1]
	v_pk_add_f32 v[30:31], v[36:37], v[30:31]
	v_mov_b32_e32 v38, v39
	v_pk_add_f32 v[36:37], v[30:31], v[34:35] op_sel:[1,0] op_sel_hi:[0,1] neg_lo:[0,1] neg_hi:[0,1]
	v_pk_add_f32 v[44:45], v[40:41], v[36:37] op_sel_hi:[1,0] neg_lo:[0,1] neg_hi:[0,1]
	v_mov_b32_e32 v40, v41
	v_mov_b32_e32 v41, v31
	v_pk_mov_b32 v[36:37], v[34:35], v[36:37] op_sel:[1,0]
	v_mov_b32_e32 v39, v34
	v_pk_add_f32 v[36:37], v[40:41], v[36:37] neg_lo:[0,1] neg_hi:[0,1]
	v_mov_b32_e32 v44, v42
	v_pk_add_f32 v[34:35], v[38:39], v[36:37] neg_lo:[0,1] neg_hi:[0,1]
	v_mov_b32_e32 v43, v31
	v_pk_add_f32 v[36:37], v[44:45], v[34:35]
	s_mov_b32 s29, 0x33800000
	v_pk_add_f32 v[38:39], v[36:37], v[36:37] op_sel:[0,1] op_sel_hi:[1,0]
	s_nop 0
	v_pk_add_f32 v[30:31], v[30:31], v[38:39] op_sel:[1,0] op_sel_hi:[0,1]
	v_mov_b32_e32 v37, v30
	v_pk_add_f32 v[40:41], v[36:37], v[42:43] neg_lo:[0,1] neg_hi:[0,1]
	v_mov_b32_e32 v35, v38
	v_sub_f32_e32 v29, v36, v40
	v_pk_add_f32 v[34:35], v[34:35], v[40:41] neg_lo:[0,1] neg_hi:[0,1]
	v_sub_f32_e32 v29, v42, v29
	v_add_f32_e32 v29, v34, v29
	v_add_f32_e32 v29, v29, v35
	;; [unrolled: 1-line block ×3, first 2 shown]
	v_cndmask_b32_e32 v29, v32, v29, vcc
	v_cmp_lt_f32_e64 vcc, |v16|, s29
	s_nop 1
	v_cndmask_b32_e32 v16, v29, v16, vcc
	v_add_f32_e32 v29, v1, v16
.LBB474_96:
	s_or_b64 exec, exec, s[0:1]
	v_bfe_u32 v1, v29, 16, 1
	s_movk_i32 s29, 0x7fff
	v_add3_u32 v1, v29, v1, s29
	v_cmp_o_f32_e32 vcc, v29, v29
	v_mov_b32_e32 v16, 0x7fc0
	s_nop 0
	v_cndmask_b32_sdwa v1, v16, v1, vcc dst_sel:DWORD dst_unused:UNUSED_PAD src0_sel:DWORD src1_sel:WORD_1
	v_lshlrev_b32_e32 v29, 16, v1
	v_max_f32_e32 v31, v29, v29
	v_min_f32_e32 v30, v31, v10
	v_cmp_u_f32_e32 vcc, v29, v29
	v_max_f32_e32 v10, v31, v10
	s_nop 0
	v_cndmask_b32_e32 v30, v30, v29, vcc
	v_cndmask_b32_e32 v10, v10, v29, vcc
	v_cndmask_b32_e64 v30, v30, v9, s[30:31]
	v_cndmask_b32_e64 v9, v10, v9, s[30:31]
	v_cmp_neq_f32_e32 vcc, v30, v9
	v_cmp_class_f32_e64 s[0:1], v30, s28
	s_or_b64 s[30:31], vcc, s[0:1]
	s_and_saveexec_b64 s[0:1], s[30:31]
	s_cbranch_execz .LBB474_98
; %bb.97:
	v_sub_f32_e32 v10, v30, v9
	s_mov_b32 s28, 0x3fb8aa3b
	v_mul_f32_e32 v29, 0x3fb8aa3b, v10
	v_fma_f32 v30, v10, s28, -v29
	v_rndne_f32_e32 v31, v29
	v_fmamk_f32 v30, v10, 0x32a5705f, v30
	v_sub_f32_e32 v29, v29, v31
	v_add_f32_e32 v29, v29, v30
	v_exp_f32_e32 v29, v29
	v_cvt_i32_f32_e32 v30, v31
	s_mov_b32 s28, 0xc2ce8ed0
	v_cmp_ngt_f32_e32 vcc, s28, v10
	s_mov_b32 s28, 0x42b17218
	v_ldexp_f32 v29, v29, v30
	v_cndmask_b32_e32 v29, 0, v29, vcc
	v_mov_b32_e32 v32, 0x7f800000
	v_cmp_nlt_f32_e32 vcc, s28, v10
	s_mov_b32 s28, 0x3f2aaaab
	s_mov_b32 s30, 0x7f800000
	v_cndmask_b32_e32 v10, v32, v29, vcc
	v_add_f32_e32 v29, 1.0, v10
	v_add_f32_e32 v30, -1.0, v29
	v_sub_f32_e32 v31, v30, v29
	v_add_f32_e32 v31, 1.0, v31
	v_sub_f32_e32 v30, v10, v30
	v_add_f32_e32 v34, v30, v31
	s_waitcnt lgkmcnt(0)
	v_frexp_mant_f32_e32 v35, v29
	v_cvt_f64_f32_e32 v[30:31], v29
	v_frexp_exp_i32_f64_e32 v30, v[30:31]
	v_cmp_gt_f32_e32 vcc, s28, v35
	s_mov_b32 s28, 0x3f317218
	s_nop 0
	v_subbrev_co_u32_e32 v40, vcc, 0, v30, vcc
	v_sub_u32_e32 v30, 0, v40
	v_ldexp_f32 v29, v29, v30
	v_ldexp_f32 v30, v34, v30
	v_add_f32_e32 v34, -1.0, v29
	v_add_f32_e32 v31, 1.0, v34
	v_sub_f32_e32 v31, v29, v31
	v_add_f32_e32 v35, v30, v31
	v_add_f32_e32 v31, 1.0, v29
	v_add_f32_e32 v36, -1.0, v31
	v_sub_f32_e32 v29, v29, v36
	v_add_f32_e32 v29, v30, v29
	v_add_f32_e32 v41, v31, v29
	v_rcp_f32_e32 v42, v41
	v_sub_f32_e32 v30, v31, v41
	v_add_f32_e32 v31, v34, v35
	v_add_f32_e32 v29, v29, v30
	v_mul_f32_e32 v44, v31, v42
	v_sub_f32_e32 v30, v34, v31
	v_mul_f32_e32 v34, v41, v44
	v_fma_f32 v36, v44, v41, -v34
	v_fmac_f32_e32 v36, v44, v29
	v_add_f32_e32 v43, v35, v30
	v_add_f32_e32 v30, v34, v36
	v_sub_f32_e32 v35, v31, v30
	v_pk_add_f32 v[38:39], v[30:31], v[34:35] neg_lo:[0,1] neg_hi:[0,1]
	v_mov_b32_e32 v37, v30
	v_pk_add_f32 v[30:31], v[38:39], v[36:37] neg_lo:[0,1] neg_hi:[0,1]
	v_cmp_neq_f32_e32 vcc, s30, v10
	v_add_f32_e32 v31, v43, v31
	v_add_f32_e32 v30, v30, v31
	v_add_f32_e32 v31, v35, v30
	v_mul_f32_e32 v43, v42, v31
	v_mul_f32_e32 v34, v41, v43
	v_fma_f32 v36, v43, v41, -v34
	v_fmac_f32_e32 v36, v43, v29
	v_sub_f32_e32 v29, v35, v31
	v_add_f32_e32 v29, v30, v29
	v_add_f32_e32 v30, v34, v36
	v_sub_f32_e32 v35, v31, v30
	v_pk_add_f32 v[38:39], v[30:31], v[34:35] neg_lo:[0,1] neg_hi:[0,1]
	v_mov_b32_e32 v37, v30
	v_pk_add_f32 v[30:31], v[38:39], v[36:37] neg_lo:[0,1] neg_hi:[0,1]
	v_cvt_f32_i32_e32 v34, v40
	v_add_f32_e32 v29, v29, v31
	v_add_f32_e32 v29, v30, v29
	;; [unrolled: 1-line block ×4, first 2 shown]
	v_sub_f32_e32 v31, v30, v44
	v_mul_f32_e32 v29, v42, v29
	v_sub_f32_e32 v31, v43, v31
	v_add_f32_e32 v29, v31, v29
	v_add_f32_e32 v35, v30, v29
	v_mul_f32_e32 v36, v35, v35
	v_mov_b32_e32 v31, 0x3ecc95a3
	v_fmac_f32_e32 v31, 0x3e9b6dac, v36
	v_sub_f32_e32 v30, v35, v30
	v_fmaak_f32 v31, v36, v31, 0x3f2aaada
	v_sub_f32_e32 v29, v29, v30
	v_ldexp_f32 v37, v35, 1
	v_mul_f32_e32 v35, v35, v36
	v_mov_b32_e32 v30, 0x3f317218
	v_pk_mul_f32 v[30:31], v[34:35], v[30:31]
	v_ldexp_f32 v29, v29, 1
	v_fma_f32 v35, v34, s28, -v30
	v_fmamk_f32 v36, v34, 0xb102e308, v35
	v_pk_add_f32 v[34:35], v[30:31], v[36:37]
	v_mov_b32_e32 v38, v30
	v_sub_f32_e32 v37, v35, v37
	v_sub_f32_e32 v37, v31, v37
	v_add_f32_e32 v39, v29, v37
	v_pk_add_f32 v[30:31], v[34:35], v[30:31] neg_lo:[0,1] neg_hi:[0,1]
	v_pk_add_f32 v[40:41], v[34:35], v[38:39]
	v_mov_b32_e32 v37, v34
	v_mov_b32_e32 v31, v41
	v_pk_add_f32 v[42:43], v[36:37], v[30:31] neg_lo:[0,1] neg_hi:[0,1]
	v_pk_add_f32 v[30:31], v[36:37], v[30:31]
	v_mov_b32_e32 v38, v39
	v_pk_add_f32 v[36:37], v[30:31], v[34:35] op_sel:[1,0] op_sel_hi:[0,1] neg_lo:[0,1] neg_hi:[0,1]
	v_pk_add_f32 v[44:45], v[40:41], v[36:37] op_sel_hi:[1,0] neg_lo:[0,1] neg_hi:[0,1]
	v_mov_b32_e32 v40, v41
	v_mov_b32_e32 v41, v31
	v_pk_mov_b32 v[36:37], v[34:35], v[36:37] op_sel:[1,0]
	v_mov_b32_e32 v39, v34
	v_pk_add_f32 v[36:37], v[40:41], v[36:37] neg_lo:[0,1] neg_hi:[0,1]
	v_mov_b32_e32 v44, v42
	v_pk_add_f32 v[34:35], v[38:39], v[36:37] neg_lo:[0,1] neg_hi:[0,1]
	v_mov_b32_e32 v43, v31
	v_pk_add_f32 v[36:37], v[44:45], v[34:35]
	s_mov_b32 s28, 0x33800000
	v_pk_add_f32 v[38:39], v[36:37], v[36:37] op_sel:[0,1] op_sel_hi:[1,0]
	s_nop 0
	v_pk_add_f32 v[30:31], v[30:31], v[38:39] op_sel:[1,0] op_sel_hi:[0,1]
	v_mov_b32_e32 v37, v30
	v_pk_add_f32 v[40:41], v[36:37], v[42:43] neg_lo:[0,1] neg_hi:[0,1]
	v_mov_b32_e32 v35, v38
	v_sub_f32_e32 v29, v36, v40
	v_pk_add_f32 v[34:35], v[34:35], v[40:41] neg_lo:[0,1] neg_hi:[0,1]
	v_sub_f32_e32 v29, v42, v29
	v_add_f32_e32 v29, v34, v29
	v_add_f32_e32 v29, v29, v35
	;; [unrolled: 1-line block ×3, first 2 shown]
	v_cndmask_b32_e32 v29, v32, v29, vcc
	v_cmp_lt_f32_e64 vcc, |v10|, s28
	s_nop 1
	v_cndmask_b32_e32 v10, v29, v10, vcc
	v_add_f32_e32 v29, v9, v10
.LBB474_98:
	s_or_b64 exec, exec, s[0:1]
	v_bfe_u32 v9, v29, 16, 1
	v_add3_u32 v9, v29, v9, s29
	v_cmp_o_f32_e32 vcc, v29, v29
	s_movk_i32 s28, 0x1f8
	s_nop 0
	v_cndmask_b32_sdwa v9, v16, v9, vcc dst_sel:DWORD dst_unused:UNUSED_PAD src0_sel:DWORD src1_sel:WORD_1
	v_lshlrev_b32_e32 v10, 16, v9
	v_max_f32_e32 v29, v10, v10
	v_min_f32_e32 v16, v29, v12
	v_cmp_u_f32_e32 vcc, v10, v10
	v_max_f32_e32 v12, v29, v12
	s_nop 0
	v_cndmask_b32_e32 v16, v16, v10, vcc
	v_cndmask_b32_e32 v12, v12, v10, vcc
	v_cndmask_b32_e64 v16, v16, v3, s[34:35]
	v_cndmask_b32_e64 v3, v12, v3, s[34:35]
	v_cmp_neq_f32_e32 vcc, v16, v3
	v_cmp_class_f32_e64 s[0:1], v16, s28
	s_or_b64 s[30:31], vcc, s[0:1]
	s_and_saveexec_b64 s[0:1], s[30:31]
	s_cbranch_execz .LBB474_100
; %bb.99:
	v_sub_f32_e32 v10, v16, v3
	s_mov_b32 s29, 0x3fb8aa3b
	v_mul_f32_e32 v12, 0x3fb8aa3b, v10
	v_fma_f32 v16, v10, s29, -v12
	v_rndne_f32_e32 v29, v12
	v_fmamk_f32 v16, v10, 0x32a5705f, v16
	v_sub_f32_e32 v12, v12, v29
	v_add_f32_e32 v12, v12, v16
	v_exp_f32_e32 v12, v12
	v_cvt_i32_f32_e32 v16, v29
	s_mov_b32 s29, 0xc2ce8ed0
	v_cmp_ngt_f32_e32 vcc, s29, v10
	s_mov_b32 s29, 0x42b17218
	v_ldexp_f32 v12, v12, v16
	v_cndmask_b32_e32 v12, 0, v12, vcc
	v_mov_b32_e32 v16, 0x7f800000
	v_cmp_nlt_f32_e32 vcc, s29, v10
	s_mov_b32 s29, 0x3f2aaaab
	s_mov_b32 s30, 0x7f800000
	v_cndmask_b32_e32 v10, v16, v12, vcc
	v_add_f32_e32 v12, 1.0, v10
	v_add_f32_e32 v29, -1.0, v12
	v_sub_f32_e32 v30, v29, v12
	v_add_f32_e32 v30, 1.0, v30
	v_sub_f32_e32 v29, v10, v29
	v_add_f32_e32 v29, v29, v30
	v_frexp_mant_f32_e32 v32, v12
	v_cvt_f64_f32_e32 v[30:31], v12
	v_frexp_exp_i32_f64_e32 v30, v[30:31]
	v_cmp_gt_f32_e32 vcc, s29, v32
	s_mov_b32 s29, 0x3f317218
	s_nop 0
	v_subbrev_co_u32_e32 v32, vcc, 0, v30, vcc
	v_sub_u32_e32 v30, 0, v32
	v_ldexp_f32 v12, v12, v30
	v_ldexp_f32 v29, v29, v30
	v_add_f32_e32 v30, -1.0, v12
	v_add_f32_e32 v31, 1.0, v30
	v_sub_f32_e32 v31, v12, v31
	v_add_f32_e32 v34, v29, v31
	v_add_f32_e32 v31, 1.0, v12
	s_waitcnt lgkmcnt(0)
	v_add_f32_e32 v35, -1.0, v31
	v_sub_f32_e32 v12, v12, v35
	v_add_f32_e32 v12, v29, v12
	v_add_f32_e32 v29, v31, v12
	v_rcp_f32_e32 v40, v29
	v_sub_f32_e32 v31, v31, v29
	v_add_f32_e32 v12, v12, v31
	v_add_f32_e32 v31, v30, v34
	v_sub_f32_e32 v30, v30, v31
	v_mul_f32_e32 v42, v31, v40
	v_add_f32_e32 v41, v34, v30
	v_mul_f32_e32 v34, v29, v42
	v_fma_f32 v36, v42, v29, -v34
	v_fmac_f32_e32 v36, v42, v12
	v_add_f32_e32 v30, v34, v36
	v_sub_f32_e32 v35, v31, v30
	v_pk_add_f32 v[38:39], v[30:31], v[34:35] neg_lo:[0,1] neg_hi:[0,1]
	v_mov_b32_e32 v37, v30
	v_pk_add_f32 v[30:31], v[38:39], v[36:37] neg_lo:[0,1] neg_hi:[0,1]
	v_cmp_neq_f32_e32 vcc, s30, v10
	v_add_f32_e32 v31, v41, v31
	v_add_f32_e32 v30, v30, v31
	;; [unrolled: 1-line block ×3, first 2 shown]
	v_mul_f32_e32 v41, v40, v31
	v_mul_f32_e32 v34, v29, v41
	v_fma_f32 v36, v41, v29, -v34
	v_fmac_f32_e32 v36, v41, v12
	v_sub_f32_e32 v12, v35, v31
	v_add_f32_e32 v12, v30, v12
	v_add_f32_e32 v30, v34, v36
	v_sub_f32_e32 v35, v31, v30
	v_pk_add_f32 v[38:39], v[30:31], v[34:35] neg_lo:[0,1] neg_hi:[0,1]
	v_mov_b32_e32 v37, v30
	v_pk_add_f32 v[30:31], v[38:39], v[36:37] neg_lo:[0,1] neg_hi:[0,1]
	v_add_f32_e32 v29, v42, v41
	v_add_f32_e32 v12, v12, v31
	;; [unrolled: 1-line block ×4, first 2 shown]
	v_sub_f32_e32 v30, v29, v42
	v_mul_f32_e32 v12, v40, v12
	v_sub_f32_e32 v30, v41, v30
	v_add_f32_e32 v12, v30, v12
	v_add_f32_e32 v30, v29, v12
	v_cvt_f32_i32_e32 v34, v32
	v_mul_f32_e32 v35, v30, v30
	v_mov_b32_e32 v31, 0x3ecc95a3
	v_fmac_f32_e32 v31, 0x3e9b6dac, v35
	v_fmaak_f32 v31, v35, v31, 0x3f2aaada
	v_sub_f32_e32 v29, v30, v29
	v_ldexp_f32 v37, v30, 1
	v_mul_f32_e32 v35, v30, v35
	v_mov_b32_e32 v30, 0x3f317218
	v_pk_mul_f32 v[30:31], v[34:35], v[30:31]
	v_sub_f32_e32 v12, v12, v29
	v_fma_f32 v29, v34, s29, -v30
	v_fmamk_f32 v36, v34, 0xb102e308, v29
	v_pk_add_f32 v[34:35], v[30:31], v[36:37]
	v_ldexp_f32 v12, v12, 1
	v_sub_f32_e32 v29, v35, v37
	v_sub_f32_e32 v29, v31, v29
	v_add_f32_e32 v39, v12, v29
	v_mov_b32_e32 v38, v30
	v_pk_add_f32 v[30:31], v[34:35], v[30:31] neg_lo:[0,1] neg_hi:[0,1]
	v_pk_add_f32 v[40:41], v[34:35], v[38:39]
	v_mov_b32_e32 v37, v34
	v_mov_b32_e32 v31, v41
	v_pk_add_f32 v[42:43], v[36:37], v[30:31] neg_lo:[0,1] neg_hi:[0,1]
	v_pk_add_f32 v[30:31], v[36:37], v[30:31]
	v_mov_b32_e32 v38, v39
	v_pk_add_f32 v[36:37], v[30:31], v[34:35] op_sel:[1,0] op_sel_hi:[0,1] neg_lo:[0,1] neg_hi:[0,1]
	v_pk_add_f32 v[44:45], v[40:41], v[36:37] op_sel_hi:[1,0] neg_lo:[0,1] neg_hi:[0,1]
	v_mov_b32_e32 v40, v41
	v_mov_b32_e32 v41, v31
	v_pk_mov_b32 v[36:37], v[34:35], v[36:37] op_sel:[1,0]
	v_mov_b32_e32 v39, v34
	v_pk_add_f32 v[36:37], v[40:41], v[36:37] neg_lo:[0,1] neg_hi:[0,1]
	v_mov_b32_e32 v44, v42
	v_pk_add_f32 v[34:35], v[38:39], v[36:37] neg_lo:[0,1] neg_hi:[0,1]
	v_mov_b32_e32 v43, v31
	v_pk_add_f32 v[36:37], v[44:45], v[34:35]
	s_mov_b32 s29, 0x33800000
	v_pk_add_f32 v[38:39], v[36:37], v[36:37] op_sel:[0,1] op_sel_hi:[1,0]
	s_nop 0
	v_pk_add_f32 v[30:31], v[30:31], v[38:39] op_sel:[1,0] op_sel_hi:[0,1]
	v_mov_b32_e32 v37, v30
	v_pk_add_f32 v[40:41], v[36:37], v[42:43] neg_lo:[0,1] neg_hi:[0,1]
	v_mov_b32_e32 v35, v38
	v_sub_f32_e32 v12, v36, v40
	v_pk_add_f32 v[34:35], v[34:35], v[40:41] neg_lo:[0,1] neg_hi:[0,1]
	v_sub_f32_e32 v12, v42, v12
	v_add_f32_e32 v12, v34, v12
	v_add_f32_e32 v12, v12, v35
	v_add_f32_e32 v12, v30, v12
	v_cndmask_b32_e32 v12, v16, v12, vcc
	v_cmp_lt_f32_e64 vcc, |v10|, s29
	s_nop 1
	v_cndmask_b32_e32 v10, v12, v10, vcc
	v_add_f32_e32 v10, v3, v10
.LBB474_100:
	s_or_b64 exec, exec, s[0:1]
	v_bfe_u32 v3, v10, 16, 1
	s_movk_i32 s29, 0x7fff
	v_add3_u32 v3, v10, v3, s29
	v_cmp_o_f32_e32 vcc, v10, v10
	v_mov_b32_e32 v10, 0x7fc0
	s_nop 0
	v_cndmask_b32_sdwa v3, v10, v3, vcc dst_sel:DWORD dst_unused:UNUSED_PAD src0_sel:DWORD src1_sel:WORD_1
	v_lshlrev_b32_e32 v12, 16, v3
	v_max_f32_e32 v29, v12, v12
	v_min_f32_e32 v16, v29, v13
	v_cmp_u_f32_e32 vcc, v12, v12
	v_max_f32_e32 v13, v29, v13
	s_nop 0
	v_cndmask_b32_e32 v16, v16, v12, vcc
	v_cndmask_b32_e32 v13, v13, v12, vcc
	v_cndmask_b32_e64 v16, v16, v11, s[36:37]
	v_cndmask_b32_e64 v11, v13, v11, s[36:37]
	v_cmp_neq_f32_e32 vcc, v16, v11
	v_cmp_class_f32_e64 s[0:1], v16, s28
	s_or_b64 s[30:31], vcc, s[0:1]
	s_and_saveexec_b64 s[0:1], s[30:31]
	s_cbranch_execz .LBB474_102
; %bb.101:
	v_sub_f32_e32 v12, v16, v11
	s_mov_b32 s28, 0x3fb8aa3b
	v_mul_f32_e32 v13, 0x3fb8aa3b, v12
	v_fma_f32 v16, v12, s28, -v13
	v_rndne_f32_e32 v29, v13
	v_fmamk_f32 v16, v12, 0x32a5705f, v16
	v_sub_f32_e32 v13, v13, v29
	v_add_f32_e32 v13, v13, v16
	v_exp_f32_e32 v13, v13
	v_cvt_i32_f32_e32 v16, v29
	s_mov_b32 s28, 0xc2ce8ed0
	v_cmp_ngt_f32_e32 vcc, s28, v12
	s_mov_b32 s28, 0x42b17218
	v_ldexp_f32 v13, v13, v16
	v_cndmask_b32_e32 v13, 0, v13, vcc
	v_mov_b32_e32 v16, 0x7f800000
	v_cmp_nlt_f32_e32 vcc, s28, v12
	s_mov_b32 s28, 0x3f2aaaab
	s_mov_b32 s30, 0x7f800000
	v_cndmask_b32_e32 v29, v16, v13, vcc
	v_add_f32_e32 v30, 1.0, v29
	v_add_f32_e32 v12, -1.0, v30
	v_sub_f32_e32 v13, v12, v30
	v_add_f32_e32 v13, 1.0, v13
	v_sub_f32_e32 v12, v29, v12
	v_add_f32_e32 v31, v12, v13
	v_frexp_mant_f32_e32 v32, v30
	v_cvt_f64_f32_e32 v[12:13], v30
	v_frexp_exp_i32_f64_e32 v12, v[12:13]
	v_cmp_gt_f32_e32 vcc, s28, v32
	s_mov_b32 s28, 0x3f317218
	s_nop 0
	v_subbrev_co_u32_e32 v32, vcc, 0, v12, vcc
	v_sub_u32_e32 v12, 0, v32
	v_ldexp_f32 v13, v30, v12
	v_add_f32_e32 v30, -1.0, v13
	v_add_f32_e32 v34, 1.0, v13
	v_ldexp_f32 v12, v31, v12
	v_add_f32_e32 v31, 1.0, v30
	s_waitcnt lgkmcnt(0)
	v_add_f32_e32 v35, -1.0, v34
	v_sub_f32_e32 v31, v13, v31
	v_sub_f32_e32 v13, v13, v35
	v_add_f32_e32 v31, v12, v31
	v_add_f32_e32 v12, v12, v13
	v_add_f32_e32 v38, v34, v12
	v_rcp_f32_e32 v40, v38
	v_sub_f32_e32 v13, v34, v38
	v_add_f32_e32 v39, v12, v13
	v_add_f32_e32 v13, v30, v31
	v_mul_f32_e32 v42, v13, v40
	v_sub_f32_e32 v12, v30, v13
	v_mul_f32_e32 v30, v38, v42
	v_fma_f32 v34, v42, v38, -v30
	v_fmac_f32_e32 v34, v42, v39
	v_add_f32_e32 v41, v31, v12
	v_add_f32_e32 v12, v30, v34
	v_sub_f32_e32 v31, v13, v12
	v_pk_add_f32 v[36:37], v[12:13], v[30:31] neg_lo:[0,1] neg_hi:[0,1]
	v_mov_b32_e32 v35, v12
	v_pk_add_f32 v[12:13], v[36:37], v[34:35] neg_lo:[0,1] neg_hi:[0,1]
	v_cmp_neq_f32_e32 vcc, s30, v29
	v_add_f32_e32 v13, v41, v13
	v_add_f32_e32 v12, v12, v13
	;; [unrolled: 1-line block ×3, first 2 shown]
	v_mul_f32_e32 v41, v40, v13
	v_mul_f32_e32 v30, v38, v41
	v_fma_f32 v34, v41, v38, -v30
	v_fmac_f32_e32 v34, v41, v39
	v_sub_f32_e32 v31, v31, v13
	v_add_f32_e32 v38, v12, v31
	v_add_f32_e32 v12, v30, v34
	v_sub_f32_e32 v31, v13, v12
	v_pk_add_f32 v[36:37], v[12:13], v[30:31] neg_lo:[0,1] neg_hi:[0,1]
	v_mov_b32_e32 v35, v12
	v_pk_add_f32 v[12:13], v[36:37], v[34:35] neg_lo:[0,1] neg_hi:[0,1]
	v_cvt_f32_i32_e32 v30, v32
	v_add_f32_e32 v13, v38, v13
	v_add_f32_e32 v12, v12, v13
	;; [unrolled: 1-line block ×4, first 2 shown]
	v_sub_f32_e32 v13, v31, v42
	v_mul_f32_e32 v12, v40, v12
	v_sub_f32_e32 v13, v41, v13
	v_add_f32_e32 v12, v13, v12
	v_add_f32_e32 v34, v31, v12
	v_mul_f32_e32 v36, v34, v34
	v_mov_b32_e32 v13, 0x3ecc95a3
	v_sub_f32_e32 v31, v34, v31
	v_fmac_f32_e32 v13, 0x3e9b6dac, v36
	v_sub_f32_e32 v12, v12, v31
	v_fmaak_f32 v13, v36, v13, 0x3f2aaada
	v_ldexp_f32 v32, v12, 1
	v_mul_f32_e32 v31, v34, v36
	v_mov_b32_e32 v12, 0x3f317218
	v_pk_mul_f32 v[12:13], v[30:31], v[12:13]
	v_ldexp_f32 v35, v34, 1
	v_fma_f32 v31, v30, s28, -v12
	v_fmamk_f32 v34, v30, 0xb102e308, v31
	v_pk_add_f32 v[30:31], v[12:13], v[34:35]
	v_mov_b32_e32 v36, v12
	v_sub_f32_e32 v35, v31, v35
	v_sub_f32_e32 v35, v13, v35
	v_add_f32_e32 v37, v32, v35
	v_pk_add_f32 v[12:13], v[30:31], v[12:13] neg_lo:[0,1] neg_hi:[0,1]
	v_pk_add_f32 v[38:39], v[30:31], v[36:37]
	v_mov_b32_e32 v35, v30
	v_mov_b32_e32 v13, v39
	v_pk_add_f32 v[40:41], v[34:35], v[12:13] neg_lo:[0,1] neg_hi:[0,1]
	v_pk_add_f32 v[12:13], v[34:35], v[12:13]
	v_mov_b32_e32 v36, v37
	v_pk_add_f32 v[34:35], v[12:13], v[30:31] op_sel:[1,0] op_sel_hi:[0,1] neg_lo:[0,1] neg_hi:[0,1]
	v_pk_add_f32 v[42:43], v[38:39], v[34:35] op_sel_hi:[1,0] neg_lo:[0,1] neg_hi:[0,1]
	v_mov_b32_e32 v38, v39
	v_mov_b32_e32 v39, v13
	v_pk_mov_b32 v[34:35], v[30:31], v[34:35] op_sel:[1,0]
	v_mov_b32_e32 v37, v30
	v_pk_add_f32 v[34:35], v[38:39], v[34:35] neg_lo:[0,1] neg_hi:[0,1]
	v_mov_b32_e32 v42, v40
	v_pk_add_f32 v[30:31], v[36:37], v[34:35] neg_lo:[0,1] neg_hi:[0,1]
	v_mov_b32_e32 v41, v13
	v_pk_add_f32 v[34:35], v[42:43], v[30:31]
	s_mov_b32 s28, 0x33800000
	v_pk_add_f32 v[36:37], v[34:35], v[34:35] op_sel:[0,1] op_sel_hi:[1,0]
	s_nop 0
	v_pk_add_f32 v[12:13], v[12:13], v[36:37] op_sel:[1,0] op_sel_hi:[0,1]
	v_mov_b32_e32 v35, v12
	v_pk_add_f32 v[38:39], v[34:35], v[40:41] neg_lo:[0,1] neg_hi:[0,1]
	v_mov_b32_e32 v31, v36
	v_sub_f32_e32 v13, v34, v38
	v_pk_add_f32 v[30:31], v[30:31], v[38:39] neg_lo:[0,1] neg_hi:[0,1]
	v_sub_f32_e32 v13, v40, v13
	v_add_f32_e32 v13, v30, v13
	v_add_f32_e32 v13, v13, v31
	;; [unrolled: 1-line block ×3, first 2 shown]
	v_cndmask_b32_e32 v12, v16, v12, vcc
	v_cmp_lt_f32_e64 vcc, |v29|, s28
	s_nop 1
	v_cndmask_b32_e32 v12, v12, v29, vcc
	v_add_f32_e32 v12, v11, v12
.LBB474_102:
	s_or_b64 exec, exec, s[0:1]
	v_bfe_u32 v11, v12, 16, 1
	v_add3_u32 v11, v12, v11, s29
	v_cmp_o_f32_e32 vcc, v12, v12
	s_movk_i32 s28, 0x1f8
	s_nop 0
	v_cndmask_b32_sdwa v10, v10, v11, vcc dst_sel:DWORD dst_unused:UNUSED_PAD src0_sel:DWORD src1_sel:WORD_1
	v_lshlrev_b32_e32 v11, 16, v10
	v_max_f32_e32 v13, v11, v11
	v_min_f32_e32 v12, v13, v15
	v_cmp_u_f32_e32 vcc, v11, v11
	v_max_f32_e32 v13, v13, v15
	s_nop 0
	v_cndmask_b32_e32 v12, v12, v11, vcc
	v_cndmask_b32_e32 v13, v13, v11, vcc
	v_cndmask_b32_e64 v12, v12, v6, s[38:39]
	v_cndmask_b32_e64 v6, v13, v6, s[38:39]
	v_cmp_neq_f32_e32 vcc, v12, v6
	v_cmp_class_f32_e64 s[0:1], v12, s28
	s_or_b64 s[30:31], vcc, s[0:1]
	s_and_saveexec_b64 s[0:1], s[30:31]
	s_cbranch_execz .LBB474_104
; %bb.103:
	v_sub_f32_e32 v11, v12, v6
	s_mov_b32 s29, 0x3fb8aa3b
	v_mul_f32_e32 v12, 0x3fb8aa3b, v11
	v_fma_f32 v13, v11, s29, -v12
	v_rndne_f32_e32 v15, v12
	v_fmamk_f32 v13, v11, 0x32a5705f, v13
	v_sub_f32_e32 v12, v12, v15
	v_add_f32_e32 v12, v12, v13
	v_exp_f32_e32 v12, v12
	v_cvt_i32_f32_e32 v13, v15
	s_mov_b32 s29, 0xc2ce8ed0
	v_cmp_ngt_f32_e32 vcc, s29, v11
	s_mov_b32 s29, 0x42b17218
	v_ldexp_f32 v12, v12, v13
	v_cndmask_b32_e32 v12, 0, v12, vcc
	v_mov_b32_e32 v15, 0x7f800000
	v_cmp_nlt_f32_e32 vcc, s29, v11
	s_mov_b32 s29, 0x3f2aaaab
	s_mov_b32 s30, 0x7f800000
	v_cndmask_b32_e32 v11, v15, v12, vcc
	v_add_f32_e32 v16, 1.0, v11
	v_add_f32_e32 v12, -1.0, v16
	v_sub_f32_e32 v13, v12, v16
	v_add_f32_e32 v13, 1.0, v13
	v_sub_f32_e32 v12, v11, v12
	v_add_f32_e32 v29, v12, v13
	v_frexp_mant_f32_e32 v30, v16
	v_cvt_f64_f32_e32 v[12:13], v16
	v_frexp_exp_i32_f64_e32 v12, v[12:13]
	v_cmp_gt_f32_e32 vcc, s29, v30
	s_mov_b32 s29, 0x3f317218
	s_nop 0
	v_subbrev_co_u32_e32 v32, vcc, 0, v12, vcc
	v_sub_u32_e32 v12, 0, v32
	v_ldexp_f32 v13, v16, v12
	v_add_f32_e32 v16, -1.0, v13
	v_add_f32_e32 v30, 1.0, v13
	v_ldexp_f32 v12, v29, v12
	v_add_f32_e32 v29, 1.0, v16
	v_add_f32_e32 v31, -1.0, v30
	v_sub_f32_e32 v29, v13, v29
	v_sub_f32_e32 v13, v13, v31
	v_add_f32_e32 v29, v12, v29
	v_add_f32_e32 v12, v12, v13
	;; [unrolled: 1-line block ×3, first 2 shown]
	v_rcp_f32_e32 v40, v38
	v_sub_f32_e32 v13, v30, v38
	v_add_f32_e32 v39, v12, v13
	v_add_f32_e32 v13, v16, v29
	v_sub_f32_e32 v12, v16, v13
	v_add_f32_e32 v16, v29, v12
	v_mul_f32_e32 v29, v13, v40
	v_mul_f32_e32 v30, v38, v29
	v_fma_f32 v34, v29, v38, -v30
	v_fmac_f32_e32 v34, v29, v39
	v_add_f32_e32 v12, v30, v34
	v_sub_f32_e32 v31, v13, v12
	v_pk_add_f32 v[36:37], v[12:13], v[30:31] neg_lo:[0,1] neg_hi:[0,1]
	s_waitcnt lgkmcnt(0)
	v_mov_b32_e32 v35, v12
	v_pk_add_f32 v[12:13], v[36:37], v[34:35] neg_lo:[0,1] neg_hi:[0,1]
	v_cmp_neq_f32_e32 vcc, s30, v11
	v_add_f32_e32 v13, v16, v13
	v_add_f32_e32 v12, v12, v13
	v_add_f32_e32 v13, v31, v12
	v_mul_f32_e32 v16, v40, v13
	v_mul_f32_e32 v30, v38, v16
	v_fma_f32 v34, v16, v38, -v30
	v_fmac_f32_e32 v34, v16, v39
	v_sub_f32_e32 v31, v31, v13
	v_add_f32_e32 v38, v12, v31
	v_add_f32_e32 v12, v30, v34
	v_sub_f32_e32 v31, v13, v12
	v_pk_add_f32 v[36:37], v[12:13], v[30:31] neg_lo:[0,1] neg_hi:[0,1]
	v_mov_b32_e32 v35, v12
	v_pk_add_f32 v[12:13], v[36:37], v[34:35] neg_lo:[0,1] neg_hi:[0,1]
	v_cvt_f32_i32_e32 v30, v32
	v_add_f32_e32 v13, v38, v13
	v_add_f32_e32 v12, v12, v13
	;; [unrolled: 1-line block ×4, first 2 shown]
	v_sub_f32_e32 v13, v31, v29
	v_mul_f32_e32 v12, v40, v12
	v_sub_f32_e32 v13, v16, v13
	v_add_f32_e32 v12, v13, v12
	v_add_f32_e32 v16, v31, v12
	v_mul_f32_e32 v29, v16, v16
	v_mov_b32_e32 v13, 0x3ecc95a3
	v_sub_f32_e32 v31, v16, v31
	v_fmac_f32_e32 v13, 0x3e9b6dac, v29
	v_sub_f32_e32 v12, v12, v31
	v_fmaak_f32 v13, v29, v13, 0x3f2aaada
	v_ldexp_f32 v32, v12, 1
	v_mul_f32_e32 v31, v16, v29
	v_mov_b32_e32 v12, 0x3f317218
	v_pk_mul_f32 v[12:13], v[30:31], v[12:13]
	v_ldexp_f32 v35, v16, 1
	v_fma_f32 v16, v30, s29, -v12
	v_fmamk_f32 v34, v30, 0xb102e308, v16
	v_pk_add_f32 v[30:31], v[12:13], v[34:35]
	v_mov_b32_e32 v36, v12
	v_sub_f32_e32 v16, v31, v35
	v_sub_f32_e32 v16, v13, v16
	v_add_f32_e32 v37, v32, v16
	v_pk_add_f32 v[12:13], v[30:31], v[12:13] neg_lo:[0,1] neg_hi:[0,1]
	v_pk_add_f32 v[38:39], v[30:31], v[36:37]
	v_mov_b32_e32 v35, v30
	v_mov_b32_e32 v13, v39
	v_pk_add_f32 v[40:41], v[34:35], v[12:13] neg_lo:[0,1] neg_hi:[0,1]
	v_pk_add_f32 v[12:13], v[34:35], v[12:13]
	v_mov_b32_e32 v36, v37
	v_pk_add_f32 v[34:35], v[12:13], v[30:31] op_sel:[1,0] op_sel_hi:[0,1] neg_lo:[0,1] neg_hi:[0,1]
	v_pk_add_f32 v[42:43], v[38:39], v[34:35] op_sel_hi:[1,0] neg_lo:[0,1] neg_hi:[0,1]
	v_mov_b32_e32 v38, v39
	v_mov_b32_e32 v39, v13
	v_pk_mov_b32 v[34:35], v[30:31], v[34:35] op_sel:[1,0]
	v_mov_b32_e32 v37, v30
	v_pk_add_f32 v[34:35], v[38:39], v[34:35] neg_lo:[0,1] neg_hi:[0,1]
	v_mov_b32_e32 v42, v40
	v_pk_add_f32 v[30:31], v[36:37], v[34:35] neg_lo:[0,1] neg_hi:[0,1]
	v_mov_b32_e32 v41, v13
	v_pk_add_f32 v[34:35], v[42:43], v[30:31]
	s_mov_b32 s29, 0x33800000
	v_pk_add_f32 v[36:37], v[34:35], v[34:35] op_sel:[0,1] op_sel_hi:[1,0]
	s_nop 0
	v_pk_add_f32 v[12:13], v[12:13], v[36:37] op_sel:[1,0] op_sel_hi:[0,1]
	v_mov_b32_e32 v35, v12
	v_pk_add_f32 v[38:39], v[34:35], v[40:41] neg_lo:[0,1] neg_hi:[0,1]
	v_mov_b32_e32 v31, v36
	v_sub_f32_e32 v13, v34, v38
	v_pk_add_f32 v[30:31], v[30:31], v[38:39] neg_lo:[0,1] neg_hi:[0,1]
	v_sub_f32_e32 v13, v40, v13
	v_add_f32_e32 v13, v30, v13
	v_add_f32_e32 v13, v13, v31
	;; [unrolled: 1-line block ×3, first 2 shown]
	v_cndmask_b32_e32 v12, v15, v12, vcc
	v_cmp_lt_f32_e64 vcc, |v11|, s29
	s_nop 1
	v_cndmask_b32_e32 v11, v12, v11, vcc
	v_add_f32_e32 v11, v6, v11
.LBB474_104:
	s_or_b64 exec, exec, s[0:1]
	v_bfe_u32 v6, v11, 16, 1
	s_movk_i32 s29, 0x7fff
	v_add3_u32 v6, v11, v6, s29
	v_cmp_o_f32_e32 vcc, v11, v11
	v_mov_b32_e32 v11, 0x7fc0
	s_nop 0
	v_cndmask_b32_sdwa v6, v11, v6, vcc dst_sel:DWORD dst_unused:UNUSED_PAD src0_sel:DWORD src1_sel:WORD_1
	v_lshlrev_b32_e32 v13, 16, v6
	v_max_f32_e32 v12, v13, v13
	v_min_f32_e32 v15, v12, v17
	v_cmp_u_f32_e32 vcc, v13, v13
	v_max_f32_e32 v12, v12, v17
	s_nop 0
	v_cndmask_b32_e32 v15, v15, v13, vcc
	v_cndmask_b32_e32 v12, v12, v13, vcc
	v_cndmask_b32_e64 v15, v15, v14, s[40:41]
	v_cndmask_b32_e64 v12, v12, v14, s[40:41]
	v_cmp_neq_f32_e32 vcc, v15, v12
	v_cmp_class_f32_e64 s[0:1], v15, s28
	s_or_b64 s[30:31], vcc, s[0:1]
	s_and_saveexec_b64 s[0:1], s[30:31]
	s_cbranch_execz .LBB474_106
; %bb.105:
	v_sub_f32_e32 v13, v15, v12
	s_mov_b32 s28, 0x3fb8aa3b
	v_mul_f32_e32 v14, 0x3fb8aa3b, v13
	v_fma_f32 v15, v13, s28, -v14
	v_rndne_f32_e32 v16, v14
	v_fmamk_f32 v15, v13, 0x32a5705f, v15
	v_sub_f32_e32 v14, v14, v16
	v_add_f32_e32 v14, v14, v15
	v_exp_f32_e32 v14, v14
	v_cvt_i32_f32_e32 v15, v16
	s_mov_b32 s28, 0xc2ce8ed0
	v_cmp_ngt_f32_e32 vcc, s28, v13
	s_mov_b32 s28, 0x42b17218
	v_ldexp_f32 v14, v14, v15
	v_cndmask_b32_e32 v14, 0, v14, vcc
	v_mov_b32_e32 v29, 0x7f800000
	v_cmp_nlt_f32_e32 vcc, s28, v13
	s_mov_b32 s28, 0x3f2aaaab
	s_mov_b32 s30, 0x7f800000
	v_cndmask_b32_e32 v13, v29, v14, vcc
	v_add_f32_e32 v16, 1.0, v13
	v_add_f32_e32 v14, -1.0, v16
	v_sub_f32_e32 v15, v14, v16
	v_add_f32_e32 v15, 1.0, v15
	v_sub_f32_e32 v14, v13, v14
	v_add_f32_e32 v17, v14, v15
	v_frexp_mant_f32_e32 v30, v16
	v_cvt_f64_f32_e32 v[14:15], v16
	v_frexp_exp_i32_f64_e32 v14, v[14:15]
	v_cmp_gt_f32_e32 vcc, s28, v30
	s_mov_b32 s28, 0x3f317218
	s_nop 0
	v_subbrev_co_u32_e32 v32, vcc, 0, v14, vcc
	v_sub_u32_e32 v14, 0, v32
	v_ldexp_f32 v15, v16, v14
	v_add_f32_e32 v16, -1.0, v15
	v_add_f32_e32 v30, 1.0, v15
	v_ldexp_f32 v14, v17, v14
	v_add_f32_e32 v17, 1.0, v16
	v_add_f32_e32 v31, -1.0, v30
	v_sub_f32_e32 v17, v15, v17
	v_sub_f32_e32 v15, v15, v31
	v_add_f32_e32 v17, v14, v17
	v_add_f32_e32 v14, v14, v15
	;; [unrolled: 1-line block ×3, first 2 shown]
	v_rcp_f32_e32 v38, v36
	v_sub_f32_e32 v15, v30, v36
	v_add_f32_e32 v37, v14, v15
	v_add_f32_e32 v15, v16, v17
	v_mul_f32_e32 v40, v15, v38
	v_sub_f32_e32 v14, v16, v15
	v_mul_f32_e32 v16, v36, v40
	v_fma_f32 v30, v40, v36, -v16
	v_fmac_f32_e32 v30, v40, v37
	v_add_f32_e32 v39, v17, v14
	v_add_f32_e32 v14, v16, v30
	v_sub_f32_e32 v17, v15, v14
	s_waitcnt lgkmcnt(0)
	v_pk_add_f32 v[34:35], v[14:15], v[16:17] neg_lo:[0,1] neg_hi:[0,1]
	v_mov_b32_e32 v31, v14
	v_pk_add_f32 v[14:15], v[34:35], v[30:31] neg_lo:[0,1] neg_hi:[0,1]
	v_cmp_neq_f32_e32 vcc, s30, v13
	v_add_f32_e32 v15, v39, v15
	v_add_f32_e32 v14, v14, v15
	;; [unrolled: 1-line block ×3, first 2 shown]
	v_mul_f32_e32 v39, v38, v15
	v_mul_f32_e32 v16, v36, v39
	v_fma_f32 v30, v39, v36, -v16
	v_fmac_f32_e32 v30, v39, v37
	v_sub_f32_e32 v17, v17, v15
	v_add_f32_e32 v36, v14, v17
	v_add_f32_e32 v14, v16, v30
	v_sub_f32_e32 v17, v15, v14
	v_pk_add_f32 v[34:35], v[14:15], v[16:17] neg_lo:[0,1] neg_hi:[0,1]
	v_mov_b32_e32 v31, v14
	v_pk_add_f32 v[14:15], v[34:35], v[30:31] neg_lo:[0,1] neg_hi:[0,1]
	v_cvt_f32_i32_e32 v16, v32
	v_add_f32_e32 v15, v36, v15
	v_add_f32_e32 v14, v14, v15
	;; [unrolled: 1-line block ×4, first 2 shown]
	v_sub_f32_e32 v15, v17, v40
	v_mul_f32_e32 v14, v38, v14
	v_sub_f32_e32 v15, v39, v15
	v_add_f32_e32 v14, v15, v14
	v_add_f32_e32 v30, v17, v14
	v_mul_f32_e32 v34, v30, v30
	v_mov_b32_e32 v15, 0x3ecc95a3
	v_sub_f32_e32 v17, v30, v17
	v_fmac_f32_e32 v15, 0x3e9b6dac, v34
	v_sub_f32_e32 v14, v14, v17
	v_fmaak_f32 v15, v34, v15, 0x3f2aaada
	v_ldexp_f32 v32, v14, 1
	v_mul_f32_e32 v17, v30, v34
	v_mov_b32_e32 v14, 0x3f317218
	v_pk_mul_f32 v[14:15], v[16:17], v[14:15]
	v_ldexp_f32 v31, v30, 1
	v_fma_f32 v17, v16, s28, -v14
	v_fmamk_f32 v30, v16, 0xb102e308, v17
	v_pk_add_f32 v[16:17], v[14:15], v[30:31]
	v_mov_b32_e32 v34, v14
	v_sub_f32_e32 v31, v17, v31
	v_sub_f32_e32 v31, v15, v31
	v_add_f32_e32 v35, v32, v31
	v_pk_add_f32 v[14:15], v[16:17], v[14:15] neg_lo:[0,1] neg_hi:[0,1]
	v_pk_add_f32 v[36:37], v[16:17], v[34:35]
	v_mov_b32_e32 v31, v16
	v_mov_b32_e32 v15, v37
	v_pk_add_f32 v[38:39], v[30:31], v[14:15] neg_lo:[0,1] neg_hi:[0,1]
	v_pk_add_f32 v[14:15], v[30:31], v[14:15]
	v_mov_b32_e32 v34, v35
	v_pk_add_f32 v[30:31], v[14:15], v[16:17] op_sel:[1,0] op_sel_hi:[0,1] neg_lo:[0,1] neg_hi:[0,1]
	v_pk_add_f32 v[40:41], v[36:37], v[30:31] op_sel_hi:[1,0] neg_lo:[0,1] neg_hi:[0,1]
	v_mov_b32_e32 v36, v37
	v_mov_b32_e32 v37, v15
	v_pk_mov_b32 v[30:31], v[16:17], v[30:31] op_sel:[1,0]
	v_mov_b32_e32 v35, v16
	v_pk_add_f32 v[30:31], v[36:37], v[30:31] neg_lo:[0,1] neg_hi:[0,1]
	v_mov_b32_e32 v40, v38
	v_pk_add_f32 v[16:17], v[34:35], v[30:31] neg_lo:[0,1] neg_hi:[0,1]
	v_mov_b32_e32 v39, v15
	v_pk_add_f32 v[30:31], v[40:41], v[16:17]
	s_mov_b32 s28, 0x33800000
	v_pk_add_f32 v[34:35], v[30:31], v[30:31] op_sel:[0,1] op_sel_hi:[1,0]
	s_nop 0
	v_pk_add_f32 v[14:15], v[14:15], v[34:35] op_sel:[1,0] op_sel_hi:[0,1]
	v_mov_b32_e32 v31, v14
	v_pk_add_f32 v[36:37], v[30:31], v[38:39] neg_lo:[0,1] neg_hi:[0,1]
	v_mov_b32_e32 v17, v34
	v_sub_f32_e32 v15, v30, v36
	v_pk_add_f32 v[16:17], v[16:17], v[36:37] neg_lo:[0,1] neg_hi:[0,1]
	v_sub_f32_e32 v15, v38, v15
	v_add_f32_e32 v15, v16, v15
	v_add_f32_e32 v15, v15, v17
	;; [unrolled: 1-line block ×3, first 2 shown]
	v_cndmask_b32_e32 v14, v29, v14, vcc
	v_cmp_lt_f32_e64 vcc, |v13|, s28
	s_nop 1
	v_cndmask_b32_e32 v13, v14, v13, vcc
	v_add_f32_e32 v13, v12, v13
.LBB474_106:
	s_or_b64 exec, exec, s[0:1]
	v_bfe_u32 v12, v13, 16, 1
	v_add3_u32 v12, v13, v12, s29
	v_cmp_o_f32_e32 vcc, v13, v13
	s_movk_i32 s28, 0x1f8
	s_nop 0
	v_cndmask_b32_sdwa v11, v11, v12, vcc dst_sel:DWORD dst_unused:UNUSED_PAD src0_sel:DWORD src1_sel:WORD_1
	v_lshlrev_b32_e32 v12, 16, v11
	v_max_f32_e32 v14, v12, v12
	v_min_f32_e32 v13, v14, v19
	v_cmp_u_f32_e32 vcc, v12, v12
	v_max_f32_e32 v14, v14, v19
	s_nop 0
	v_cndmask_b32_e32 v13, v13, v12, vcc
	v_cndmask_b32_e32 v14, v14, v12, vcc
	v_cndmask_b32_e64 v13, v13, v7, s[42:43]
	v_cndmask_b32_e64 v7, v14, v7, s[42:43]
	v_cmp_neq_f32_e32 vcc, v13, v7
	v_cmp_class_f32_e64 s[0:1], v13, s28
	s_or_b64 s[30:31], vcc, s[0:1]
	s_and_saveexec_b64 s[0:1], s[30:31]
	s_cbranch_execz .LBB474_108
; %bb.107:
	v_sub_f32_e32 v12, v13, v7
	s_mov_b32 s29, 0x3fb8aa3b
	v_mul_f32_e32 v13, 0x3fb8aa3b, v12
	v_fma_f32 v14, v12, s29, -v13
	v_rndne_f32_e32 v15, v13
	v_fmamk_f32 v14, v12, 0x32a5705f, v14
	v_sub_f32_e32 v13, v13, v15
	v_add_f32_e32 v13, v13, v14
	v_exp_f32_e32 v13, v13
	v_cvt_i32_f32_e32 v14, v15
	s_mov_b32 s29, 0xc2ce8ed0
	v_cmp_ngt_f32_e32 vcc, s29, v12
	s_mov_b32 s29, 0x42b17218
	v_ldexp_f32 v13, v13, v14
	v_cndmask_b32_e32 v13, 0, v13, vcc
	v_mov_b32_e32 v19, 0x7f800000
	v_cmp_nlt_f32_e32 vcc, s29, v12
	s_mov_b32 s29, 0x3f2aaaab
	s_mov_b32 s30, 0x7f800000
	v_cndmask_b32_e32 v29, v19, v13, vcc
	v_add_f32_e32 v14, 1.0, v29
	v_add_f32_e32 v12, -1.0, v14
	v_sub_f32_e32 v13, v12, v14
	v_add_f32_e32 v13, 1.0, v13
	v_sub_f32_e32 v12, v29, v12
	v_add_f32_e32 v15, v12, v13
	v_frexp_mant_f32_e32 v16, v14
	v_cvt_f64_f32_e32 v[12:13], v14
	v_frexp_exp_i32_f64_e32 v12, v[12:13]
	v_cmp_gt_f32_e32 vcc, s29, v16
	s_mov_b32 s29, 0x3f317218
	s_nop 0
	v_subbrev_co_u32_e32 v32, vcc, 0, v12, vcc
	v_sub_u32_e32 v12, 0, v32
	v_ldexp_f32 v13, v14, v12
	v_add_f32_e32 v14, -1.0, v13
	v_add_f32_e32 v16, 1.0, v13
	v_ldexp_f32 v12, v15, v12
	v_add_f32_e32 v15, 1.0, v14
	v_add_f32_e32 v17, -1.0, v16
	v_sub_f32_e32 v15, v13, v15
	v_sub_f32_e32 v13, v13, v17
	v_add_f32_e32 v15, v12, v15
	v_add_f32_e32 v12, v12, v13
	;; [unrolled: 1-line block ×3, first 2 shown]
	v_rcp_f32_e32 v36, v34
	v_sub_f32_e32 v13, v16, v34
	s_waitcnt lgkmcnt(0)
	v_add_f32_e32 v35, v12, v13
	v_add_f32_e32 v13, v14, v15
	v_mul_f32_e32 v38, v13, v36
	v_sub_f32_e32 v12, v14, v13
	v_mul_f32_e32 v14, v34, v38
	v_fma_f32 v16, v38, v34, -v14
	v_fmac_f32_e32 v16, v38, v35
	v_add_f32_e32 v37, v15, v12
	v_add_f32_e32 v12, v14, v16
	v_sub_f32_e32 v15, v13, v12
	v_pk_add_f32 v[30:31], v[12:13], v[14:15] neg_lo:[0,1] neg_hi:[0,1]
	v_mov_b32_e32 v17, v12
	v_pk_add_f32 v[12:13], v[30:31], v[16:17] neg_lo:[0,1] neg_hi:[0,1]
	v_cmp_neq_f32_e32 vcc, s30, v29
	v_add_f32_e32 v13, v37, v13
	v_add_f32_e32 v12, v12, v13
	v_add_f32_e32 v13, v15, v12
	v_mul_f32_e32 v37, v36, v13
	v_mul_f32_e32 v14, v34, v37
	v_fma_f32 v16, v37, v34, -v14
	v_fmac_f32_e32 v16, v37, v35
	v_sub_f32_e32 v15, v15, v13
	v_add_f32_e32 v34, v12, v15
	v_add_f32_e32 v12, v14, v16
	v_sub_f32_e32 v15, v13, v12
	v_pk_add_f32 v[30:31], v[12:13], v[14:15] neg_lo:[0,1] neg_hi:[0,1]
	v_mov_b32_e32 v17, v12
	v_pk_add_f32 v[12:13], v[30:31], v[16:17] neg_lo:[0,1] neg_hi:[0,1]
	v_cvt_f32_i32_e32 v14, v32
	v_add_f32_e32 v13, v34, v13
	v_add_f32_e32 v12, v12, v13
	;; [unrolled: 1-line block ×4, first 2 shown]
	v_sub_f32_e32 v13, v15, v38
	v_mul_f32_e32 v12, v36, v12
	v_sub_f32_e32 v13, v37, v13
	v_add_f32_e32 v12, v13, v12
	v_add_f32_e32 v16, v15, v12
	v_mul_f32_e32 v30, v16, v16
	v_mov_b32_e32 v13, 0x3ecc95a3
	v_sub_f32_e32 v15, v16, v15
	v_fmac_f32_e32 v13, 0x3e9b6dac, v30
	v_sub_f32_e32 v12, v12, v15
	v_fmaak_f32 v13, v30, v13, 0x3f2aaada
	v_ldexp_f32 v31, v12, 1
	v_mul_f32_e32 v15, v16, v30
	v_mov_b32_e32 v12, 0x3f317218
	v_pk_mul_f32 v[12:13], v[14:15], v[12:13]
	v_ldexp_f32 v17, v16, 1
	v_fma_f32 v15, v14, s29, -v12
	v_fmamk_f32 v16, v14, 0xb102e308, v15
	v_pk_add_f32 v[14:15], v[12:13], v[16:17]
	v_mov_b32_e32 v30, v12
	v_sub_f32_e32 v17, v15, v17
	v_sub_f32_e32 v17, v13, v17
	v_add_f32_e32 v31, v31, v17
	v_pk_add_f32 v[12:13], v[14:15], v[12:13] neg_lo:[0,1] neg_hi:[0,1]
	v_pk_add_f32 v[34:35], v[14:15], v[30:31]
	v_mov_b32_e32 v17, v14
	v_mov_b32_e32 v13, v35
	v_pk_add_f32 v[36:37], v[16:17], v[12:13] neg_lo:[0,1] neg_hi:[0,1]
	v_pk_add_f32 v[12:13], v[16:17], v[12:13]
	v_mov_b32_e32 v30, v31
	v_pk_add_f32 v[16:17], v[12:13], v[14:15] op_sel:[1,0] op_sel_hi:[0,1] neg_lo:[0,1] neg_hi:[0,1]
	v_pk_add_f32 v[38:39], v[34:35], v[16:17] op_sel_hi:[1,0] neg_lo:[0,1] neg_hi:[0,1]
	v_mov_b32_e32 v34, v35
	v_mov_b32_e32 v35, v13
	v_pk_mov_b32 v[16:17], v[14:15], v[16:17] op_sel:[1,0]
	v_mov_b32_e32 v31, v14
	v_pk_add_f32 v[16:17], v[34:35], v[16:17] neg_lo:[0,1] neg_hi:[0,1]
	v_mov_b32_e32 v38, v36
	v_pk_add_f32 v[14:15], v[30:31], v[16:17] neg_lo:[0,1] neg_hi:[0,1]
	v_mov_b32_e32 v37, v13
	v_pk_add_f32 v[16:17], v[38:39], v[14:15]
	s_mov_b32 s29, 0x33800000
	v_pk_add_f32 v[30:31], v[16:17], v[16:17] op_sel:[0,1] op_sel_hi:[1,0]
	s_nop 0
	v_pk_add_f32 v[12:13], v[12:13], v[30:31] op_sel:[1,0] op_sel_hi:[0,1]
	v_mov_b32_e32 v17, v12
	v_pk_add_f32 v[34:35], v[16:17], v[36:37] neg_lo:[0,1] neg_hi:[0,1]
	v_mov_b32_e32 v15, v30
	v_sub_f32_e32 v13, v16, v34
	v_pk_add_f32 v[14:15], v[14:15], v[34:35] neg_lo:[0,1] neg_hi:[0,1]
	v_sub_f32_e32 v13, v36, v13
	v_add_f32_e32 v13, v14, v13
	v_add_f32_e32 v13, v13, v15
	;; [unrolled: 1-line block ×3, first 2 shown]
	v_cndmask_b32_e32 v12, v19, v12, vcc
	v_cmp_lt_f32_e64 vcc, |v29|, s29
	s_nop 1
	v_cndmask_b32_e32 v12, v12, v29, vcc
	v_add_f32_e32 v12, v7, v12
.LBB474_108:
	s_or_b64 exec, exec, s[0:1]
	v_bfe_u32 v7, v12, 16, 1
	s_movk_i32 s29, 0x7fff
	v_add3_u32 v7, v12, v7, s29
	v_cmp_o_f32_e32 vcc, v12, v12
	v_mov_b32_e32 v12, 0x7fc0
	s_nop 0
	v_cndmask_b32_sdwa v7, v12, v7, vcc dst_sel:DWORD dst_unused:UNUSED_PAD src0_sel:DWORD src1_sel:WORD_1
	v_lshlrev_b32_e32 v14, 16, v7
	v_max_f32_e32 v13, v14, v14
	v_min_f32_e32 v15, v13, v20
	v_cmp_u_f32_e32 vcc, v14, v14
	v_max_f32_e32 v13, v13, v20
	s_nop 0
	v_cndmask_b32_e32 v15, v15, v14, vcc
	v_cndmask_b32_e32 v13, v13, v14, vcc
	v_cndmask_b32_e64 v15, v15, v18, s[44:45]
	v_cndmask_b32_e64 v13, v13, v18, s[44:45]
	v_cmp_neq_f32_e32 vcc, v15, v13
	v_cmp_class_f32_e64 s[0:1], v15, s28
	s_or_b64 s[30:31], vcc, s[0:1]
	s_and_saveexec_b64 s[0:1], s[30:31]
	s_cbranch_execz .LBB474_110
; %bb.109:
	v_sub_f32_e32 v14, v15, v13
	s_mov_b32 s28, 0x3fb8aa3b
	v_mul_f32_e32 v15, 0x3fb8aa3b, v14
	v_fma_f32 v16, v14, s28, -v15
	v_rndne_f32_e32 v17, v15
	v_fmamk_f32 v16, v14, 0x32a5705f, v16
	v_sub_f32_e32 v15, v15, v17
	v_add_f32_e32 v15, v15, v16
	v_exp_f32_e32 v15, v15
	v_cvt_i32_f32_e32 v16, v17
	s_mov_b32 s28, 0xc2ce8ed0
	v_cmp_ngt_f32_e32 vcc, s28, v14
	s_mov_b32 s28, 0x42b17218
	v_ldexp_f32 v15, v15, v16
	v_cndmask_b32_e32 v15, 0, v15, vcc
	v_mov_b32_e32 v20, 0x7f800000
	v_cmp_nlt_f32_e32 vcc, s28, v14
	s_mov_b32 s28, 0x3f2aaaab
	s_mov_b32 s30, 0x7f800000
	v_cndmask_b32_e32 v29, v20, v15, vcc
	v_add_f32_e32 v16, 1.0, v29
	v_add_f32_e32 v14, -1.0, v16
	v_sub_f32_e32 v15, v14, v16
	v_add_f32_e32 v15, 1.0, v15
	v_sub_f32_e32 v14, v29, v14
	v_add_f32_e32 v17, v14, v15
	v_frexp_mant_f32_e32 v18, v16
	v_cvt_f64_f32_e32 v[14:15], v16
	v_frexp_exp_i32_f64_e32 v14, v[14:15]
	v_cmp_gt_f32_e32 vcc, s28, v18
	s_mov_b32 s28, 0x3f317218
	s_nop 0
	v_subbrev_co_u32_e32 v32, vcc, 0, v14, vcc
	v_sub_u32_e32 v14, 0, v32
	v_ldexp_f32 v15, v16, v14
	v_add_f32_e32 v16, -1.0, v15
	v_add_f32_e32 v18, 1.0, v15
	v_ldexp_f32 v14, v17, v14
	v_add_f32_e32 v17, 1.0, v16
	v_add_f32_e32 v19, -1.0, v18
	v_sub_f32_e32 v17, v15, v17
	v_sub_f32_e32 v15, v15, v19
	v_add_f32_e32 v17, v14, v17
	v_add_f32_e32 v14, v14, v15
	v_add_f32_e32 v34, v18, v14
	v_rcp_f32_e32 v36, v34
	v_sub_f32_e32 v15, v18, v34
	s_waitcnt lgkmcnt(0)
	v_add_f32_e32 v35, v14, v15
	v_add_f32_e32 v15, v16, v17
	v_mul_f32_e32 v38, v15, v36
	v_sub_f32_e32 v14, v16, v15
	v_mul_f32_e32 v16, v34, v38
	v_fma_f32 v18, v38, v34, -v16
	v_fmac_f32_e32 v18, v38, v35
	v_add_f32_e32 v37, v17, v14
	v_add_f32_e32 v14, v16, v18
	v_sub_f32_e32 v17, v15, v14
	v_pk_add_f32 v[30:31], v[14:15], v[16:17] neg_lo:[0,1] neg_hi:[0,1]
	v_mov_b32_e32 v19, v14
	v_pk_add_f32 v[14:15], v[30:31], v[18:19] neg_lo:[0,1] neg_hi:[0,1]
	v_cmp_neq_f32_e32 vcc, s30, v29
	v_add_f32_e32 v15, v37, v15
	v_add_f32_e32 v14, v14, v15
	;; [unrolled: 1-line block ×3, first 2 shown]
	v_mul_f32_e32 v37, v36, v15
	v_mul_f32_e32 v16, v34, v37
	v_fma_f32 v18, v37, v34, -v16
	v_fmac_f32_e32 v18, v37, v35
	v_sub_f32_e32 v17, v17, v15
	v_add_f32_e32 v34, v14, v17
	v_add_f32_e32 v14, v16, v18
	v_sub_f32_e32 v17, v15, v14
	v_pk_add_f32 v[30:31], v[14:15], v[16:17] neg_lo:[0,1] neg_hi:[0,1]
	v_mov_b32_e32 v19, v14
	v_pk_add_f32 v[14:15], v[30:31], v[18:19] neg_lo:[0,1] neg_hi:[0,1]
	v_cvt_f32_i32_e32 v16, v32
	v_add_f32_e32 v15, v34, v15
	v_add_f32_e32 v14, v14, v15
	;; [unrolled: 1-line block ×4, first 2 shown]
	v_sub_f32_e32 v15, v17, v38
	v_mul_f32_e32 v14, v36, v14
	v_sub_f32_e32 v15, v37, v15
	v_add_f32_e32 v14, v15, v14
	v_add_f32_e32 v18, v17, v14
	v_mul_f32_e32 v30, v18, v18
	v_mov_b32_e32 v15, 0x3ecc95a3
	v_sub_f32_e32 v17, v18, v17
	v_fmac_f32_e32 v15, 0x3e9b6dac, v30
	v_sub_f32_e32 v14, v14, v17
	v_fmaak_f32 v15, v30, v15, 0x3f2aaada
	v_ldexp_f32 v31, v14, 1
	v_mul_f32_e32 v17, v18, v30
	v_mov_b32_e32 v14, 0x3f317218
	v_pk_mul_f32 v[14:15], v[16:17], v[14:15]
	v_ldexp_f32 v19, v18, 1
	v_fma_f32 v17, v16, s28, -v14
	v_fmamk_f32 v18, v16, 0xb102e308, v17
	v_pk_add_f32 v[16:17], v[14:15], v[18:19]
	v_mov_b32_e32 v30, v14
	v_sub_f32_e32 v19, v17, v19
	v_sub_f32_e32 v19, v15, v19
	v_add_f32_e32 v31, v31, v19
	v_pk_add_f32 v[14:15], v[16:17], v[14:15] neg_lo:[0,1] neg_hi:[0,1]
	v_pk_add_f32 v[34:35], v[16:17], v[30:31]
	v_mov_b32_e32 v19, v16
	v_mov_b32_e32 v15, v35
	v_pk_add_f32 v[36:37], v[18:19], v[14:15] neg_lo:[0,1] neg_hi:[0,1]
	v_pk_add_f32 v[14:15], v[18:19], v[14:15]
	v_mov_b32_e32 v30, v31
	v_pk_add_f32 v[18:19], v[14:15], v[16:17] op_sel:[1,0] op_sel_hi:[0,1] neg_lo:[0,1] neg_hi:[0,1]
	v_pk_add_f32 v[38:39], v[34:35], v[18:19] op_sel_hi:[1,0] neg_lo:[0,1] neg_hi:[0,1]
	v_mov_b32_e32 v34, v35
	v_mov_b32_e32 v35, v15
	v_pk_mov_b32 v[18:19], v[16:17], v[18:19] op_sel:[1,0]
	v_mov_b32_e32 v31, v16
	v_pk_add_f32 v[18:19], v[34:35], v[18:19] neg_lo:[0,1] neg_hi:[0,1]
	v_mov_b32_e32 v38, v36
	v_pk_add_f32 v[16:17], v[30:31], v[18:19] neg_lo:[0,1] neg_hi:[0,1]
	v_mov_b32_e32 v37, v15
	v_pk_add_f32 v[18:19], v[38:39], v[16:17]
	s_mov_b32 s28, 0x33800000
	v_pk_add_f32 v[30:31], v[18:19], v[18:19] op_sel:[0,1] op_sel_hi:[1,0]
	s_nop 0
	v_pk_add_f32 v[14:15], v[14:15], v[30:31] op_sel:[1,0] op_sel_hi:[0,1]
	v_mov_b32_e32 v19, v14
	v_pk_add_f32 v[34:35], v[18:19], v[36:37] neg_lo:[0,1] neg_hi:[0,1]
	v_mov_b32_e32 v17, v30
	v_sub_f32_e32 v15, v18, v34
	v_pk_add_f32 v[16:17], v[16:17], v[34:35] neg_lo:[0,1] neg_hi:[0,1]
	v_sub_f32_e32 v15, v36, v15
	v_add_f32_e32 v15, v16, v15
	v_add_f32_e32 v15, v15, v17
	;; [unrolled: 1-line block ×3, first 2 shown]
	v_cndmask_b32_e32 v14, v20, v14, vcc
	v_cmp_lt_f32_e64 vcc, |v29|, s28
	s_nop 1
	v_cndmask_b32_e32 v14, v14, v29, vcc
	v_add_f32_e32 v14, v13, v14
.LBB474_110:
	s_or_b64 exec, exec, s[0:1]
	v_bfe_u32 v13, v14, 16, 1
	v_add3_u32 v13, v14, v13, s29
	v_cmp_o_f32_e32 vcc, v14, v14
	s_movk_i32 s28, 0x1f8
	s_nop 0
	v_cndmask_b32_sdwa v12, v12, v13, vcc dst_sel:DWORD dst_unused:UNUSED_PAD src0_sel:DWORD src1_sel:WORD_1
	v_lshlrev_b32_e32 v13, 16, v12
	v_max_f32_e32 v15, v13, v13
	v_min_f32_e32 v14, v15, v22
	v_cmp_u_f32_e32 vcc, v13, v13
	v_max_f32_e32 v15, v15, v22
	s_nop 0
	v_cndmask_b32_e32 v14, v14, v13, vcc
	v_cndmask_b32_e32 v15, v15, v13, vcc
	v_cndmask_b32_e64 v14, v14, v4, s[46:47]
	v_cndmask_b32_e64 v4, v15, v4, s[46:47]
	v_cmp_neq_f32_e32 vcc, v14, v4
	v_cmp_class_f32_e64 s[0:1], v14, s28
	s_or_b64 s[30:31], vcc, s[0:1]
	s_and_saveexec_b64 s[0:1], s[30:31]
	s_cbranch_execz .LBB474_112
; %bb.111:
	v_sub_f32_e32 v13, v14, v4
	s_mov_b32 s29, 0x3fb8aa3b
	v_mul_f32_e32 v14, 0x3fb8aa3b, v13
	v_fma_f32 v15, v13, s29, -v14
	v_rndne_f32_e32 v16, v14
	v_fmamk_f32 v15, v13, 0x32a5705f, v15
	v_sub_f32_e32 v14, v14, v16
	v_add_f32_e32 v14, v14, v15
	v_exp_f32_e32 v14, v14
	v_cvt_i32_f32_e32 v15, v16
	s_mov_b32 s29, 0xc2ce8ed0
	v_cmp_ngt_f32_e32 vcc, s29, v13
	s_mov_b32 s29, 0x42b17218
	v_ldexp_f32 v14, v14, v15
	v_cndmask_b32_e32 v14, 0, v14, vcc
	v_mov_b32_e32 v20, 0x7f800000
	v_cmp_nlt_f32_e32 vcc, s29, v13
	s_mov_b32 s29, 0x3f2aaaab
	s_mov_b32 s30, 0x7f800000
	v_cndmask_b32_e32 v13, v20, v14, vcc
	v_add_f32_e32 v16, 1.0, v13
	v_add_f32_e32 v14, -1.0, v16
	v_sub_f32_e32 v15, v14, v16
	v_add_f32_e32 v15, 1.0, v15
	v_sub_f32_e32 v14, v13, v14
	v_add_f32_e32 v17, v14, v15
	v_frexp_mant_f32_e32 v18, v16
	v_cvt_f64_f32_e32 v[14:15], v16
	v_frexp_exp_i32_f64_e32 v14, v[14:15]
	v_cmp_gt_f32_e32 vcc, s29, v18
	s_mov_b32 s29, 0x3f317218
	s_nop 0
	v_subbrev_co_u32_e32 v22, vcc, 0, v14, vcc
	v_sub_u32_e32 v14, 0, v22
	v_ldexp_f32 v15, v16, v14
	v_add_f32_e32 v16, -1.0, v15
	v_add_f32_e32 v18, 1.0, v15
	v_ldexp_f32 v14, v17, v14
	v_add_f32_e32 v17, 1.0, v16
	v_add_f32_e32 v19, -1.0, v18
	v_sub_f32_e32 v17, v15, v17
	v_sub_f32_e32 v15, v15, v19
	v_add_f32_e32 v17, v14, v17
	v_add_f32_e32 v14, v14, v15
	;; [unrolled: 1-line block ×3, first 2 shown]
	v_rcp_f32_e32 v34, v29
	v_sub_f32_e32 v15, v18, v29
	v_add_f32_e32 v32, v14, v15
	v_add_f32_e32 v15, v16, v17
	v_mul_f32_e32 v36, v15, v34
	v_sub_f32_e32 v14, v16, v15
	v_mul_f32_e32 v16, v29, v36
	v_fma_f32 v18, v36, v29, -v16
	v_fmac_f32_e32 v18, v36, v32
	s_waitcnt lgkmcnt(0)
	v_add_f32_e32 v35, v17, v14
	v_add_f32_e32 v14, v16, v18
	v_sub_f32_e32 v17, v15, v14
	v_pk_add_f32 v[30:31], v[14:15], v[16:17] neg_lo:[0,1] neg_hi:[0,1]
	v_mov_b32_e32 v19, v14
	v_pk_add_f32 v[14:15], v[30:31], v[18:19] neg_lo:[0,1] neg_hi:[0,1]
	v_cmp_neq_f32_e32 vcc, s30, v13
	v_add_f32_e32 v15, v35, v15
	v_add_f32_e32 v14, v14, v15
	;; [unrolled: 1-line block ×3, first 2 shown]
	v_mul_f32_e32 v35, v34, v15
	v_mul_f32_e32 v16, v29, v35
	v_fma_f32 v18, v35, v29, -v16
	v_fmac_f32_e32 v18, v35, v32
	v_sub_f32_e32 v17, v17, v15
	v_add_f32_e32 v29, v14, v17
	v_add_f32_e32 v14, v16, v18
	v_sub_f32_e32 v17, v15, v14
	v_pk_add_f32 v[30:31], v[14:15], v[16:17] neg_lo:[0,1] neg_hi:[0,1]
	v_mov_b32_e32 v19, v14
	v_pk_add_f32 v[14:15], v[30:31], v[18:19] neg_lo:[0,1] neg_hi:[0,1]
	v_cvt_f32_i32_e32 v16, v22
	v_add_f32_e32 v15, v29, v15
	v_add_f32_e32 v14, v14, v15
	;; [unrolled: 1-line block ×4, first 2 shown]
	v_sub_f32_e32 v15, v17, v36
	v_mul_f32_e32 v14, v34, v14
	v_sub_f32_e32 v15, v35, v15
	v_add_f32_e32 v14, v15, v14
	v_add_f32_e32 v18, v17, v14
	v_mul_f32_e32 v29, v18, v18
	v_mov_b32_e32 v15, 0x3ecc95a3
	v_sub_f32_e32 v17, v18, v17
	v_fmac_f32_e32 v15, 0x3e9b6dac, v29
	v_sub_f32_e32 v14, v14, v17
	v_fmaak_f32 v15, v29, v15, 0x3f2aaada
	v_ldexp_f32 v22, v14, 1
	v_mul_f32_e32 v17, v18, v29
	v_mov_b32_e32 v14, 0x3f317218
	v_pk_mul_f32 v[14:15], v[16:17], v[14:15]
	v_ldexp_f32 v19, v18, 1
	v_fma_f32 v17, v16, s29, -v14
	v_fmamk_f32 v18, v16, 0xb102e308, v17
	v_pk_add_f32 v[16:17], v[14:15], v[18:19]
	v_mov_b32_e32 v30, v14
	v_sub_f32_e32 v19, v17, v19
	v_sub_f32_e32 v19, v15, v19
	v_add_f32_e32 v31, v22, v19
	v_pk_add_f32 v[14:15], v[16:17], v[14:15] neg_lo:[0,1] neg_hi:[0,1]
	v_pk_add_f32 v[34:35], v[16:17], v[30:31]
	v_mov_b32_e32 v19, v16
	v_mov_b32_e32 v15, v35
	v_pk_add_f32 v[36:37], v[18:19], v[14:15] neg_lo:[0,1] neg_hi:[0,1]
	v_pk_add_f32 v[14:15], v[18:19], v[14:15]
	v_mov_b32_e32 v30, v31
	v_pk_add_f32 v[18:19], v[14:15], v[16:17] op_sel:[1,0] op_sel_hi:[0,1] neg_lo:[0,1] neg_hi:[0,1]
	v_pk_add_f32 v[38:39], v[34:35], v[18:19] op_sel_hi:[1,0] neg_lo:[0,1] neg_hi:[0,1]
	v_mov_b32_e32 v34, v35
	v_mov_b32_e32 v35, v15
	v_pk_mov_b32 v[18:19], v[16:17], v[18:19] op_sel:[1,0]
	v_mov_b32_e32 v31, v16
	v_pk_add_f32 v[18:19], v[34:35], v[18:19] neg_lo:[0,1] neg_hi:[0,1]
	v_mov_b32_e32 v38, v36
	v_pk_add_f32 v[16:17], v[30:31], v[18:19] neg_lo:[0,1] neg_hi:[0,1]
	v_mov_b32_e32 v37, v15
	v_pk_add_f32 v[18:19], v[38:39], v[16:17]
	s_mov_b32 s29, 0x33800000
	v_pk_add_f32 v[30:31], v[18:19], v[18:19] op_sel:[0,1] op_sel_hi:[1,0]
	s_nop 0
	v_pk_add_f32 v[14:15], v[14:15], v[30:31] op_sel:[1,0] op_sel_hi:[0,1]
	v_mov_b32_e32 v19, v14
	v_pk_add_f32 v[34:35], v[18:19], v[36:37] neg_lo:[0,1] neg_hi:[0,1]
	v_mov_b32_e32 v17, v30
	v_sub_f32_e32 v15, v18, v34
	v_pk_add_f32 v[16:17], v[16:17], v[34:35] neg_lo:[0,1] neg_hi:[0,1]
	v_sub_f32_e32 v15, v36, v15
	v_add_f32_e32 v15, v16, v15
	v_add_f32_e32 v15, v15, v17
	v_add_f32_e32 v14, v14, v15
	v_cndmask_b32_e32 v14, v20, v14, vcc
	v_cmp_lt_f32_e64 vcc, |v13|, s29
	s_nop 1
	v_cndmask_b32_e32 v13, v14, v13, vcc
	v_add_f32_e32 v13, v4, v13
.LBB474_112:
	s_or_b64 exec, exec, s[0:1]
	v_bfe_u32 v4, v13, 16, 1
	s_movk_i32 s29, 0x7fff
	v_add3_u32 v4, v13, v4, s29
	v_cmp_o_f32_e32 vcc, v13, v13
	v_mov_b32_e32 v13, 0x7fc0
	s_nop 0
	v_cndmask_b32_sdwa v4, v13, v4, vcc dst_sel:DWORD dst_unused:UNUSED_PAD src0_sel:DWORD src1_sel:WORD_1
	v_lshlrev_b32_e32 v15, 16, v4
	v_max_f32_e32 v14, v15, v15
	v_min_f32_e32 v16, v14, v23
	v_cmp_u_f32_e32 vcc, v15, v15
	v_max_f32_e32 v14, v14, v23
	s_nop 0
	v_cndmask_b32_e32 v16, v16, v15, vcc
	v_cndmask_b32_e32 v14, v14, v15, vcc
	v_cndmask_b32_e64 v16, v16, v21, s[48:49]
	v_cndmask_b32_e64 v14, v14, v21, s[48:49]
	v_cmp_neq_f32_e32 vcc, v16, v14
	v_cmp_class_f32_e64 s[0:1], v16, s28
	s_or_b64 s[30:31], vcc, s[0:1]
	s_and_saveexec_b64 s[0:1], s[30:31]
	s_cbranch_execz .LBB474_114
; %bb.113:
	v_sub_f32_e32 v15, v16, v14
	s_mov_b32 s28, 0x3fb8aa3b
	v_mul_f32_e32 v16, 0x3fb8aa3b, v15
	v_fma_f32 v17, v15, s28, -v16
	v_rndne_f32_e32 v18, v16
	v_fmamk_f32 v17, v15, 0x32a5705f, v17
	v_sub_f32_e32 v16, v16, v18
	v_add_f32_e32 v16, v16, v17
	v_exp_f32_e32 v16, v16
	v_cvt_i32_f32_e32 v17, v18
	s_mov_b32 s28, 0xc2ce8ed0
	v_cmp_ngt_f32_e32 vcc, s28, v15
	s_mov_b32 s28, 0x42b17218
	v_ldexp_f32 v16, v16, v17
	v_cndmask_b32_e32 v16, 0, v16, vcc
	v_mov_b32_e32 v29, 0x7f800000
	v_cmp_nlt_f32_e32 vcc, s28, v15
	s_mov_b32 s28, 0x3f2aaaab
	s_mov_b32 s30, 0x7f800000
	v_cndmask_b32_e32 v15, v29, v16, vcc
	v_add_f32_e32 v18, 1.0, v15
	v_add_f32_e32 v16, -1.0, v18
	v_sub_f32_e32 v17, v16, v18
	v_add_f32_e32 v17, 1.0, v17
	v_sub_f32_e32 v16, v15, v16
	v_add_f32_e32 v19, v16, v17
	v_frexp_mant_f32_e32 v20, v18
	v_cvt_f64_f32_e32 v[16:17], v18
	v_frexp_exp_i32_f64_e32 v16, v[16:17]
	v_cmp_gt_f32_e32 vcc, s28, v20
	s_mov_b32 s28, 0x3f317218
	s_nop 0
	v_subbrev_co_u32_e32 v30, vcc, 0, v16, vcc
	v_sub_u32_e32 v16, 0, v30
	v_ldexp_f32 v17, v18, v16
	v_add_f32_e32 v18, -1.0, v17
	v_add_f32_e32 v20, 1.0, v17
	v_ldexp_f32 v16, v19, v16
	v_add_f32_e32 v19, 1.0, v18
	v_add_f32_e32 v21, -1.0, v20
	v_sub_f32_e32 v19, v17, v19
	v_sub_f32_e32 v17, v17, v21
	v_add_f32_e32 v19, v16, v19
	v_add_f32_e32 v16, v16, v17
	;; [unrolled: 1-line block ×3, first 2 shown]
	v_rcp_f32_e32 v34, v31
	v_sub_f32_e32 v17, v20, v31
	v_add_f32_e32 v32, v16, v17
	v_add_f32_e32 v17, v18, v19
	v_mul_f32_e32 v36, v17, v34
	v_sub_f32_e32 v16, v18, v17
	v_mul_f32_e32 v18, v31, v36
	v_fma_f32 v20, v36, v31, -v18
	v_fmac_f32_e32 v20, v36, v32
	s_waitcnt lgkmcnt(0)
	v_add_f32_e32 v35, v19, v16
	v_add_f32_e32 v16, v18, v20
	v_sub_f32_e32 v19, v17, v16
	v_pk_add_f32 v[22:23], v[16:17], v[18:19] neg_lo:[0,1] neg_hi:[0,1]
	v_mov_b32_e32 v21, v16
	v_pk_add_f32 v[16:17], v[22:23], v[20:21] neg_lo:[0,1] neg_hi:[0,1]
	v_cmp_neq_f32_e32 vcc, s30, v15
	v_add_f32_e32 v17, v35, v17
	v_add_f32_e32 v16, v16, v17
	;; [unrolled: 1-line block ×3, first 2 shown]
	v_mul_f32_e32 v35, v34, v17
	v_mul_f32_e32 v18, v31, v35
	v_fma_f32 v20, v35, v31, -v18
	v_fmac_f32_e32 v20, v35, v32
	v_sub_f32_e32 v19, v19, v17
	v_add_f32_e32 v31, v16, v19
	v_add_f32_e32 v16, v18, v20
	v_sub_f32_e32 v19, v17, v16
	v_pk_add_f32 v[22:23], v[16:17], v[18:19] neg_lo:[0,1] neg_hi:[0,1]
	v_mov_b32_e32 v21, v16
	v_pk_add_f32 v[16:17], v[22:23], v[20:21] neg_lo:[0,1] neg_hi:[0,1]
	v_cvt_f32_i32_e32 v18, v30
	v_add_f32_e32 v17, v31, v17
	v_add_f32_e32 v16, v16, v17
	;; [unrolled: 1-line block ×4, first 2 shown]
	v_sub_f32_e32 v17, v19, v36
	v_mul_f32_e32 v16, v34, v16
	v_sub_f32_e32 v17, v35, v17
	v_add_f32_e32 v16, v17, v16
	v_add_f32_e32 v20, v19, v16
	v_mul_f32_e32 v22, v20, v20
	v_mov_b32_e32 v17, 0x3ecc95a3
	v_sub_f32_e32 v19, v20, v19
	v_fmac_f32_e32 v17, 0x3e9b6dac, v22
	v_sub_f32_e32 v16, v16, v19
	v_fmaak_f32 v17, v22, v17, 0x3f2aaada
	v_ldexp_f32 v23, v16, 1
	v_mul_f32_e32 v19, v20, v22
	v_mov_b32_e32 v16, 0x3f317218
	v_pk_mul_f32 v[16:17], v[18:19], v[16:17]
	v_ldexp_f32 v21, v20, 1
	v_fma_f32 v19, v18, s28, -v16
	v_fmamk_f32 v20, v18, 0xb102e308, v19
	v_pk_add_f32 v[18:19], v[16:17], v[20:21]
	v_mov_b32_e32 v22, v16
	v_sub_f32_e32 v21, v19, v21
	v_sub_f32_e32 v21, v17, v21
	v_add_f32_e32 v23, v23, v21
	v_pk_add_f32 v[16:17], v[18:19], v[16:17] neg_lo:[0,1] neg_hi:[0,1]
	v_pk_add_f32 v[30:31], v[18:19], v[22:23]
	v_mov_b32_e32 v21, v18
	v_mov_b32_e32 v17, v31
	v_pk_add_f32 v[34:35], v[20:21], v[16:17] neg_lo:[0,1] neg_hi:[0,1]
	v_pk_add_f32 v[16:17], v[20:21], v[16:17]
	v_mov_b32_e32 v22, v23
	v_pk_add_f32 v[20:21], v[16:17], v[18:19] op_sel:[1,0] op_sel_hi:[0,1] neg_lo:[0,1] neg_hi:[0,1]
	v_pk_add_f32 v[36:37], v[30:31], v[20:21] op_sel_hi:[1,0] neg_lo:[0,1] neg_hi:[0,1]
	v_mov_b32_e32 v30, v31
	v_mov_b32_e32 v31, v17
	v_pk_mov_b32 v[20:21], v[18:19], v[20:21] op_sel:[1,0]
	v_mov_b32_e32 v23, v18
	v_pk_add_f32 v[20:21], v[30:31], v[20:21] neg_lo:[0,1] neg_hi:[0,1]
	v_mov_b32_e32 v36, v34
	v_pk_add_f32 v[18:19], v[22:23], v[20:21] neg_lo:[0,1] neg_hi:[0,1]
	v_mov_b32_e32 v35, v17
	v_pk_add_f32 v[20:21], v[36:37], v[18:19]
	s_mov_b32 s28, 0x33800000
	v_pk_add_f32 v[22:23], v[20:21], v[20:21] op_sel:[0,1] op_sel_hi:[1,0]
	s_nop 0
	v_pk_add_f32 v[16:17], v[16:17], v[22:23] op_sel:[1,0] op_sel_hi:[0,1]
	v_mov_b32_e32 v21, v16
	v_pk_add_f32 v[30:31], v[20:21], v[34:35] neg_lo:[0,1] neg_hi:[0,1]
	v_mov_b32_e32 v19, v22
	v_sub_f32_e32 v17, v20, v30
	v_pk_add_f32 v[18:19], v[18:19], v[30:31] neg_lo:[0,1] neg_hi:[0,1]
	v_sub_f32_e32 v17, v34, v17
	v_add_f32_e32 v17, v18, v17
	v_add_f32_e32 v17, v17, v19
	;; [unrolled: 1-line block ×3, first 2 shown]
	v_cndmask_b32_e32 v16, v29, v16, vcc
	v_cmp_lt_f32_e64 vcc, |v15|, s28
	s_nop 1
	v_cndmask_b32_e32 v15, v16, v15, vcc
	v_add_f32_e32 v15, v14, v15
.LBB474_114:
	s_or_b64 exec, exec, s[0:1]
	v_bfe_u32 v14, v15, 16, 1
	v_add3_u32 v14, v15, v14, s29
	v_cmp_o_f32_e32 vcc, v15, v15
	s_movk_i32 s28, 0x1f8
	s_nop 0
	v_cndmask_b32_sdwa v13, v13, v14, vcc dst_sel:DWORD dst_unused:UNUSED_PAD src0_sel:DWORD src1_sel:WORD_1
	v_lshlrev_b32_e32 v14, 16, v13
	v_max_f32_e32 v16, v14, v14
	v_min_f32_e32 v15, v16, v25
	v_cmp_u_f32_e32 vcc, v14, v14
	v_max_f32_e32 v16, v16, v25
	s_nop 0
	v_cndmask_b32_e32 v15, v15, v14, vcc
	v_cndmask_b32_e32 v16, v16, v14, vcc
	v_cndmask_b32_e64 v15, v15, v5, s[50:51]
	v_cndmask_b32_e64 v5, v16, v5, s[50:51]
	v_cmp_neq_f32_e32 vcc, v15, v5
	v_cmp_class_f32_e64 s[0:1], v15, s28
	s_or_b64 s[30:31], vcc, s[0:1]
	s_and_saveexec_b64 s[0:1], s[30:31]
	s_cbranch_execz .LBB474_116
; %bb.115:
	v_sub_f32_e32 v14, v15, v5
	s_mov_b32 s29, 0x3fb8aa3b
	v_mul_f32_e32 v15, 0x3fb8aa3b, v14
	v_fma_f32 v16, v14, s29, -v15
	v_rndne_f32_e32 v17, v15
	v_fmamk_f32 v16, v14, 0x32a5705f, v16
	v_sub_f32_e32 v15, v15, v17
	v_add_f32_e32 v15, v15, v16
	v_exp_f32_e32 v15, v15
	v_cvt_i32_f32_e32 v16, v17
	s_mov_b32 s29, 0xc2ce8ed0
	v_cmp_ngt_f32_e32 vcc, s29, v14
	s_mov_b32 s29, 0x42b17218
	v_ldexp_f32 v15, v15, v16
	v_cndmask_b32_e32 v15, 0, v15, vcc
	v_mov_b32_e32 v25, 0x7f800000
	v_cmp_nlt_f32_e32 vcc, s29, v14
	s_mov_b32 s29, 0x3f2aaaab
	s_mov_b32 s30, 0x7f800000
	v_cndmask_b32_e32 v29, v25, v15, vcc
	v_add_f32_e32 v16, 1.0, v29
	v_add_f32_e32 v14, -1.0, v16
	v_sub_f32_e32 v15, v14, v16
	v_add_f32_e32 v15, 1.0, v15
	v_sub_f32_e32 v14, v29, v14
	v_add_f32_e32 v17, v14, v15
	v_frexp_mant_f32_e32 v18, v16
	v_cvt_f64_f32_e32 v[14:15], v16
	v_frexp_exp_i32_f64_e32 v14, v[14:15]
	v_cmp_gt_f32_e32 vcc, s29, v18
	s_mov_b32 s29, 0x3f317218
	s_nop 0
	v_subbrev_co_u32_e32 v22, vcc, 0, v14, vcc
	v_sub_u32_e32 v14, 0, v22
	v_ldexp_f32 v15, v16, v14
	v_add_f32_e32 v16, -1.0, v15
	v_add_f32_e32 v18, 1.0, v15
	v_ldexp_f32 v14, v17, v14
	v_add_f32_e32 v17, 1.0, v16
	v_add_f32_e32 v19, -1.0, v18
	v_sub_f32_e32 v17, v15, v17
	v_sub_f32_e32 v15, v15, v19
	v_add_f32_e32 v17, v14, v17
	v_add_f32_e32 v14, v14, v15
	;; [unrolled: 1-line block ×3, first 2 shown]
	v_rcp_f32_e32 v31, v23
	v_sub_f32_e32 v15, v18, v23
	v_add_f32_e32 v30, v14, v15
	v_add_f32_e32 v15, v16, v17
	v_mul_f32_e32 v34, v15, v31
	v_sub_f32_e32 v14, v16, v15
	v_mul_f32_e32 v16, v23, v34
	v_fma_f32 v18, v34, v23, -v16
	v_fmac_f32_e32 v18, v34, v30
	v_add_f32_e32 v32, v17, v14
	v_add_f32_e32 v14, v16, v18
	v_sub_f32_e32 v17, v15, v14
	v_pk_add_f32 v[20:21], v[14:15], v[16:17] neg_lo:[0,1] neg_hi:[0,1]
	v_mov_b32_e32 v19, v14
	v_pk_add_f32 v[14:15], v[20:21], v[18:19] neg_lo:[0,1] neg_hi:[0,1]
	v_cmp_neq_f32_e32 vcc, s30, v29
	v_add_f32_e32 v15, v32, v15
	v_add_f32_e32 v14, v14, v15
	;; [unrolled: 1-line block ×3, first 2 shown]
	v_mul_f32_e32 v32, v31, v15
	v_mul_f32_e32 v16, v23, v32
	v_fma_f32 v18, v32, v23, -v16
	v_fmac_f32_e32 v18, v32, v30
	v_sub_f32_e32 v17, v17, v15
	v_add_f32_e32 v23, v14, v17
	v_add_f32_e32 v14, v16, v18
	v_sub_f32_e32 v17, v15, v14
	v_pk_add_f32 v[20:21], v[14:15], v[16:17] neg_lo:[0,1] neg_hi:[0,1]
	v_mov_b32_e32 v19, v14
	v_pk_add_f32 v[14:15], v[20:21], v[18:19] neg_lo:[0,1] neg_hi:[0,1]
	v_cvt_f32_i32_e32 v16, v22
	v_add_f32_e32 v15, v23, v15
	v_add_f32_e32 v14, v14, v15
	;; [unrolled: 1-line block ×4, first 2 shown]
	v_sub_f32_e32 v15, v17, v34
	v_mul_f32_e32 v14, v31, v14
	v_sub_f32_e32 v15, v32, v15
	v_add_f32_e32 v14, v15, v14
	v_add_f32_e32 v18, v17, v14
	v_mul_f32_e32 v20, v18, v18
	v_mov_b32_e32 v15, 0x3ecc95a3
	v_sub_f32_e32 v17, v18, v17
	v_fmac_f32_e32 v15, 0x3e9b6dac, v20
	v_sub_f32_e32 v14, v14, v17
	v_fmaak_f32 v15, v20, v15, 0x3f2aaada
	v_ldexp_f32 v21, v14, 1
	v_mul_f32_e32 v17, v18, v20
	v_mov_b32_e32 v14, 0x3f317218
	v_pk_mul_f32 v[14:15], v[16:17], v[14:15]
	v_ldexp_f32 v19, v18, 1
	v_fma_f32 v17, v16, s29, -v14
	v_fmamk_f32 v18, v16, 0xb102e308, v17
	v_pk_add_f32 v[16:17], v[14:15], v[18:19]
	v_mov_b32_e32 v20, v14
	v_sub_f32_e32 v19, v17, v19
	v_sub_f32_e32 v19, v15, v19
	v_add_f32_e32 v21, v21, v19
	v_pk_add_f32 v[14:15], v[16:17], v[14:15] neg_lo:[0,1] neg_hi:[0,1]
	v_pk_add_f32 v[22:23], v[16:17], v[20:21]
	v_mov_b32_e32 v19, v16
	v_mov_b32_e32 v15, v23
	v_pk_add_f32 v[30:31], v[18:19], v[14:15] neg_lo:[0,1] neg_hi:[0,1]
	v_pk_add_f32 v[14:15], v[18:19], v[14:15]
	v_mov_b32_e32 v20, v21
	v_pk_add_f32 v[18:19], v[14:15], v[16:17] op_sel:[1,0] op_sel_hi:[0,1] neg_lo:[0,1] neg_hi:[0,1]
	s_waitcnt lgkmcnt(0)
	v_pk_add_f32 v[34:35], v[22:23], v[18:19] op_sel_hi:[1,0] neg_lo:[0,1] neg_hi:[0,1]
	v_mov_b32_e32 v22, v23
	v_mov_b32_e32 v23, v15
	v_pk_mov_b32 v[18:19], v[16:17], v[18:19] op_sel:[1,0]
	v_mov_b32_e32 v21, v16
	v_pk_add_f32 v[18:19], v[22:23], v[18:19] neg_lo:[0,1] neg_hi:[0,1]
	v_mov_b32_e32 v34, v30
	v_pk_add_f32 v[16:17], v[20:21], v[18:19] neg_lo:[0,1] neg_hi:[0,1]
	v_mov_b32_e32 v31, v15
	v_pk_add_f32 v[18:19], v[34:35], v[16:17]
	s_mov_b32 s29, 0x33800000
	v_pk_add_f32 v[20:21], v[18:19], v[18:19] op_sel:[0,1] op_sel_hi:[1,0]
	s_nop 0
	v_pk_add_f32 v[14:15], v[14:15], v[20:21] op_sel:[1,0] op_sel_hi:[0,1]
	v_mov_b32_e32 v19, v14
	v_pk_add_f32 v[22:23], v[18:19], v[30:31] neg_lo:[0,1] neg_hi:[0,1]
	v_mov_b32_e32 v17, v20
	v_sub_f32_e32 v15, v18, v22
	v_pk_add_f32 v[16:17], v[16:17], v[22:23] neg_lo:[0,1] neg_hi:[0,1]
	v_sub_f32_e32 v15, v30, v15
	v_add_f32_e32 v15, v16, v15
	v_add_f32_e32 v15, v15, v17
	;; [unrolled: 1-line block ×3, first 2 shown]
	v_cndmask_b32_e32 v14, v25, v14, vcc
	v_cmp_lt_f32_e64 vcc, |v29|, s29
	s_nop 1
	v_cndmask_b32_e32 v14, v14, v29, vcc
	v_add_f32_e32 v14, v5, v14
.LBB474_116:
	s_or_b64 exec, exec, s[0:1]
	v_bfe_u32 v5, v14, 16, 1
	s_movk_i32 s29, 0x7fff
	v_add3_u32 v5, v14, v5, s29
	v_cmp_o_f32_e32 vcc, v14, v14
	v_mov_b32_e32 v14, 0x7fc0
	s_nop 0
	v_cndmask_b32_sdwa v5, v14, v5, vcc dst_sel:DWORD dst_unused:UNUSED_PAD src0_sel:DWORD src1_sel:WORD_1
	v_lshlrev_b32_e32 v16, 16, v5
	v_max_f32_e32 v15, v16, v16
	v_min_f32_e32 v17, v15, v27
	v_cmp_u_f32_e32 vcc, v16, v16
	v_max_f32_e32 v15, v15, v27
	s_nop 0
	v_cndmask_b32_e32 v17, v17, v16, vcc
	v_cndmask_b32_e32 v15, v15, v16, vcc
	v_cndmask_b32_e64 v17, v17, v24, s[52:53]
	v_cndmask_b32_e64 v15, v15, v24, s[52:53]
	v_cmp_neq_f32_e32 vcc, v17, v15
	v_cmp_class_f32_e64 s[0:1], v17, s28
	s_or_b64 s[30:31], vcc, s[0:1]
	s_and_saveexec_b64 s[0:1], s[30:31]
	s_cbranch_execz .LBB474_118
; %bb.117:
	v_sub_f32_e32 v16, v17, v15
	s_mov_b32 s28, 0x3fb8aa3b
	v_mul_f32_e32 v17, 0x3fb8aa3b, v16
	v_fma_f32 v18, v16, s28, -v17
	v_rndne_f32_e32 v19, v17
	v_fmamk_f32 v18, v16, 0x32a5705f, v18
	v_sub_f32_e32 v17, v17, v19
	v_add_f32_e32 v17, v17, v18
	v_exp_f32_e32 v17, v17
	v_cvt_i32_f32_e32 v18, v19
	s_mov_b32 s28, 0xc2ce8ed0
	v_cmp_ngt_f32_e32 vcc, s28, v16
	s_mov_b32 s28, 0x42b17218
	v_ldexp_f32 v17, v17, v18
	v_cndmask_b32_e32 v17, 0, v17, vcc
	v_mov_b32_e32 v27, 0x7f800000
	v_cmp_nlt_f32_e32 vcc, s28, v16
	s_mov_b32 s28, 0x3f2aaaab
	s_mov_b32 s30, 0x7f800000
	v_cndmask_b32_e32 v29, v27, v17, vcc
	v_add_f32_e32 v18, 1.0, v29
	v_add_f32_e32 v16, -1.0, v18
	v_sub_f32_e32 v17, v16, v18
	v_add_f32_e32 v17, 1.0, v17
	v_sub_f32_e32 v16, v29, v16
	v_add_f32_e32 v19, v16, v17
	v_frexp_mant_f32_e32 v20, v18
	v_cvt_f64_f32_e32 v[16:17], v18
	v_frexp_exp_i32_f64_e32 v16, v[16:17]
	v_cmp_gt_f32_e32 vcc, s28, v20
	s_mov_b32 s28, 0x3f317218
	s_nop 0
	v_subbrev_co_u32_e32 v24, vcc, 0, v16, vcc
	v_sub_u32_e32 v16, 0, v24
	v_ldexp_f32 v17, v18, v16
	v_add_f32_e32 v18, -1.0, v17
	v_add_f32_e32 v20, 1.0, v17
	v_ldexp_f32 v16, v19, v16
	v_add_f32_e32 v19, 1.0, v18
	v_add_f32_e32 v21, -1.0, v20
	v_sub_f32_e32 v19, v17, v19
	v_sub_f32_e32 v17, v17, v21
	v_add_f32_e32 v19, v16, v19
	v_add_f32_e32 v16, v16, v17
	;; [unrolled: 1-line block ×3, first 2 shown]
	v_rcp_f32_e32 v31, v25
	v_sub_f32_e32 v17, v20, v25
	v_add_f32_e32 v30, v16, v17
	v_add_f32_e32 v17, v18, v19
	v_mul_f32_e32 v34, v17, v31
	v_sub_f32_e32 v16, v18, v17
	v_mul_f32_e32 v18, v25, v34
	v_fma_f32 v20, v34, v25, -v18
	v_fmac_f32_e32 v20, v34, v30
	v_add_f32_e32 v32, v19, v16
	v_add_f32_e32 v16, v18, v20
	v_sub_f32_e32 v19, v17, v16
	v_pk_add_f32 v[22:23], v[16:17], v[18:19] neg_lo:[0,1] neg_hi:[0,1]
	v_mov_b32_e32 v21, v16
	v_pk_add_f32 v[16:17], v[22:23], v[20:21] neg_lo:[0,1] neg_hi:[0,1]
	v_cmp_neq_f32_e32 vcc, s30, v29
	v_add_f32_e32 v17, v32, v17
	v_add_f32_e32 v16, v16, v17
	;; [unrolled: 1-line block ×3, first 2 shown]
	v_mul_f32_e32 v32, v31, v17
	v_mul_f32_e32 v18, v25, v32
	v_fma_f32 v20, v32, v25, -v18
	v_fmac_f32_e32 v20, v32, v30
	v_sub_f32_e32 v19, v19, v17
	v_add_f32_e32 v25, v16, v19
	v_add_f32_e32 v16, v18, v20
	v_sub_f32_e32 v19, v17, v16
	v_pk_add_f32 v[22:23], v[16:17], v[18:19] neg_lo:[0,1] neg_hi:[0,1]
	v_mov_b32_e32 v21, v16
	v_pk_add_f32 v[16:17], v[22:23], v[20:21] neg_lo:[0,1] neg_hi:[0,1]
	v_cvt_f32_i32_e32 v18, v24
	v_add_f32_e32 v17, v25, v17
	v_add_f32_e32 v16, v16, v17
	;; [unrolled: 1-line block ×4, first 2 shown]
	v_sub_f32_e32 v17, v19, v34
	v_mul_f32_e32 v16, v31, v16
	v_sub_f32_e32 v17, v32, v17
	v_add_f32_e32 v16, v17, v16
	v_add_f32_e32 v20, v19, v16
	v_mul_f32_e32 v22, v20, v20
	v_mov_b32_e32 v17, 0x3ecc95a3
	v_sub_f32_e32 v19, v20, v19
	v_fmac_f32_e32 v17, 0x3e9b6dac, v22
	v_sub_f32_e32 v16, v16, v19
	v_fmaak_f32 v17, v22, v17, 0x3f2aaada
	v_ldexp_f32 v23, v16, 1
	v_mul_f32_e32 v19, v20, v22
	v_mov_b32_e32 v16, 0x3f317218
	v_pk_mul_f32 v[16:17], v[18:19], v[16:17]
	v_ldexp_f32 v21, v20, 1
	v_fma_f32 v19, v18, s28, -v16
	v_fmamk_f32 v20, v18, 0xb102e308, v19
	v_pk_add_f32 v[18:19], v[16:17], v[20:21]
	v_mov_b32_e32 v22, v16
	v_sub_f32_e32 v21, v19, v21
	v_sub_f32_e32 v21, v17, v21
	v_add_f32_e32 v23, v23, v21
	v_pk_add_f32 v[16:17], v[18:19], v[16:17] neg_lo:[0,1] neg_hi:[0,1]
	v_pk_add_f32 v[24:25], v[18:19], v[22:23]
	v_mov_b32_e32 v21, v18
	v_mov_b32_e32 v17, v25
	v_pk_add_f32 v[30:31], v[20:21], v[16:17] neg_lo:[0,1] neg_hi:[0,1]
	v_pk_add_f32 v[16:17], v[20:21], v[16:17]
	v_mov_b32_e32 v22, v23
	v_pk_add_f32 v[20:21], v[16:17], v[18:19] op_sel:[1,0] op_sel_hi:[0,1] neg_lo:[0,1] neg_hi:[0,1]
	s_waitcnt lgkmcnt(0)
	v_pk_add_f32 v[34:35], v[24:25], v[20:21] op_sel_hi:[1,0] neg_lo:[0,1] neg_hi:[0,1]
	v_mov_b32_e32 v24, v25
	v_mov_b32_e32 v25, v17
	v_pk_mov_b32 v[20:21], v[18:19], v[20:21] op_sel:[1,0]
	v_mov_b32_e32 v23, v18
	v_pk_add_f32 v[20:21], v[24:25], v[20:21] neg_lo:[0,1] neg_hi:[0,1]
	v_mov_b32_e32 v34, v30
	v_pk_add_f32 v[18:19], v[22:23], v[20:21] neg_lo:[0,1] neg_hi:[0,1]
	v_mov_b32_e32 v31, v17
	v_pk_add_f32 v[20:21], v[34:35], v[18:19]
	s_mov_b32 s28, 0x33800000
	v_pk_add_f32 v[22:23], v[20:21], v[20:21] op_sel:[0,1] op_sel_hi:[1,0]
	s_nop 0
	v_pk_add_f32 v[16:17], v[16:17], v[22:23] op_sel:[1,0] op_sel_hi:[0,1]
	v_mov_b32_e32 v21, v16
	v_pk_add_f32 v[24:25], v[20:21], v[30:31] neg_lo:[0,1] neg_hi:[0,1]
	v_mov_b32_e32 v19, v22
	v_sub_f32_e32 v17, v20, v24
	v_pk_add_f32 v[18:19], v[18:19], v[24:25] neg_lo:[0,1] neg_hi:[0,1]
	v_sub_f32_e32 v17, v30, v17
	v_add_f32_e32 v17, v18, v17
	v_add_f32_e32 v17, v17, v19
	;; [unrolled: 1-line block ×3, first 2 shown]
	v_cndmask_b32_e32 v16, v27, v16, vcc
	v_cmp_lt_f32_e64 vcc, |v29|, s28
	s_nop 1
	v_cndmask_b32_e32 v16, v16, v29, vcc
	v_add_f32_e32 v16, v15, v16
.LBB474_118:
	s_or_b64 exec, exec, s[0:1]
	v_bfe_u32 v15, v16, 16, 1
	v_add3_u32 v15, v16, v15, s29
	v_cmp_o_f32_e32 vcc, v16, v16
	s_movk_i32 s0, 0x1f8
	s_nop 0
	v_cndmask_b32_sdwa v14, v14, v15, vcc dst_sel:DWORD dst_unused:UNUSED_PAD src0_sel:DWORD src1_sel:WORD_1
	v_lshlrev_b32_e32 v16, 16, v14
	v_max_f32_e32 v15, v16, v16
	v_min_f32_e32 v17, v15, v28
	v_cmp_u_f32_e32 vcc, v16, v16
	v_max_f32_e32 v15, v15, v28
	s_nop 0
	v_cndmask_b32_e32 v17, v17, v16, vcc
	v_cndmask_b32_e32 v15, v15, v16, vcc
	v_cndmask_b32_e64 v17, v17, v26, s[54:55]
	v_cndmask_b32_e64 v15, v15, v26, s[54:55]
	v_cmp_neq_f32_e32 vcc, v17, v15
	v_cmp_class_f32_e64 s[0:1], v17, s0
	s_or_b64 s[28:29], vcc, s[0:1]
	s_and_saveexec_b64 s[0:1], s[28:29]
	s_cbranch_execz .LBB474_120
; %bb.119:
	v_sub_f32_e32 v16, v17, v15
	s_mov_b32 s28, 0x3fb8aa3b
	v_mul_f32_e32 v17, 0x3fb8aa3b, v16
	v_fma_f32 v18, v16, s28, -v17
	v_rndne_f32_e32 v19, v17
	v_fmamk_f32 v18, v16, 0x32a5705f, v18
	v_sub_f32_e32 v17, v17, v19
	v_add_f32_e32 v17, v17, v18
	v_exp_f32_e32 v17, v17
	v_cvt_i32_f32_e32 v18, v19
	s_mov_b32 s28, 0xc2ce8ed0
	v_cmp_ngt_f32_e32 vcc, s28, v16
	s_mov_b32 s28, 0x42b17218
	v_ldexp_f32 v17, v17, v18
	v_cndmask_b32_e32 v17, 0, v17, vcc
	v_mov_b32_e32 v30, 0x7f800000
	v_cmp_nlt_f32_e32 vcc, s28, v16
	s_mov_b32 s28, 0x3f2aaaab
	s_mov_b32 s29, 0x7f800000
	v_cndmask_b32_e32 v31, v30, v17, vcc
	v_add_f32_e32 v18, 1.0, v31
	v_add_f32_e32 v16, -1.0, v18
	v_sub_f32_e32 v17, v16, v18
	v_add_f32_e32 v17, 1.0, v17
	v_sub_f32_e32 v16, v31, v16
	v_add_f32_e32 v19, v16, v17
	v_frexp_mant_f32_e32 v20, v18
	v_cvt_f64_f32_e32 v[16:17], v18
	v_frexp_exp_i32_f64_e32 v16, v[16:17]
	v_cmp_gt_f32_e32 vcc, s28, v20
	s_mov_b32 s28, 0x3f317218
	s_nop 0
	v_subbrev_co_u32_e32 v24, vcc, 0, v16, vcc
	v_sub_u32_e32 v16, 0, v24
	v_ldexp_f32 v17, v18, v16
	v_add_f32_e32 v18, -1.0, v17
	v_add_f32_e32 v20, 1.0, v17
	v_ldexp_f32 v16, v19, v16
	v_add_f32_e32 v19, 1.0, v18
	v_add_f32_e32 v21, -1.0, v20
	v_sub_f32_e32 v19, v17, v19
	v_sub_f32_e32 v17, v17, v21
	v_add_f32_e32 v19, v16, v19
	v_add_f32_e32 v16, v16, v17
	v_add_f32_e32 v25, v20, v16
	v_rcp_f32_e32 v27, v25
	v_sub_f32_e32 v17, v20, v25
	v_add_f32_e32 v26, v16, v17
	v_add_f32_e32 v17, v18, v19
	v_mul_f32_e32 v29, v17, v27
	v_sub_f32_e32 v16, v18, v17
	v_mul_f32_e32 v18, v25, v29
	v_fma_f32 v20, v29, v25, -v18
	v_fmac_f32_e32 v20, v29, v26
	v_add_f32_e32 v28, v19, v16
	v_add_f32_e32 v16, v18, v20
	v_sub_f32_e32 v19, v17, v16
	v_pk_add_f32 v[22:23], v[16:17], v[18:19] neg_lo:[0,1] neg_hi:[0,1]
	v_mov_b32_e32 v21, v16
	v_pk_add_f32 v[16:17], v[22:23], v[20:21] neg_lo:[0,1] neg_hi:[0,1]
	v_cmp_neq_f32_e32 vcc, s29, v31
	v_add_f32_e32 v17, v28, v17
	v_add_f32_e32 v16, v16, v17
	;; [unrolled: 1-line block ×3, first 2 shown]
	v_mul_f32_e32 v28, v27, v17
	v_mul_f32_e32 v18, v25, v28
	v_fma_f32 v20, v28, v25, -v18
	v_fmac_f32_e32 v20, v28, v26
	v_sub_f32_e32 v19, v19, v17
	v_add_f32_e32 v25, v16, v19
	v_add_f32_e32 v16, v18, v20
	v_sub_f32_e32 v19, v17, v16
	v_pk_add_f32 v[22:23], v[16:17], v[18:19] neg_lo:[0,1] neg_hi:[0,1]
	v_mov_b32_e32 v21, v16
	v_pk_add_f32 v[16:17], v[22:23], v[20:21] neg_lo:[0,1] neg_hi:[0,1]
	v_cvt_f32_i32_e32 v18, v24
	v_add_f32_e32 v17, v25, v17
	v_add_f32_e32 v16, v16, v17
	;; [unrolled: 1-line block ×4, first 2 shown]
	v_sub_f32_e32 v17, v19, v29
	v_mul_f32_e32 v16, v27, v16
	v_sub_f32_e32 v17, v28, v17
	v_add_f32_e32 v16, v17, v16
	v_add_f32_e32 v20, v19, v16
	v_mul_f32_e32 v22, v20, v20
	v_mov_b32_e32 v17, 0x3ecc95a3
	v_sub_f32_e32 v19, v20, v19
	v_fmac_f32_e32 v17, 0x3e9b6dac, v22
	v_sub_f32_e32 v16, v16, v19
	v_fmaak_f32 v17, v22, v17, 0x3f2aaada
	v_ldexp_f32 v23, v16, 1
	v_mul_f32_e32 v19, v20, v22
	v_mov_b32_e32 v16, 0x3f317218
	v_pk_mul_f32 v[16:17], v[18:19], v[16:17]
	v_ldexp_f32 v21, v20, 1
	v_fma_f32 v19, v18, s28, -v16
	v_fmamk_f32 v20, v18, 0xb102e308, v19
	v_pk_add_f32 v[18:19], v[16:17], v[20:21]
	v_mov_b32_e32 v22, v16
	v_sub_f32_e32 v21, v19, v21
	v_sub_f32_e32 v21, v17, v21
	v_add_f32_e32 v23, v23, v21
	v_pk_add_f32 v[16:17], v[18:19], v[16:17] neg_lo:[0,1] neg_hi:[0,1]
	v_pk_add_f32 v[24:25], v[18:19], v[22:23]
	v_mov_b32_e32 v21, v18
	v_mov_b32_e32 v17, v25
	v_pk_add_f32 v[26:27], v[20:21], v[16:17] neg_lo:[0,1] neg_hi:[0,1]
	v_pk_add_f32 v[16:17], v[20:21], v[16:17]
	v_mov_b32_e32 v22, v23
	v_pk_add_f32 v[20:21], v[16:17], v[18:19] op_sel:[1,0] op_sel_hi:[0,1] neg_lo:[0,1] neg_hi:[0,1]
	v_pk_add_f32 v[28:29], v[24:25], v[20:21] op_sel_hi:[1,0] neg_lo:[0,1] neg_hi:[0,1]
	v_mov_b32_e32 v24, v25
	v_mov_b32_e32 v25, v17
	v_pk_mov_b32 v[20:21], v[18:19], v[20:21] op_sel:[1,0]
	v_mov_b32_e32 v23, v18
	v_pk_add_f32 v[20:21], v[24:25], v[20:21] neg_lo:[0,1] neg_hi:[0,1]
	v_mov_b32_e32 v28, v26
	v_pk_add_f32 v[18:19], v[22:23], v[20:21] neg_lo:[0,1] neg_hi:[0,1]
	v_mov_b32_e32 v27, v17
	v_pk_add_f32 v[20:21], v[28:29], v[18:19]
	s_mov_b32 s28, 0x33800000
	v_pk_add_f32 v[22:23], v[20:21], v[20:21] op_sel:[0,1] op_sel_hi:[1,0]
	s_nop 0
	v_pk_add_f32 v[16:17], v[16:17], v[22:23] op_sel:[1,0] op_sel_hi:[0,1]
	v_mov_b32_e32 v21, v16
	v_pk_add_f32 v[24:25], v[20:21], v[26:27] neg_lo:[0,1] neg_hi:[0,1]
	v_mov_b32_e32 v19, v22
	v_sub_f32_e32 v17, v20, v24
	v_pk_add_f32 v[18:19], v[18:19], v[24:25] neg_lo:[0,1] neg_hi:[0,1]
	v_sub_f32_e32 v17, v26, v17
	v_add_f32_e32 v17, v18, v17
	v_add_f32_e32 v17, v17, v19
	;; [unrolled: 1-line block ×3, first 2 shown]
	v_cndmask_b32_e32 v16, v30, v16, vcc
	v_cmp_lt_f32_e64 vcc, |v31|, s28
	s_nop 1
	v_cndmask_b32_e32 v16, v16, v31, vcc
	v_add_f32_e32 v16, v15, v16
.LBB474_120:
	s_or_b64 exec, exec, s[0:1]
	v_bfe_u32 v15, v16, 16, 1
	s_movk_i32 s0, 0x7fff
	v_add3_u32 v15, v16, v15, s0
	v_cmp_o_f32_e32 vcc, v16, v16
	v_mov_b32_e32 v16, 0x7fc0
	s_mov_b32 s0, 0x5040100
	v_cndmask_b32_sdwa v15, v16, v15, vcc dst_sel:DWORD dst_unused:UNUSED_PAD src0_sel:DWORD src1_sel:WORD_1
	v_add_u32_e32 v16, v8, v33
	v_perm_b32 v3, v3, v9, s0
	v_perm_b32 v1, v1, v2, s0
	s_waitcnt lgkmcnt(0)
	s_barrier
	ds_write2_b32 v16, v1, v3 offset1:1
	v_perm_b32 v1, v7, v11, s0
	v_perm_b32 v2, v6, v10, s0
	ds_write2_b32 v16, v2, v1 offset0:2 offset1:3
	v_perm_b32 v1, v5, v13, s0
	v_perm_b32 v2, v4, v12, s0
	ds_write2_b32 v16, v2, v1 offset0:4 offset1:5
	v_perm_b32 v1, v15, v14, s0
	ds_write_b32 v16, v1 offset:24
	s_waitcnt lgkmcnt(0)
	s_barrier
	ds_read_u16 v15, v8 offset:256
	ds_read_u16 v14, v8 offset:512
	;; [unrolled: 1-line block ×13, first 2 shown]
	v_lshlrev_b32_e32 v0, 1, v0
	v_mov_b32_e32 v1, 0
	v_lshl_add_u64 v[0:1], s[60:61], 0, v[0:1]
	s_and_saveexec_b64 s[0:1], s[58:59]
	s_cbranch_execnz .LBB474_135
; %bb.121:
	s_or_b64 exec, exec, s[0:1]
	s_and_saveexec_b64 s[0:1], s[2:3]
	s_cbranch_execnz .LBB474_136
.LBB474_122:
	s_or_b64 exec, exec, s[0:1]
	s_and_saveexec_b64 s[0:1], s[4:5]
	s_cbranch_execnz .LBB474_137
.LBB474_123:
	s_or_b64 exec, exec, s[0:1]
	s_and_saveexec_b64 s[0:1], s[6:7]
	s_cbranch_execnz .LBB474_138
.LBB474_124:
	s_or_b64 exec, exec, s[0:1]
	s_and_saveexec_b64 s[0:1], s[8:9]
	s_cbranch_execnz .LBB474_139
.LBB474_125:
	s_or_b64 exec, exec, s[0:1]
	s_and_saveexec_b64 s[0:1], s[10:11]
	s_cbranch_execnz .LBB474_140
.LBB474_126:
	s_or_b64 exec, exec, s[0:1]
	s_and_saveexec_b64 s[0:1], s[12:13]
	s_cbranch_execnz .LBB474_141
.LBB474_127:
	s_or_b64 exec, exec, s[0:1]
	s_and_saveexec_b64 s[0:1], s[14:15]
	s_cbranch_execnz .LBB474_142
.LBB474_128:
	s_or_b64 exec, exec, s[0:1]
	s_and_saveexec_b64 s[0:1], s[16:17]
	s_cbranch_execnz .LBB474_143
.LBB474_129:
	s_or_b64 exec, exec, s[0:1]
	s_and_saveexec_b64 s[0:1], s[18:19]
	s_cbranch_execnz .LBB474_144
.LBB474_130:
	s_or_b64 exec, exec, s[0:1]
	s_and_saveexec_b64 s[0:1], s[20:21]
	s_cbranch_execnz .LBB474_145
.LBB474_131:
	s_or_b64 exec, exec, s[0:1]
	s_and_saveexec_b64 s[0:1], s[22:23]
	s_cbranch_execnz .LBB474_146
.LBB474_132:
	s_or_b64 exec, exec, s[0:1]
	s_and_saveexec_b64 s[0:1], s[24:25]
	s_cbranch_execnz .LBB474_147
.LBB474_133:
	s_or_b64 exec, exec, s[0:1]
	s_and_saveexec_b64 s[0:1], s[26:27]
	s_cbranch_execnz .LBB474_148
.LBB474_134:
	s_endpgm
.LBB474_135:
	ds_read_u16 v8, v8
	s_waitcnt lgkmcnt(0)
	global_store_short v[0:1], v8, off
	s_or_b64 exec, exec, s[0:1]
	s_and_saveexec_b64 s[0:1], s[2:3]
	s_cbranch_execz .LBB474_122
.LBB474_136:
	s_waitcnt lgkmcnt(12)
	global_store_short v[0:1], v15, off offset:256
	s_or_b64 exec, exec, s[0:1]
	s_and_saveexec_b64 s[0:1], s[4:5]
	s_cbranch_execz .LBB474_123
.LBB474_137:
	s_waitcnt lgkmcnt(11)
	global_store_short v[0:1], v14, off offset:512
	s_or_b64 exec, exec, s[0:1]
	s_and_saveexec_b64 s[0:1], s[6:7]
	s_cbranch_execz .LBB474_124
.LBB474_138:
	s_waitcnt lgkmcnt(10)
	global_store_short v[0:1], v13, off offset:768
	s_or_b64 exec, exec, s[0:1]
	s_and_saveexec_b64 s[0:1], s[8:9]
	s_cbranch_execz .LBB474_125
.LBB474_139:
	s_waitcnt lgkmcnt(9)
	global_store_short v[0:1], v12, off offset:1024
	s_or_b64 exec, exec, s[0:1]
	s_and_saveexec_b64 s[0:1], s[10:11]
	s_cbranch_execz .LBB474_126
.LBB474_140:
	s_waitcnt lgkmcnt(8)
	global_store_short v[0:1], v11, off offset:1280
	s_or_b64 exec, exec, s[0:1]
	s_and_saveexec_b64 s[0:1], s[12:13]
	s_cbranch_execz .LBB474_127
.LBB474_141:
	s_waitcnt lgkmcnt(7)
	global_store_short v[0:1], v10, off offset:1536
	s_or_b64 exec, exec, s[0:1]
	s_and_saveexec_b64 s[0:1], s[14:15]
	s_cbranch_execz .LBB474_128
.LBB474_142:
	s_waitcnt lgkmcnt(6)
	global_store_short v[0:1], v9, off offset:1792
	s_or_b64 exec, exec, s[0:1]
	s_and_saveexec_b64 s[0:1], s[16:17]
	s_cbranch_execz .LBB474_129
.LBB474_143:
	s_waitcnt lgkmcnt(5)
	global_store_short v[0:1], v7, off offset:2048
	s_or_b64 exec, exec, s[0:1]
	s_and_saveexec_b64 s[0:1], s[18:19]
	s_cbranch_execz .LBB474_130
.LBB474_144:
	s_waitcnt lgkmcnt(4)
	global_store_short v[0:1], v6, off offset:2304
	s_or_b64 exec, exec, s[0:1]
	s_and_saveexec_b64 s[0:1], s[20:21]
	s_cbranch_execz .LBB474_131
.LBB474_145:
	s_waitcnt lgkmcnt(3)
	global_store_short v[0:1], v5, off offset:2560
	s_or_b64 exec, exec, s[0:1]
	s_and_saveexec_b64 s[0:1], s[22:23]
	s_cbranch_execz .LBB474_132
.LBB474_146:
	s_waitcnt lgkmcnt(2)
	global_store_short v[0:1], v4, off offset:2816
	s_or_b64 exec, exec, s[0:1]
	s_and_saveexec_b64 s[0:1], s[24:25]
	s_cbranch_execz .LBB474_133
.LBB474_147:
	s_waitcnt lgkmcnt(1)
	global_store_short v[0:1], v3, off offset:3072
	s_or_b64 exec, exec, s[0:1]
	s_and_saveexec_b64 s[0:1], s[26:27]
	s_cbranch_execz .LBB474_134
.LBB474_148:
	s_waitcnt lgkmcnt(0)
	global_store_short v[0:1], v2, off offset:3328
	s_endpgm
	.section	.rodata,"a",@progbits
	.p2align	6, 0x0
	.amdhsa_kernel _ZN7rocprim17ROCPRIM_400000_NS6detail17trampoline_kernelINS0_14default_configENS1_20scan_config_selectorIN3c108BFloat16EEEZZNS1_9scan_implILNS1_25lookback_scan_determinismE0ELb0ELb0ES3_PKS6_PS6_S6_ZZZN2at6native31launch_logcumsumexp_cuda_kernelERKNSD_10TensorBaseESH_lENKUlvE_clEvENKUlvE4_clEvEUlS6_S6_E_S6_EEDaPvRmT3_T4_T5_mT6_P12ihipStream_tbENKUlT_T0_E_clISt17integral_constantIbLb1EESY_EEDaST_SU_EUlST_E0_NS1_11comp_targetILNS1_3genE0ELNS1_11target_archE4294967295ELNS1_3gpuE0ELNS1_3repE0EEENS1_30default_config_static_selectorELNS0_4arch9wavefront6targetE1EEEvT1_
		.amdhsa_group_segment_fixed_size 3584
		.amdhsa_private_segment_fixed_size 0
		.amdhsa_kernarg_size 32
		.amdhsa_user_sgpr_count 2
		.amdhsa_user_sgpr_dispatch_ptr 0
		.amdhsa_user_sgpr_queue_ptr 0
		.amdhsa_user_sgpr_kernarg_segment_ptr 1
		.amdhsa_user_sgpr_dispatch_id 0
		.amdhsa_user_sgpr_kernarg_preload_length 0
		.amdhsa_user_sgpr_kernarg_preload_offset 0
		.amdhsa_user_sgpr_private_segment_size 0
		.amdhsa_uses_dynamic_stack 0
		.amdhsa_enable_private_segment 0
		.amdhsa_system_sgpr_workgroup_id_x 1
		.amdhsa_system_sgpr_workgroup_id_y 0
		.amdhsa_system_sgpr_workgroup_id_z 0
		.amdhsa_system_sgpr_workgroup_info 0
		.amdhsa_system_vgpr_workitem_id 0
		.amdhsa_next_free_vgpr 54
		.amdhsa_next_free_sgpr 68
		.amdhsa_accum_offset 56
		.amdhsa_reserve_vcc 1
		.amdhsa_float_round_mode_32 0
		.amdhsa_float_round_mode_16_64 0
		.amdhsa_float_denorm_mode_32 3
		.amdhsa_float_denorm_mode_16_64 3
		.amdhsa_dx10_clamp 1
		.amdhsa_ieee_mode 1
		.amdhsa_fp16_overflow 0
		.amdhsa_tg_split 0
		.amdhsa_exception_fp_ieee_invalid_op 0
		.amdhsa_exception_fp_denorm_src 0
		.amdhsa_exception_fp_ieee_div_zero 0
		.amdhsa_exception_fp_ieee_overflow 0
		.amdhsa_exception_fp_ieee_underflow 0
		.amdhsa_exception_fp_ieee_inexact 0
		.amdhsa_exception_int_div_zero 0
	.end_amdhsa_kernel
	.section	.text._ZN7rocprim17ROCPRIM_400000_NS6detail17trampoline_kernelINS0_14default_configENS1_20scan_config_selectorIN3c108BFloat16EEEZZNS1_9scan_implILNS1_25lookback_scan_determinismE0ELb0ELb0ES3_PKS6_PS6_S6_ZZZN2at6native31launch_logcumsumexp_cuda_kernelERKNSD_10TensorBaseESH_lENKUlvE_clEvENKUlvE4_clEvEUlS6_S6_E_S6_EEDaPvRmT3_T4_T5_mT6_P12ihipStream_tbENKUlT_T0_E_clISt17integral_constantIbLb1EESY_EEDaST_SU_EUlST_E0_NS1_11comp_targetILNS1_3genE0ELNS1_11target_archE4294967295ELNS1_3gpuE0ELNS1_3repE0EEENS1_30default_config_static_selectorELNS0_4arch9wavefront6targetE1EEEvT1_,"axG",@progbits,_ZN7rocprim17ROCPRIM_400000_NS6detail17trampoline_kernelINS0_14default_configENS1_20scan_config_selectorIN3c108BFloat16EEEZZNS1_9scan_implILNS1_25lookback_scan_determinismE0ELb0ELb0ES3_PKS6_PS6_S6_ZZZN2at6native31launch_logcumsumexp_cuda_kernelERKNSD_10TensorBaseESH_lENKUlvE_clEvENKUlvE4_clEvEUlS6_S6_E_S6_EEDaPvRmT3_T4_T5_mT6_P12ihipStream_tbENKUlT_T0_E_clISt17integral_constantIbLb1EESY_EEDaST_SU_EUlST_E0_NS1_11comp_targetILNS1_3genE0ELNS1_11target_archE4294967295ELNS1_3gpuE0ELNS1_3repE0EEENS1_30default_config_static_selectorELNS0_4arch9wavefront6targetE1EEEvT1_,comdat
.Lfunc_end474:
	.size	_ZN7rocprim17ROCPRIM_400000_NS6detail17trampoline_kernelINS0_14default_configENS1_20scan_config_selectorIN3c108BFloat16EEEZZNS1_9scan_implILNS1_25lookback_scan_determinismE0ELb0ELb0ES3_PKS6_PS6_S6_ZZZN2at6native31launch_logcumsumexp_cuda_kernelERKNSD_10TensorBaseESH_lENKUlvE_clEvENKUlvE4_clEvEUlS6_S6_E_S6_EEDaPvRmT3_T4_T5_mT6_P12ihipStream_tbENKUlT_T0_E_clISt17integral_constantIbLb1EESY_EEDaST_SU_EUlST_E0_NS1_11comp_targetILNS1_3genE0ELNS1_11target_archE4294967295ELNS1_3gpuE0ELNS1_3repE0EEENS1_30default_config_static_selectorELNS0_4arch9wavefront6targetE1EEEvT1_, .Lfunc_end474-_ZN7rocprim17ROCPRIM_400000_NS6detail17trampoline_kernelINS0_14default_configENS1_20scan_config_selectorIN3c108BFloat16EEEZZNS1_9scan_implILNS1_25lookback_scan_determinismE0ELb0ELb0ES3_PKS6_PS6_S6_ZZZN2at6native31launch_logcumsumexp_cuda_kernelERKNSD_10TensorBaseESH_lENKUlvE_clEvENKUlvE4_clEvEUlS6_S6_E_S6_EEDaPvRmT3_T4_T5_mT6_P12ihipStream_tbENKUlT_T0_E_clISt17integral_constantIbLb1EESY_EEDaST_SU_EUlST_E0_NS1_11comp_targetILNS1_3genE0ELNS1_11target_archE4294967295ELNS1_3gpuE0ELNS1_3repE0EEENS1_30default_config_static_selectorELNS0_4arch9wavefront6targetE1EEEvT1_
                                        ; -- End function
	.set _ZN7rocprim17ROCPRIM_400000_NS6detail17trampoline_kernelINS0_14default_configENS1_20scan_config_selectorIN3c108BFloat16EEEZZNS1_9scan_implILNS1_25lookback_scan_determinismE0ELb0ELb0ES3_PKS6_PS6_S6_ZZZN2at6native31launch_logcumsumexp_cuda_kernelERKNSD_10TensorBaseESH_lENKUlvE_clEvENKUlvE4_clEvEUlS6_S6_E_S6_EEDaPvRmT3_T4_T5_mT6_P12ihipStream_tbENKUlT_T0_E_clISt17integral_constantIbLb1EESY_EEDaST_SU_EUlST_E0_NS1_11comp_targetILNS1_3genE0ELNS1_11target_archE4294967295ELNS1_3gpuE0ELNS1_3repE0EEENS1_30default_config_static_selectorELNS0_4arch9wavefront6targetE1EEEvT1_.num_vgpr, 54
	.set _ZN7rocprim17ROCPRIM_400000_NS6detail17trampoline_kernelINS0_14default_configENS1_20scan_config_selectorIN3c108BFloat16EEEZZNS1_9scan_implILNS1_25lookback_scan_determinismE0ELb0ELb0ES3_PKS6_PS6_S6_ZZZN2at6native31launch_logcumsumexp_cuda_kernelERKNSD_10TensorBaseESH_lENKUlvE_clEvENKUlvE4_clEvEUlS6_S6_E_S6_EEDaPvRmT3_T4_T5_mT6_P12ihipStream_tbENKUlT_T0_E_clISt17integral_constantIbLb1EESY_EEDaST_SU_EUlST_E0_NS1_11comp_targetILNS1_3genE0ELNS1_11target_archE4294967295ELNS1_3gpuE0ELNS1_3repE0EEENS1_30default_config_static_selectorELNS0_4arch9wavefront6targetE1EEEvT1_.num_agpr, 0
	.set _ZN7rocprim17ROCPRIM_400000_NS6detail17trampoline_kernelINS0_14default_configENS1_20scan_config_selectorIN3c108BFloat16EEEZZNS1_9scan_implILNS1_25lookback_scan_determinismE0ELb0ELb0ES3_PKS6_PS6_S6_ZZZN2at6native31launch_logcumsumexp_cuda_kernelERKNSD_10TensorBaseESH_lENKUlvE_clEvENKUlvE4_clEvEUlS6_S6_E_S6_EEDaPvRmT3_T4_T5_mT6_P12ihipStream_tbENKUlT_T0_E_clISt17integral_constantIbLb1EESY_EEDaST_SU_EUlST_E0_NS1_11comp_targetILNS1_3genE0ELNS1_11target_archE4294967295ELNS1_3gpuE0ELNS1_3repE0EEENS1_30default_config_static_selectorELNS0_4arch9wavefront6targetE1EEEvT1_.numbered_sgpr, 68
	.set _ZN7rocprim17ROCPRIM_400000_NS6detail17trampoline_kernelINS0_14default_configENS1_20scan_config_selectorIN3c108BFloat16EEEZZNS1_9scan_implILNS1_25lookback_scan_determinismE0ELb0ELb0ES3_PKS6_PS6_S6_ZZZN2at6native31launch_logcumsumexp_cuda_kernelERKNSD_10TensorBaseESH_lENKUlvE_clEvENKUlvE4_clEvEUlS6_S6_E_S6_EEDaPvRmT3_T4_T5_mT6_P12ihipStream_tbENKUlT_T0_E_clISt17integral_constantIbLb1EESY_EEDaST_SU_EUlST_E0_NS1_11comp_targetILNS1_3genE0ELNS1_11target_archE4294967295ELNS1_3gpuE0ELNS1_3repE0EEENS1_30default_config_static_selectorELNS0_4arch9wavefront6targetE1EEEvT1_.num_named_barrier, 0
	.set _ZN7rocprim17ROCPRIM_400000_NS6detail17trampoline_kernelINS0_14default_configENS1_20scan_config_selectorIN3c108BFloat16EEEZZNS1_9scan_implILNS1_25lookback_scan_determinismE0ELb0ELb0ES3_PKS6_PS6_S6_ZZZN2at6native31launch_logcumsumexp_cuda_kernelERKNSD_10TensorBaseESH_lENKUlvE_clEvENKUlvE4_clEvEUlS6_S6_E_S6_EEDaPvRmT3_T4_T5_mT6_P12ihipStream_tbENKUlT_T0_E_clISt17integral_constantIbLb1EESY_EEDaST_SU_EUlST_E0_NS1_11comp_targetILNS1_3genE0ELNS1_11target_archE4294967295ELNS1_3gpuE0ELNS1_3repE0EEENS1_30default_config_static_selectorELNS0_4arch9wavefront6targetE1EEEvT1_.private_seg_size, 0
	.set _ZN7rocprim17ROCPRIM_400000_NS6detail17trampoline_kernelINS0_14default_configENS1_20scan_config_selectorIN3c108BFloat16EEEZZNS1_9scan_implILNS1_25lookback_scan_determinismE0ELb0ELb0ES3_PKS6_PS6_S6_ZZZN2at6native31launch_logcumsumexp_cuda_kernelERKNSD_10TensorBaseESH_lENKUlvE_clEvENKUlvE4_clEvEUlS6_S6_E_S6_EEDaPvRmT3_T4_T5_mT6_P12ihipStream_tbENKUlT_T0_E_clISt17integral_constantIbLb1EESY_EEDaST_SU_EUlST_E0_NS1_11comp_targetILNS1_3genE0ELNS1_11target_archE4294967295ELNS1_3gpuE0ELNS1_3repE0EEENS1_30default_config_static_selectorELNS0_4arch9wavefront6targetE1EEEvT1_.uses_vcc, 1
	.set _ZN7rocprim17ROCPRIM_400000_NS6detail17trampoline_kernelINS0_14default_configENS1_20scan_config_selectorIN3c108BFloat16EEEZZNS1_9scan_implILNS1_25lookback_scan_determinismE0ELb0ELb0ES3_PKS6_PS6_S6_ZZZN2at6native31launch_logcumsumexp_cuda_kernelERKNSD_10TensorBaseESH_lENKUlvE_clEvENKUlvE4_clEvEUlS6_S6_E_S6_EEDaPvRmT3_T4_T5_mT6_P12ihipStream_tbENKUlT_T0_E_clISt17integral_constantIbLb1EESY_EEDaST_SU_EUlST_E0_NS1_11comp_targetILNS1_3genE0ELNS1_11target_archE4294967295ELNS1_3gpuE0ELNS1_3repE0EEENS1_30default_config_static_selectorELNS0_4arch9wavefront6targetE1EEEvT1_.uses_flat_scratch, 0
	.set _ZN7rocprim17ROCPRIM_400000_NS6detail17trampoline_kernelINS0_14default_configENS1_20scan_config_selectorIN3c108BFloat16EEEZZNS1_9scan_implILNS1_25lookback_scan_determinismE0ELb0ELb0ES3_PKS6_PS6_S6_ZZZN2at6native31launch_logcumsumexp_cuda_kernelERKNSD_10TensorBaseESH_lENKUlvE_clEvENKUlvE4_clEvEUlS6_S6_E_S6_EEDaPvRmT3_T4_T5_mT6_P12ihipStream_tbENKUlT_T0_E_clISt17integral_constantIbLb1EESY_EEDaST_SU_EUlST_E0_NS1_11comp_targetILNS1_3genE0ELNS1_11target_archE4294967295ELNS1_3gpuE0ELNS1_3repE0EEENS1_30default_config_static_selectorELNS0_4arch9wavefront6targetE1EEEvT1_.has_dyn_sized_stack, 0
	.set _ZN7rocprim17ROCPRIM_400000_NS6detail17trampoline_kernelINS0_14default_configENS1_20scan_config_selectorIN3c108BFloat16EEEZZNS1_9scan_implILNS1_25lookback_scan_determinismE0ELb0ELb0ES3_PKS6_PS6_S6_ZZZN2at6native31launch_logcumsumexp_cuda_kernelERKNSD_10TensorBaseESH_lENKUlvE_clEvENKUlvE4_clEvEUlS6_S6_E_S6_EEDaPvRmT3_T4_T5_mT6_P12ihipStream_tbENKUlT_T0_E_clISt17integral_constantIbLb1EESY_EEDaST_SU_EUlST_E0_NS1_11comp_targetILNS1_3genE0ELNS1_11target_archE4294967295ELNS1_3gpuE0ELNS1_3repE0EEENS1_30default_config_static_selectorELNS0_4arch9wavefront6targetE1EEEvT1_.has_recursion, 0
	.set _ZN7rocprim17ROCPRIM_400000_NS6detail17trampoline_kernelINS0_14default_configENS1_20scan_config_selectorIN3c108BFloat16EEEZZNS1_9scan_implILNS1_25lookback_scan_determinismE0ELb0ELb0ES3_PKS6_PS6_S6_ZZZN2at6native31launch_logcumsumexp_cuda_kernelERKNSD_10TensorBaseESH_lENKUlvE_clEvENKUlvE4_clEvEUlS6_S6_E_S6_EEDaPvRmT3_T4_T5_mT6_P12ihipStream_tbENKUlT_T0_E_clISt17integral_constantIbLb1EESY_EEDaST_SU_EUlST_E0_NS1_11comp_targetILNS1_3genE0ELNS1_11target_archE4294967295ELNS1_3gpuE0ELNS1_3repE0EEENS1_30default_config_static_selectorELNS0_4arch9wavefront6targetE1EEEvT1_.has_indirect_call, 0
	.section	.AMDGPU.csdata,"",@progbits
; Kernel info:
; codeLenInByte = 32224
; TotalNumSgprs: 74
; NumVgprs: 54
; NumAgprs: 0
; TotalNumVgprs: 54
; ScratchSize: 0
; MemoryBound: 0
; FloatMode: 240
; IeeeMode: 1
; LDSByteSize: 3584 bytes/workgroup (compile time only)
; SGPRBlocks: 9
; VGPRBlocks: 6
; NumSGPRsForWavesPerEU: 74
; NumVGPRsForWavesPerEU: 54
; AccumOffset: 56
; Occupancy: 8
; WaveLimiterHint : 0
; COMPUTE_PGM_RSRC2:SCRATCH_EN: 0
; COMPUTE_PGM_RSRC2:USER_SGPR: 2
; COMPUTE_PGM_RSRC2:TRAP_HANDLER: 0
; COMPUTE_PGM_RSRC2:TGID_X_EN: 1
; COMPUTE_PGM_RSRC2:TGID_Y_EN: 0
; COMPUTE_PGM_RSRC2:TGID_Z_EN: 0
; COMPUTE_PGM_RSRC2:TIDIG_COMP_CNT: 0
; COMPUTE_PGM_RSRC3_GFX90A:ACCUM_OFFSET: 13
; COMPUTE_PGM_RSRC3_GFX90A:TG_SPLIT: 0
	.section	.text._ZN7rocprim17ROCPRIM_400000_NS6detail17trampoline_kernelINS0_14default_configENS1_20scan_config_selectorIN3c108BFloat16EEEZZNS1_9scan_implILNS1_25lookback_scan_determinismE0ELb0ELb0ES3_PKS6_PS6_S6_ZZZN2at6native31launch_logcumsumexp_cuda_kernelERKNSD_10TensorBaseESH_lENKUlvE_clEvENKUlvE4_clEvEUlS6_S6_E_S6_EEDaPvRmT3_T4_T5_mT6_P12ihipStream_tbENKUlT_T0_E_clISt17integral_constantIbLb1EESY_EEDaST_SU_EUlST_E0_NS1_11comp_targetILNS1_3genE5ELNS1_11target_archE942ELNS1_3gpuE9ELNS1_3repE0EEENS1_30default_config_static_selectorELNS0_4arch9wavefront6targetE1EEEvT1_,"axG",@progbits,_ZN7rocprim17ROCPRIM_400000_NS6detail17trampoline_kernelINS0_14default_configENS1_20scan_config_selectorIN3c108BFloat16EEEZZNS1_9scan_implILNS1_25lookback_scan_determinismE0ELb0ELb0ES3_PKS6_PS6_S6_ZZZN2at6native31launch_logcumsumexp_cuda_kernelERKNSD_10TensorBaseESH_lENKUlvE_clEvENKUlvE4_clEvEUlS6_S6_E_S6_EEDaPvRmT3_T4_T5_mT6_P12ihipStream_tbENKUlT_T0_E_clISt17integral_constantIbLb1EESY_EEDaST_SU_EUlST_E0_NS1_11comp_targetILNS1_3genE5ELNS1_11target_archE942ELNS1_3gpuE9ELNS1_3repE0EEENS1_30default_config_static_selectorELNS0_4arch9wavefront6targetE1EEEvT1_,comdat
	.globl	_ZN7rocprim17ROCPRIM_400000_NS6detail17trampoline_kernelINS0_14default_configENS1_20scan_config_selectorIN3c108BFloat16EEEZZNS1_9scan_implILNS1_25lookback_scan_determinismE0ELb0ELb0ES3_PKS6_PS6_S6_ZZZN2at6native31launch_logcumsumexp_cuda_kernelERKNSD_10TensorBaseESH_lENKUlvE_clEvENKUlvE4_clEvEUlS6_S6_E_S6_EEDaPvRmT3_T4_T5_mT6_P12ihipStream_tbENKUlT_T0_E_clISt17integral_constantIbLb1EESY_EEDaST_SU_EUlST_E0_NS1_11comp_targetILNS1_3genE5ELNS1_11target_archE942ELNS1_3gpuE9ELNS1_3repE0EEENS1_30default_config_static_selectorELNS0_4arch9wavefront6targetE1EEEvT1_ ; -- Begin function _ZN7rocprim17ROCPRIM_400000_NS6detail17trampoline_kernelINS0_14default_configENS1_20scan_config_selectorIN3c108BFloat16EEEZZNS1_9scan_implILNS1_25lookback_scan_determinismE0ELb0ELb0ES3_PKS6_PS6_S6_ZZZN2at6native31launch_logcumsumexp_cuda_kernelERKNSD_10TensorBaseESH_lENKUlvE_clEvENKUlvE4_clEvEUlS6_S6_E_S6_EEDaPvRmT3_T4_T5_mT6_P12ihipStream_tbENKUlT_T0_E_clISt17integral_constantIbLb1EESY_EEDaST_SU_EUlST_E0_NS1_11comp_targetILNS1_3genE5ELNS1_11target_archE942ELNS1_3gpuE9ELNS1_3repE0EEENS1_30default_config_static_selectorELNS0_4arch9wavefront6targetE1EEEvT1_
	.p2align	8
	.type	_ZN7rocprim17ROCPRIM_400000_NS6detail17trampoline_kernelINS0_14default_configENS1_20scan_config_selectorIN3c108BFloat16EEEZZNS1_9scan_implILNS1_25lookback_scan_determinismE0ELb0ELb0ES3_PKS6_PS6_S6_ZZZN2at6native31launch_logcumsumexp_cuda_kernelERKNSD_10TensorBaseESH_lENKUlvE_clEvENKUlvE4_clEvEUlS6_S6_E_S6_EEDaPvRmT3_T4_T5_mT6_P12ihipStream_tbENKUlT_T0_E_clISt17integral_constantIbLb1EESY_EEDaST_SU_EUlST_E0_NS1_11comp_targetILNS1_3genE5ELNS1_11target_archE942ELNS1_3gpuE9ELNS1_3repE0EEENS1_30default_config_static_selectorELNS0_4arch9wavefront6targetE1EEEvT1_,@function
_ZN7rocprim17ROCPRIM_400000_NS6detail17trampoline_kernelINS0_14default_configENS1_20scan_config_selectorIN3c108BFloat16EEEZZNS1_9scan_implILNS1_25lookback_scan_determinismE0ELb0ELb0ES3_PKS6_PS6_S6_ZZZN2at6native31launch_logcumsumexp_cuda_kernelERKNSD_10TensorBaseESH_lENKUlvE_clEvENKUlvE4_clEvEUlS6_S6_E_S6_EEDaPvRmT3_T4_T5_mT6_P12ihipStream_tbENKUlT_T0_E_clISt17integral_constantIbLb1EESY_EEDaST_SU_EUlST_E0_NS1_11comp_targetILNS1_3genE5ELNS1_11target_archE942ELNS1_3gpuE9ELNS1_3repE0EEENS1_30default_config_static_selectorELNS0_4arch9wavefront6targetE1EEEvT1_: ; @_ZN7rocprim17ROCPRIM_400000_NS6detail17trampoline_kernelINS0_14default_configENS1_20scan_config_selectorIN3c108BFloat16EEEZZNS1_9scan_implILNS1_25lookback_scan_determinismE0ELb0ELb0ES3_PKS6_PS6_S6_ZZZN2at6native31launch_logcumsumexp_cuda_kernelERKNSD_10TensorBaseESH_lENKUlvE_clEvENKUlvE4_clEvEUlS6_S6_E_S6_EEDaPvRmT3_T4_T5_mT6_P12ihipStream_tbENKUlT_T0_E_clISt17integral_constantIbLb1EESY_EEDaST_SU_EUlST_E0_NS1_11comp_targetILNS1_3genE5ELNS1_11target_archE942ELNS1_3gpuE9ELNS1_3repE0EEENS1_30default_config_static_selectorELNS0_4arch9wavefront6targetE1EEEvT1_
; %bb.0:
	.section	.rodata,"a",@progbits
	.p2align	6, 0x0
	.amdhsa_kernel _ZN7rocprim17ROCPRIM_400000_NS6detail17trampoline_kernelINS0_14default_configENS1_20scan_config_selectorIN3c108BFloat16EEEZZNS1_9scan_implILNS1_25lookback_scan_determinismE0ELb0ELb0ES3_PKS6_PS6_S6_ZZZN2at6native31launch_logcumsumexp_cuda_kernelERKNSD_10TensorBaseESH_lENKUlvE_clEvENKUlvE4_clEvEUlS6_S6_E_S6_EEDaPvRmT3_T4_T5_mT6_P12ihipStream_tbENKUlT_T0_E_clISt17integral_constantIbLb1EESY_EEDaST_SU_EUlST_E0_NS1_11comp_targetILNS1_3genE5ELNS1_11target_archE942ELNS1_3gpuE9ELNS1_3repE0EEENS1_30default_config_static_selectorELNS0_4arch9wavefront6targetE1EEEvT1_
		.amdhsa_group_segment_fixed_size 0
		.amdhsa_private_segment_fixed_size 0
		.amdhsa_kernarg_size 32
		.amdhsa_user_sgpr_count 2
		.amdhsa_user_sgpr_dispatch_ptr 0
		.amdhsa_user_sgpr_queue_ptr 0
		.amdhsa_user_sgpr_kernarg_segment_ptr 1
		.amdhsa_user_sgpr_dispatch_id 0
		.amdhsa_user_sgpr_kernarg_preload_length 0
		.amdhsa_user_sgpr_kernarg_preload_offset 0
		.amdhsa_user_sgpr_private_segment_size 0
		.amdhsa_uses_dynamic_stack 0
		.amdhsa_enable_private_segment 0
		.amdhsa_system_sgpr_workgroup_id_x 1
		.amdhsa_system_sgpr_workgroup_id_y 0
		.amdhsa_system_sgpr_workgroup_id_z 0
		.amdhsa_system_sgpr_workgroup_info 0
		.amdhsa_system_vgpr_workitem_id 0
		.amdhsa_next_free_vgpr 1
		.amdhsa_next_free_sgpr 0
		.amdhsa_accum_offset 4
		.amdhsa_reserve_vcc 0
		.amdhsa_float_round_mode_32 0
		.amdhsa_float_round_mode_16_64 0
		.amdhsa_float_denorm_mode_32 3
		.amdhsa_float_denorm_mode_16_64 3
		.amdhsa_dx10_clamp 1
		.amdhsa_ieee_mode 1
		.amdhsa_fp16_overflow 0
		.amdhsa_tg_split 0
		.amdhsa_exception_fp_ieee_invalid_op 0
		.amdhsa_exception_fp_denorm_src 0
		.amdhsa_exception_fp_ieee_div_zero 0
		.amdhsa_exception_fp_ieee_overflow 0
		.amdhsa_exception_fp_ieee_underflow 0
		.amdhsa_exception_fp_ieee_inexact 0
		.amdhsa_exception_int_div_zero 0
	.end_amdhsa_kernel
	.section	.text._ZN7rocprim17ROCPRIM_400000_NS6detail17trampoline_kernelINS0_14default_configENS1_20scan_config_selectorIN3c108BFloat16EEEZZNS1_9scan_implILNS1_25lookback_scan_determinismE0ELb0ELb0ES3_PKS6_PS6_S6_ZZZN2at6native31launch_logcumsumexp_cuda_kernelERKNSD_10TensorBaseESH_lENKUlvE_clEvENKUlvE4_clEvEUlS6_S6_E_S6_EEDaPvRmT3_T4_T5_mT6_P12ihipStream_tbENKUlT_T0_E_clISt17integral_constantIbLb1EESY_EEDaST_SU_EUlST_E0_NS1_11comp_targetILNS1_3genE5ELNS1_11target_archE942ELNS1_3gpuE9ELNS1_3repE0EEENS1_30default_config_static_selectorELNS0_4arch9wavefront6targetE1EEEvT1_,"axG",@progbits,_ZN7rocprim17ROCPRIM_400000_NS6detail17trampoline_kernelINS0_14default_configENS1_20scan_config_selectorIN3c108BFloat16EEEZZNS1_9scan_implILNS1_25lookback_scan_determinismE0ELb0ELb0ES3_PKS6_PS6_S6_ZZZN2at6native31launch_logcumsumexp_cuda_kernelERKNSD_10TensorBaseESH_lENKUlvE_clEvENKUlvE4_clEvEUlS6_S6_E_S6_EEDaPvRmT3_T4_T5_mT6_P12ihipStream_tbENKUlT_T0_E_clISt17integral_constantIbLb1EESY_EEDaST_SU_EUlST_E0_NS1_11comp_targetILNS1_3genE5ELNS1_11target_archE942ELNS1_3gpuE9ELNS1_3repE0EEENS1_30default_config_static_selectorELNS0_4arch9wavefront6targetE1EEEvT1_,comdat
.Lfunc_end475:
	.size	_ZN7rocprim17ROCPRIM_400000_NS6detail17trampoline_kernelINS0_14default_configENS1_20scan_config_selectorIN3c108BFloat16EEEZZNS1_9scan_implILNS1_25lookback_scan_determinismE0ELb0ELb0ES3_PKS6_PS6_S6_ZZZN2at6native31launch_logcumsumexp_cuda_kernelERKNSD_10TensorBaseESH_lENKUlvE_clEvENKUlvE4_clEvEUlS6_S6_E_S6_EEDaPvRmT3_T4_T5_mT6_P12ihipStream_tbENKUlT_T0_E_clISt17integral_constantIbLb1EESY_EEDaST_SU_EUlST_E0_NS1_11comp_targetILNS1_3genE5ELNS1_11target_archE942ELNS1_3gpuE9ELNS1_3repE0EEENS1_30default_config_static_selectorELNS0_4arch9wavefront6targetE1EEEvT1_, .Lfunc_end475-_ZN7rocprim17ROCPRIM_400000_NS6detail17trampoline_kernelINS0_14default_configENS1_20scan_config_selectorIN3c108BFloat16EEEZZNS1_9scan_implILNS1_25lookback_scan_determinismE0ELb0ELb0ES3_PKS6_PS6_S6_ZZZN2at6native31launch_logcumsumexp_cuda_kernelERKNSD_10TensorBaseESH_lENKUlvE_clEvENKUlvE4_clEvEUlS6_S6_E_S6_EEDaPvRmT3_T4_T5_mT6_P12ihipStream_tbENKUlT_T0_E_clISt17integral_constantIbLb1EESY_EEDaST_SU_EUlST_E0_NS1_11comp_targetILNS1_3genE5ELNS1_11target_archE942ELNS1_3gpuE9ELNS1_3repE0EEENS1_30default_config_static_selectorELNS0_4arch9wavefront6targetE1EEEvT1_
                                        ; -- End function
	.set _ZN7rocprim17ROCPRIM_400000_NS6detail17trampoline_kernelINS0_14default_configENS1_20scan_config_selectorIN3c108BFloat16EEEZZNS1_9scan_implILNS1_25lookback_scan_determinismE0ELb0ELb0ES3_PKS6_PS6_S6_ZZZN2at6native31launch_logcumsumexp_cuda_kernelERKNSD_10TensorBaseESH_lENKUlvE_clEvENKUlvE4_clEvEUlS6_S6_E_S6_EEDaPvRmT3_T4_T5_mT6_P12ihipStream_tbENKUlT_T0_E_clISt17integral_constantIbLb1EESY_EEDaST_SU_EUlST_E0_NS1_11comp_targetILNS1_3genE5ELNS1_11target_archE942ELNS1_3gpuE9ELNS1_3repE0EEENS1_30default_config_static_selectorELNS0_4arch9wavefront6targetE1EEEvT1_.num_vgpr, 0
	.set _ZN7rocprim17ROCPRIM_400000_NS6detail17trampoline_kernelINS0_14default_configENS1_20scan_config_selectorIN3c108BFloat16EEEZZNS1_9scan_implILNS1_25lookback_scan_determinismE0ELb0ELb0ES3_PKS6_PS6_S6_ZZZN2at6native31launch_logcumsumexp_cuda_kernelERKNSD_10TensorBaseESH_lENKUlvE_clEvENKUlvE4_clEvEUlS6_S6_E_S6_EEDaPvRmT3_T4_T5_mT6_P12ihipStream_tbENKUlT_T0_E_clISt17integral_constantIbLb1EESY_EEDaST_SU_EUlST_E0_NS1_11comp_targetILNS1_3genE5ELNS1_11target_archE942ELNS1_3gpuE9ELNS1_3repE0EEENS1_30default_config_static_selectorELNS0_4arch9wavefront6targetE1EEEvT1_.num_agpr, 0
	.set _ZN7rocprim17ROCPRIM_400000_NS6detail17trampoline_kernelINS0_14default_configENS1_20scan_config_selectorIN3c108BFloat16EEEZZNS1_9scan_implILNS1_25lookback_scan_determinismE0ELb0ELb0ES3_PKS6_PS6_S6_ZZZN2at6native31launch_logcumsumexp_cuda_kernelERKNSD_10TensorBaseESH_lENKUlvE_clEvENKUlvE4_clEvEUlS6_S6_E_S6_EEDaPvRmT3_T4_T5_mT6_P12ihipStream_tbENKUlT_T0_E_clISt17integral_constantIbLb1EESY_EEDaST_SU_EUlST_E0_NS1_11comp_targetILNS1_3genE5ELNS1_11target_archE942ELNS1_3gpuE9ELNS1_3repE0EEENS1_30default_config_static_selectorELNS0_4arch9wavefront6targetE1EEEvT1_.numbered_sgpr, 0
	.set _ZN7rocprim17ROCPRIM_400000_NS6detail17trampoline_kernelINS0_14default_configENS1_20scan_config_selectorIN3c108BFloat16EEEZZNS1_9scan_implILNS1_25lookback_scan_determinismE0ELb0ELb0ES3_PKS6_PS6_S6_ZZZN2at6native31launch_logcumsumexp_cuda_kernelERKNSD_10TensorBaseESH_lENKUlvE_clEvENKUlvE4_clEvEUlS6_S6_E_S6_EEDaPvRmT3_T4_T5_mT6_P12ihipStream_tbENKUlT_T0_E_clISt17integral_constantIbLb1EESY_EEDaST_SU_EUlST_E0_NS1_11comp_targetILNS1_3genE5ELNS1_11target_archE942ELNS1_3gpuE9ELNS1_3repE0EEENS1_30default_config_static_selectorELNS0_4arch9wavefront6targetE1EEEvT1_.num_named_barrier, 0
	.set _ZN7rocprim17ROCPRIM_400000_NS6detail17trampoline_kernelINS0_14default_configENS1_20scan_config_selectorIN3c108BFloat16EEEZZNS1_9scan_implILNS1_25lookback_scan_determinismE0ELb0ELb0ES3_PKS6_PS6_S6_ZZZN2at6native31launch_logcumsumexp_cuda_kernelERKNSD_10TensorBaseESH_lENKUlvE_clEvENKUlvE4_clEvEUlS6_S6_E_S6_EEDaPvRmT3_T4_T5_mT6_P12ihipStream_tbENKUlT_T0_E_clISt17integral_constantIbLb1EESY_EEDaST_SU_EUlST_E0_NS1_11comp_targetILNS1_3genE5ELNS1_11target_archE942ELNS1_3gpuE9ELNS1_3repE0EEENS1_30default_config_static_selectorELNS0_4arch9wavefront6targetE1EEEvT1_.private_seg_size, 0
	.set _ZN7rocprim17ROCPRIM_400000_NS6detail17trampoline_kernelINS0_14default_configENS1_20scan_config_selectorIN3c108BFloat16EEEZZNS1_9scan_implILNS1_25lookback_scan_determinismE0ELb0ELb0ES3_PKS6_PS6_S6_ZZZN2at6native31launch_logcumsumexp_cuda_kernelERKNSD_10TensorBaseESH_lENKUlvE_clEvENKUlvE4_clEvEUlS6_S6_E_S6_EEDaPvRmT3_T4_T5_mT6_P12ihipStream_tbENKUlT_T0_E_clISt17integral_constantIbLb1EESY_EEDaST_SU_EUlST_E0_NS1_11comp_targetILNS1_3genE5ELNS1_11target_archE942ELNS1_3gpuE9ELNS1_3repE0EEENS1_30default_config_static_selectorELNS0_4arch9wavefront6targetE1EEEvT1_.uses_vcc, 0
	.set _ZN7rocprim17ROCPRIM_400000_NS6detail17trampoline_kernelINS0_14default_configENS1_20scan_config_selectorIN3c108BFloat16EEEZZNS1_9scan_implILNS1_25lookback_scan_determinismE0ELb0ELb0ES3_PKS6_PS6_S6_ZZZN2at6native31launch_logcumsumexp_cuda_kernelERKNSD_10TensorBaseESH_lENKUlvE_clEvENKUlvE4_clEvEUlS6_S6_E_S6_EEDaPvRmT3_T4_T5_mT6_P12ihipStream_tbENKUlT_T0_E_clISt17integral_constantIbLb1EESY_EEDaST_SU_EUlST_E0_NS1_11comp_targetILNS1_3genE5ELNS1_11target_archE942ELNS1_3gpuE9ELNS1_3repE0EEENS1_30default_config_static_selectorELNS0_4arch9wavefront6targetE1EEEvT1_.uses_flat_scratch, 0
	.set _ZN7rocprim17ROCPRIM_400000_NS6detail17trampoline_kernelINS0_14default_configENS1_20scan_config_selectorIN3c108BFloat16EEEZZNS1_9scan_implILNS1_25lookback_scan_determinismE0ELb0ELb0ES3_PKS6_PS6_S6_ZZZN2at6native31launch_logcumsumexp_cuda_kernelERKNSD_10TensorBaseESH_lENKUlvE_clEvENKUlvE4_clEvEUlS6_S6_E_S6_EEDaPvRmT3_T4_T5_mT6_P12ihipStream_tbENKUlT_T0_E_clISt17integral_constantIbLb1EESY_EEDaST_SU_EUlST_E0_NS1_11comp_targetILNS1_3genE5ELNS1_11target_archE942ELNS1_3gpuE9ELNS1_3repE0EEENS1_30default_config_static_selectorELNS0_4arch9wavefront6targetE1EEEvT1_.has_dyn_sized_stack, 0
	.set _ZN7rocprim17ROCPRIM_400000_NS6detail17trampoline_kernelINS0_14default_configENS1_20scan_config_selectorIN3c108BFloat16EEEZZNS1_9scan_implILNS1_25lookback_scan_determinismE0ELb0ELb0ES3_PKS6_PS6_S6_ZZZN2at6native31launch_logcumsumexp_cuda_kernelERKNSD_10TensorBaseESH_lENKUlvE_clEvENKUlvE4_clEvEUlS6_S6_E_S6_EEDaPvRmT3_T4_T5_mT6_P12ihipStream_tbENKUlT_T0_E_clISt17integral_constantIbLb1EESY_EEDaST_SU_EUlST_E0_NS1_11comp_targetILNS1_3genE5ELNS1_11target_archE942ELNS1_3gpuE9ELNS1_3repE0EEENS1_30default_config_static_selectorELNS0_4arch9wavefront6targetE1EEEvT1_.has_recursion, 0
	.set _ZN7rocprim17ROCPRIM_400000_NS6detail17trampoline_kernelINS0_14default_configENS1_20scan_config_selectorIN3c108BFloat16EEEZZNS1_9scan_implILNS1_25lookback_scan_determinismE0ELb0ELb0ES3_PKS6_PS6_S6_ZZZN2at6native31launch_logcumsumexp_cuda_kernelERKNSD_10TensorBaseESH_lENKUlvE_clEvENKUlvE4_clEvEUlS6_S6_E_S6_EEDaPvRmT3_T4_T5_mT6_P12ihipStream_tbENKUlT_T0_E_clISt17integral_constantIbLb1EESY_EEDaST_SU_EUlST_E0_NS1_11comp_targetILNS1_3genE5ELNS1_11target_archE942ELNS1_3gpuE9ELNS1_3repE0EEENS1_30default_config_static_selectorELNS0_4arch9wavefront6targetE1EEEvT1_.has_indirect_call, 0
	.section	.AMDGPU.csdata,"",@progbits
; Kernel info:
; codeLenInByte = 0
; TotalNumSgprs: 6
; NumVgprs: 0
; NumAgprs: 0
; TotalNumVgprs: 0
; ScratchSize: 0
; MemoryBound: 0
; FloatMode: 240
; IeeeMode: 1
; LDSByteSize: 0 bytes/workgroup (compile time only)
; SGPRBlocks: 0
; VGPRBlocks: 0
; NumSGPRsForWavesPerEU: 6
; NumVGPRsForWavesPerEU: 1
; AccumOffset: 4
; Occupancy: 8
; WaveLimiterHint : 0
; COMPUTE_PGM_RSRC2:SCRATCH_EN: 0
; COMPUTE_PGM_RSRC2:USER_SGPR: 2
; COMPUTE_PGM_RSRC2:TRAP_HANDLER: 0
; COMPUTE_PGM_RSRC2:TGID_X_EN: 1
; COMPUTE_PGM_RSRC2:TGID_Y_EN: 0
; COMPUTE_PGM_RSRC2:TGID_Z_EN: 0
; COMPUTE_PGM_RSRC2:TIDIG_COMP_CNT: 0
; COMPUTE_PGM_RSRC3_GFX90A:ACCUM_OFFSET: 0
; COMPUTE_PGM_RSRC3_GFX90A:TG_SPLIT: 0
	.section	.text._ZN7rocprim17ROCPRIM_400000_NS6detail17trampoline_kernelINS0_14default_configENS1_20scan_config_selectorIN3c108BFloat16EEEZZNS1_9scan_implILNS1_25lookback_scan_determinismE0ELb0ELb0ES3_PKS6_PS6_S6_ZZZN2at6native31launch_logcumsumexp_cuda_kernelERKNSD_10TensorBaseESH_lENKUlvE_clEvENKUlvE4_clEvEUlS6_S6_E_S6_EEDaPvRmT3_T4_T5_mT6_P12ihipStream_tbENKUlT_T0_E_clISt17integral_constantIbLb1EESY_EEDaST_SU_EUlST_E0_NS1_11comp_targetILNS1_3genE4ELNS1_11target_archE910ELNS1_3gpuE8ELNS1_3repE0EEENS1_30default_config_static_selectorELNS0_4arch9wavefront6targetE1EEEvT1_,"axG",@progbits,_ZN7rocprim17ROCPRIM_400000_NS6detail17trampoline_kernelINS0_14default_configENS1_20scan_config_selectorIN3c108BFloat16EEEZZNS1_9scan_implILNS1_25lookback_scan_determinismE0ELb0ELb0ES3_PKS6_PS6_S6_ZZZN2at6native31launch_logcumsumexp_cuda_kernelERKNSD_10TensorBaseESH_lENKUlvE_clEvENKUlvE4_clEvEUlS6_S6_E_S6_EEDaPvRmT3_T4_T5_mT6_P12ihipStream_tbENKUlT_T0_E_clISt17integral_constantIbLb1EESY_EEDaST_SU_EUlST_E0_NS1_11comp_targetILNS1_3genE4ELNS1_11target_archE910ELNS1_3gpuE8ELNS1_3repE0EEENS1_30default_config_static_selectorELNS0_4arch9wavefront6targetE1EEEvT1_,comdat
	.globl	_ZN7rocprim17ROCPRIM_400000_NS6detail17trampoline_kernelINS0_14default_configENS1_20scan_config_selectorIN3c108BFloat16EEEZZNS1_9scan_implILNS1_25lookback_scan_determinismE0ELb0ELb0ES3_PKS6_PS6_S6_ZZZN2at6native31launch_logcumsumexp_cuda_kernelERKNSD_10TensorBaseESH_lENKUlvE_clEvENKUlvE4_clEvEUlS6_S6_E_S6_EEDaPvRmT3_T4_T5_mT6_P12ihipStream_tbENKUlT_T0_E_clISt17integral_constantIbLb1EESY_EEDaST_SU_EUlST_E0_NS1_11comp_targetILNS1_3genE4ELNS1_11target_archE910ELNS1_3gpuE8ELNS1_3repE0EEENS1_30default_config_static_selectorELNS0_4arch9wavefront6targetE1EEEvT1_ ; -- Begin function _ZN7rocprim17ROCPRIM_400000_NS6detail17trampoline_kernelINS0_14default_configENS1_20scan_config_selectorIN3c108BFloat16EEEZZNS1_9scan_implILNS1_25lookback_scan_determinismE0ELb0ELb0ES3_PKS6_PS6_S6_ZZZN2at6native31launch_logcumsumexp_cuda_kernelERKNSD_10TensorBaseESH_lENKUlvE_clEvENKUlvE4_clEvEUlS6_S6_E_S6_EEDaPvRmT3_T4_T5_mT6_P12ihipStream_tbENKUlT_T0_E_clISt17integral_constantIbLb1EESY_EEDaST_SU_EUlST_E0_NS1_11comp_targetILNS1_3genE4ELNS1_11target_archE910ELNS1_3gpuE8ELNS1_3repE0EEENS1_30default_config_static_selectorELNS0_4arch9wavefront6targetE1EEEvT1_
	.p2align	8
	.type	_ZN7rocprim17ROCPRIM_400000_NS6detail17trampoline_kernelINS0_14default_configENS1_20scan_config_selectorIN3c108BFloat16EEEZZNS1_9scan_implILNS1_25lookback_scan_determinismE0ELb0ELb0ES3_PKS6_PS6_S6_ZZZN2at6native31launch_logcumsumexp_cuda_kernelERKNSD_10TensorBaseESH_lENKUlvE_clEvENKUlvE4_clEvEUlS6_S6_E_S6_EEDaPvRmT3_T4_T5_mT6_P12ihipStream_tbENKUlT_T0_E_clISt17integral_constantIbLb1EESY_EEDaST_SU_EUlST_E0_NS1_11comp_targetILNS1_3genE4ELNS1_11target_archE910ELNS1_3gpuE8ELNS1_3repE0EEENS1_30default_config_static_selectorELNS0_4arch9wavefront6targetE1EEEvT1_,@function
_ZN7rocprim17ROCPRIM_400000_NS6detail17trampoline_kernelINS0_14default_configENS1_20scan_config_selectorIN3c108BFloat16EEEZZNS1_9scan_implILNS1_25lookback_scan_determinismE0ELb0ELb0ES3_PKS6_PS6_S6_ZZZN2at6native31launch_logcumsumexp_cuda_kernelERKNSD_10TensorBaseESH_lENKUlvE_clEvENKUlvE4_clEvEUlS6_S6_E_S6_EEDaPvRmT3_T4_T5_mT6_P12ihipStream_tbENKUlT_T0_E_clISt17integral_constantIbLb1EESY_EEDaST_SU_EUlST_E0_NS1_11comp_targetILNS1_3genE4ELNS1_11target_archE910ELNS1_3gpuE8ELNS1_3repE0EEENS1_30default_config_static_selectorELNS0_4arch9wavefront6targetE1EEEvT1_: ; @_ZN7rocprim17ROCPRIM_400000_NS6detail17trampoline_kernelINS0_14default_configENS1_20scan_config_selectorIN3c108BFloat16EEEZZNS1_9scan_implILNS1_25lookback_scan_determinismE0ELb0ELb0ES3_PKS6_PS6_S6_ZZZN2at6native31launch_logcumsumexp_cuda_kernelERKNSD_10TensorBaseESH_lENKUlvE_clEvENKUlvE4_clEvEUlS6_S6_E_S6_EEDaPvRmT3_T4_T5_mT6_P12ihipStream_tbENKUlT_T0_E_clISt17integral_constantIbLb1EESY_EEDaST_SU_EUlST_E0_NS1_11comp_targetILNS1_3genE4ELNS1_11target_archE910ELNS1_3gpuE8ELNS1_3repE0EEENS1_30default_config_static_selectorELNS0_4arch9wavefront6targetE1EEEvT1_
; %bb.0:
	.section	.rodata,"a",@progbits
	.p2align	6, 0x0
	.amdhsa_kernel _ZN7rocprim17ROCPRIM_400000_NS6detail17trampoline_kernelINS0_14default_configENS1_20scan_config_selectorIN3c108BFloat16EEEZZNS1_9scan_implILNS1_25lookback_scan_determinismE0ELb0ELb0ES3_PKS6_PS6_S6_ZZZN2at6native31launch_logcumsumexp_cuda_kernelERKNSD_10TensorBaseESH_lENKUlvE_clEvENKUlvE4_clEvEUlS6_S6_E_S6_EEDaPvRmT3_T4_T5_mT6_P12ihipStream_tbENKUlT_T0_E_clISt17integral_constantIbLb1EESY_EEDaST_SU_EUlST_E0_NS1_11comp_targetILNS1_3genE4ELNS1_11target_archE910ELNS1_3gpuE8ELNS1_3repE0EEENS1_30default_config_static_selectorELNS0_4arch9wavefront6targetE1EEEvT1_
		.amdhsa_group_segment_fixed_size 0
		.amdhsa_private_segment_fixed_size 0
		.amdhsa_kernarg_size 32
		.amdhsa_user_sgpr_count 2
		.amdhsa_user_sgpr_dispatch_ptr 0
		.amdhsa_user_sgpr_queue_ptr 0
		.amdhsa_user_sgpr_kernarg_segment_ptr 1
		.amdhsa_user_sgpr_dispatch_id 0
		.amdhsa_user_sgpr_kernarg_preload_length 0
		.amdhsa_user_sgpr_kernarg_preload_offset 0
		.amdhsa_user_sgpr_private_segment_size 0
		.amdhsa_uses_dynamic_stack 0
		.amdhsa_enable_private_segment 0
		.amdhsa_system_sgpr_workgroup_id_x 1
		.amdhsa_system_sgpr_workgroup_id_y 0
		.amdhsa_system_sgpr_workgroup_id_z 0
		.amdhsa_system_sgpr_workgroup_info 0
		.amdhsa_system_vgpr_workitem_id 0
		.amdhsa_next_free_vgpr 1
		.amdhsa_next_free_sgpr 0
		.amdhsa_accum_offset 4
		.amdhsa_reserve_vcc 0
		.amdhsa_float_round_mode_32 0
		.amdhsa_float_round_mode_16_64 0
		.amdhsa_float_denorm_mode_32 3
		.amdhsa_float_denorm_mode_16_64 3
		.amdhsa_dx10_clamp 1
		.amdhsa_ieee_mode 1
		.amdhsa_fp16_overflow 0
		.amdhsa_tg_split 0
		.amdhsa_exception_fp_ieee_invalid_op 0
		.amdhsa_exception_fp_denorm_src 0
		.amdhsa_exception_fp_ieee_div_zero 0
		.amdhsa_exception_fp_ieee_overflow 0
		.amdhsa_exception_fp_ieee_underflow 0
		.amdhsa_exception_fp_ieee_inexact 0
		.amdhsa_exception_int_div_zero 0
	.end_amdhsa_kernel
	.section	.text._ZN7rocprim17ROCPRIM_400000_NS6detail17trampoline_kernelINS0_14default_configENS1_20scan_config_selectorIN3c108BFloat16EEEZZNS1_9scan_implILNS1_25lookback_scan_determinismE0ELb0ELb0ES3_PKS6_PS6_S6_ZZZN2at6native31launch_logcumsumexp_cuda_kernelERKNSD_10TensorBaseESH_lENKUlvE_clEvENKUlvE4_clEvEUlS6_S6_E_S6_EEDaPvRmT3_T4_T5_mT6_P12ihipStream_tbENKUlT_T0_E_clISt17integral_constantIbLb1EESY_EEDaST_SU_EUlST_E0_NS1_11comp_targetILNS1_3genE4ELNS1_11target_archE910ELNS1_3gpuE8ELNS1_3repE0EEENS1_30default_config_static_selectorELNS0_4arch9wavefront6targetE1EEEvT1_,"axG",@progbits,_ZN7rocprim17ROCPRIM_400000_NS6detail17trampoline_kernelINS0_14default_configENS1_20scan_config_selectorIN3c108BFloat16EEEZZNS1_9scan_implILNS1_25lookback_scan_determinismE0ELb0ELb0ES3_PKS6_PS6_S6_ZZZN2at6native31launch_logcumsumexp_cuda_kernelERKNSD_10TensorBaseESH_lENKUlvE_clEvENKUlvE4_clEvEUlS6_S6_E_S6_EEDaPvRmT3_T4_T5_mT6_P12ihipStream_tbENKUlT_T0_E_clISt17integral_constantIbLb1EESY_EEDaST_SU_EUlST_E0_NS1_11comp_targetILNS1_3genE4ELNS1_11target_archE910ELNS1_3gpuE8ELNS1_3repE0EEENS1_30default_config_static_selectorELNS0_4arch9wavefront6targetE1EEEvT1_,comdat
.Lfunc_end476:
	.size	_ZN7rocprim17ROCPRIM_400000_NS6detail17trampoline_kernelINS0_14default_configENS1_20scan_config_selectorIN3c108BFloat16EEEZZNS1_9scan_implILNS1_25lookback_scan_determinismE0ELb0ELb0ES3_PKS6_PS6_S6_ZZZN2at6native31launch_logcumsumexp_cuda_kernelERKNSD_10TensorBaseESH_lENKUlvE_clEvENKUlvE4_clEvEUlS6_S6_E_S6_EEDaPvRmT3_T4_T5_mT6_P12ihipStream_tbENKUlT_T0_E_clISt17integral_constantIbLb1EESY_EEDaST_SU_EUlST_E0_NS1_11comp_targetILNS1_3genE4ELNS1_11target_archE910ELNS1_3gpuE8ELNS1_3repE0EEENS1_30default_config_static_selectorELNS0_4arch9wavefront6targetE1EEEvT1_, .Lfunc_end476-_ZN7rocprim17ROCPRIM_400000_NS6detail17trampoline_kernelINS0_14default_configENS1_20scan_config_selectorIN3c108BFloat16EEEZZNS1_9scan_implILNS1_25lookback_scan_determinismE0ELb0ELb0ES3_PKS6_PS6_S6_ZZZN2at6native31launch_logcumsumexp_cuda_kernelERKNSD_10TensorBaseESH_lENKUlvE_clEvENKUlvE4_clEvEUlS6_S6_E_S6_EEDaPvRmT3_T4_T5_mT6_P12ihipStream_tbENKUlT_T0_E_clISt17integral_constantIbLb1EESY_EEDaST_SU_EUlST_E0_NS1_11comp_targetILNS1_3genE4ELNS1_11target_archE910ELNS1_3gpuE8ELNS1_3repE0EEENS1_30default_config_static_selectorELNS0_4arch9wavefront6targetE1EEEvT1_
                                        ; -- End function
	.set _ZN7rocprim17ROCPRIM_400000_NS6detail17trampoline_kernelINS0_14default_configENS1_20scan_config_selectorIN3c108BFloat16EEEZZNS1_9scan_implILNS1_25lookback_scan_determinismE0ELb0ELb0ES3_PKS6_PS6_S6_ZZZN2at6native31launch_logcumsumexp_cuda_kernelERKNSD_10TensorBaseESH_lENKUlvE_clEvENKUlvE4_clEvEUlS6_S6_E_S6_EEDaPvRmT3_T4_T5_mT6_P12ihipStream_tbENKUlT_T0_E_clISt17integral_constantIbLb1EESY_EEDaST_SU_EUlST_E0_NS1_11comp_targetILNS1_3genE4ELNS1_11target_archE910ELNS1_3gpuE8ELNS1_3repE0EEENS1_30default_config_static_selectorELNS0_4arch9wavefront6targetE1EEEvT1_.num_vgpr, 0
	.set _ZN7rocprim17ROCPRIM_400000_NS6detail17trampoline_kernelINS0_14default_configENS1_20scan_config_selectorIN3c108BFloat16EEEZZNS1_9scan_implILNS1_25lookback_scan_determinismE0ELb0ELb0ES3_PKS6_PS6_S6_ZZZN2at6native31launch_logcumsumexp_cuda_kernelERKNSD_10TensorBaseESH_lENKUlvE_clEvENKUlvE4_clEvEUlS6_S6_E_S6_EEDaPvRmT3_T4_T5_mT6_P12ihipStream_tbENKUlT_T0_E_clISt17integral_constantIbLb1EESY_EEDaST_SU_EUlST_E0_NS1_11comp_targetILNS1_3genE4ELNS1_11target_archE910ELNS1_3gpuE8ELNS1_3repE0EEENS1_30default_config_static_selectorELNS0_4arch9wavefront6targetE1EEEvT1_.num_agpr, 0
	.set _ZN7rocprim17ROCPRIM_400000_NS6detail17trampoline_kernelINS0_14default_configENS1_20scan_config_selectorIN3c108BFloat16EEEZZNS1_9scan_implILNS1_25lookback_scan_determinismE0ELb0ELb0ES3_PKS6_PS6_S6_ZZZN2at6native31launch_logcumsumexp_cuda_kernelERKNSD_10TensorBaseESH_lENKUlvE_clEvENKUlvE4_clEvEUlS6_S6_E_S6_EEDaPvRmT3_T4_T5_mT6_P12ihipStream_tbENKUlT_T0_E_clISt17integral_constantIbLb1EESY_EEDaST_SU_EUlST_E0_NS1_11comp_targetILNS1_3genE4ELNS1_11target_archE910ELNS1_3gpuE8ELNS1_3repE0EEENS1_30default_config_static_selectorELNS0_4arch9wavefront6targetE1EEEvT1_.numbered_sgpr, 0
	.set _ZN7rocprim17ROCPRIM_400000_NS6detail17trampoline_kernelINS0_14default_configENS1_20scan_config_selectorIN3c108BFloat16EEEZZNS1_9scan_implILNS1_25lookback_scan_determinismE0ELb0ELb0ES3_PKS6_PS6_S6_ZZZN2at6native31launch_logcumsumexp_cuda_kernelERKNSD_10TensorBaseESH_lENKUlvE_clEvENKUlvE4_clEvEUlS6_S6_E_S6_EEDaPvRmT3_T4_T5_mT6_P12ihipStream_tbENKUlT_T0_E_clISt17integral_constantIbLb1EESY_EEDaST_SU_EUlST_E0_NS1_11comp_targetILNS1_3genE4ELNS1_11target_archE910ELNS1_3gpuE8ELNS1_3repE0EEENS1_30default_config_static_selectorELNS0_4arch9wavefront6targetE1EEEvT1_.num_named_barrier, 0
	.set _ZN7rocprim17ROCPRIM_400000_NS6detail17trampoline_kernelINS0_14default_configENS1_20scan_config_selectorIN3c108BFloat16EEEZZNS1_9scan_implILNS1_25lookback_scan_determinismE0ELb0ELb0ES3_PKS6_PS6_S6_ZZZN2at6native31launch_logcumsumexp_cuda_kernelERKNSD_10TensorBaseESH_lENKUlvE_clEvENKUlvE4_clEvEUlS6_S6_E_S6_EEDaPvRmT3_T4_T5_mT6_P12ihipStream_tbENKUlT_T0_E_clISt17integral_constantIbLb1EESY_EEDaST_SU_EUlST_E0_NS1_11comp_targetILNS1_3genE4ELNS1_11target_archE910ELNS1_3gpuE8ELNS1_3repE0EEENS1_30default_config_static_selectorELNS0_4arch9wavefront6targetE1EEEvT1_.private_seg_size, 0
	.set _ZN7rocprim17ROCPRIM_400000_NS6detail17trampoline_kernelINS0_14default_configENS1_20scan_config_selectorIN3c108BFloat16EEEZZNS1_9scan_implILNS1_25lookback_scan_determinismE0ELb0ELb0ES3_PKS6_PS6_S6_ZZZN2at6native31launch_logcumsumexp_cuda_kernelERKNSD_10TensorBaseESH_lENKUlvE_clEvENKUlvE4_clEvEUlS6_S6_E_S6_EEDaPvRmT3_T4_T5_mT6_P12ihipStream_tbENKUlT_T0_E_clISt17integral_constantIbLb1EESY_EEDaST_SU_EUlST_E0_NS1_11comp_targetILNS1_3genE4ELNS1_11target_archE910ELNS1_3gpuE8ELNS1_3repE0EEENS1_30default_config_static_selectorELNS0_4arch9wavefront6targetE1EEEvT1_.uses_vcc, 0
	.set _ZN7rocprim17ROCPRIM_400000_NS6detail17trampoline_kernelINS0_14default_configENS1_20scan_config_selectorIN3c108BFloat16EEEZZNS1_9scan_implILNS1_25lookback_scan_determinismE0ELb0ELb0ES3_PKS6_PS6_S6_ZZZN2at6native31launch_logcumsumexp_cuda_kernelERKNSD_10TensorBaseESH_lENKUlvE_clEvENKUlvE4_clEvEUlS6_S6_E_S6_EEDaPvRmT3_T4_T5_mT6_P12ihipStream_tbENKUlT_T0_E_clISt17integral_constantIbLb1EESY_EEDaST_SU_EUlST_E0_NS1_11comp_targetILNS1_3genE4ELNS1_11target_archE910ELNS1_3gpuE8ELNS1_3repE0EEENS1_30default_config_static_selectorELNS0_4arch9wavefront6targetE1EEEvT1_.uses_flat_scratch, 0
	.set _ZN7rocprim17ROCPRIM_400000_NS6detail17trampoline_kernelINS0_14default_configENS1_20scan_config_selectorIN3c108BFloat16EEEZZNS1_9scan_implILNS1_25lookback_scan_determinismE0ELb0ELb0ES3_PKS6_PS6_S6_ZZZN2at6native31launch_logcumsumexp_cuda_kernelERKNSD_10TensorBaseESH_lENKUlvE_clEvENKUlvE4_clEvEUlS6_S6_E_S6_EEDaPvRmT3_T4_T5_mT6_P12ihipStream_tbENKUlT_T0_E_clISt17integral_constantIbLb1EESY_EEDaST_SU_EUlST_E0_NS1_11comp_targetILNS1_3genE4ELNS1_11target_archE910ELNS1_3gpuE8ELNS1_3repE0EEENS1_30default_config_static_selectorELNS0_4arch9wavefront6targetE1EEEvT1_.has_dyn_sized_stack, 0
	.set _ZN7rocprim17ROCPRIM_400000_NS6detail17trampoline_kernelINS0_14default_configENS1_20scan_config_selectorIN3c108BFloat16EEEZZNS1_9scan_implILNS1_25lookback_scan_determinismE0ELb0ELb0ES3_PKS6_PS6_S6_ZZZN2at6native31launch_logcumsumexp_cuda_kernelERKNSD_10TensorBaseESH_lENKUlvE_clEvENKUlvE4_clEvEUlS6_S6_E_S6_EEDaPvRmT3_T4_T5_mT6_P12ihipStream_tbENKUlT_T0_E_clISt17integral_constantIbLb1EESY_EEDaST_SU_EUlST_E0_NS1_11comp_targetILNS1_3genE4ELNS1_11target_archE910ELNS1_3gpuE8ELNS1_3repE0EEENS1_30default_config_static_selectorELNS0_4arch9wavefront6targetE1EEEvT1_.has_recursion, 0
	.set _ZN7rocprim17ROCPRIM_400000_NS6detail17trampoline_kernelINS0_14default_configENS1_20scan_config_selectorIN3c108BFloat16EEEZZNS1_9scan_implILNS1_25lookback_scan_determinismE0ELb0ELb0ES3_PKS6_PS6_S6_ZZZN2at6native31launch_logcumsumexp_cuda_kernelERKNSD_10TensorBaseESH_lENKUlvE_clEvENKUlvE4_clEvEUlS6_S6_E_S6_EEDaPvRmT3_T4_T5_mT6_P12ihipStream_tbENKUlT_T0_E_clISt17integral_constantIbLb1EESY_EEDaST_SU_EUlST_E0_NS1_11comp_targetILNS1_3genE4ELNS1_11target_archE910ELNS1_3gpuE8ELNS1_3repE0EEENS1_30default_config_static_selectorELNS0_4arch9wavefront6targetE1EEEvT1_.has_indirect_call, 0
	.section	.AMDGPU.csdata,"",@progbits
; Kernel info:
; codeLenInByte = 0
; TotalNumSgprs: 6
; NumVgprs: 0
; NumAgprs: 0
; TotalNumVgprs: 0
; ScratchSize: 0
; MemoryBound: 0
; FloatMode: 240
; IeeeMode: 1
; LDSByteSize: 0 bytes/workgroup (compile time only)
; SGPRBlocks: 0
; VGPRBlocks: 0
; NumSGPRsForWavesPerEU: 6
; NumVGPRsForWavesPerEU: 1
; AccumOffset: 4
; Occupancy: 8
; WaveLimiterHint : 0
; COMPUTE_PGM_RSRC2:SCRATCH_EN: 0
; COMPUTE_PGM_RSRC2:USER_SGPR: 2
; COMPUTE_PGM_RSRC2:TRAP_HANDLER: 0
; COMPUTE_PGM_RSRC2:TGID_X_EN: 1
; COMPUTE_PGM_RSRC2:TGID_Y_EN: 0
; COMPUTE_PGM_RSRC2:TGID_Z_EN: 0
; COMPUTE_PGM_RSRC2:TIDIG_COMP_CNT: 0
; COMPUTE_PGM_RSRC3_GFX90A:ACCUM_OFFSET: 0
; COMPUTE_PGM_RSRC3_GFX90A:TG_SPLIT: 0
	.section	.text._ZN7rocprim17ROCPRIM_400000_NS6detail17trampoline_kernelINS0_14default_configENS1_20scan_config_selectorIN3c108BFloat16EEEZZNS1_9scan_implILNS1_25lookback_scan_determinismE0ELb0ELb0ES3_PKS6_PS6_S6_ZZZN2at6native31launch_logcumsumexp_cuda_kernelERKNSD_10TensorBaseESH_lENKUlvE_clEvENKUlvE4_clEvEUlS6_S6_E_S6_EEDaPvRmT3_T4_T5_mT6_P12ihipStream_tbENKUlT_T0_E_clISt17integral_constantIbLb1EESY_EEDaST_SU_EUlST_E0_NS1_11comp_targetILNS1_3genE3ELNS1_11target_archE908ELNS1_3gpuE7ELNS1_3repE0EEENS1_30default_config_static_selectorELNS0_4arch9wavefront6targetE1EEEvT1_,"axG",@progbits,_ZN7rocprim17ROCPRIM_400000_NS6detail17trampoline_kernelINS0_14default_configENS1_20scan_config_selectorIN3c108BFloat16EEEZZNS1_9scan_implILNS1_25lookback_scan_determinismE0ELb0ELb0ES3_PKS6_PS6_S6_ZZZN2at6native31launch_logcumsumexp_cuda_kernelERKNSD_10TensorBaseESH_lENKUlvE_clEvENKUlvE4_clEvEUlS6_S6_E_S6_EEDaPvRmT3_T4_T5_mT6_P12ihipStream_tbENKUlT_T0_E_clISt17integral_constantIbLb1EESY_EEDaST_SU_EUlST_E0_NS1_11comp_targetILNS1_3genE3ELNS1_11target_archE908ELNS1_3gpuE7ELNS1_3repE0EEENS1_30default_config_static_selectorELNS0_4arch9wavefront6targetE1EEEvT1_,comdat
	.globl	_ZN7rocprim17ROCPRIM_400000_NS6detail17trampoline_kernelINS0_14default_configENS1_20scan_config_selectorIN3c108BFloat16EEEZZNS1_9scan_implILNS1_25lookback_scan_determinismE0ELb0ELb0ES3_PKS6_PS6_S6_ZZZN2at6native31launch_logcumsumexp_cuda_kernelERKNSD_10TensorBaseESH_lENKUlvE_clEvENKUlvE4_clEvEUlS6_S6_E_S6_EEDaPvRmT3_T4_T5_mT6_P12ihipStream_tbENKUlT_T0_E_clISt17integral_constantIbLb1EESY_EEDaST_SU_EUlST_E0_NS1_11comp_targetILNS1_3genE3ELNS1_11target_archE908ELNS1_3gpuE7ELNS1_3repE0EEENS1_30default_config_static_selectorELNS0_4arch9wavefront6targetE1EEEvT1_ ; -- Begin function _ZN7rocprim17ROCPRIM_400000_NS6detail17trampoline_kernelINS0_14default_configENS1_20scan_config_selectorIN3c108BFloat16EEEZZNS1_9scan_implILNS1_25lookback_scan_determinismE0ELb0ELb0ES3_PKS6_PS6_S6_ZZZN2at6native31launch_logcumsumexp_cuda_kernelERKNSD_10TensorBaseESH_lENKUlvE_clEvENKUlvE4_clEvEUlS6_S6_E_S6_EEDaPvRmT3_T4_T5_mT6_P12ihipStream_tbENKUlT_T0_E_clISt17integral_constantIbLb1EESY_EEDaST_SU_EUlST_E0_NS1_11comp_targetILNS1_3genE3ELNS1_11target_archE908ELNS1_3gpuE7ELNS1_3repE0EEENS1_30default_config_static_selectorELNS0_4arch9wavefront6targetE1EEEvT1_
	.p2align	8
	.type	_ZN7rocprim17ROCPRIM_400000_NS6detail17trampoline_kernelINS0_14default_configENS1_20scan_config_selectorIN3c108BFloat16EEEZZNS1_9scan_implILNS1_25lookback_scan_determinismE0ELb0ELb0ES3_PKS6_PS6_S6_ZZZN2at6native31launch_logcumsumexp_cuda_kernelERKNSD_10TensorBaseESH_lENKUlvE_clEvENKUlvE4_clEvEUlS6_S6_E_S6_EEDaPvRmT3_T4_T5_mT6_P12ihipStream_tbENKUlT_T0_E_clISt17integral_constantIbLb1EESY_EEDaST_SU_EUlST_E0_NS1_11comp_targetILNS1_3genE3ELNS1_11target_archE908ELNS1_3gpuE7ELNS1_3repE0EEENS1_30default_config_static_selectorELNS0_4arch9wavefront6targetE1EEEvT1_,@function
_ZN7rocprim17ROCPRIM_400000_NS6detail17trampoline_kernelINS0_14default_configENS1_20scan_config_selectorIN3c108BFloat16EEEZZNS1_9scan_implILNS1_25lookback_scan_determinismE0ELb0ELb0ES3_PKS6_PS6_S6_ZZZN2at6native31launch_logcumsumexp_cuda_kernelERKNSD_10TensorBaseESH_lENKUlvE_clEvENKUlvE4_clEvEUlS6_S6_E_S6_EEDaPvRmT3_T4_T5_mT6_P12ihipStream_tbENKUlT_T0_E_clISt17integral_constantIbLb1EESY_EEDaST_SU_EUlST_E0_NS1_11comp_targetILNS1_3genE3ELNS1_11target_archE908ELNS1_3gpuE7ELNS1_3repE0EEENS1_30default_config_static_selectorELNS0_4arch9wavefront6targetE1EEEvT1_: ; @_ZN7rocprim17ROCPRIM_400000_NS6detail17trampoline_kernelINS0_14default_configENS1_20scan_config_selectorIN3c108BFloat16EEEZZNS1_9scan_implILNS1_25lookback_scan_determinismE0ELb0ELb0ES3_PKS6_PS6_S6_ZZZN2at6native31launch_logcumsumexp_cuda_kernelERKNSD_10TensorBaseESH_lENKUlvE_clEvENKUlvE4_clEvEUlS6_S6_E_S6_EEDaPvRmT3_T4_T5_mT6_P12ihipStream_tbENKUlT_T0_E_clISt17integral_constantIbLb1EESY_EEDaST_SU_EUlST_E0_NS1_11comp_targetILNS1_3genE3ELNS1_11target_archE908ELNS1_3gpuE7ELNS1_3repE0EEENS1_30default_config_static_selectorELNS0_4arch9wavefront6targetE1EEEvT1_
; %bb.0:
	.section	.rodata,"a",@progbits
	.p2align	6, 0x0
	.amdhsa_kernel _ZN7rocprim17ROCPRIM_400000_NS6detail17trampoline_kernelINS0_14default_configENS1_20scan_config_selectorIN3c108BFloat16EEEZZNS1_9scan_implILNS1_25lookback_scan_determinismE0ELb0ELb0ES3_PKS6_PS6_S6_ZZZN2at6native31launch_logcumsumexp_cuda_kernelERKNSD_10TensorBaseESH_lENKUlvE_clEvENKUlvE4_clEvEUlS6_S6_E_S6_EEDaPvRmT3_T4_T5_mT6_P12ihipStream_tbENKUlT_T0_E_clISt17integral_constantIbLb1EESY_EEDaST_SU_EUlST_E0_NS1_11comp_targetILNS1_3genE3ELNS1_11target_archE908ELNS1_3gpuE7ELNS1_3repE0EEENS1_30default_config_static_selectorELNS0_4arch9wavefront6targetE1EEEvT1_
		.amdhsa_group_segment_fixed_size 0
		.amdhsa_private_segment_fixed_size 0
		.amdhsa_kernarg_size 32
		.amdhsa_user_sgpr_count 2
		.amdhsa_user_sgpr_dispatch_ptr 0
		.amdhsa_user_sgpr_queue_ptr 0
		.amdhsa_user_sgpr_kernarg_segment_ptr 1
		.amdhsa_user_sgpr_dispatch_id 0
		.amdhsa_user_sgpr_kernarg_preload_length 0
		.amdhsa_user_sgpr_kernarg_preload_offset 0
		.amdhsa_user_sgpr_private_segment_size 0
		.amdhsa_uses_dynamic_stack 0
		.amdhsa_enable_private_segment 0
		.amdhsa_system_sgpr_workgroup_id_x 1
		.amdhsa_system_sgpr_workgroup_id_y 0
		.amdhsa_system_sgpr_workgroup_id_z 0
		.amdhsa_system_sgpr_workgroup_info 0
		.amdhsa_system_vgpr_workitem_id 0
		.amdhsa_next_free_vgpr 1
		.amdhsa_next_free_sgpr 0
		.amdhsa_accum_offset 4
		.amdhsa_reserve_vcc 0
		.amdhsa_float_round_mode_32 0
		.amdhsa_float_round_mode_16_64 0
		.amdhsa_float_denorm_mode_32 3
		.amdhsa_float_denorm_mode_16_64 3
		.amdhsa_dx10_clamp 1
		.amdhsa_ieee_mode 1
		.amdhsa_fp16_overflow 0
		.amdhsa_tg_split 0
		.amdhsa_exception_fp_ieee_invalid_op 0
		.amdhsa_exception_fp_denorm_src 0
		.amdhsa_exception_fp_ieee_div_zero 0
		.amdhsa_exception_fp_ieee_overflow 0
		.amdhsa_exception_fp_ieee_underflow 0
		.amdhsa_exception_fp_ieee_inexact 0
		.amdhsa_exception_int_div_zero 0
	.end_amdhsa_kernel
	.section	.text._ZN7rocprim17ROCPRIM_400000_NS6detail17trampoline_kernelINS0_14default_configENS1_20scan_config_selectorIN3c108BFloat16EEEZZNS1_9scan_implILNS1_25lookback_scan_determinismE0ELb0ELb0ES3_PKS6_PS6_S6_ZZZN2at6native31launch_logcumsumexp_cuda_kernelERKNSD_10TensorBaseESH_lENKUlvE_clEvENKUlvE4_clEvEUlS6_S6_E_S6_EEDaPvRmT3_T4_T5_mT6_P12ihipStream_tbENKUlT_T0_E_clISt17integral_constantIbLb1EESY_EEDaST_SU_EUlST_E0_NS1_11comp_targetILNS1_3genE3ELNS1_11target_archE908ELNS1_3gpuE7ELNS1_3repE0EEENS1_30default_config_static_selectorELNS0_4arch9wavefront6targetE1EEEvT1_,"axG",@progbits,_ZN7rocprim17ROCPRIM_400000_NS6detail17trampoline_kernelINS0_14default_configENS1_20scan_config_selectorIN3c108BFloat16EEEZZNS1_9scan_implILNS1_25lookback_scan_determinismE0ELb0ELb0ES3_PKS6_PS6_S6_ZZZN2at6native31launch_logcumsumexp_cuda_kernelERKNSD_10TensorBaseESH_lENKUlvE_clEvENKUlvE4_clEvEUlS6_S6_E_S6_EEDaPvRmT3_T4_T5_mT6_P12ihipStream_tbENKUlT_T0_E_clISt17integral_constantIbLb1EESY_EEDaST_SU_EUlST_E0_NS1_11comp_targetILNS1_3genE3ELNS1_11target_archE908ELNS1_3gpuE7ELNS1_3repE0EEENS1_30default_config_static_selectorELNS0_4arch9wavefront6targetE1EEEvT1_,comdat
.Lfunc_end477:
	.size	_ZN7rocprim17ROCPRIM_400000_NS6detail17trampoline_kernelINS0_14default_configENS1_20scan_config_selectorIN3c108BFloat16EEEZZNS1_9scan_implILNS1_25lookback_scan_determinismE0ELb0ELb0ES3_PKS6_PS6_S6_ZZZN2at6native31launch_logcumsumexp_cuda_kernelERKNSD_10TensorBaseESH_lENKUlvE_clEvENKUlvE4_clEvEUlS6_S6_E_S6_EEDaPvRmT3_T4_T5_mT6_P12ihipStream_tbENKUlT_T0_E_clISt17integral_constantIbLb1EESY_EEDaST_SU_EUlST_E0_NS1_11comp_targetILNS1_3genE3ELNS1_11target_archE908ELNS1_3gpuE7ELNS1_3repE0EEENS1_30default_config_static_selectorELNS0_4arch9wavefront6targetE1EEEvT1_, .Lfunc_end477-_ZN7rocprim17ROCPRIM_400000_NS6detail17trampoline_kernelINS0_14default_configENS1_20scan_config_selectorIN3c108BFloat16EEEZZNS1_9scan_implILNS1_25lookback_scan_determinismE0ELb0ELb0ES3_PKS6_PS6_S6_ZZZN2at6native31launch_logcumsumexp_cuda_kernelERKNSD_10TensorBaseESH_lENKUlvE_clEvENKUlvE4_clEvEUlS6_S6_E_S6_EEDaPvRmT3_T4_T5_mT6_P12ihipStream_tbENKUlT_T0_E_clISt17integral_constantIbLb1EESY_EEDaST_SU_EUlST_E0_NS1_11comp_targetILNS1_3genE3ELNS1_11target_archE908ELNS1_3gpuE7ELNS1_3repE0EEENS1_30default_config_static_selectorELNS0_4arch9wavefront6targetE1EEEvT1_
                                        ; -- End function
	.set _ZN7rocprim17ROCPRIM_400000_NS6detail17trampoline_kernelINS0_14default_configENS1_20scan_config_selectorIN3c108BFloat16EEEZZNS1_9scan_implILNS1_25lookback_scan_determinismE0ELb0ELb0ES3_PKS6_PS6_S6_ZZZN2at6native31launch_logcumsumexp_cuda_kernelERKNSD_10TensorBaseESH_lENKUlvE_clEvENKUlvE4_clEvEUlS6_S6_E_S6_EEDaPvRmT3_T4_T5_mT6_P12ihipStream_tbENKUlT_T0_E_clISt17integral_constantIbLb1EESY_EEDaST_SU_EUlST_E0_NS1_11comp_targetILNS1_3genE3ELNS1_11target_archE908ELNS1_3gpuE7ELNS1_3repE0EEENS1_30default_config_static_selectorELNS0_4arch9wavefront6targetE1EEEvT1_.num_vgpr, 0
	.set _ZN7rocprim17ROCPRIM_400000_NS6detail17trampoline_kernelINS0_14default_configENS1_20scan_config_selectorIN3c108BFloat16EEEZZNS1_9scan_implILNS1_25lookback_scan_determinismE0ELb0ELb0ES3_PKS6_PS6_S6_ZZZN2at6native31launch_logcumsumexp_cuda_kernelERKNSD_10TensorBaseESH_lENKUlvE_clEvENKUlvE4_clEvEUlS6_S6_E_S6_EEDaPvRmT3_T4_T5_mT6_P12ihipStream_tbENKUlT_T0_E_clISt17integral_constantIbLb1EESY_EEDaST_SU_EUlST_E0_NS1_11comp_targetILNS1_3genE3ELNS1_11target_archE908ELNS1_3gpuE7ELNS1_3repE0EEENS1_30default_config_static_selectorELNS0_4arch9wavefront6targetE1EEEvT1_.num_agpr, 0
	.set _ZN7rocprim17ROCPRIM_400000_NS6detail17trampoline_kernelINS0_14default_configENS1_20scan_config_selectorIN3c108BFloat16EEEZZNS1_9scan_implILNS1_25lookback_scan_determinismE0ELb0ELb0ES3_PKS6_PS6_S6_ZZZN2at6native31launch_logcumsumexp_cuda_kernelERKNSD_10TensorBaseESH_lENKUlvE_clEvENKUlvE4_clEvEUlS6_S6_E_S6_EEDaPvRmT3_T4_T5_mT6_P12ihipStream_tbENKUlT_T0_E_clISt17integral_constantIbLb1EESY_EEDaST_SU_EUlST_E0_NS1_11comp_targetILNS1_3genE3ELNS1_11target_archE908ELNS1_3gpuE7ELNS1_3repE0EEENS1_30default_config_static_selectorELNS0_4arch9wavefront6targetE1EEEvT1_.numbered_sgpr, 0
	.set _ZN7rocprim17ROCPRIM_400000_NS6detail17trampoline_kernelINS0_14default_configENS1_20scan_config_selectorIN3c108BFloat16EEEZZNS1_9scan_implILNS1_25lookback_scan_determinismE0ELb0ELb0ES3_PKS6_PS6_S6_ZZZN2at6native31launch_logcumsumexp_cuda_kernelERKNSD_10TensorBaseESH_lENKUlvE_clEvENKUlvE4_clEvEUlS6_S6_E_S6_EEDaPvRmT3_T4_T5_mT6_P12ihipStream_tbENKUlT_T0_E_clISt17integral_constantIbLb1EESY_EEDaST_SU_EUlST_E0_NS1_11comp_targetILNS1_3genE3ELNS1_11target_archE908ELNS1_3gpuE7ELNS1_3repE0EEENS1_30default_config_static_selectorELNS0_4arch9wavefront6targetE1EEEvT1_.num_named_barrier, 0
	.set _ZN7rocprim17ROCPRIM_400000_NS6detail17trampoline_kernelINS0_14default_configENS1_20scan_config_selectorIN3c108BFloat16EEEZZNS1_9scan_implILNS1_25lookback_scan_determinismE0ELb0ELb0ES3_PKS6_PS6_S6_ZZZN2at6native31launch_logcumsumexp_cuda_kernelERKNSD_10TensorBaseESH_lENKUlvE_clEvENKUlvE4_clEvEUlS6_S6_E_S6_EEDaPvRmT3_T4_T5_mT6_P12ihipStream_tbENKUlT_T0_E_clISt17integral_constantIbLb1EESY_EEDaST_SU_EUlST_E0_NS1_11comp_targetILNS1_3genE3ELNS1_11target_archE908ELNS1_3gpuE7ELNS1_3repE0EEENS1_30default_config_static_selectorELNS0_4arch9wavefront6targetE1EEEvT1_.private_seg_size, 0
	.set _ZN7rocprim17ROCPRIM_400000_NS6detail17trampoline_kernelINS0_14default_configENS1_20scan_config_selectorIN3c108BFloat16EEEZZNS1_9scan_implILNS1_25lookback_scan_determinismE0ELb0ELb0ES3_PKS6_PS6_S6_ZZZN2at6native31launch_logcumsumexp_cuda_kernelERKNSD_10TensorBaseESH_lENKUlvE_clEvENKUlvE4_clEvEUlS6_S6_E_S6_EEDaPvRmT3_T4_T5_mT6_P12ihipStream_tbENKUlT_T0_E_clISt17integral_constantIbLb1EESY_EEDaST_SU_EUlST_E0_NS1_11comp_targetILNS1_3genE3ELNS1_11target_archE908ELNS1_3gpuE7ELNS1_3repE0EEENS1_30default_config_static_selectorELNS0_4arch9wavefront6targetE1EEEvT1_.uses_vcc, 0
	.set _ZN7rocprim17ROCPRIM_400000_NS6detail17trampoline_kernelINS0_14default_configENS1_20scan_config_selectorIN3c108BFloat16EEEZZNS1_9scan_implILNS1_25lookback_scan_determinismE0ELb0ELb0ES3_PKS6_PS6_S6_ZZZN2at6native31launch_logcumsumexp_cuda_kernelERKNSD_10TensorBaseESH_lENKUlvE_clEvENKUlvE4_clEvEUlS6_S6_E_S6_EEDaPvRmT3_T4_T5_mT6_P12ihipStream_tbENKUlT_T0_E_clISt17integral_constantIbLb1EESY_EEDaST_SU_EUlST_E0_NS1_11comp_targetILNS1_3genE3ELNS1_11target_archE908ELNS1_3gpuE7ELNS1_3repE0EEENS1_30default_config_static_selectorELNS0_4arch9wavefront6targetE1EEEvT1_.uses_flat_scratch, 0
	.set _ZN7rocprim17ROCPRIM_400000_NS6detail17trampoline_kernelINS0_14default_configENS1_20scan_config_selectorIN3c108BFloat16EEEZZNS1_9scan_implILNS1_25lookback_scan_determinismE0ELb0ELb0ES3_PKS6_PS6_S6_ZZZN2at6native31launch_logcumsumexp_cuda_kernelERKNSD_10TensorBaseESH_lENKUlvE_clEvENKUlvE4_clEvEUlS6_S6_E_S6_EEDaPvRmT3_T4_T5_mT6_P12ihipStream_tbENKUlT_T0_E_clISt17integral_constantIbLb1EESY_EEDaST_SU_EUlST_E0_NS1_11comp_targetILNS1_3genE3ELNS1_11target_archE908ELNS1_3gpuE7ELNS1_3repE0EEENS1_30default_config_static_selectorELNS0_4arch9wavefront6targetE1EEEvT1_.has_dyn_sized_stack, 0
	.set _ZN7rocprim17ROCPRIM_400000_NS6detail17trampoline_kernelINS0_14default_configENS1_20scan_config_selectorIN3c108BFloat16EEEZZNS1_9scan_implILNS1_25lookback_scan_determinismE0ELb0ELb0ES3_PKS6_PS6_S6_ZZZN2at6native31launch_logcumsumexp_cuda_kernelERKNSD_10TensorBaseESH_lENKUlvE_clEvENKUlvE4_clEvEUlS6_S6_E_S6_EEDaPvRmT3_T4_T5_mT6_P12ihipStream_tbENKUlT_T0_E_clISt17integral_constantIbLb1EESY_EEDaST_SU_EUlST_E0_NS1_11comp_targetILNS1_3genE3ELNS1_11target_archE908ELNS1_3gpuE7ELNS1_3repE0EEENS1_30default_config_static_selectorELNS0_4arch9wavefront6targetE1EEEvT1_.has_recursion, 0
	.set _ZN7rocprim17ROCPRIM_400000_NS6detail17trampoline_kernelINS0_14default_configENS1_20scan_config_selectorIN3c108BFloat16EEEZZNS1_9scan_implILNS1_25lookback_scan_determinismE0ELb0ELb0ES3_PKS6_PS6_S6_ZZZN2at6native31launch_logcumsumexp_cuda_kernelERKNSD_10TensorBaseESH_lENKUlvE_clEvENKUlvE4_clEvEUlS6_S6_E_S6_EEDaPvRmT3_T4_T5_mT6_P12ihipStream_tbENKUlT_T0_E_clISt17integral_constantIbLb1EESY_EEDaST_SU_EUlST_E0_NS1_11comp_targetILNS1_3genE3ELNS1_11target_archE908ELNS1_3gpuE7ELNS1_3repE0EEENS1_30default_config_static_selectorELNS0_4arch9wavefront6targetE1EEEvT1_.has_indirect_call, 0
	.section	.AMDGPU.csdata,"",@progbits
; Kernel info:
; codeLenInByte = 0
; TotalNumSgprs: 6
; NumVgprs: 0
; NumAgprs: 0
; TotalNumVgprs: 0
; ScratchSize: 0
; MemoryBound: 0
; FloatMode: 240
; IeeeMode: 1
; LDSByteSize: 0 bytes/workgroup (compile time only)
; SGPRBlocks: 0
; VGPRBlocks: 0
; NumSGPRsForWavesPerEU: 6
; NumVGPRsForWavesPerEU: 1
; AccumOffset: 4
; Occupancy: 8
; WaveLimiterHint : 0
; COMPUTE_PGM_RSRC2:SCRATCH_EN: 0
; COMPUTE_PGM_RSRC2:USER_SGPR: 2
; COMPUTE_PGM_RSRC2:TRAP_HANDLER: 0
; COMPUTE_PGM_RSRC2:TGID_X_EN: 1
; COMPUTE_PGM_RSRC2:TGID_Y_EN: 0
; COMPUTE_PGM_RSRC2:TGID_Z_EN: 0
; COMPUTE_PGM_RSRC2:TIDIG_COMP_CNT: 0
; COMPUTE_PGM_RSRC3_GFX90A:ACCUM_OFFSET: 0
; COMPUTE_PGM_RSRC3_GFX90A:TG_SPLIT: 0
	.section	.text._ZN7rocprim17ROCPRIM_400000_NS6detail17trampoline_kernelINS0_14default_configENS1_20scan_config_selectorIN3c108BFloat16EEEZZNS1_9scan_implILNS1_25lookback_scan_determinismE0ELb0ELb0ES3_PKS6_PS6_S6_ZZZN2at6native31launch_logcumsumexp_cuda_kernelERKNSD_10TensorBaseESH_lENKUlvE_clEvENKUlvE4_clEvEUlS6_S6_E_S6_EEDaPvRmT3_T4_T5_mT6_P12ihipStream_tbENKUlT_T0_E_clISt17integral_constantIbLb1EESY_EEDaST_SU_EUlST_E0_NS1_11comp_targetILNS1_3genE2ELNS1_11target_archE906ELNS1_3gpuE6ELNS1_3repE0EEENS1_30default_config_static_selectorELNS0_4arch9wavefront6targetE1EEEvT1_,"axG",@progbits,_ZN7rocprim17ROCPRIM_400000_NS6detail17trampoline_kernelINS0_14default_configENS1_20scan_config_selectorIN3c108BFloat16EEEZZNS1_9scan_implILNS1_25lookback_scan_determinismE0ELb0ELb0ES3_PKS6_PS6_S6_ZZZN2at6native31launch_logcumsumexp_cuda_kernelERKNSD_10TensorBaseESH_lENKUlvE_clEvENKUlvE4_clEvEUlS6_S6_E_S6_EEDaPvRmT3_T4_T5_mT6_P12ihipStream_tbENKUlT_T0_E_clISt17integral_constantIbLb1EESY_EEDaST_SU_EUlST_E0_NS1_11comp_targetILNS1_3genE2ELNS1_11target_archE906ELNS1_3gpuE6ELNS1_3repE0EEENS1_30default_config_static_selectorELNS0_4arch9wavefront6targetE1EEEvT1_,comdat
	.globl	_ZN7rocprim17ROCPRIM_400000_NS6detail17trampoline_kernelINS0_14default_configENS1_20scan_config_selectorIN3c108BFloat16EEEZZNS1_9scan_implILNS1_25lookback_scan_determinismE0ELb0ELb0ES3_PKS6_PS6_S6_ZZZN2at6native31launch_logcumsumexp_cuda_kernelERKNSD_10TensorBaseESH_lENKUlvE_clEvENKUlvE4_clEvEUlS6_S6_E_S6_EEDaPvRmT3_T4_T5_mT6_P12ihipStream_tbENKUlT_T0_E_clISt17integral_constantIbLb1EESY_EEDaST_SU_EUlST_E0_NS1_11comp_targetILNS1_3genE2ELNS1_11target_archE906ELNS1_3gpuE6ELNS1_3repE0EEENS1_30default_config_static_selectorELNS0_4arch9wavefront6targetE1EEEvT1_ ; -- Begin function _ZN7rocprim17ROCPRIM_400000_NS6detail17trampoline_kernelINS0_14default_configENS1_20scan_config_selectorIN3c108BFloat16EEEZZNS1_9scan_implILNS1_25lookback_scan_determinismE0ELb0ELb0ES3_PKS6_PS6_S6_ZZZN2at6native31launch_logcumsumexp_cuda_kernelERKNSD_10TensorBaseESH_lENKUlvE_clEvENKUlvE4_clEvEUlS6_S6_E_S6_EEDaPvRmT3_T4_T5_mT6_P12ihipStream_tbENKUlT_T0_E_clISt17integral_constantIbLb1EESY_EEDaST_SU_EUlST_E0_NS1_11comp_targetILNS1_3genE2ELNS1_11target_archE906ELNS1_3gpuE6ELNS1_3repE0EEENS1_30default_config_static_selectorELNS0_4arch9wavefront6targetE1EEEvT1_
	.p2align	8
	.type	_ZN7rocprim17ROCPRIM_400000_NS6detail17trampoline_kernelINS0_14default_configENS1_20scan_config_selectorIN3c108BFloat16EEEZZNS1_9scan_implILNS1_25lookback_scan_determinismE0ELb0ELb0ES3_PKS6_PS6_S6_ZZZN2at6native31launch_logcumsumexp_cuda_kernelERKNSD_10TensorBaseESH_lENKUlvE_clEvENKUlvE4_clEvEUlS6_S6_E_S6_EEDaPvRmT3_T4_T5_mT6_P12ihipStream_tbENKUlT_T0_E_clISt17integral_constantIbLb1EESY_EEDaST_SU_EUlST_E0_NS1_11comp_targetILNS1_3genE2ELNS1_11target_archE906ELNS1_3gpuE6ELNS1_3repE0EEENS1_30default_config_static_selectorELNS0_4arch9wavefront6targetE1EEEvT1_,@function
_ZN7rocprim17ROCPRIM_400000_NS6detail17trampoline_kernelINS0_14default_configENS1_20scan_config_selectorIN3c108BFloat16EEEZZNS1_9scan_implILNS1_25lookback_scan_determinismE0ELb0ELb0ES3_PKS6_PS6_S6_ZZZN2at6native31launch_logcumsumexp_cuda_kernelERKNSD_10TensorBaseESH_lENKUlvE_clEvENKUlvE4_clEvEUlS6_S6_E_S6_EEDaPvRmT3_T4_T5_mT6_P12ihipStream_tbENKUlT_T0_E_clISt17integral_constantIbLb1EESY_EEDaST_SU_EUlST_E0_NS1_11comp_targetILNS1_3genE2ELNS1_11target_archE906ELNS1_3gpuE6ELNS1_3repE0EEENS1_30default_config_static_selectorELNS0_4arch9wavefront6targetE1EEEvT1_: ; @_ZN7rocprim17ROCPRIM_400000_NS6detail17trampoline_kernelINS0_14default_configENS1_20scan_config_selectorIN3c108BFloat16EEEZZNS1_9scan_implILNS1_25lookback_scan_determinismE0ELb0ELb0ES3_PKS6_PS6_S6_ZZZN2at6native31launch_logcumsumexp_cuda_kernelERKNSD_10TensorBaseESH_lENKUlvE_clEvENKUlvE4_clEvEUlS6_S6_E_S6_EEDaPvRmT3_T4_T5_mT6_P12ihipStream_tbENKUlT_T0_E_clISt17integral_constantIbLb1EESY_EEDaST_SU_EUlST_E0_NS1_11comp_targetILNS1_3genE2ELNS1_11target_archE906ELNS1_3gpuE6ELNS1_3repE0EEENS1_30default_config_static_selectorELNS0_4arch9wavefront6targetE1EEEvT1_
; %bb.0:
	.section	.rodata,"a",@progbits
	.p2align	6, 0x0
	.amdhsa_kernel _ZN7rocprim17ROCPRIM_400000_NS6detail17trampoline_kernelINS0_14default_configENS1_20scan_config_selectorIN3c108BFloat16EEEZZNS1_9scan_implILNS1_25lookback_scan_determinismE0ELb0ELb0ES3_PKS6_PS6_S6_ZZZN2at6native31launch_logcumsumexp_cuda_kernelERKNSD_10TensorBaseESH_lENKUlvE_clEvENKUlvE4_clEvEUlS6_S6_E_S6_EEDaPvRmT3_T4_T5_mT6_P12ihipStream_tbENKUlT_T0_E_clISt17integral_constantIbLb1EESY_EEDaST_SU_EUlST_E0_NS1_11comp_targetILNS1_3genE2ELNS1_11target_archE906ELNS1_3gpuE6ELNS1_3repE0EEENS1_30default_config_static_selectorELNS0_4arch9wavefront6targetE1EEEvT1_
		.amdhsa_group_segment_fixed_size 0
		.amdhsa_private_segment_fixed_size 0
		.amdhsa_kernarg_size 32
		.amdhsa_user_sgpr_count 2
		.amdhsa_user_sgpr_dispatch_ptr 0
		.amdhsa_user_sgpr_queue_ptr 0
		.amdhsa_user_sgpr_kernarg_segment_ptr 1
		.amdhsa_user_sgpr_dispatch_id 0
		.amdhsa_user_sgpr_kernarg_preload_length 0
		.amdhsa_user_sgpr_kernarg_preload_offset 0
		.amdhsa_user_sgpr_private_segment_size 0
		.amdhsa_uses_dynamic_stack 0
		.amdhsa_enable_private_segment 0
		.amdhsa_system_sgpr_workgroup_id_x 1
		.amdhsa_system_sgpr_workgroup_id_y 0
		.amdhsa_system_sgpr_workgroup_id_z 0
		.amdhsa_system_sgpr_workgroup_info 0
		.amdhsa_system_vgpr_workitem_id 0
		.amdhsa_next_free_vgpr 1
		.amdhsa_next_free_sgpr 0
		.amdhsa_accum_offset 4
		.amdhsa_reserve_vcc 0
		.amdhsa_float_round_mode_32 0
		.amdhsa_float_round_mode_16_64 0
		.amdhsa_float_denorm_mode_32 3
		.amdhsa_float_denorm_mode_16_64 3
		.amdhsa_dx10_clamp 1
		.amdhsa_ieee_mode 1
		.amdhsa_fp16_overflow 0
		.amdhsa_tg_split 0
		.amdhsa_exception_fp_ieee_invalid_op 0
		.amdhsa_exception_fp_denorm_src 0
		.amdhsa_exception_fp_ieee_div_zero 0
		.amdhsa_exception_fp_ieee_overflow 0
		.amdhsa_exception_fp_ieee_underflow 0
		.amdhsa_exception_fp_ieee_inexact 0
		.amdhsa_exception_int_div_zero 0
	.end_amdhsa_kernel
	.section	.text._ZN7rocprim17ROCPRIM_400000_NS6detail17trampoline_kernelINS0_14default_configENS1_20scan_config_selectorIN3c108BFloat16EEEZZNS1_9scan_implILNS1_25lookback_scan_determinismE0ELb0ELb0ES3_PKS6_PS6_S6_ZZZN2at6native31launch_logcumsumexp_cuda_kernelERKNSD_10TensorBaseESH_lENKUlvE_clEvENKUlvE4_clEvEUlS6_S6_E_S6_EEDaPvRmT3_T4_T5_mT6_P12ihipStream_tbENKUlT_T0_E_clISt17integral_constantIbLb1EESY_EEDaST_SU_EUlST_E0_NS1_11comp_targetILNS1_3genE2ELNS1_11target_archE906ELNS1_3gpuE6ELNS1_3repE0EEENS1_30default_config_static_selectorELNS0_4arch9wavefront6targetE1EEEvT1_,"axG",@progbits,_ZN7rocprim17ROCPRIM_400000_NS6detail17trampoline_kernelINS0_14default_configENS1_20scan_config_selectorIN3c108BFloat16EEEZZNS1_9scan_implILNS1_25lookback_scan_determinismE0ELb0ELb0ES3_PKS6_PS6_S6_ZZZN2at6native31launch_logcumsumexp_cuda_kernelERKNSD_10TensorBaseESH_lENKUlvE_clEvENKUlvE4_clEvEUlS6_S6_E_S6_EEDaPvRmT3_T4_T5_mT6_P12ihipStream_tbENKUlT_T0_E_clISt17integral_constantIbLb1EESY_EEDaST_SU_EUlST_E0_NS1_11comp_targetILNS1_3genE2ELNS1_11target_archE906ELNS1_3gpuE6ELNS1_3repE0EEENS1_30default_config_static_selectorELNS0_4arch9wavefront6targetE1EEEvT1_,comdat
.Lfunc_end478:
	.size	_ZN7rocprim17ROCPRIM_400000_NS6detail17trampoline_kernelINS0_14default_configENS1_20scan_config_selectorIN3c108BFloat16EEEZZNS1_9scan_implILNS1_25lookback_scan_determinismE0ELb0ELb0ES3_PKS6_PS6_S6_ZZZN2at6native31launch_logcumsumexp_cuda_kernelERKNSD_10TensorBaseESH_lENKUlvE_clEvENKUlvE4_clEvEUlS6_S6_E_S6_EEDaPvRmT3_T4_T5_mT6_P12ihipStream_tbENKUlT_T0_E_clISt17integral_constantIbLb1EESY_EEDaST_SU_EUlST_E0_NS1_11comp_targetILNS1_3genE2ELNS1_11target_archE906ELNS1_3gpuE6ELNS1_3repE0EEENS1_30default_config_static_selectorELNS0_4arch9wavefront6targetE1EEEvT1_, .Lfunc_end478-_ZN7rocprim17ROCPRIM_400000_NS6detail17trampoline_kernelINS0_14default_configENS1_20scan_config_selectorIN3c108BFloat16EEEZZNS1_9scan_implILNS1_25lookback_scan_determinismE0ELb0ELb0ES3_PKS6_PS6_S6_ZZZN2at6native31launch_logcumsumexp_cuda_kernelERKNSD_10TensorBaseESH_lENKUlvE_clEvENKUlvE4_clEvEUlS6_S6_E_S6_EEDaPvRmT3_T4_T5_mT6_P12ihipStream_tbENKUlT_T0_E_clISt17integral_constantIbLb1EESY_EEDaST_SU_EUlST_E0_NS1_11comp_targetILNS1_3genE2ELNS1_11target_archE906ELNS1_3gpuE6ELNS1_3repE0EEENS1_30default_config_static_selectorELNS0_4arch9wavefront6targetE1EEEvT1_
                                        ; -- End function
	.set _ZN7rocprim17ROCPRIM_400000_NS6detail17trampoline_kernelINS0_14default_configENS1_20scan_config_selectorIN3c108BFloat16EEEZZNS1_9scan_implILNS1_25lookback_scan_determinismE0ELb0ELb0ES3_PKS6_PS6_S6_ZZZN2at6native31launch_logcumsumexp_cuda_kernelERKNSD_10TensorBaseESH_lENKUlvE_clEvENKUlvE4_clEvEUlS6_S6_E_S6_EEDaPvRmT3_T4_T5_mT6_P12ihipStream_tbENKUlT_T0_E_clISt17integral_constantIbLb1EESY_EEDaST_SU_EUlST_E0_NS1_11comp_targetILNS1_3genE2ELNS1_11target_archE906ELNS1_3gpuE6ELNS1_3repE0EEENS1_30default_config_static_selectorELNS0_4arch9wavefront6targetE1EEEvT1_.num_vgpr, 0
	.set _ZN7rocprim17ROCPRIM_400000_NS6detail17trampoline_kernelINS0_14default_configENS1_20scan_config_selectorIN3c108BFloat16EEEZZNS1_9scan_implILNS1_25lookback_scan_determinismE0ELb0ELb0ES3_PKS6_PS6_S6_ZZZN2at6native31launch_logcumsumexp_cuda_kernelERKNSD_10TensorBaseESH_lENKUlvE_clEvENKUlvE4_clEvEUlS6_S6_E_S6_EEDaPvRmT3_T4_T5_mT6_P12ihipStream_tbENKUlT_T0_E_clISt17integral_constantIbLb1EESY_EEDaST_SU_EUlST_E0_NS1_11comp_targetILNS1_3genE2ELNS1_11target_archE906ELNS1_3gpuE6ELNS1_3repE0EEENS1_30default_config_static_selectorELNS0_4arch9wavefront6targetE1EEEvT1_.num_agpr, 0
	.set _ZN7rocprim17ROCPRIM_400000_NS6detail17trampoline_kernelINS0_14default_configENS1_20scan_config_selectorIN3c108BFloat16EEEZZNS1_9scan_implILNS1_25lookback_scan_determinismE0ELb0ELb0ES3_PKS6_PS6_S6_ZZZN2at6native31launch_logcumsumexp_cuda_kernelERKNSD_10TensorBaseESH_lENKUlvE_clEvENKUlvE4_clEvEUlS6_S6_E_S6_EEDaPvRmT3_T4_T5_mT6_P12ihipStream_tbENKUlT_T0_E_clISt17integral_constantIbLb1EESY_EEDaST_SU_EUlST_E0_NS1_11comp_targetILNS1_3genE2ELNS1_11target_archE906ELNS1_3gpuE6ELNS1_3repE0EEENS1_30default_config_static_selectorELNS0_4arch9wavefront6targetE1EEEvT1_.numbered_sgpr, 0
	.set _ZN7rocprim17ROCPRIM_400000_NS6detail17trampoline_kernelINS0_14default_configENS1_20scan_config_selectorIN3c108BFloat16EEEZZNS1_9scan_implILNS1_25lookback_scan_determinismE0ELb0ELb0ES3_PKS6_PS6_S6_ZZZN2at6native31launch_logcumsumexp_cuda_kernelERKNSD_10TensorBaseESH_lENKUlvE_clEvENKUlvE4_clEvEUlS6_S6_E_S6_EEDaPvRmT3_T4_T5_mT6_P12ihipStream_tbENKUlT_T0_E_clISt17integral_constantIbLb1EESY_EEDaST_SU_EUlST_E0_NS1_11comp_targetILNS1_3genE2ELNS1_11target_archE906ELNS1_3gpuE6ELNS1_3repE0EEENS1_30default_config_static_selectorELNS0_4arch9wavefront6targetE1EEEvT1_.num_named_barrier, 0
	.set _ZN7rocprim17ROCPRIM_400000_NS6detail17trampoline_kernelINS0_14default_configENS1_20scan_config_selectorIN3c108BFloat16EEEZZNS1_9scan_implILNS1_25lookback_scan_determinismE0ELb0ELb0ES3_PKS6_PS6_S6_ZZZN2at6native31launch_logcumsumexp_cuda_kernelERKNSD_10TensorBaseESH_lENKUlvE_clEvENKUlvE4_clEvEUlS6_S6_E_S6_EEDaPvRmT3_T4_T5_mT6_P12ihipStream_tbENKUlT_T0_E_clISt17integral_constantIbLb1EESY_EEDaST_SU_EUlST_E0_NS1_11comp_targetILNS1_3genE2ELNS1_11target_archE906ELNS1_3gpuE6ELNS1_3repE0EEENS1_30default_config_static_selectorELNS0_4arch9wavefront6targetE1EEEvT1_.private_seg_size, 0
	.set _ZN7rocprim17ROCPRIM_400000_NS6detail17trampoline_kernelINS0_14default_configENS1_20scan_config_selectorIN3c108BFloat16EEEZZNS1_9scan_implILNS1_25lookback_scan_determinismE0ELb0ELb0ES3_PKS6_PS6_S6_ZZZN2at6native31launch_logcumsumexp_cuda_kernelERKNSD_10TensorBaseESH_lENKUlvE_clEvENKUlvE4_clEvEUlS6_S6_E_S6_EEDaPvRmT3_T4_T5_mT6_P12ihipStream_tbENKUlT_T0_E_clISt17integral_constantIbLb1EESY_EEDaST_SU_EUlST_E0_NS1_11comp_targetILNS1_3genE2ELNS1_11target_archE906ELNS1_3gpuE6ELNS1_3repE0EEENS1_30default_config_static_selectorELNS0_4arch9wavefront6targetE1EEEvT1_.uses_vcc, 0
	.set _ZN7rocprim17ROCPRIM_400000_NS6detail17trampoline_kernelINS0_14default_configENS1_20scan_config_selectorIN3c108BFloat16EEEZZNS1_9scan_implILNS1_25lookback_scan_determinismE0ELb0ELb0ES3_PKS6_PS6_S6_ZZZN2at6native31launch_logcumsumexp_cuda_kernelERKNSD_10TensorBaseESH_lENKUlvE_clEvENKUlvE4_clEvEUlS6_S6_E_S6_EEDaPvRmT3_T4_T5_mT6_P12ihipStream_tbENKUlT_T0_E_clISt17integral_constantIbLb1EESY_EEDaST_SU_EUlST_E0_NS1_11comp_targetILNS1_3genE2ELNS1_11target_archE906ELNS1_3gpuE6ELNS1_3repE0EEENS1_30default_config_static_selectorELNS0_4arch9wavefront6targetE1EEEvT1_.uses_flat_scratch, 0
	.set _ZN7rocprim17ROCPRIM_400000_NS6detail17trampoline_kernelINS0_14default_configENS1_20scan_config_selectorIN3c108BFloat16EEEZZNS1_9scan_implILNS1_25lookback_scan_determinismE0ELb0ELb0ES3_PKS6_PS6_S6_ZZZN2at6native31launch_logcumsumexp_cuda_kernelERKNSD_10TensorBaseESH_lENKUlvE_clEvENKUlvE4_clEvEUlS6_S6_E_S6_EEDaPvRmT3_T4_T5_mT6_P12ihipStream_tbENKUlT_T0_E_clISt17integral_constantIbLb1EESY_EEDaST_SU_EUlST_E0_NS1_11comp_targetILNS1_3genE2ELNS1_11target_archE906ELNS1_3gpuE6ELNS1_3repE0EEENS1_30default_config_static_selectorELNS0_4arch9wavefront6targetE1EEEvT1_.has_dyn_sized_stack, 0
	.set _ZN7rocprim17ROCPRIM_400000_NS6detail17trampoline_kernelINS0_14default_configENS1_20scan_config_selectorIN3c108BFloat16EEEZZNS1_9scan_implILNS1_25lookback_scan_determinismE0ELb0ELb0ES3_PKS6_PS6_S6_ZZZN2at6native31launch_logcumsumexp_cuda_kernelERKNSD_10TensorBaseESH_lENKUlvE_clEvENKUlvE4_clEvEUlS6_S6_E_S6_EEDaPvRmT3_T4_T5_mT6_P12ihipStream_tbENKUlT_T0_E_clISt17integral_constantIbLb1EESY_EEDaST_SU_EUlST_E0_NS1_11comp_targetILNS1_3genE2ELNS1_11target_archE906ELNS1_3gpuE6ELNS1_3repE0EEENS1_30default_config_static_selectorELNS0_4arch9wavefront6targetE1EEEvT1_.has_recursion, 0
	.set _ZN7rocprim17ROCPRIM_400000_NS6detail17trampoline_kernelINS0_14default_configENS1_20scan_config_selectorIN3c108BFloat16EEEZZNS1_9scan_implILNS1_25lookback_scan_determinismE0ELb0ELb0ES3_PKS6_PS6_S6_ZZZN2at6native31launch_logcumsumexp_cuda_kernelERKNSD_10TensorBaseESH_lENKUlvE_clEvENKUlvE4_clEvEUlS6_S6_E_S6_EEDaPvRmT3_T4_T5_mT6_P12ihipStream_tbENKUlT_T0_E_clISt17integral_constantIbLb1EESY_EEDaST_SU_EUlST_E0_NS1_11comp_targetILNS1_3genE2ELNS1_11target_archE906ELNS1_3gpuE6ELNS1_3repE0EEENS1_30default_config_static_selectorELNS0_4arch9wavefront6targetE1EEEvT1_.has_indirect_call, 0
	.section	.AMDGPU.csdata,"",@progbits
; Kernel info:
; codeLenInByte = 0
; TotalNumSgprs: 6
; NumVgprs: 0
; NumAgprs: 0
; TotalNumVgprs: 0
; ScratchSize: 0
; MemoryBound: 0
; FloatMode: 240
; IeeeMode: 1
; LDSByteSize: 0 bytes/workgroup (compile time only)
; SGPRBlocks: 0
; VGPRBlocks: 0
; NumSGPRsForWavesPerEU: 6
; NumVGPRsForWavesPerEU: 1
; AccumOffset: 4
; Occupancy: 8
; WaveLimiterHint : 0
; COMPUTE_PGM_RSRC2:SCRATCH_EN: 0
; COMPUTE_PGM_RSRC2:USER_SGPR: 2
; COMPUTE_PGM_RSRC2:TRAP_HANDLER: 0
; COMPUTE_PGM_RSRC2:TGID_X_EN: 1
; COMPUTE_PGM_RSRC2:TGID_Y_EN: 0
; COMPUTE_PGM_RSRC2:TGID_Z_EN: 0
; COMPUTE_PGM_RSRC2:TIDIG_COMP_CNT: 0
; COMPUTE_PGM_RSRC3_GFX90A:ACCUM_OFFSET: 0
; COMPUTE_PGM_RSRC3_GFX90A:TG_SPLIT: 0
	.section	.text._ZN7rocprim17ROCPRIM_400000_NS6detail17trampoline_kernelINS0_14default_configENS1_20scan_config_selectorIN3c108BFloat16EEEZZNS1_9scan_implILNS1_25lookback_scan_determinismE0ELb0ELb0ES3_PKS6_PS6_S6_ZZZN2at6native31launch_logcumsumexp_cuda_kernelERKNSD_10TensorBaseESH_lENKUlvE_clEvENKUlvE4_clEvEUlS6_S6_E_S6_EEDaPvRmT3_T4_T5_mT6_P12ihipStream_tbENKUlT_T0_E_clISt17integral_constantIbLb1EESY_EEDaST_SU_EUlST_E0_NS1_11comp_targetILNS1_3genE10ELNS1_11target_archE1201ELNS1_3gpuE5ELNS1_3repE0EEENS1_30default_config_static_selectorELNS0_4arch9wavefront6targetE1EEEvT1_,"axG",@progbits,_ZN7rocprim17ROCPRIM_400000_NS6detail17trampoline_kernelINS0_14default_configENS1_20scan_config_selectorIN3c108BFloat16EEEZZNS1_9scan_implILNS1_25lookback_scan_determinismE0ELb0ELb0ES3_PKS6_PS6_S6_ZZZN2at6native31launch_logcumsumexp_cuda_kernelERKNSD_10TensorBaseESH_lENKUlvE_clEvENKUlvE4_clEvEUlS6_S6_E_S6_EEDaPvRmT3_T4_T5_mT6_P12ihipStream_tbENKUlT_T0_E_clISt17integral_constantIbLb1EESY_EEDaST_SU_EUlST_E0_NS1_11comp_targetILNS1_3genE10ELNS1_11target_archE1201ELNS1_3gpuE5ELNS1_3repE0EEENS1_30default_config_static_selectorELNS0_4arch9wavefront6targetE1EEEvT1_,comdat
	.globl	_ZN7rocprim17ROCPRIM_400000_NS6detail17trampoline_kernelINS0_14default_configENS1_20scan_config_selectorIN3c108BFloat16EEEZZNS1_9scan_implILNS1_25lookback_scan_determinismE0ELb0ELb0ES3_PKS6_PS6_S6_ZZZN2at6native31launch_logcumsumexp_cuda_kernelERKNSD_10TensorBaseESH_lENKUlvE_clEvENKUlvE4_clEvEUlS6_S6_E_S6_EEDaPvRmT3_T4_T5_mT6_P12ihipStream_tbENKUlT_T0_E_clISt17integral_constantIbLb1EESY_EEDaST_SU_EUlST_E0_NS1_11comp_targetILNS1_3genE10ELNS1_11target_archE1201ELNS1_3gpuE5ELNS1_3repE0EEENS1_30default_config_static_selectorELNS0_4arch9wavefront6targetE1EEEvT1_ ; -- Begin function _ZN7rocprim17ROCPRIM_400000_NS6detail17trampoline_kernelINS0_14default_configENS1_20scan_config_selectorIN3c108BFloat16EEEZZNS1_9scan_implILNS1_25lookback_scan_determinismE0ELb0ELb0ES3_PKS6_PS6_S6_ZZZN2at6native31launch_logcumsumexp_cuda_kernelERKNSD_10TensorBaseESH_lENKUlvE_clEvENKUlvE4_clEvEUlS6_S6_E_S6_EEDaPvRmT3_T4_T5_mT6_P12ihipStream_tbENKUlT_T0_E_clISt17integral_constantIbLb1EESY_EEDaST_SU_EUlST_E0_NS1_11comp_targetILNS1_3genE10ELNS1_11target_archE1201ELNS1_3gpuE5ELNS1_3repE0EEENS1_30default_config_static_selectorELNS0_4arch9wavefront6targetE1EEEvT1_
	.p2align	8
	.type	_ZN7rocprim17ROCPRIM_400000_NS6detail17trampoline_kernelINS0_14default_configENS1_20scan_config_selectorIN3c108BFloat16EEEZZNS1_9scan_implILNS1_25lookback_scan_determinismE0ELb0ELb0ES3_PKS6_PS6_S6_ZZZN2at6native31launch_logcumsumexp_cuda_kernelERKNSD_10TensorBaseESH_lENKUlvE_clEvENKUlvE4_clEvEUlS6_S6_E_S6_EEDaPvRmT3_T4_T5_mT6_P12ihipStream_tbENKUlT_T0_E_clISt17integral_constantIbLb1EESY_EEDaST_SU_EUlST_E0_NS1_11comp_targetILNS1_3genE10ELNS1_11target_archE1201ELNS1_3gpuE5ELNS1_3repE0EEENS1_30default_config_static_selectorELNS0_4arch9wavefront6targetE1EEEvT1_,@function
_ZN7rocprim17ROCPRIM_400000_NS6detail17trampoline_kernelINS0_14default_configENS1_20scan_config_selectorIN3c108BFloat16EEEZZNS1_9scan_implILNS1_25lookback_scan_determinismE0ELb0ELb0ES3_PKS6_PS6_S6_ZZZN2at6native31launch_logcumsumexp_cuda_kernelERKNSD_10TensorBaseESH_lENKUlvE_clEvENKUlvE4_clEvEUlS6_S6_E_S6_EEDaPvRmT3_T4_T5_mT6_P12ihipStream_tbENKUlT_T0_E_clISt17integral_constantIbLb1EESY_EEDaST_SU_EUlST_E0_NS1_11comp_targetILNS1_3genE10ELNS1_11target_archE1201ELNS1_3gpuE5ELNS1_3repE0EEENS1_30default_config_static_selectorELNS0_4arch9wavefront6targetE1EEEvT1_: ; @_ZN7rocprim17ROCPRIM_400000_NS6detail17trampoline_kernelINS0_14default_configENS1_20scan_config_selectorIN3c108BFloat16EEEZZNS1_9scan_implILNS1_25lookback_scan_determinismE0ELb0ELb0ES3_PKS6_PS6_S6_ZZZN2at6native31launch_logcumsumexp_cuda_kernelERKNSD_10TensorBaseESH_lENKUlvE_clEvENKUlvE4_clEvEUlS6_S6_E_S6_EEDaPvRmT3_T4_T5_mT6_P12ihipStream_tbENKUlT_T0_E_clISt17integral_constantIbLb1EESY_EEDaST_SU_EUlST_E0_NS1_11comp_targetILNS1_3genE10ELNS1_11target_archE1201ELNS1_3gpuE5ELNS1_3repE0EEENS1_30default_config_static_selectorELNS0_4arch9wavefront6targetE1EEEvT1_
; %bb.0:
	.section	.rodata,"a",@progbits
	.p2align	6, 0x0
	.amdhsa_kernel _ZN7rocprim17ROCPRIM_400000_NS6detail17trampoline_kernelINS0_14default_configENS1_20scan_config_selectorIN3c108BFloat16EEEZZNS1_9scan_implILNS1_25lookback_scan_determinismE0ELb0ELb0ES3_PKS6_PS6_S6_ZZZN2at6native31launch_logcumsumexp_cuda_kernelERKNSD_10TensorBaseESH_lENKUlvE_clEvENKUlvE4_clEvEUlS6_S6_E_S6_EEDaPvRmT3_T4_T5_mT6_P12ihipStream_tbENKUlT_T0_E_clISt17integral_constantIbLb1EESY_EEDaST_SU_EUlST_E0_NS1_11comp_targetILNS1_3genE10ELNS1_11target_archE1201ELNS1_3gpuE5ELNS1_3repE0EEENS1_30default_config_static_selectorELNS0_4arch9wavefront6targetE1EEEvT1_
		.amdhsa_group_segment_fixed_size 0
		.amdhsa_private_segment_fixed_size 0
		.amdhsa_kernarg_size 32
		.amdhsa_user_sgpr_count 2
		.amdhsa_user_sgpr_dispatch_ptr 0
		.amdhsa_user_sgpr_queue_ptr 0
		.amdhsa_user_sgpr_kernarg_segment_ptr 1
		.amdhsa_user_sgpr_dispatch_id 0
		.amdhsa_user_sgpr_kernarg_preload_length 0
		.amdhsa_user_sgpr_kernarg_preload_offset 0
		.amdhsa_user_sgpr_private_segment_size 0
		.amdhsa_uses_dynamic_stack 0
		.amdhsa_enable_private_segment 0
		.amdhsa_system_sgpr_workgroup_id_x 1
		.amdhsa_system_sgpr_workgroup_id_y 0
		.amdhsa_system_sgpr_workgroup_id_z 0
		.amdhsa_system_sgpr_workgroup_info 0
		.amdhsa_system_vgpr_workitem_id 0
		.amdhsa_next_free_vgpr 1
		.amdhsa_next_free_sgpr 0
		.amdhsa_accum_offset 4
		.amdhsa_reserve_vcc 0
		.amdhsa_float_round_mode_32 0
		.amdhsa_float_round_mode_16_64 0
		.amdhsa_float_denorm_mode_32 3
		.amdhsa_float_denorm_mode_16_64 3
		.amdhsa_dx10_clamp 1
		.amdhsa_ieee_mode 1
		.amdhsa_fp16_overflow 0
		.amdhsa_tg_split 0
		.amdhsa_exception_fp_ieee_invalid_op 0
		.amdhsa_exception_fp_denorm_src 0
		.amdhsa_exception_fp_ieee_div_zero 0
		.amdhsa_exception_fp_ieee_overflow 0
		.amdhsa_exception_fp_ieee_underflow 0
		.amdhsa_exception_fp_ieee_inexact 0
		.amdhsa_exception_int_div_zero 0
	.end_amdhsa_kernel
	.section	.text._ZN7rocprim17ROCPRIM_400000_NS6detail17trampoline_kernelINS0_14default_configENS1_20scan_config_selectorIN3c108BFloat16EEEZZNS1_9scan_implILNS1_25lookback_scan_determinismE0ELb0ELb0ES3_PKS6_PS6_S6_ZZZN2at6native31launch_logcumsumexp_cuda_kernelERKNSD_10TensorBaseESH_lENKUlvE_clEvENKUlvE4_clEvEUlS6_S6_E_S6_EEDaPvRmT3_T4_T5_mT6_P12ihipStream_tbENKUlT_T0_E_clISt17integral_constantIbLb1EESY_EEDaST_SU_EUlST_E0_NS1_11comp_targetILNS1_3genE10ELNS1_11target_archE1201ELNS1_3gpuE5ELNS1_3repE0EEENS1_30default_config_static_selectorELNS0_4arch9wavefront6targetE1EEEvT1_,"axG",@progbits,_ZN7rocprim17ROCPRIM_400000_NS6detail17trampoline_kernelINS0_14default_configENS1_20scan_config_selectorIN3c108BFloat16EEEZZNS1_9scan_implILNS1_25lookback_scan_determinismE0ELb0ELb0ES3_PKS6_PS6_S6_ZZZN2at6native31launch_logcumsumexp_cuda_kernelERKNSD_10TensorBaseESH_lENKUlvE_clEvENKUlvE4_clEvEUlS6_S6_E_S6_EEDaPvRmT3_T4_T5_mT6_P12ihipStream_tbENKUlT_T0_E_clISt17integral_constantIbLb1EESY_EEDaST_SU_EUlST_E0_NS1_11comp_targetILNS1_3genE10ELNS1_11target_archE1201ELNS1_3gpuE5ELNS1_3repE0EEENS1_30default_config_static_selectorELNS0_4arch9wavefront6targetE1EEEvT1_,comdat
.Lfunc_end479:
	.size	_ZN7rocprim17ROCPRIM_400000_NS6detail17trampoline_kernelINS0_14default_configENS1_20scan_config_selectorIN3c108BFloat16EEEZZNS1_9scan_implILNS1_25lookback_scan_determinismE0ELb0ELb0ES3_PKS6_PS6_S6_ZZZN2at6native31launch_logcumsumexp_cuda_kernelERKNSD_10TensorBaseESH_lENKUlvE_clEvENKUlvE4_clEvEUlS6_S6_E_S6_EEDaPvRmT3_T4_T5_mT6_P12ihipStream_tbENKUlT_T0_E_clISt17integral_constantIbLb1EESY_EEDaST_SU_EUlST_E0_NS1_11comp_targetILNS1_3genE10ELNS1_11target_archE1201ELNS1_3gpuE5ELNS1_3repE0EEENS1_30default_config_static_selectorELNS0_4arch9wavefront6targetE1EEEvT1_, .Lfunc_end479-_ZN7rocprim17ROCPRIM_400000_NS6detail17trampoline_kernelINS0_14default_configENS1_20scan_config_selectorIN3c108BFloat16EEEZZNS1_9scan_implILNS1_25lookback_scan_determinismE0ELb0ELb0ES3_PKS6_PS6_S6_ZZZN2at6native31launch_logcumsumexp_cuda_kernelERKNSD_10TensorBaseESH_lENKUlvE_clEvENKUlvE4_clEvEUlS6_S6_E_S6_EEDaPvRmT3_T4_T5_mT6_P12ihipStream_tbENKUlT_T0_E_clISt17integral_constantIbLb1EESY_EEDaST_SU_EUlST_E0_NS1_11comp_targetILNS1_3genE10ELNS1_11target_archE1201ELNS1_3gpuE5ELNS1_3repE0EEENS1_30default_config_static_selectorELNS0_4arch9wavefront6targetE1EEEvT1_
                                        ; -- End function
	.set _ZN7rocprim17ROCPRIM_400000_NS6detail17trampoline_kernelINS0_14default_configENS1_20scan_config_selectorIN3c108BFloat16EEEZZNS1_9scan_implILNS1_25lookback_scan_determinismE0ELb0ELb0ES3_PKS6_PS6_S6_ZZZN2at6native31launch_logcumsumexp_cuda_kernelERKNSD_10TensorBaseESH_lENKUlvE_clEvENKUlvE4_clEvEUlS6_S6_E_S6_EEDaPvRmT3_T4_T5_mT6_P12ihipStream_tbENKUlT_T0_E_clISt17integral_constantIbLb1EESY_EEDaST_SU_EUlST_E0_NS1_11comp_targetILNS1_3genE10ELNS1_11target_archE1201ELNS1_3gpuE5ELNS1_3repE0EEENS1_30default_config_static_selectorELNS0_4arch9wavefront6targetE1EEEvT1_.num_vgpr, 0
	.set _ZN7rocprim17ROCPRIM_400000_NS6detail17trampoline_kernelINS0_14default_configENS1_20scan_config_selectorIN3c108BFloat16EEEZZNS1_9scan_implILNS1_25lookback_scan_determinismE0ELb0ELb0ES3_PKS6_PS6_S6_ZZZN2at6native31launch_logcumsumexp_cuda_kernelERKNSD_10TensorBaseESH_lENKUlvE_clEvENKUlvE4_clEvEUlS6_S6_E_S6_EEDaPvRmT3_T4_T5_mT6_P12ihipStream_tbENKUlT_T0_E_clISt17integral_constantIbLb1EESY_EEDaST_SU_EUlST_E0_NS1_11comp_targetILNS1_3genE10ELNS1_11target_archE1201ELNS1_3gpuE5ELNS1_3repE0EEENS1_30default_config_static_selectorELNS0_4arch9wavefront6targetE1EEEvT1_.num_agpr, 0
	.set _ZN7rocprim17ROCPRIM_400000_NS6detail17trampoline_kernelINS0_14default_configENS1_20scan_config_selectorIN3c108BFloat16EEEZZNS1_9scan_implILNS1_25lookback_scan_determinismE0ELb0ELb0ES3_PKS6_PS6_S6_ZZZN2at6native31launch_logcumsumexp_cuda_kernelERKNSD_10TensorBaseESH_lENKUlvE_clEvENKUlvE4_clEvEUlS6_S6_E_S6_EEDaPvRmT3_T4_T5_mT6_P12ihipStream_tbENKUlT_T0_E_clISt17integral_constantIbLb1EESY_EEDaST_SU_EUlST_E0_NS1_11comp_targetILNS1_3genE10ELNS1_11target_archE1201ELNS1_3gpuE5ELNS1_3repE0EEENS1_30default_config_static_selectorELNS0_4arch9wavefront6targetE1EEEvT1_.numbered_sgpr, 0
	.set _ZN7rocprim17ROCPRIM_400000_NS6detail17trampoline_kernelINS0_14default_configENS1_20scan_config_selectorIN3c108BFloat16EEEZZNS1_9scan_implILNS1_25lookback_scan_determinismE0ELb0ELb0ES3_PKS6_PS6_S6_ZZZN2at6native31launch_logcumsumexp_cuda_kernelERKNSD_10TensorBaseESH_lENKUlvE_clEvENKUlvE4_clEvEUlS6_S6_E_S6_EEDaPvRmT3_T4_T5_mT6_P12ihipStream_tbENKUlT_T0_E_clISt17integral_constantIbLb1EESY_EEDaST_SU_EUlST_E0_NS1_11comp_targetILNS1_3genE10ELNS1_11target_archE1201ELNS1_3gpuE5ELNS1_3repE0EEENS1_30default_config_static_selectorELNS0_4arch9wavefront6targetE1EEEvT1_.num_named_barrier, 0
	.set _ZN7rocprim17ROCPRIM_400000_NS6detail17trampoline_kernelINS0_14default_configENS1_20scan_config_selectorIN3c108BFloat16EEEZZNS1_9scan_implILNS1_25lookback_scan_determinismE0ELb0ELb0ES3_PKS6_PS6_S6_ZZZN2at6native31launch_logcumsumexp_cuda_kernelERKNSD_10TensorBaseESH_lENKUlvE_clEvENKUlvE4_clEvEUlS6_S6_E_S6_EEDaPvRmT3_T4_T5_mT6_P12ihipStream_tbENKUlT_T0_E_clISt17integral_constantIbLb1EESY_EEDaST_SU_EUlST_E0_NS1_11comp_targetILNS1_3genE10ELNS1_11target_archE1201ELNS1_3gpuE5ELNS1_3repE0EEENS1_30default_config_static_selectorELNS0_4arch9wavefront6targetE1EEEvT1_.private_seg_size, 0
	.set _ZN7rocprim17ROCPRIM_400000_NS6detail17trampoline_kernelINS0_14default_configENS1_20scan_config_selectorIN3c108BFloat16EEEZZNS1_9scan_implILNS1_25lookback_scan_determinismE0ELb0ELb0ES3_PKS6_PS6_S6_ZZZN2at6native31launch_logcumsumexp_cuda_kernelERKNSD_10TensorBaseESH_lENKUlvE_clEvENKUlvE4_clEvEUlS6_S6_E_S6_EEDaPvRmT3_T4_T5_mT6_P12ihipStream_tbENKUlT_T0_E_clISt17integral_constantIbLb1EESY_EEDaST_SU_EUlST_E0_NS1_11comp_targetILNS1_3genE10ELNS1_11target_archE1201ELNS1_3gpuE5ELNS1_3repE0EEENS1_30default_config_static_selectorELNS0_4arch9wavefront6targetE1EEEvT1_.uses_vcc, 0
	.set _ZN7rocprim17ROCPRIM_400000_NS6detail17trampoline_kernelINS0_14default_configENS1_20scan_config_selectorIN3c108BFloat16EEEZZNS1_9scan_implILNS1_25lookback_scan_determinismE0ELb0ELb0ES3_PKS6_PS6_S6_ZZZN2at6native31launch_logcumsumexp_cuda_kernelERKNSD_10TensorBaseESH_lENKUlvE_clEvENKUlvE4_clEvEUlS6_S6_E_S6_EEDaPvRmT3_T4_T5_mT6_P12ihipStream_tbENKUlT_T0_E_clISt17integral_constantIbLb1EESY_EEDaST_SU_EUlST_E0_NS1_11comp_targetILNS1_3genE10ELNS1_11target_archE1201ELNS1_3gpuE5ELNS1_3repE0EEENS1_30default_config_static_selectorELNS0_4arch9wavefront6targetE1EEEvT1_.uses_flat_scratch, 0
	.set _ZN7rocprim17ROCPRIM_400000_NS6detail17trampoline_kernelINS0_14default_configENS1_20scan_config_selectorIN3c108BFloat16EEEZZNS1_9scan_implILNS1_25lookback_scan_determinismE0ELb0ELb0ES3_PKS6_PS6_S6_ZZZN2at6native31launch_logcumsumexp_cuda_kernelERKNSD_10TensorBaseESH_lENKUlvE_clEvENKUlvE4_clEvEUlS6_S6_E_S6_EEDaPvRmT3_T4_T5_mT6_P12ihipStream_tbENKUlT_T0_E_clISt17integral_constantIbLb1EESY_EEDaST_SU_EUlST_E0_NS1_11comp_targetILNS1_3genE10ELNS1_11target_archE1201ELNS1_3gpuE5ELNS1_3repE0EEENS1_30default_config_static_selectorELNS0_4arch9wavefront6targetE1EEEvT1_.has_dyn_sized_stack, 0
	.set _ZN7rocprim17ROCPRIM_400000_NS6detail17trampoline_kernelINS0_14default_configENS1_20scan_config_selectorIN3c108BFloat16EEEZZNS1_9scan_implILNS1_25lookback_scan_determinismE0ELb0ELb0ES3_PKS6_PS6_S6_ZZZN2at6native31launch_logcumsumexp_cuda_kernelERKNSD_10TensorBaseESH_lENKUlvE_clEvENKUlvE4_clEvEUlS6_S6_E_S6_EEDaPvRmT3_T4_T5_mT6_P12ihipStream_tbENKUlT_T0_E_clISt17integral_constantIbLb1EESY_EEDaST_SU_EUlST_E0_NS1_11comp_targetILNS1_3genE10ELNS1_11target_archE1201ELNS1_3gpuE5ELNS1_3repE0EEENS1_30default_config_static_selectorELNS0_4arch9wavefront6targetE1EEEvT1_.has_recursion, 0
	.set _ZN7rocprim17ROCPRIM_400000_NS6detail17trampoline_kernelINS0_14default_configENS1_20scan_config_selectorIN3c108BFloat16EEEZZNS1_9scan_implILNS1_25lookback_scan_determinismE0ELb0ELb0ES3_PKS6_PS6_S6_ZZZN2at6native31launch_logcumsumexp_cuda_kernelERKNSD_10TensorBaseESH_lENKUlvE_clEvENKUlvE4_clEvEUlS6_S6_E_S6_EEDaPvRmT3_T4_T5_mT6_P12ihipStream_tbENKUlT_T0_E_clISt17integral_constantIbLb1EESY_EEDaST_SU_EUlST_E0_NS1_11comp_targetILNS1_3genE10ELNS1_11target_archE1201ELNS1_3gpuE5ELNS1_3repE0EEENS1_30default_config_static_selectorELNS0_4arch9wavefront6targetE1EEEvT1_.has_indirect_call, 0
	.section	.AMDGPU.csdata,"",@progbits
; Kernel info:
; codeLenInByte = 0
; TotalNumSgprs: 6
; NumVgprs: 0
; NumAgprs: 0
; TotalNumVgprs: 0
; ScratchSize: 0
; MemoryBound: 0
; FloatMode: 240
; IeeeMode: 1
; LDSByteSize: 0 bytes/workgroup (compile time only)
; SGPRBlocks: 0
; VGPRBlocks: 0
; NumSGPRsForWavesPerEU: 6
; NumVGPRsForWavesPerEU: 1
; AccumOffset: 4
; Occupancy: 8
; WaveLimiterHint : 0
; COMPUTE_PGM_RSRC2:SCRATCH_EN: 0
; COMPUTE_PGM_RSRC2:USER_SGPR: 2
; COMPUTE_PGM_RSRC2:TRAP_HANDLER: 0
; COMPUTE_PGM_RSRC2:TGID_X_EN: 1
; COMPUTE_PGM_RSRC2:TGID_Y_EN: 0
; COMPUTE_PGM_RSRC2:TGID_Z_EN: 0
; COMPUTE_PGM_RSRC2:TIDIG_COMP_CNT: 0
; COMPUTE_PGM_RSRC3_GFX90A:ACCUM_OFFSET: 0
; COMPUTE_PGM_RSRC3_GFX90A:TG_SPLIT: 0
	.section	.text._ZN7rocprim17ROCPRIM_400000_NS6detail17trampoline_kernelINS0_14default_configENS1_20scan_config_selectorIN3c108BFloat16EEEZZNS1_9scan_implILNS1_25lookback_scan_determinismE0ELb0ELb0ES3_PKS6_PS6_S6_ZZZN2at6native31launch_logcumsumexp_cuda_kernelERKNSD_10TensorBaseESH_lENKUlvE_clEvENKUlvE4_clEvEUlS6_S6_E_S6_EEDaPvRmT3_T4_T5_mT6_P12ihipStream_tbENKUlT_T0_E_clISt17integral_constantIbLb1EESY_EEDaST_SU_EUlST_E0_NS1_11comp_targetILNS1_3genE10ELNS1_11target_archE1200ELNS1_3gpuE4ELNS1_3repE0EEENS1_30default_config_static_selectorELNS0_4arch9wavefront6targetE1EEEvT1_,"axG",@progbits,_ZN7rocprim17ROCPRIM_400000_NS6detail17trampoline_kernelINS0_14default_configENS1_20scan_config_selectorIN3c108BFloat16EEEZZNS1_9scan_implILNS1_25lookback_scan_determinismE0ELb0ELb0ES3_PKS6_PS6_S6_ZZZN2at6native31launch_logcumsumexp_cuda_kernelERKNSD_10TensorBaseESH_lENKUlvE_clEvENKUlvE4_clEvEUlS6_S6_E_S6_EEDaPvRmT3_T4_T5_mT6_P12ihipStream_tbENKUlT_T0_E_clISt17integral_constantIbLb1EESY_EEDaST_SU_EUlST_E0_NS1_11comp_targetILNS1_3genE10ELNS1_11target_archE1200ELNS1_3gpuE4ELNS1_3repE0EEENS1_30default_config_static_selectorELNS0_4arch9wavefront6targetE1EEEvT1_,comdat
	.globl	_ZN7rocprim17ROCPRIM_400000_NS6detail17trampoline_kernelINS0_14default_configENS1_20scan_config_selectorIN3c108BFloat16EEEZZNS1_9scan_implILNS1_25lookback_scan_determinismE0ELb0ELb0ES3_PKS6_PS6_S6_ZZZN2at6native31launch_logcumsumexp_cuda_kernelERKNSD_10TensorBaseESH_lENKUlvE_clEvENKUlvE4_clEvEUlS6_S6_E_S6_EEDaPvRmT3_T4_T5_mT6_P12ihipStream_tbENKUlT_T0_E_clISt17integral_constantIbLb1EESY_EEDaST_SU_EUlST_E0_NS1_11comp_targetILNS1_3genE10ELNS1_11target_archE1200ELNS1_3gpuE4ELNS1_3repE0EEENS1_30default_config_static_selectorELNS0_4arch9wavefront6targetE1EEEvT1_ ; -- Begin function _ZN7rocprim17ROCPRIM_400000_NS6detail17trampoline_kernelINS0_14default_configENS1_20scan_config_selectorIN3c108BFloat16EEEZZNS1_9scan_implILNS1_25lookback_scan_determinismE0ELb0ELb0ES3_PKS6_PS6_S6_ZZZN2at6native31launch_logcumsumexp_cuda_kernelERKNSD_10TensorBaseESH_lENKUlvE_clEvENKUlvE4_clEvEUlS6_S6_E_S6_EEDaPvRmT3_T4_T5_mT6_P12ihipStream_tbENKUlT_T0_E_clISt17integral_constantIbLb1EESY_EEDaST_SU_EUlST_E0_NS1_11comp_targetILNS1_3genE10ELNS1_11target_archE1200ELNS1_3gpuE4ELNS1_3repE0EEENS1_30default_config_static_selectorELNS0_4arch9wavefront6targetE1EEEvT1_
	.p2align	8
	.type	_ZN7rocprim17ROCPRIM_400000_NS6detail17trampoline_kernelINS0_14default_configENS1_20scan_config_selectorIN3c108BFloat16EEEZZNS1_9scan_implILNS1_25lookback_scan_determinismE0ELb0ELb0ES3_PKS6_PS6_S6_ZZZN2at6native31launch_logcumsumexp_cuda_kernelERKNSD_10TensorBaseESH_lENKUlvE_clEvENKUlvE4_clEvEUlS6_S6_E_S6_EEDaPvRmT3_T4_T5_mT6_P12ihipStream_tbENKUlT_T0_E_clISt17integral_constantIbLb1EESY_EEDaST_SU_EUlST_E0_NS1_11comp_targetILNS1_3genE10ELNS1_11target_archE1200ELNS1_3gpuE4ELNS1_3repE0EEENS1_30default_config_static_selectorELNS0_4arch9wavefront6targetE1EEEvT1_,@function
_ZN7rocprim17ROCPRIM_400000_NS6detail17trampoline_kernelINS0_14default_configENS1_20scan_config_selectorIN3c108BFloat16EEEZZNS1_9scan_implILNS1_25lookback_scan_determinismE0ELb0ELb0ES3_PKS6_PS6_S6_ZZZN2at6native31launch_logcumsumexp_cuda_kernelERKNSD_10TensorBaseESH_lENKUlvE_clEvENKUlvE4_clEvEUlS6_S6_E_S6_EEDaPvRmT3_T4_T5_mT6_P12ihipStream_tbENKUlT_T0_E_clISt17integral_constantIbLb1EESY_EEDaST_SU_EUlST_E0_NS1_11comp_targetILNS1_3genE10ELNS1_11target_archE1200ELNS1_3gpuE4ELNS1_3repE0EEENS1_30default_config_static_selectorELNS0_4arch9wavefront6targetE1EEEvT1_: ; @_ZN7rocprim17ROCPRIM_400000_NS6detail17trampoline_kernelINS0_14default_configENS1_20scan_config_selectorIN3c108BFloat16EEEZZNS1_9scan_implILNS1_25lookback_scan_determinismE0ELb0ELb0ES3_PKS6_PS6_S6_ZZZN2at6native31launch_logcumsumexp_cuda_kernelERKNSD_10TensorBaseESH_lENKUlvE_clEvENKUlvE4_clEvEUlS6_S6_E_S6_EEDaPvRmT3_T4_T5_mT6_P12ihipStream_tbENKUlT_T0_E_clISt17integral_constantIbLb1EESY_EEDaST_SU_EUlST_E0_NS1_11comp_targetILNS1_3genE10ELNS1_11target_archE1200ELNS1_3gpuE4ELNS1_3repE0EEENS1_30default_config_static_selectorELNS0_4arch9wavefront6targetE1EEEvT1_
; %bb.0:
	.section	.rodata,"a",@progbits
	.p2align	6, 0x0
	.amdhsa_kernel _ZN7rocprim17ROCPRIM_400000_NS6detail17trampoline_kernelINS0_14default_configENS1_20scan_config_selectorIN3c108BFloat16EEEZZNS1_9scan_implILNS1_25lookback_scan_determinismE0ELb0ELb0ES3_PKS6_PS6_S6_ZZZN2at6native31launch_logcumsumexp_cuda_kernelERKNSD_10TensorBaseESH_lENKUlvE_clEvENKUlvE4_clEvEUlS6_S6_E_S6_EEDaPvRmT3_T4_T5_mT6_P12ihipStream_tbENKUlT_T0_E_clISt17integral_constantIbLb1EESY_EEDaST_SU_EUlST_E0_NS1_11comp_targetILNS1_3genE10ELNS1_11target_archE1200ELNS1_3gpuE4ELNS1_3repE0EEENS1_30default_config_static_selectorELNS0_4arch9wavefront6targetE1EEEvT1_
		.amdhsa_group_segment_fixed_size 0
		.amdhsa_private_segment_fixed_size 0
		.amdhsa_kernarg_size 32
		.amdhsa_user_sgpr_count 2
		.amdhsa_user_sgpr_dispatch_ptr 0
		.amdhsa_user_sgpr_queue_ptr 0
		.amdhsa_user_sgpr_kernarg_segment_ptr 1
		.amdhsa_user_sgpr_dispatch_id 0
		.amdhsa_user_sgpr_kernarg_preload_length 0
		.amdhsa_user_sgpr_kernarg_preload_offset 0
		.amdhsa_user_sgpr_private_segment_size 0
		.amdhsa_uses_dynamic_stack 0
		.amdhsa_enable_private_segment 0
		.amdhsa_system_sgpr_workgroup_id_x 1
		.amdhsa_system_sgpr_workgroup_id_y 0
		.amdhsa_system_sgpr_workgroup_id_z 0
		.amdhsa_system_sgpr_workgroup_info 0
		.amdhsa_system_vgpr_workitem_id 0
		.amdhsa_next_free_vgpr 1
		.amdhsa_next_free_sgpr 0
		.amdhsa_accum_offset 4
		.amdhsa_reserve_vcc 0
		.amdhsa_float_round_mode_32 0
		.amdhsa_float_round_mode_16_64 0
		.amdhsa_float_denorm_mode_32 3
		.amdhsa_float_denorm_mode_16_64 3
		.amdhsa_dx10_clamp 1
		.amdhsa_ieee_mode 1
		.amdhsa_fp16_overflow 0
		.amdhsa_tg_split 0
		.amdhsa_exception_fp_ieee_invalid_op 0
		.amdhsa_exception_fp_denorm_src 0
		.amdhsa_exception_fp_ieee_div_zero 0
		.amdhsa_exception_fp_ieee_overflow 0
		.amdhsa_exception_fp_ieee_underflow 0
		.amdhsa_exception_fp_ieee_inexact 0
		.amdhsa_exception_int_div_zero 0
	.end_amdhsa_kernel
	.section	.text._ZN7rocprim17ROCPRIM_400000_NS6detail17trampoline_kernelINS0_14default_configENS1_20scan_config_selectorIN3c108BFloat16EEEZZNS1_9scan_implILNS1_25lookback_scan_determinismE0ELb0ELb0ES3_PKS6_PS6_S6_ZZZN2at6native31launch_logcumsumexp_cuda_kernelERKNSD_10TensorBaseESH_lENKUlvE_clEvENKUlvE4_clEvEUlS6_S6_E_S6_EEDaPvRmT3_T4_T5_mT6_P12ihipStream_tbENKUlT_T0_E_clISt17integral_constantIbLb1EESY_EEDaST_SU_EUlST_E0_NS1_11comp_targetILNS1_3genE10ELNS1_11target_archE1200ELNS1_3gpuE4ELNS1_3repE0EEENS1_30default_config_static_selectorELNS0_4arch9wavefront6targetE1EEEvT1_,"axG",@progbits,_ZN7rocprim17ROCPRIM_400000_NS6detail17trampoline_kernelINS0_14default_configENS1_20scan_config_selectorIN3c108BFloat16EEEZZNS1_9scan_implILNS1_25lookback_scan_determinismE0ELb0ELb0ES3_PKS6_PS6_S6_ZZZN2at6native31launch_logcumsumexp_cuda_kernelERKNSD_10TensorBaseESH_lENKUlvE_clEvENKUlvE4_clEvEUlS6_S6_E_S6_EEDaPvRmT3_T4_T5_mT6_P12ihipStream_tbENKUlT_T0_E_clISt17integral_constantIbLb1EESY_EEDaST_SU_EUlST_E0_NS1_11comp_targetILNS1_3genE10ELNS1_11target_archE1200ELNS1_3gpuE4ELNS1_3repE0EEENS1_30default_config_static_selectorELNS0_4arch9wavefront6targetE1EEEvT1_,comdat
.Lfunc_end480:
	.size	_ZN7rocprim17ROCPRIM_400000_NS6detail17trampoline_kernelINS0_14default_configENS1_20scan_config_selectorIN3c108BFloat16EEEZZNS1_9scan_implILNS1_25lookback_scan_determinismE0ELb0ELb0ES3_PKS6_PS6_S6_ZZZN2at6native31launch_logcumsumexp_cuda_kernelERKNSD_10TensorBaseESH_lENKUlvE_clEvENKUlvE4_clEvEUlS6_S6_E_S6_EEDaPvRmT3_T4_T5_mT6_P12ihipStream_tbENKUlT_T0_E_clISt17integral_constantIbLb1EESY_EEDaST_SU_EUlST_E0_NS1_11comp_targetILNS1_3genE10ELNS1_11target_archE1200ELNS1_3gpuE4ELNS1_3repE0EEENS1_30default_config_static_selectorELNS0_4arch9wavefront6targetE1EEEvT1_, .Lfunc_end480-_ZN7rocprim17ROCPRIM_400000_NS6detail17trampoline_kernelINS0_14default_configENS1_20scan_config_selectorIN3c108BFloat16EEEZZNS1_9scan_implILNS1_25lookback_scan_determinismE0ELb0ELb0ES3_PKS6_PS6_S6_ZZZN2at6native31launch_logcumsumexp_cuda_kernelERKNSD_10TensorBaseESH_lENKUlvE_clEvENKUlvE4_clEvEUlS6_S6_E_S6_EEDaPvRmT3_T4_T5_mT6_P12ihipStream_tbENKUlT_T0_E_clISt17integral_constantIbLb1EESY_EEDaST_SU_EUlST_E0_NS1_11comp_targetILNS1_3genE10ELNS1_11target_archE1200ELNS1_3gpuE4ELNS1_3repE0EEENS1_30default_config_static_selectorELNS0_4arch9wavefront6targetE1EEEvT1_
                                        ; -- End function
	.set _ZN7rocprim17ROCPRIM_400000_NS6detail17trampoline_kernelINS0_14default_configENS1_20scan_config_selectorIN3c108BFloat16EEEZZNS1_9scan_implILNS1_25lookback_scan_determinismE0ELb0ELb0ES3_PKS6_PS6_S6_ZZZN2at6native31launch_logcumsumexp_cuda_kernelERKNSD_10TensorBaseESH_lENKUlvE_clEvENKUlvE4_clEvEUlS6_S6_E_S6_EEDaPvRmT3_T4_T5_mT6_P12ihipStream_tbENKUlT_T0_E_clISt17integral_constantIbLb1EESY_EEDaST_SU_EUlST_E0_NS1_11comp_targetILNS1_3genE10ELNS1_11target_archE1200ELNS1_3gpuE4ELNS1_3repE0EEENS1_30default_config_static_selectorELNS0_4arch9wavefront6targetE1EEEvT1_.num_vgpr, 0
	.set _ZN7rocprim17ROCPRIM_400000_NS6detail17trampoline_kernelINS0_14default_configENS1_20scan_config_selectorIN3c108BFloat16EEEZZNS1_9scan_implILNS1_25lookback_scan_determinismE0ELb0ELb0ES3_PKS6_PS6_S6_ZZZN2at6native31launch_logcumsumexp_cuda_kernelERKNSD_10TensorBaseESH_lENKUlvE_clEvENKUlvE4_clEvEUlS6_S6_E_S6_EEDaPvRmT3_T4_T5_mT6_P12ihipStream_tbENKUlT_T0_E_clISt17integral_constantIbLb1EESY_EEDaST_SU_EUlST_E0_NS1_11comp_targetILNS1_3genE10ELNS1_11target_archE1200ELNS1_3gpuE4ELNS1_3repE0EEENS1_30default_config_static_selectorELNS0_4arch9wavefront6targetE1EEEvT1_.num_agpr, 0
	.set _ZN7rocprim17ROCPRIM_400000_NS6detail17trampoline_kernelINS0_14default_configENS1_20scan_config_selectorIN3c108BFloat16EEEZZNS1_9scan_implILNS1_25lookback_scan_determinismE0ELb0ELb0ES3_PKS6_PS6_S6_ZZZN2at6native31launch_logcumsumexp_cuda_kernelERKNSD_10TensorBaseESH_lENKUlvE_clEvENKUlvE4_clEvEUlS6_S6_E_S6_EEDaPvRmT3_T4_T5_mT6_P12ihipStream_tbENKUlT_T0_E_clISt17integral_constantIbLb1EESY_EEDaST_SU_EUlST_E0_NS1_11comp_targetILNS1_3genE10ELNS1_11target_archE1200ELNS1_3gpuE4ELNS1_3repE0EEENS1_30default_config_static_selectorELNS0_4arch9wavefront6targetE1EEEvT1_.numbered_sgpr, 0
	.set _ZN7rocprim17ROCPRIM_400000_NS6detail17trampoline_kernelINS0_14default_configENS1_20scan_config_selectorIN3c108BFloat16EEEZZNS1_9scan_implILNS1_25lookback_scan_determinismE0ELb0ELb0ES3_PKS6_PS6_S6_ZZZN2at6native31launch_logcumsumexp_cuda_kernelERKNSD_10TensorBaseESH_lENKUlvE_clEvENKUlvE4_clEvEUlS6_S6_E_S6_EEDaPvRmT3_T4_T5_mT6_P12ihipStream_tbENKUlT_T0_E_clISt17integral_constantIbLb1EESY_EEDaST_SU_EUlST_E0_NS1_11comp_targetILNS1_3genE10ELNS1_11target_archE1200ELNS1_3gpuE4ELNS1_3repE0EEENS1_30default_config_static_selectorELNS0_4arch9wavefront6targetE1EEEvT1_.num_named_barrier, 0
	.set _ZN7rocprim17ROCPRIM_400000_NS6detail17trampoline_kernelINS0_14default_configENS1_20scan_config_selectorIN3c108BFloat16EEEZZNS1_9scan_implILNS1_25lookback_scan_determinismE0ELb0ELb0ES3_PKS6_PS6_S6_ZZZN2at6native31launch_logcumsumexp_cuda_kernelERKNSD_10TensorBaseESH_lENKUlvE_clEvENKUlvE4_clEvEUlS6_S6_E_S6_EEDaPvRmT3_T4_T5_mT6_P12ihipStream_tbENKUlT_T0_E_clISt17integral_constantIbLb1EESY_EEDaST_SU_EUlST_E0_NS1_11comp_targetILNS1_3genE10ELNS1_11target_archE1200ELNS1_3gpuE4ELNS1_3repE0EEENS1_30default_config_static_selectorELNS0_4arch9wavefront6targetE1EEEvT1_.private_seg_size, 0
	.set _ZN7rocprim17ROCPRIM_400000_NS6detail17trampoline_kernelINS0_14default_configENS1_20scan_config_selectorIN3c108BFloat16EEEZZNS1_9scan_implILNS1_25lookback_scan_determinismE0ELb0ELb0ES3_PKS6_PS6_S6_ZZZN2at6native31launch_logcumsumexp_cuda_kernelERKNSD_10TensorBaseESH_lENKUlvE_clEvENKUlvE4_clEvEUlS6_S6_E_S6_EEDaPvRmT3_T4_T5_mT6_P12ihipStream_tbENKUlT_T0_E_clISt17integral_constantIbLb1EESY_EEDaST_SU_EUlST_E0_NS1_11comp_targetILNS1_3genE10ELNS1_11target_archE1200ELNS1_3gpuE4ELNS1_3repE0EEENS1_30default_config_static_selectorELNS0_4arch9wavefront6targetE1EEEvT1_.uses_vcc, 0
	.set _ZN7rocprim17ROCPRIM_400000_NS6detail17trampoline_kernelINS0_14default_configENS1_20scan_config_selectorIN3c108BFloat16EEEZZNS1_9scan_implILNS1_25lookback_scan_determinismE0ELb0ELb0ES3_PKS6_PS6_S6_ZZZN2at6native31launch_logcumsumexp_cuda_kernelERKNSD_10TensorBaseESH_lENKUlvE_clEvENKUlvE4_clEvEUlS6_S6_E_S6_EEDaPvRmT3_T4_T5_mT6_P12ihipStream_tbENKUlT_T0_E_clISt17integral_constantIbLb1EESY_EEDaST_SU_EUlST_E0_NS1_11comp_targetILNS1_3genE10ELNS1_11target_archE1200ELNS1_3gpuE4ELNS1_3repE0EEENS1_30default_config_static_selectorELNS0_4arch9wavefront6targetE1EEEvT1_.uses_flat_scratch, 0
	.set _ZN7rocprim17ROCPRIM_400000_NS6detail17trampoline_kernelINS0_14default_configENS1_20scan_config_selectorIN3c108BFloat16EEEZZNS1_9scan_implILNS1_25lookback_scan_determinismE0ELb0ELb0ES3_PKS6_PS6_S6_ZZZN2at6native31launch_logcumsumexp_cuda_kernelERKNSD_10TensorBaseESH_lENKUlvE_clEvENKUlvE4_clEvEUlS6_S6_E_S6_EEDaPvRmT3_T4_T5_mT6_P12ihipStream_tbENKUlT_T0_E_clISt17integral_constantIbLb1EESY_EEDaST_SU_EUlST_E0_NS1_11comp_targetILNS1_3genE10ELNS1_11target_archE1200ELNS1_3gpuE4ELNS1_3repE0EEENS1_30default_config_static_selectorELNS0_4arch9wavefront6targetE1EEEvT1_.has_dyn_sized_stack, 0
	.set _ZN7rocprim17ROCPRIM_400000_NS6detail17trampoline_kernelINS0_14default_configENS1_20scan_config_selectorIN3c108BFloat16EEEZZNS1_9scan_implILNS1_25lookback_scan_determinismE0ELb0ELb0ES3_PKS6_PS6_S6_ZZZN2at6native31launch_logcumsumexp_cuda_kernelERKNSD_10TensorBaseESH_lENKUlvE_clEvENKUlvE4_clEvEUlS6_S6_E_S6_EEDaPvRmT3_T4_T5_mT6_P12ihipStream_tbENKUlT_T0_E_clISt17integral_constantIbLb1EESY_EEDaST_SU_EUlST_E0_NS1_11comp_targetILNS1_3genE10ELNS1_11target_archE1200ELNS1_3gpuE4ELNS1_3repE0EEENS1_30default_config_static_selectorELNS0_4arch9wavefront6targetE1EEEvT1_.has_recursion, 0
	.set _ZN7rocprim17ROCPRIM_400000_NS6detail17trampoline_kernelINS0_14default_configENS1_20scan_config_selectorIN3c108BFloat16EEEZZNS1_9scan_implILNS1_25lookback_scan_determinismE0ELb0ELb0ES3_PKS6_PS6_S6_ZZZN2at6native31launch_logcumsumexp_cuda_kernelERKNSD_10TensorBaseESH_lENKUlvE_clEvENKUlvE4_clEvEUlS6_S6_E_S6_EEDaPvRmT3_T4_T5_mT6_P12ihipStream_tbENKUlT_T0_E_clISt17integral_constantIbLb1EESY_EEDaST_SU_EUlST_E0_NS1_11comp_targetILNS1_3genE10ELNS1_11target_archE1200ELNS1_3gpuE4ELNS1_3repE0EEENS1_30default_config_static_selectorELNS0_4arch9wavefront6targetE1EEEvT1_.has_indirect_call, 0
	.section	.AMDGPU.csdata,"",@progbits
; Kernel info:
; codeLenInByte = 0
; TotalNumSgprs: 6
; NumVgprs: 0
; NumAgprs: 0
; TotalNumVgprs: 0
; ScratchSize: 0
; MemoryBound: 0
; FloatMode: 240
; IeeeMode: 1
; LDSByteSize: 0 bytes/workgroup (compile time only)
; SGPRBlocks: 0
; VGPRBlocks: 0
; NumSGPRsForWavesPerEU: 6
; NumVGPRsForWavesPerEU: 1
; AccumOffset: 4
; Occupancy: 8
; WaveLimiterHint : 0
; COMPUTE_PGM_RSRC2:SCRATCH_EN: 0
; COMPUTE_PGM_RSRC2:USER_SGPR: 2
; COMPUTE_PGM_RSRC2:TRAP_HANDLER: 0
; COMPUTE_PGM_RSRC2:TGID_X_EN: 1
; COMPUTE_PGM_RSRC2:TGID_Y_EN: 0
; COMPUTE_PGM_RSRC2:TGID_Z_EN: 0
; COMPUTE_PGM_RSRC2:TIDIG_COMP_CNT: 0
; COMPUTE_PGM_RSRC3_GFX90A:ACCUM_OFFSET: 0
; COMPUTE_PGM_RSRC3_GFX90A:TG_SPLIT: 0
	.section	.text._ZN7rocprim17ROCPRIM_400000_NS6detail17trampoline_kernelINS0_14default_configENS1_20scan_config_selectorIN3c108BFloat16EEEZZNS1_9scan_implILNS1_25lookback_scan_determinismE0ELb0ELb0ES3_PKS6_PS6_S6_ZZZN2at6native31launch_logcumsumexp_cuda_kernelERKNSD_10TensorBaseESH_lENKUlvE_clEvENKUlvE4_clEvEUlS6_S6_E_S6_EEDaPvRmT3_T4_T5_mT6_P12ihipStream_tbENKUlT_T0_E_clISt17integral_constantIbLb1EESY_EEDaST_SU_EUlST_E0_NS1_11comp_targetILNS1_3genE9ELNS1_11target_archE1100ELNS1_3gpuE3ELNS1_3repE0EEENS1_30default_config_static_selectorELNS0_4arch9wavefront6targetE1EEEvT1_,"axG",@progbits,_ZN7rocprim17ROCPRIM_400000_NS6detail17trampoline_kernelINS0_14default_configENS1_20scan_config_selectorIN3c108BFloat16EEEZZNS1_9scan_implILNS1_25lookback_scan_determinismE0ELb0ELb0ES3_PKS6_PS6_S6_ZZZN2at6native31launch_logcumsumexp_cuda_kernelERKNSD_10TensorBaseESH_lENKUlvE_clEvENKUlvE4_clEvEUlS6_S6_E_S6_EEDaPvRmT3_T4_T5_mT6_P12ihipStream_tbENKUlT_T0_E_clISt17integral_constantIbLb1EESY_EEDaST_SU_EUlST_E0_NS1_11comp_targetILNS1_3genE9ELNS1_11target_archE1100ELNS1_3gpuE3ELNS1_3repE0EEENS1_30default_config_static_selectorELNS0_4arch9wavefront6targetE1EEEvT1_,comdat
	.globl	_ZN7rocprim17ROCPRIM_400000_NS6detail17trampoline_kernelINS0_14default_configENS1_20scan_config_selectorIN3c108BFloat16EEEZZNS1_9scan_implILNS1_25lookback_scan_determinismE0ELb0ELb0ES3_PKS6_PS6_S6_ZZZN2at6native31launch_logcumsumexp_cuda_kernelERKNSD_10TensorBaseESH_lENKUlvE_clEvENKUlvE4_clEvEUlS6_S6_E_S6_EEDaPvRmT3_T4_T5_mT6_P12ihipStream_tbENKUlT_T0_E_clISt17integral_constantIbLb1EESY_EEDaST_SU_EUlST_E0_NS1_11comp_targetILNS1_3genE9ELNS1_11target_archE1100ELNS1_3gpuE3ELNS1_3repE0EEENS1_30default_config_static_selectorELNS0_4arch9wavefront6targetE1EEEvT1_ ; -- Begin function _ZN7rocprim17ROCPRIM_400000_NS6detail17trampoline_kernelINS0_14default_configENS1_20scan_config_selectorIN3c108BFloat16EEEZZNS1_9scan_implILNS1_25lookback_scan_determinismE0ELb0ELb0ES3_PKS6_PS6_S6_ZZZN2at6native31launch_logcumsumexp_cuda_kernelERKNSD_10TensorBaseESH_lENKUlvE_clEvENKUlvE4_clEvEUlS6_S6_E_S6_EEDaPvRmT3_T4_T5_mT6_P12ihipStream_tbENKUlT_T0_E_clISt17integral_constantIbLb1EESY_EEDaST_SU_EUlST_E0_NS1_11comp_targetILNS1_3genE9ELNS1_11target_archE1100ELNS1_3gpuE3ELNS1_3repE0EEENS1_30default_config_static_selectorELNS0_4arch9wavefront6targetE1EEEvT1_
	.p2align	8
	.type	_ZN7rocprim17ROCPRIM_400000_NS6detail17trampoline_kernelINS0_14default_configENS1_20scan_config_selectorIN3c108BFloat16EEEZZNS1_9scan_implILNS1_25lookback_scan_determinismE0ELb0ELb0ES3_PKS6_PS6_S6_ZZZN2at6native31launch_logcumsumexp_cuda_kernelERKNSD_10TensorBaseESH_lENKUlvE_clEvENKUlvE4_clEvEUlS6_S6_E_S6_EEDaPvRmT3_T4_T5_mT6_P12ihipStream_tbENKUlT_T0_E_clISt17integral_constantIbLb1EESY_EEDaST_SU_EUlST_E0_NS1_11comp_targetILNS1_3genE9ELNS1_11target_archE1100ELNS1_3gpuE3ELNS1_3repE0EEENS1_30default_config_static_selectorELNS0_4arch9wavefront6targetE1EEEvT1_,@function
_ZN7rocprim17ROCPRIM_400000_NS6detail17trampoline_kernelINS0_14default_configENS1_20scan_config_selectorIN3c108BFloat16EEEZZNS1_9scan_implILNS1_25lookback_scan_determinismE0ELb0ELb0ES3_PKS6_PS6_S6_ZZZN2at6native31launch_logcumsumexp_cuda_kernelERKNSD_10TensorBaseESH_lENKUlvE_clEvENKUlvE4_clEvEUlS6_S6_E_S6_EEDaPvRmT3_T4_T5_mT6_P12ihipStream_tbENKUlT_T0_E_clISt17integral_constantIbLb1EESY_EEDaST_SU_EUlST_E0_NS1_11comp_targetILNS1_3genE9ELNS1_11target_archE1100ELNS1_3gpuE3ELNS1_3repE0EEENS1_30default_config_static_selectorELNS0_4arch9wavefront6targetE1EEEvT1_: ; @_ZN7rocprim17ROCPRIM_400000_NS6detail17trampoline_kernelINS0_14default_configENS1_20scan_config_selectorIN3c108BFloat16EEEZZNS1_9scan_implILNS1_25lookback_scan_determinismE0ELb0ELb0ES3_PKS6_PS6_S6_ZZZN2at6native31launch_logcumsumexp_cuda_kernelERKNSD_10TensorBaseESH_lENKUlvE_clEvENKUlvE4_clEvEUlS6_S6_E_S6_EEDaPvRmT3_T4_T5_mT6_P12ihipStream_tbENKUlT_T0_E_clISt17integral_constantIbLb1EESY_EEDaST_SU_EUlST_E0_NS1_11comp_targetILNS1_3genE9ELNS1_11target_archE1100ELNS1_3gpuE3ELNS1_3repE0EEENS1_30default_config_static_selectorELNS0_4arch9wavefront6targetE1EEEvT1_
; %bb.0:
	.section	.rodata,"a",@progbits
	.p2align	6, 0x0
	.amdhsa_kernel _ZN7rocprim17ROCPRIM_400000_NS6detail17trampoline_kernelINS0_14default_configENS1_20scan_config_selectorIN3c108BFloat16EEEZZNS1_9scan_implILNS1_25lookback_scan_determinismE0ELb0ELb0ES3_PKS6_PS6_S6_ZZZN2at6native31launch_logcumsumexp_cuda_kernelERKNSD_10TensorBaseESH_lENKUlvE_clEvENKUlvE4_clEvEUlS6_S6_E_S6_EEDaPvRmT3_T4_T5_mT6_P12ihipStream_tbENKUlT_T0_E_clISt17integral_constantIbLb1EESY_EEDaST_SU_EUlST_E0_NS1_11comp_targetILNS1_3genE9ELNS1_11target_archE1100ELNS1_3gpuE3ELNS1_3repE0EEENS1_30default_config_static_selectorELNS0_4arch9wavefront6targetE1EEEvT1_
		.amdhsa_group_segment_fixed_size 0
		.amdhsa_private_segment_fixed_size 0
		.amdhsa_kernarg_size 32
		.amdhsa_user_sgpr_count 2
		.amdhsa_user_sgpr_dispatch_ptr 0
		.amdhsa_user_sgpr_queue_ptr 0
		.amdhsa_user_sgpr_kernarg_segment_ptr 1
		.amdhsa_user_sgpr_dispatch_id 0
		.amdhsa_user_sgpr_kernarg_preload_length 0
		.amdhsa_user_sgpr_kernarg_preload_offset 0
		.amdhsa_user_sgpr_private_segment_size 0
		.amdhsa_uses_dynamic_stack 0
		.amdhsa_enable_private_segment 0
		.amdhsa_system_sgpr_workgroup_id_x 1
		.amdhsa_system_sgpr_workgroup_id_y 0
		.amdhsa_system_sgpr_workgroup_id_z 0
		.amdhsa_system_sgpr_workgroup_info 0
		.amdhsa_system_vgpr_workitem_id 0
		.amdhsa_next_free_vgpr 1
		.amdhsa_next_free_sgpr 0
		.amdhsa_accum_offset 4
		.amdhsa_reserve_vcc 0
		.amdhsa_float_round_mode_32 0
		.amdhsa_float_round_mode_16_64 0
		.amdhsa_float_denorm_mode_32 3
		.amdhsa_float_denorm_mode_16_64 3
		.amdhsa_dx10_clamp 1
		.amdhsa_ieee_mode 1
		.amdhsa_fp16_overflow 0
		.amdhsa_tg_split 0
		.amdhsa_exception_fp_ieee_invalid_op 0
		.amdhsa_exception_fp_denorm_src 0
		.amdhsa_exception_fp_ieee_div_zero 0
		.amdhsa_exception_fp_ieee_overflow 0
		.amdhsa_exception_fp_ieee_underflow 0
		.amdhsa_exception_fp_ieee_inexact 0
		.amdhsa_exception_int_div_zero 0
	.end_amdhsa_kernel
	.section	.text._ZN7rocprim17ROCPRIM_400000_NS6detail17trampoline_kernelINS0_14default_configENS1_20scan_config_selectorIN3c108BFloat16EEEZZNS1_9scan_implILNS1_25lookback_scan_determinismE0ELb0ELb0ES3_PKS6_PS6_S6_ZZZN2at6native31launch_logcumsumexp_cuda_kernelERKNSD_10TensorBaseESH_lENKUlvE_clEvENKUlvE4_clEvEUlS6_S6_E_S6_EEDaPvRmT3_T4_T5_mT6_P12ihipStream_tbENKUlT_T0_E_clISt17integral_constantIbLb1EESY_EEDaST_SU_EUlST_E0_NS1_11comp_targetILNS1_3genE9ELNS1_11target_archE1100ELNS1_3gpuE3ELNS1_3repE0EEENS1_30default_config_static_selectorELNS0_4arch9wavefront6targetE1EEEvT1_,"axG",@progbits,_ZN7rocprim17ROCPRIM_400000_NS6detail17trampoline_kernelINS0_14default_configENS1_20scan_config_selectorIN3c108BFloat16EEEZZNS1_9scan_implILNS1_25lookback_scan_determinismE0ELb0ELb0ES3_PKS6_PS6_S6_ZZZN2at6native31launch_logcumsumexp_cuda_kernelERKNSD_10TensorBaseESH_lENKUlvE_clEvENKUlvE4_clEvEUlS6_S6_E_S6_EEDaPvRmT3_T4_T5_mT6_P12ihipStream_tbENKUlT_T0_E_clISt17integral_constantIbLb1EESY_EEDaST_SU_EUlST_E0_NS1_11comp_targetILNS1_3genE9ELNS1_11target_archE1100ELNS1_3gpuE3ELNS1_3repE0EEENS1_30default_config_static_selectorELNS0_4arch9wavefront6targetE1EEEvT1_,comdat
.Lfunc_end481:
	.size	_ZN7rocprim17ROCPRIM_400000_NS6detail17trampoline_kernelINS0_14default_configENS1_20scan_config_selectorIN3c108BFloat16EEEZZNS1_9scan_implILNS1_25lookback_scan_determinismE0ELb0ELb0ES3_PKS6_PS6_S6_ZZZN2at6native31launch_logcumsumexp_cuda_kernelERKNSD_10TensorBaseESH_lENKUlvE_clEvENKUlvE4_clEvEUlS6_S6_E_S6_EEDaPvRmT3_T4_T5_mT6_P12ihipStream_tbENKUlT_T0_E_clISt17integral_constantIbLb1EESY_EEDaST_SU_EUlST_E0_NS1_11comp_targetILNS1_3genE9ELNS1_11target_archE1100ELNS1_3gpuE3ELNS1_3repE0EEENS1_30default_config_static_selectorELNS0_4arch9wavefront6targetE1EEEvT1_, .Lfunc_end481-_ZN7rocprim17ROCPRIM_400000_NS6detail17trampoline_kernelINS0_14default_configENS1_20scan_config_selectorIN3c108BFloat16EEEZZNS1_9scan_implILNS1_25lookback_scan_determinismE0ELb0ELb0ES3_PKS6_PS6_S6_ZZZN2at6native31launch_logcumsumexp_cuda_kernelERKNSD_10TensorBaseESH_lENKUlvE_clEvENKUlvE4_clEvEUlS6_S6_E_S6_EEDaPvRmT3_T4_T5_mT6_P12ihipStream_tbENKUlT_T0_E_clISt17integral_constantIbLb1EESY_EEDaST_SU_EUlST_E0_NS1_11comp_targetILNS1_3genE9ELNS1_11target_archE1100ELNS1_3gpuE3ELNS1_3repE0EEENS1_30default_config_static_selectorELNS0_4arch9wavefront6targetE1EEEvT1_
                                        ; -- End function
	.set _ZN7rocprim17ROCPRIM_400000_NS6detail17trampoline_kernelINS0_14default_configENS1_20scan_config_selectorIN3c108BFloat16EEEZZNS1_9scan_implILNS1_25lookback_scan_determinismE0ELb0ELb0ES3_PKS6_PS6_S6_ZZZN2at6native31launch_logcumsumexp_cuda_kernelERKNSD_10TensorBaseESH_lENKUlvE_clEvENKUlvE4_clEvEUlS6_S6_E_S6_EEDaPvRmT3_T4_T5_mT6_P12ihipStream_tbENKUlT_T0_E_clISt17integral_constantIbLb1EESY_EEDaST_SU_EUlST_E0_NS1_11comp_targetILNS1_3genE9ELNS1_11target_archE1100ELNS1_3gpuE3ELNS1_3repE0EEENS1_30default_config_static_selectorELNS0_4arch9wavefront6targetE1EEEvT1_.num_vgpr, 0
	.set _ZN7rocprim17ROCPRIM_400000_NS6detail17trampoline_kernelINS0_14default_configENS1_20scan_config_selectorIN3c108BFloat16EEEZZNS1_9scan_implILNS1_25lookback_scan_determinismE0ELb0ELb0ES3_PKS6_PS6_S6_ZZZN2at6native31launch_logcumsumexp_cuda_kernelERKNSD_10TensorBaseESH_lENKUlvE_clEvENKUlvE4_clEvEUlS6_S6_E_S6_EEDaPvRmT3_T4_T5_mT6_P12ihipStream_tbENKUlT_T0_E_clISt17integral_constantIbLb1EESY_EEDaST_SU_EUlST_E0_NS1_11comp_targetILNS1_3genE9ELNS1_11target_archE1100ELNS1_3gpuE3ELNS1_3repE0EEENS1_30default_config_static_selectorELNS0_4arch9wavefront6targetE1EEEvT1_.num_agpr, 0
	.set _ZN7rocprim17ROCPRIM_400000_NS6detail17trampoline_kernelINS0_14default_configENS1_20scan_config_selectorIN3c108BFloat16EEEZZNS1_9scan_implILNS1_25lookback_scan_determinismE0ELb0ELb0ES3_PKS6_PS6_S6_ZZZN2at6native31launch_logcumsumexp_cuda_kernelERKNSD_10TensorBaseESH_lENKUlvE_clEvENKUlvE4_clEvEUlS6_S6_E_S6_EEDaPvRmT3_T4_T5_mT6_P12ihipStream_tbENKUlT_T0_E_clISt17integral_constantIbLb1EESY_EEDaST_SU_EUlST_E0_NS1_11comp_targetILNS1_3genE9ELNS1_11target_archE1100ELNS1_3gpuE3ELNS1_3repE0EEENS1_30default_config_static_selectorELNS0_4arch9wavefront6targetE1EEEvT1_.numbered_sgpr, 0
	.set _ZN7rocprim17ROCPRIM_400000_NS6detail17trampoline_kernelINS0_14default_configENS1_20scan_config_selectorIN3c108BFloat16EEEZZNS1_9scan_implILNS1_25lookback_scan_determinismE0ELb0ELb0ES3_PKS6_PS6_S6_ZZZN2at6native31launch_logcumsumexp_cuda_kernelERKNSD_10TensorBaseESH_lENKUlvE_clEvENKUlvE4_clEvEUlS6_S6_E_S6_EEDaPvRmT3_T4_T5_mT6_P12ihipStream_tbENKUlT_T0_E_clISt17integral_constantIbLb1EESY_EEDaST_SU_EUlST_E0_NS1_11comp_targetILNS1_3genE9ELNS1_11target_archE1100ELNS1_3gpuE3ELNS1_3repE0EEENS1_30default_config_static_selectorELNS0_4arch9wavefront6targetE1EEEvT1_.num_named_barrier, 0
	.set _ZN7rocprim17ROCPRIM_400000_NS6detail17trampoline_kernelINS0_14default_configENS1_20scan_config_selectorIN3c108BFloat16EEEZZNS1_9scan_implILNS1_25lookback_scan_determinismE0ELb0ELb0ES3_PKS6_PS6_S6_ZZZN2at6native31launch_logcumsumexp_cuda_kernelERKNSD_10TensorBaseESH_lENKUlvE_clEvENKUlvE4_clEvEUlS6_S6_E_S6_EEDaPvRmT3_T4_T5_mT6_P12ihipStream_tbENKUlT_T0_E_clISt17integral_constantIbLb1EESY_EEDaST_SU_EUlST_E0_NS1_11comp_targetILNS1_3genE9ELNS1_11target_archE1100ELNS1_3gpuE3ELNS1_3repE0EEENS1_30default_config_static_selectorELNS0_4arch9wavefront6targetE1EEEvT1_.private_seg_size, 0
	.set _ZN7rocprim17ROCPRIM_400000_NS6detail17trampoline_kernelINS0_14default_configENS1_20scan_config_selectorIN3c108BFloat16EEEZZNS1_9scan_implILNS1_25lookback_scan_determinismE0ELb0ELb0ES3_PKS6_PS6_S6_ZZZN2at6native31launch_logcumsumexp_cuda_kernelERKNSD_10TensorBaseESH_lENKUlvE_clEvENKUlvE4_clEvEUlS6_S6_E_S6_EEDaPvRmT3_T4_T5_mT6_P12ihipStream_tbENKUlT_T0_E_clISt17integral_constantIbLb1EESY_EEDaST_SU_EUlST_E0_NS1_11comp_targetILNS1_3genE9ELNS1_11target_archE1100ELNS1_3gpuE3ELNS1_3repE0EEENS1_30default_config_static_selectorELNS0_4arch9wavefront6targetE1EEEvT1_.uses_vcc, 0
	.set _ZN7rocprim17ROCPRIM_400000_NS6detail17trampoline_kernelINS0_14default_configENS1_20scan_config_selectorIN3c108BFloat16EEEZZNS1_9scan_implILNS1_25lookback_scan_determinismE0ELb0ELb0ES3_PKS6_PS6_S6_ZZZN2at6native31launch_logcumsumexp_cuda_kernelERKNSD_10TensorBaseESH_lENKUlvE_clEvENKUlvE4_clEvEUlS6_S6_E_S6_EEDaPvRmT3_T4_T5_mT6_P12ihipStream_tbENKUlT_T0_E_clISt17integral_constantIbLb1EESY_EEDaST_SU_EUlST_E0_NS1_11comp_targetILNS1_3genE9ELNS1_11target_archE1100ELNS1_3gpuE3ELNS1_3repE0EEENS1_30default_config_static_selectorELNS0_4arch9wavefront6targetE1EEEvT1_.uses_flat_scratch, 0
	.set _ZN7rocprim17ROCPRIM_400000_NS6detail17trampoline_kernelINS0_14default_configENS1_20scan_config_selectorIN3c108BFloat16EEEZZNS1_9scan_implILNS1_25lookback_scan_determinismE0ELb0ELb0ES3_PKS6_PS6_S6_ZZZN2at6native31launch_logcumsumexp_cuda_kernelERKNSD_10TensorBaseESH_lENKUlvE_clEvENKUlvE4_clEvEUlS6_S6_E_S6_EEDaPvRmT3_T4_T5_mT6_P12ihipStream_tbENKUlT_T0_E_clISt17integral_constantIbLb1EESY_EEDaST_SU_EUlST_E0_NS1_11comp_targetILNS1_3genE9ELNS1_11target_archE1100ELNS1_3gpuE3ELNS1_3repE0EEENS1_30default_config_static_selectorELNS0_4arch9wavefront6targetE1EEEvT1_.has_dyn_sized_stack, 0
	.set _ZN7rocprim17ROCPRIM_400000_NS6detail17trampoline_kernelINS0_14default_configENS1_20scan_config_selectorIN3c108BFloat16EEEZZNS1_9scan_implILNS1_25lookback_scan_determinismE0ELb0ELb0ES3_PKS6_PS6_S6_ZZZN2at6native31launch_logcumsumexp_cuda_kernelERKNSD_10TensorBaseESH_lENKUlvE_clEvENKUlvE4_clEvEUlS6_S6_E_S6_EEDaPvRmT3_T4_T5_mT6_P12ihipStream_tbENKUlT_T0_E_clISt17integral_constantIbLb1EESY_EEDaST_SU_EUlST_E0_NS1_11comp_targetILNS1_3genE9ELNS1_11target_archE1100ELNS1_3gpuE3ELNS1_3repE0EEENS1_30default_config_static_selectorELNS0_4arch9wavefront6targetE1EEEvT1_.has_recursion, 0
	.set _ZN7rocprim17ROCPRIM_400000_NS6detail17trampoline_kernelINS0_14default_configENS1_20scan_config_selectorIN3c108BFloat16EEEZZNS1_9scan_implILNS1_25lookback_scan_determinismE0ELb0ELb0ES3_PKS6_PS6_S6_ZZZN2at6native31launch_logcumsumexp_cuda_kernelERKNSD_10TensorBaseESH_lENKUlvE_clEvENKUlvE4_clEvEUlS6_S6_E_S6_EEDaPvRmT3_T4_T5_mT6_P12ihipStream_tbENKUlT_T0_E_clISt17integral_constantIbLb1EESY_EEDaST_SU_EUlST_E0_NS1_11comp_targetILNS1_3genE9ELNS1_11target_archE1100ELNS1_3gpuE3ELNS1_3repE0EEENS1_30default_config_static_selectorELNS0_4arch9wavefront6targetE1EEEvT1_.has_indirect_call, 0
	.section	.AMDGPU.csdata,"",@progbits
; Kernel info:
; codeLenInByte = 0
; TotalNumSgprs: 6
; NumVgprs: 0
; NumAgprs: 0
; TotalNumVgprs: 0
; ScratchSize: 0
; MemoryBound: 0
; FloatMode: 240
; IeeeMode: 1
; LDSByteSize: 0 bytes/workgroup (compile time only)
; SGPRBlocks: 0
; VGPRBlocks: 0
; NumSGPRsForWavesPerEU: 6
; NumVGPRsForWavesPerEU: 1
; AccumOffset: 4
; Occupancy: 8
; WaveLimiterHint : 0
; COMPUTE_PGM_RSRC2:SCRATCH_EN: 0
; COMPUTE_PGM_RSRC2:USER_SGPR: 2
; COMPUTE_PGM_RSRC2:TRAP_HANDLER: 0
; COMPUTE_PGM_RSRC2:TGID_X_EN: 1
; COMPUTE_PGM_RSRC2:TGID_Y_EN: 0
; COMPUTE_PGM_RSRC2:TGID_Z_EN: 0
; COMPUTE_PGM_RSRC2:TIDIG_COMP_CNT: 0
; COMPUTE_PGM_RSRC3_GFX90A:ACCUM_OFFSET: 0
; COMPUTE_PGM_RSRC3_GFX90A:TG_SPLIT: 0
	.section	.text._ZN7rocprim17ROCPRIM_400000_NS6detail17trampoline_kernelINS0_14default_configENS1_20scan_config_selectorIN3c108BFloat16EEEZZNS1_9scan_implILNS1_25lookback_scan_determinismE0ELb0ELb0ES3_PKS6_PS6_S6_ZZZN2at6native31launch_logcumsumexp_cuda_kernelERKNSD_10TensorBaseESH_lENKUlvE_clEvENKUlvE4_clEvEUlS6_S6_E_S6_EEDaPvRmT3_T4_T5_mT6_P12ihipStream_tbENKUlT_T0_E_clISt17integral_constantIbLb1EESY_EEDaST_SU_EUlST_E0_NS1_11comp_targetILNS1_3genE8ELNS1_11target_archE1030ELNS1_3gpuE2ELNS1_3repE0EEENS1_30default_config_static_selectorELNS0_4arch9wavefront6targetE1EEEvT1_,"axG",@progbits,_ZN7rocprim17ROCPRIM_400000_NS6detail17trampoline_kernelINS0_14default_configENS1_20scan_config_selectorIN3c108BFloat16EEEZZNS1_9scan_implILNS1_25lookback_scan_determinismE0ELb0ELb0ES3_PKS6_PS6_S6_ZZZN2at6native31launch_logcumsumexp_cuda_kernelERKNSD_10TensorBaseESH_lENKUlvE_clEvENKUlvE4_clEvEUlS6_S6_E_S6_EEDaPvRmT3_T4_T5_mT6_P12ihipStream_tbENKUlT_T0_E_clISt17integral_constantIbLb1EESY_EEDaST_SU_EUlST_E0_NS1_11comp_targetILNS1_3genE8ELNS1_11target_archE1030ELNS1_3gpuE2ELNS1_3repE0EEENS1_30default_config_static_selectorELNS0_4arch9wavefront6targetE1EEEvT1_,comdat
	.globl	_ZN7rocprim17ROCPRIM_400000_NS6detail17trampoline_kernelINS0_14default_configENS1_20scan_config_selectorIN3c108BFloat16EEEZZNS1_9scan_implILNS1_25lookback_scan_determinismE0ELb0ELb0ES3_PKS6_PS6_S6_ZZZN2at6native31launch_logcumsumexp_cuda_kernelERKNSD_10TensorBaseESH_lENKUlvE_clEvENKUlvE4_clEvEUlS6_S6_E_S6_EEDaPvRmT3_T4_T5_mT6_P12ihipStream_tbENKUlT_T0_E_clISt17integral_constantIbLb1EESY_EEDaST_SU_EUlST_E0_NS1_11comp_targetILNS1_3genE8ELNS1_11target_archE1030ELNS1_3gpuE2ELNS1_3repE0EEENS1_30default_config_static_selectorELNS0_4arch9wavefront6targetE1EEEvT1_ ; -- Begin function _ZN7rocprim17ROCPRIM_400000_NS6detail17trampoline_kernelINS0_14default_configENS1_20scan_config_selectorIN3c108BFloat16EEEZZNS1_9scan_implILNS1_25lookback_scan_determinismE0ELb0ELb0ES3_PKS6_PS6_S6_ZZZN2at6native31launch_logcumsumexp_cuda_kernelERKNSD_10TensorBaseESH_lENKUlvE_clEvENKUlvE4_clEvEUlS6_S6_E_S6_EEDaPvRmT3_T4_T5_mT6_P12ihipStream_tbENKUlT_T0_E_clISt17integral_constantIbLb1EESY_EEDaST_SU_EUlST_E0_NS1_11comp_targetILNS1_3genE8ELNS1_11target_archE1030ELNS1_3gpuE2ELNS1_3repE0EEENS1_30default_config_static_selectorELNS0_4arch9wavefront6targetE1EEEvT1_
	.p2align	8
	.type	_ZN7rocprim17ROCPRIM_400000_NS6detail17trampoline_kernelINS0_14default_configENS1_20scan_config_selectorIN3c108BFloat16EEEZZNS1_9scan_implILNS1_25lookback_scan_determinismE0ELb0ELb0ES3_PKS6_PS6_S6_ZZZN2at6native31launch_logcumsumexp_cuda_kernelERKNSD_10TensorBaseESH_lENKUlvE_clEvENKUlvE4_clEvEUlS6_S6_E_S6_EEDaPvRmT3_T4_T5_mT6_P12ihipStream_tbENKUlT_T0_E_clISt17integral_constantIbLb1EESY_EEDaST_SU_EUlST_E0_NS1_11comp_targetILNS1_3genE8ELNS1_11target_archE1030ELNS1_3gpuE2ELNS1_3repE0EEENS1_30default_config_static_selectorELNS0_4arch9wavefront6targetE1EEEvT1_,@function
_ZN7rocprim17ROCPRIM_400000_NS6detail17trampoline_kernelINS0_14default_configENS1_20scan_config_selectorIN3c108BFloat16EEEZZNS1_9scan_implILNS1_25lookback_scan_determinismE0ELb0ELb0ES3_PKS6_PS6_S6_ZZZN2at6native31launch_logcumsumexp_cuda_kernelERKNSD_10TensorBaseESH_lENKUlvE_clEvENKUlvE4_clEvEUlS6_S6_E_S6_EEDaPvRmT3_T4_T5_mT6_P12ihipStream_tbENKUlT_T0_E_clISt17integral_constantIbLb1EESY_EEDaST_SU_EUlST_E0_NS1_11comp_targetILNS1_3genE8ELNS1_11target_archE1030ELNS1_3gpuE2ELNS1_3repE0EEENS1_30default_config_static_selectorELNS0_4arch9wavefront6targetE1EEEvT1_: ; @_ZN7rocprim17ROCPRIM_400000_NS6detail17trampoline_kernelINS0_14default_configENS1_20scan_config_selectorIN3c108BFloat16EEEZZNS1_9scan_implILNS1_25lookback_scan_determinismE0ELb0ELb0ES3_PKS6_PS6_S6_ZZZN2at6native31launch_logcumsumexp_cuda_kernelERKNSD_10TensorBaseESH_lENKUlvE_clEvENKUlvE4_clEvEUlS6_S6_E_S6_EEDaPvRmT3_T4_T5_mT6_P12ihipStream_tbENKUlT_T0_E_clISt17integral_constantIbLb1EESY_EEDaST_SU_EUlST_E0_NS1_11comp_targetILNS1_3genE8ELNS1_11target_archE1030ELNS1_3gpuE2ELNS1_3repE0EEENS1_30default_config_static_selectorELNS0_4arch9wavefront6targetE1EEEvT1_
; %bb.0:
	.section	.rodata,"a",@progbits
	.p2align	6, 0x0
	.amdhsa_kernel _ZN7rocprim17ROCPRIM_400000_NS6detail17trampoline_kernelINS0_14default_configENS1_20scan_config_selectorIN3c108BFloat16EEEZZNS1_9scan_implILNS1_25lookback_scan_determinismE0ELb0ELb0ES3_PKS6_PS6_S6_ZZZN2at6native31launch_logcumsumexp_cuda_kernelERKNSD_10TensorBaseESH_lENKUlvE_clEvENKUlvE4_clEvEUlS6_S6_E_S6_EEDaPvRmT3_T4_T5_mT6_P12ihipStream_tbENKUlT_T0_E_clISt17integral_constantIbLb1EESY_EEDaST_SU_EUlST_E0_NS1_11comp_targetILNS1_3genE8ELNS1_11target_archE1030ELNS1_3gpuE2ELNS1_3repE0EEENS1_30default_config_static_selectorELNS0_4arch9wavefront6targetE1EEEvT1_
		.amdhsa_group_segment_fixed_size 0
		.amdhsa_private_segment_fixed_size 0
		.amdhsa_kernarg_size 32
		.amdhsa_user_sgpr_count 2
		.amdhsa_user_sgpr_dispatch_ptr 0
		.amdhsa_user_sgpr_queue_ptr 0
		.amdhsa_user_sgpr_kernarg_segment_ptr 1
		.amdhsa_user_sgpr_dispatch_id 0
		.amdhsa_user_sgpr_kernarg_preload_length 0
		.amdhsa_user_sgpr_kernarg_preload_offset 0
		.amdhsa_user_sgpr_private_segment_size 0
		.amdhsa_uses_dynamic_stack 0
		.amdhsa_enable_private_segment 0
		.amdhsa_system_sgpr_workgroup_id_x 1
		.amdhsa_system_sgpr_workgroup_id_y 0
		.amdhsa_system_sgpr_workgroup_id_z 0
		.amdhsa_system_sgpr_workgroup_info 0
		.amdhsa_system_vgpr_workitem_id 0
		.amdhsa_next_free_vgpr 1
		.amdhsa_next_free_sgpr 0
		.amdhsa_accum_offset 4
		.amdhsa_reserve_vcc 0
		.amdhsa_float_round_mode_32 0
		.amdhsa_float_round_mode_16_64 0
		.amdhsa_float_denorm_mode_32 3
		.amdhsa_float_denorm_mode_16_64 3
		.amdhsa_dx10_clamp 1
		.amdhsa_ieee_mode 1
		.amdhsa_fp16_overflow 0
		.amdhsa_tg_split 0
		.amdhsa_exception_fp_ieee_invalid_op 0
		.amdhsa_exception_fp_denorm_src 0
		.amdhsa_exception_fp_ieee_div_zero 0
		.amdhsa_exception_fp_ieee_overflow 0
		.amdhsa_exception_fp_ieee_underflow 0
		.amdhsa_exception_fp_ieee_inexact 0
		.amdhsa_exception_int_div_zero 0
	.end_amdhsa_kernel
	.section	.text._ZN7rocprim17ROCPRIM_400000_NS6detail17trampoline_kernelINS0_14default_configENS1_20scan_config_selectorIN3c108BFloat16EEEZZNS1_9scan_implILNS1_25lookback_scan_determinismE0ELb0ELb0ES3_PKS6_PS6_S6_ZZZN2at6native31launch_logcumsumexp_cuda_kernelERKNSD_10TensorBaseESH_lENKUlvE_clEvENKUlvE4_clEvEUlS6_S6_E_S6_EEDaPvRmT3_T4_T5_mT6_P12ihipStream_tbENKUlT_T0_E_clISt17integral_constantIbLb1EESY_EEDaST_SU_EUlST_E0_NS1_11comp_targetILNS1_3genE8ELNS1_11target_archE1030ELNS1_3gpuE2ELNS1_3repE0EEENS1_30default_config_static_selectorELNS0_4arch9wavefront6targetE1EEEvT1_,"axG",@progbits,_ZN7rocprim17ROCPRIM_400000_NS6detail17trampoline_kernelINS0_14default_configENS1_20scan_config_selectorIN3c108BFloat16EEEZZNS1_9scan_implILNS1_25lookback_scan_determinismE0ELb0ELb0ES3_PKS6_PS6_S6_ZZZN2at6native31launch_logcumsumexp_cuda_kernelERKNSD_10TensorBaseESH_lENKUlvE_clEvENKUlvE4_clEvEUlS6_S6_E_S6_EEDaPvRmT3_T4_T5_mT6_P12ihipStream_tbENKUlT_T0_E_clISt17integral_constantIbLb1EESY_EEDaST_SU_EUlST_E0_NS1_11comp_targetILNS1_3genE8ELNS1_11target_archE1030ELNS1_3gpuE2ELNS1_3repE0EEENS1_30default_config_static_selectorELNS0_4arch9wavefront6targetE1EEEvT1_,comdat
.Lfunc_end482:
	.size	_ZN7rocprim17ROCPRIM_400000_NS6detail17trampoline_kernelINS0_14default_configENS1_20scan_config_selectorIN3c108BFloat16EEEZZNS1_9scan_implILNS1_25lookback_scan_determinismE0ELb0ELb0ES3_PKS6_PS6_S6_ZZZN2at6native31launch_logcumsumexp_cuda_kernelERKNSD_10TensorBaseESH_lENKUlvE_clEvENKUlvE4_clEvEUlS6_S6_E_S6_EEDaPvRmT3_T4_T5_mT6_P12ihipStream_tbENKUlT_T0_E_clISt17integral_constantIbLb1EESY_EEDaST_SU_EUlST_E0_NS1_11comp_targetILNS1_3genE8ELNS1_11target_archE1030ELNS1_3gpuE2ELNS1_3repE0EEENS1_30default_config_static_selectorELNS0_4arch9wavefront6targetE1EEEvT1_, .Lfunc_end482-_ZN7rocprim17ROCPRIM_400000_NS6detail17trampoline_kernelINS0_14default_configENS1_20scan_config_selectorIN3c108BFloat16EEEZZNS1_9scan_implILNS1_25lookback_scan_determinismE0ELb0ELb0ES3_PKS6_PS6_S6_ZZZN2at6native31launch_logcumsumexp_cuda_kernelERKNSD_10TensorBaseESH_lENKUlvE_clEvENKUlvE4_clEvEUlS6_S6_E_S6_EEDaPvRmT3_T4_T5_mT6_P12ihipStream_tbENKUlT_T0_E_clISt17integral_constantIbLb1EESY_EEDaST_SU_EUlST_E0_NS1_11comp_targetILNS1_3genE8ELNS1_11target_archE1030ELNS1_3gpuE2ELNS1_3repE0EEENS1_30default_config_static_selectorELNS0_4arch9wavefront6targetE1EEEvT1_
                                        ; -- End function
	.set _ZN7rocprim17ROCPRIM_400000_NS6detail17trampoline_kernelINS0_14default_configENS1_20scan_config_selectorIN3c108BFloat16EEEZZNS1_9scan_implILNS1_25lookback_scan_determinismE0ELb0ELb0ES3_PKS6_PS6_S6_ZZZN2at6native31launch_logcumsumexp_cuda_kernelERKNSD_10TensorBaseESH_lENKUlvE_clEvENKUlvE4_clEvEUlS6_S6_E_S6_EEDaPvRmT3_T4_T5_mT6_P12ihipStream_tbENKUlT_T0_E_clISt17integral_constantIbLb1EESY_EEDaST_SU_EUlST_E0_NS1_11comp_targetILNS1_3genE8ELNS1_11target_archE1030ELNS1_3gpuE2ELNS1_3repE0EEENS1_30default_config_static_selectorELNS0_4arch9wavefront6targetE1EEEvT1_.num_vgpr, 0
	.set _ZN7rocprim17ROCPRIM_400000_NS6detail17trampoline_kernelINS0_14default_configENS1_20scan_config_selectorIN3c108BFloat16EEEZZNS1_9scan_implILNS1_25lookback_scan_determinismE0ELb0ELb0ES3_PKS6_PS6_S6_ZZZN2at6native31launch_logcumsumexp_cuda_kernelERKNSD_10TensorBaseESH_lENKUlvE_clEvENKUlvE4_clEvEUlS6_S6_E_S6_EEDaPvRmT3_T4_T5_mT6_P12ihipStream_tbENKUlT_T0_E_clISt17integral_constantIbLb1EESY_EEDaST_SU_EUlST_E0_NS1_11comp_targetILNS1_3genE8ELNS1_11target_archE1030ELNS1_3gpuE2ELNS1_3repE0EEENS1_30default_config_static_selectorELNS0_4arch9wavefront6targetE1EEEvT1_.num_agpr, 0
	.set _ZN7rocprim17ROCPRIM_400000_NS6detail17trampoline_kernelINS0_14default_configENS1_20scan_config_selectorIN3c108BFloat16EEEZZNS1_9scan_implILNS1_25lookback_scan_determinismE0ELb0ELb0ES3_PKS6_PS6_S6_ZZZN2at6native31launch_logcumsumexp_cuda_kernelERKNSD_10TensorBaseESH_lENKUlvE_clEvENKUlvE4_clEvEUlS6_S6_E_S6_EEDaPvRmT3_T4_T5_mT6_P12ihipStream_tbENKUlT_T0_E_clISt17integral_constantIbLb1EESY_EEDaST_SU_EUlST_E0_NS1_11comp_targetILNS1_3genE8ELNS1_11target_archE1030ELNS1_3gpuE2ELNS1_3repE0EEENS1_30default_config_static_selectorELNS0_4arch9wavefront6targetE1EEEvT1_.numbered_sgpr, 0
	.set _ZN7rocprim17ROCPRIM_400000_NS6detail17trampoline_kernelINS0_14default_configENS1_20scan_config_selectorIN3c108BFloat16EEEZZNS1_9scan_implILNS1_25lookback_scan_determinismE0ELb0ELb0ES3_PKS6_PS6_S6_ZZZN2at6native31launch_logcumsumexp_cuda_kernelERKNSD_10TensorBaseESH_lENKUlvE_clEvENKUlvE4_clEvEUlS6_S6_E_S6_EEDaPvRmT3_T4_T5_mT6_P12ihipStream_tbENKUlT_T0_E_clISt17integral_constantIbLb1EESY_EEDaST_SU_EUlST_E0_NS1_11comp_targetILNS1_3genE8ELNS1_11target_archE1030ELNS1_3gpuE2ELNS1_3repE0EEENS1_30default_config_static_selectorELNS0_4arch9wavefront6targetE1EEEvT1_.num_named_barrier, 0
	.set _ZN7rocprim17ROCPRIM_400000_NS6detail17trampoline_kernelINS0_14default_configENS1_20scan_config_selectorIN3c108BFloat16EEEZZNS1_9scan_implILNS1_25lookback_scan_determinismE0ELb0ELb0ES3_PKS6_PS6_S6_ZZZN2at6native31launch_logcumsumexp_cuda_kernelERKNSD_10TensorBaseESH_lENKUlvE_clEvENKUlvE4_clEvEUlS6_S6_E_S6_EEDaPvRmT3_T4_T5_mT6_P12ihipStream_tbENKUlT_T0_E_clISt17integral_constantIbLb1EESY_EEDaST_SU_EUlST_E0_NS1_11comp_targetILNS1_3genE8ELNS1_11target_archE1030ELNS1_3gpuE2ELNS1_3repE0EEENS1_30default_config_static_selectorELNS0_4arch9wavefront6targetE1EEEvT1_.private_seg_size, 0
	.set _ZN7rocprim17ROCPRIM_400000_NS6detail17trampoline_kernelINS0_14default_configENS1_20scan_config_selectorIN3c108BFloat16EEEZZNS1_9scan_implILNS1_25lookback_scan_determinismE0ELb0ELb0ES3_PKS6_PS6_S6_ZZZN2at6native31launch_logcumsumexp_cuda_kernelERKNSD_10TensorBaseESH_lENKUlvE_clEvENKUlvE4_clEvEUlS6_S6_E_S6_EEDaPvRmT3_T4_T5_mT6_P12ihipStream_tbENKUlT_T0_E_clISt17integral_constantIbLb1EESY_EEDaST_SU_EUlST_E0_NS1_11comp_targetILNS1_3genE8ELNS1_11target_archE1030ELNS1_3gpuE2ELNS1_3repE0EEENS1_30default_config_static_selectorELNS0_4arch9wavefront6targetE1EEEvT1_.uses_vcc, 0
	.set _ZN7rocprim17ROCPRIM_400000_NS6detail17trampoline_kernelINS0_14default_configENS1_20scan_config_selectorIN3c108BFloat16EEEZZNS1_9scan_implILNS1_25lookback_scan_determinismE0ELb0ELb0ES3_PKS6_PS6_S6_ZZZN2at6native31launch_logcumsumexp_cuda_kernelERKNSD_10TensorBaseESH_lENKUlvE_clEvENKUlvE4_clEvEUlS6_S6_E_S6_EEDaPvRmT3_T4_T5_mT6_P12ihipStream_tbENKUlT_T0_E_clISt17integral_constantIbLb1EESY_EEDaST_SU_EUlST_E0_NS1_11comp_targetILNS1_3genE8ELNS1_11target_archE1030ELNS1_3gpuE2ELNS1_3repE0EEENS1_30default_config_static_selectorELNS0_4arch9wavefront6targetE1EEEvT1_.uses_flat_scratch, 0
	.set _ZN7rocprim17ROCPRIM_400000_NS6detail17trampoline_kernelINS0_14default_configENS1_20scan_config_selectorIN3c108BFloat16EEEZZNS1_9scan_implILNS1_25lookback_scan_determinismE0ELb0ELb0ES3_PKS6_PS6_S6_ZZZN2at6native31launch_logcumsumexp_cuda_kernelERKNSD_10TensorBaseESH_lENKUlvE_clEvENKUlvE4_clEvEUlS6_S6_E_S6_EEDaPvRmT3_T4_T5_mT6_P12ihipStream_tbENKUlT_T0_E_clISt17integral_constantIbLb1EESY_EEDaST_SU_EUlST_E0_NS1_11comp_targetILNS1_3genE8ELNS1_11target_archE1030ELNS1_3gpuE2ELNS1_3repE0EEENS1_30default_config_static_selectorELNS0_4arch9wavefront6targetE1EEEvT1_.has_dyn_sized_stack, 0
	.set _ZN7rocprim17ROCPRIM_400000_NS6detail17trampoline_kernelINS0_14default_configENS1_20scan_config_selectorIN3c108BFloat16EEEZZNS1_9scan_implILNS1_25lookback_scan_determinismE0ELb0ELb0ES3_PKS6_PS6_S6_ZZZN2at6native31launch_logcumsumexp_cuda_kernelERKNSD_10TensorBaseESH_lENKUlvE_clEvENKUlvE4_clEvEUlS6_S6_E_S6_EEDaPvRmT3_T4_T5_mT6_P12ihipStream_tbENKUlT_T0_E_clISt17integral_constantIbLb1EESY_EEDaST_SU_EUlST_E0_NS1_11comp_targetILNS1_3genE8ELNS1_11target_archE1030ELNS1_3gpuE2ELNS1_3repE0EEENS1_30default_config_static_selectorELNS0_4arch9wavefront6targetE1EEEvT1_.has_recursion, 0
	.set _ZN7rocprim17ROCPRIM_400000_NS6detail17trampoline_kernelINS0_14default_configENS1_20scan_config_selectorIN3c108BFloat16EEEZZNS1_9scan_implILNS1_25lookback_scan_determinismE0ELb0ELb0ES3_PKS6_PS6_S6_ZZZN2at6native31launch_logcumsumexp_cuda_kernelERKNSD_10TensorBaseESH_lENKUlvE_clEvENKUlvE4_clEvEUlS6_S6_E_S6_EEDaPvRmT3_T4_T5_mT6_P12ihipStream_tbENKUlT_T0_E_clISt17integral_constantIbLb1EESY_EEDaST_SU_EUlST_E0_NS1_11comp_targetILNS1_3genE8ELNS1_11target_archE1030ELNS1_3gpuE2ELNS1_3repE0EEENS1_30default_config_static_selectorELNS0_4arch9wavefront6targetE1EEEvT1_.has_indirect_call, 0
	.section	.AMDGPU.csdata,"",@progbits
; Kernel info:
; codeLenInByte = 0
; TotalNumSgprs: 6
; NumVgprs: 0
; NumAgprs: 0
; TotalNumVgprs: 0
; ScratchSize: 0
; MemoryBound: 0
; FloatMode: 240
; IeeeMode: 1
; LDSByteSize: 0 bytes/workgroup (compile time only)
; SGPRBlocks: 0
; VGPRBlocks: 0
; NumSGPRsForWavesPerEU: 6
; NumVGPRsForWavesPerEU: 1
; AccumOffset: 4
; Occupancy: 8
; WaveLimiterHint : 0
; COMPUTE_PGM_RSRC2:SCRATCH_EN: 0
; COMPUTE_PGM_RSRC2:USER_SGPR: 2
; COMPUTE_PGM_RSRC2:TRAP_HANDLER: 0
; COMPUTE_PGM_RSRC2:TGID_X_EN: 1
; COMPUTE_PGM_RSRC2:TGID_Y_EN: 0
; COMPUTE_PGM_RSRC2:TGID_Z_EN: 0
; COMPUTE_PGM_RSRC2:TIDIG_COMP_CNT: 0
; COMPUTE_PGM_RSRC3_GFX90A:ACCUM_OFFSET: 0
; COMPUTE_PGM_RSRC3_GFX90A:TG_SPLIT: 0
	.section	.text._ZN7rocprim17ROCPRIM_400000_NS6detail31init_lookback_scan_state_kernelINS1_19lookback_scan_stateIN3c108BFloat16ELb1ELb1EEENS1_16block_id_wrapperIjLb0EEEEEvT_jT0_jPNS9_10value_typeE,"axG",@progbits,_ZN7rocprim17ROCPRIM_400000_NS6detail31init_lookback_scan_state_kernelINS1_19lookback_scan_stateIN3c108BFloat16ELb1ELb1EEENS1_16block_id_wrapperIjLb0EEEEEvT_jT0_jPNS9_10value_typeE,comdat
	.protected	_ZN7rocprim17ROCPRIM_400000_NS6detail31init_lookback_scan_state_kernelINS1_19lookback_scan_stateIN3c108BFloat16ELb1ELb1EEENS1_16block_id_wrapperIjLb0EEEEEvT_jT0_jPNS9_10value_typeE ; -- Begin function _ZN7rocprim17ROCPRIM_400000_NS6detail31init_lookback_scan_state_kernelINS1_19lookback_scan_stateIN3c108BFloat16ELb1ELb1EEENS1_16block_id_wrapperIjLb0EEEEEvT_jT0_jPNS9_10value_typeE
	.globl	_ZN7rocprim17ROCPRIM_400000_NS6detail31init_lookback_scan_state_kernelINS1_19lookback_scan_stateIN3c108BFloat16ELb1ELb1EEENS1_16block_id_wrapperIjLb0EEEEEvT_jT0_jPNS9_10value_typeE
	.p2align	8
	.type	_ZN7rocprim17ROCPRIM_400000_NS6detail31init_lookback_scan_state_kernelINS1_19lookback_scan_stateIN3c108BFloat16ELb1ELb1EEENS1_16block_id_wrapperIjLb0EEEEEvT_jT0_jPNS9_10value_typeE,@function
_ZN7rocprim17ROCPRIM_400000_NS6detail31init_lookback_scan_state_kernelINS1_19lookback_scan_stateIN3c108BFloat16ELb1ELb1EEENS1_16block_id_wrapperIjLb0EEEEEvT_jT0_jPNS9_10value_typeE: ; @_ZN7rocprim17ROCPRIM_400000_NS6detail31init_lookback_scan_state_kernelINS1_19lookback_scan_stateIN3c108BFloat16ELb1ELb1EEENS1_16block_id_wrapperIjLb0EEEEEvT_jT0_jPNS9_10value_typeE
; %bb.0:
	s_load_dword s3, s[0:1], 0x2c
	s_load_dwordx2 s[6:7], s[0:1], 0x18
	s_load_dwordx2 s[4:5], s[0:1], 0x0
	s_load_dword s8, s[0:1], 0x8
	s_waitcnt lgkmcnt(0)
	s_and_b32 s3, s3, 0xffff
	s_mul_i32 s2, s2, s3
	s_cmp_eq_u64 s[6:7], 0
	v_add_u32_e32 v0, s2, v0
	s_cbranch_scc1 .LBB483_9
; %bb.1:
	s_load_dword s2, s[0:1], 0x10
	s_mov_b32 s3, 0
	s_waitcnt lgkmcnt(0)
	s_cmp_lt_u32 s2, s8
	s_cselect_b32 s0, s2, 0
	v_cmp_eq_u32_e32 vcc, s0, v0
	s_and_saveexec_b64 s[0:1], vcc
	s_cbranch_execz .LBB483_8
; %bb.2:
	s_add_i32 s2, s2, 64
	s_lshl_b64 s[2:3], s[2:3], 2
	s_add_u32 s2, s4, s2
	s_addc_u32 s3, s5, s3
	v_mov_b32_e32 v1, 0
	global_load_dword v2, v1, s[2:3] sc1
	s_waitcnt vmcnt(0)
	v_and_b32_e32 v3, 0xff0000, v2
	v_cmp_ne_u32_e32 vcc, 0, v3
	s_cbranch_vccnz .LBB483_7
; %bb.3:
	s_mov_b32 s9, 1
.LBB483_4:                              ; =>This Loop Header: Depth=1
                                        ;     Child Loop BB483_5 Depth 2
	s_mov_b32 s10, s9
.LBB483_5:                              ;   Parent Loop BB483_4 Depth=1
                                        ; =>  This Inner Loop Header: Depth=2
	s_add_i32 s10, s10, -1
	s_cmp_eq_u32 s10, 0
	s_sleep 1
	s_cbranch_scc0 .LBB483_5
; %bb.6:                                ;   in Loop: Header=BB483_4 Depth=1
	global_load_dword v2, v1, s[2:3] sc1
	s_cmp_lt_u32 s9, 32
	s_cselect_b64 s[10:11], -1, 0
	s_cmp_lg_u64 s[10:11], 0
	s_addc_u32 s9, s9, 0
	s_waitcnt vmcnt(0)
	v_and_b32_e32 v3, 0xff0000, v2
	v_cmp_ne_u32_e32 vcc, 0, v3
	s_cbranch_vccz .LBB483_4
.LBB483_7:
	v_mov_b32_e32 v1, 0
	global_store_short v1, v2, s[6:7]
.LBB483_8:
	s_or_b64 exec, exec, s[0:1]
.LBB483_9:
	v_cmp_gt_u32_e32 vcc, s8, v0
	s_and_saveexec_b64 s[0:1], vcc
	s_cbranch_execnz .LBB483_12
; %bb.10:
	s_or_b64 exec, exec, s[0:1]
	v_cmp_gt_u32_e32 vcc, 64, v0
	s_and_saveexec_b64 s[0:1], vcc
	s_cbranch_execnz .LBB483_13
.LBB483_11:
	s_endpgm
.LBB483_12:
	v_add_u32_e32 v2, 64, v0
	v_mov_b32_e32 v3, 0
	v_lshl_add_u64 v[4:5], v[2:3], 2, s[4:5]
	global_store_dword v[4:5], v3, off
	s_or_b64 exec, exec, s[0:1]
	v_cmp_gt_u32_e32 vcc, 64, v0
	s_and_saveexec_b64 s[0:1], vcc
	s_cbranch_execz .LBB483_11
.LBB483_13:
	v_mov_b32_e32 v1, 0
	v_lshl_add_u64 v[0:1], v[0:1], 2, s[4:5]
	v_mov_b32_e32 v2, 0xff0000
	global_store_dword v[0:1], v2, off
	s_endpgm
	.section	.rodata,"a",@progbits
	.p2align	6, 0x0
	.amdhsa_kernel _ZN7rocprim17ROCPRIM_400000_NS6detail31init_lookback_scan_state_kernelINS1_19lookback_scan_stateIN3c108BFloat16ELb1ELb1EEENS1_16block_id_wrapperIjLb0EEEEEvT_jT0_jPNS9_10value_typeE
		.amdhsa_group_segment_fixed_size 0
		.amdhsa_private_segment_fixed_size 0
		.amdhsa_kernarg_size 288
		.amdhsa_user_sgpr_count 2
		.amdhsa_user_sgpr_dispatch_ptr 0
		.amdhsa_user_sgpr_queue_ptr 0
		.amdhsa_user_sgpr_kernarg_segment_ptr 1
		.amdhsa_user_sgpr_dispatch_id 0
		.amdhsa_user_sgpr_kernarg_preload_length 0
		.amdhsa_user_sgpr_kernarg_preload_offset 0
		.amdhsa_user_sgpr_private_segment_size 0
		.amdhsa_uses_dynamic_stack 0
		.amdhsa_enable_private_segment 0
		.amdhsa_system_sgpr_workgroup_id_x 1
		.amdhsa_system_sgpr_workgroup_id_y 0
		.amdhsa_system_sgpr_workgroup_id_z 0
		.amdhsa_system_sgpr_workgroup_info 0
		.amdhsa_system_vgpr_workitem_id 0
		.amdhsa_next_free_vgpr 6
		.amdhsa_next_free_sgpr 12
		.amdhsa_accum_offset 8
		.amdhsa_reserve_vcc 1
		.amdhsa_float_round_mode_32 0
		.amdhsa_float_round_mode_16_64 0
		.amdhsa_float_denorm_mode_32 3
		.amdhsa_float_denorm_mode_16_64 3
		.amdhsa_dx10_clamp 1
		.amdhsa_ieee_mode 1
		.amdhsa_fp16_overflow 0
		.amdhsa_tg_split 0
		.amdhsa_exception_fp_ieee_invalid_op 0
		.amdhsa_exception_fp_denorm_src 0
		.amdhsa_exception_fp_ieee_div_zero 0
		.amdhsa_exception_fp_ieee_overflow 0
		.amdhsa_exception_fp_ieee_underflow 0
		.amdhsa_exception_fp_ieee_inexact 0
		.amdhsa_exception_int_div_zero 0
	.end_amdhsa_kernel
	.section	.text._ZN7rocprim17ROCPRIM_400000_NS6detail31init_lookback_scan_state_kernelINS1_19lookback_scan_stateIN3c108BFloat16ELb1ELb1EEENS1_16block_id_wrapperIjLb0EEEEEvT_jT0_jPNS9_10value_typeE,"axG",@progbits,_ZN7rocprim17ROCPRIM_400000_NS6detail31init_lookback_scan_state_kernelINS1_19lookback_scan_stateIN3c108BFloat16ELb1ELb1EEENS1_16block_id_wrapperIjLb0EEEEEvT_jT0_jPNS9_10value_typeE,comdat
.Lfunc_end483:
	.size	_ZN7rocprim17ROCPRIM_400000_NS6detail31init_lookback_scan_state_kernelINS1_19lookback_scan_stateIN3c108BFloat16ELb1ELb1EEENS1_16block_id_wrapperIjLb0EEEEEvT_jT0_jPNS9_10value_typeE, .Lfunc_end483-_ZN7rocprim17ROCPRIM_400000_NS6detail31init_lookback_scan_state_kernelINS1_19lookback_scan_stateIN3c108BFloat16ELb1ELb1EEENS1_16block_id_wrapperIjLb0EEEEEvT_jT0_jPNS9_10value_typeE
                                        ; -- End function
	.set _ZN7rocprim17ROCPRIM_400000_NS6detail31init_lookback_scan_state_kernelINS1_19lookback_scan_stateIN3c108BFloat16ELb1ELb1EEENS1_16block_id_wrapperIjLb0EEEEEvT_jT0_jPNS9_10value_typeE.num_vgpr, 6
	.set _ZN7rocprim17ROCPRIM_400000_NS6detail31init_lookback_scan_state_kernelINS1_19lookback_scan_stateIN3c108BFloat16ELb1ELb1EEENS1_16block_id_wrapperIjLb0EEEEEvT_jT0_jPNS9_10value_typeE.num_agpr, 0
	.set _ZN7rocprim17ROCPRIM_400000_NS6detail31init_lookback_scan_state_kernelINS1_19lookback_scan_stateIN3c108BFloat16ELb1ELb1EEENS1_16block_id_wrapperIjLb0EEEEEvT_jT0_jPNS9_10value_typeE.numbered_sgpr, 12
	.set _ZN7rocprim17ROCPRIM_400000_NS6detail31init_lookback_scan_state_kernelINS1_19lookback_scan_stateIN3c108BFloat16ELb1ELb1EEENS1_16block_id_wrapperIjLb0EEEEEvT_jT0_jPNS9_10value_typeE.num_named_barrier, 0
	.set _ZN7rocprim17ROCPRIM_400000_NS6detail31init_lookback_scan_state_kernelINS1_19lookback_scan_stateIN3c108BFloat16ELb1ELb1EEENS1_16block_id_wrapperIjLb0EEEEEvT_jT0_jPNS9_10value_typeE.private_seg_size, 0
	.set _ZN7rocprim17ROCPRIM_400000_NS6detail31init_lookback_scan_state_kernelINS1_19lookback_scan_stateIN3c108BFloat16ELb1ELb1EEENS1_16block_id_wrapperIjLb0EEEEEvT_jT0_jPNS9_10value_typeE.uses_vcc, 1
	.set _ZN7rocprim17ROCPRIM_400000_NS6detail31init_lookback_scan_state_kernelINS1_19lookback_scan_stateIN3c108BFloat16ELb1ELb1EEENS1_16block_id_wrapperIjLb0EEEEEvT_jT0_jPNS9_10value_typeE.uses_flat_scratch, 0
	.set _ZN7rocprim17ROCPRIM_400000_NS6detail31init_lookback_scan_state_kernelINS1_19lookback_scan_stateIN3c108BFloat16ELb1ELb1EEENS1_16block_id_wrapperIjLb0EEEEEvT_jT0_jPNS9_10value_typeE.has_dyn_sized_stack, 0
	.set _ZN7rocprim17ROCPRIM_400000_NS6detail31init_lookback_scan_state_kernelINS1_19lookback_scan_stateIN3c108BFloat16ELb1ELb1EEENS1_16block_id_wrapperIjLb0EEEEEvT_jT0_jPNS9_10value_typeE.has_recursion, 0
	.set _ZN7rocprim17ROCPRIM_400000_NS6detail31init_lookback_scan_state_kernelINS1_19lookback_scan_stateIN3c108BFloat16ELb1ELb1EEENS1_16block_id_wrapperIjLb0EEEEEvT_jT0_jPNS9_10value_typeE.has_indirect_call, 0
	.section	.AMDGPU.csdata,"",@progbits
; Kernel info:
; codeLenInByte = 332
; TotalNumSgprs: 18
; NumVgprs: 6
; NumAgprs: 0
; TotalNumVgprs: 6
; ScratchSize: 0
; MemoryBound: 0
; FloatMode: 240
; IeeeMode: 1
; LDSByteSize: 0 bytes/workgroup (compile time only)
; SGPRBlocks: 2
; VGPRBlocks: 0
; NumSGPRsForWavesPerEU: 18
; NumVGPRsForWavesPerEU: 6
; AccumOffset: 8
; Occupancy: 8
; WaveLimiterHint : 0
; COMPUTE_PGM_RSRC2:SCRATCH_EN: 0
; COMPUTE_PGM_RSRC2:USER_SGPR: 2
; COMPUTE_PGM_RSRC2:TRAP_HANDLER: 0
; COMPUTE_PGM_RSRC2:TGID_X_EN: 1
; COMPUTE_PGM_RSRC2:TGID_Y_EN: 0
; COMPUTE_PGM_RSRC2:TGID_Z_EN: 0
; COMPUTE_PGM_RSRC2:TIDIG_COMP_CNT: 0
; COMPUTE_PGM_RSRC3_GFX90A:ACCUM_OFFSET: 1
; COMPUTE_PGM_RSRC3_GFX90A:TG_SPLIT: 0
	.section	.text._ZN7rocprim17ROCPRIM_400000_NS6detail17trampoline_kernelINS0_14default_configENS1_20scan_config_selectorIN3c108BFloat16EEEZZNS1_9scan_implILNS1_25lookback_scan_determinismE0ELb0ELb0ES3_PKS6_PS6_S6_ZZZN2at6native31launch_logcumsumexp_cuda_kernelERKNSD_10TensorBaseESH_lENKUlvE_clEvENKUlvE4_clEvEUlS6_S6_E_S6_EEDaPvRmT3_T4_T5_mT6_P12ihipStream_tbENKUlT_T0_E_clISt17integral_constantIbLb1EESX_IbLb0EEEEDaST_SU_EUlST_E_NS1_11comp_targetILNS1_3genE0ELNS1_11target_archE4294967295ELNS1_3gpuE0ELNS1_3repE0EEENS1_30default_config_static_selectorELNS0_4arch9wavefront6targetE1EEEvT1_,"axG",@progbits,_ZN7rocprim17ROCPRIM_400000_NS6detail17trampoline_kernelINS0_14default_configENS1_20scan_config_selectorIN3c108BFloat16EEEZZNS1_9scan_implILNS1_25lookback_scan_determinismE0ELb0ELb0ES3_PKS6_PS6_S6_ZZZN2at6native31launch_logcumsumexp_cuda_kernelERKNSD_10TensorBaseESH_lENKUlvE_clEvENKUlvE4_clEvEUlS6_S6_E_S6_EEDaPvRmT3_T4_T5_mT6_P12ihipStream_tbENKUlT_T0_E_clISt17integral_constantIbLb1EESX_IbLb0EEEEDaST_SU_EUlST_E_NS1_11comp_targetILNS1_3genE0ELNS1_11target_archE4294967295ELNS1_3gpuE0ELNS1_3repE0EEENS1_30default_config_static_selectorELNS0_4arch9wavefront6targetE1EEEvT1_,comdat
	.globl	_ZN7rocprim17ROCPRIM_400000_NS6detail17trampoline_kernelINS0_14default_configENS1_20scan_config_selectorIN3c108BFloat16EEEZZNS1_9scan_implILNS1_25lookback_scan_determinismE0ELb0ELb0ES3_PKS6_PS6_S6_ZZZN2at6native31launch_logcumsumexp_cuda_kernelERKNSD_10TensorBaseESH_lENKUlvE_clEvENKUlvE4_clEvEUlS6_S6_E_S6_EEDaPvRmT3_T4_T5_mT6_P12ihipStream_tbENKUlT_T0_E_clISt17integral_constantIbLb1EESX_IbLb0EEEEDaST_SU_EUlST_E_NS1_11comp_targetILNS1_3genE0ELNS1_11target_archE4294967295ELNS1_3gpuE0ELNS1_3repE0EEENS1_30default_config_static_selectorELNS0_4arch9wavefront6targetE1EEEvT1_ ; -- Begin function _ZN7rocprim17ROCPRIM_400000_NS6detail17trampoline_kernelINS0_14default_configENS1_20scan_config_selectorIN3c108BFloat16EEEZZNS1_9scan_implILNS1_25lookback_scan_determinismE0ELb0ELb0ES3_PKS6_PS6_S6_ZZZN2at6native31launch_logcumsumexp_cuda_kernelERKNSD_10TensorBaseESH_lENKUlvE_clEvENKUlvE4_clEvEUlS6_S6_E_S6_EEDaPvRmT3_T4_T5_mT6_P12ihipStream_tbENKUlT_T0_E_clISt17integral_constantIbLb1EESX_IbLb0EEEEDaST_SU_EUlST_E_NS1_11comp_targetILNS1_3genE0ELNS1_11target_archE4294967295ELNS1_3gpuE0ELNS1_3repE0EEENS1_30default_config_static_selectorELNS0_4arch9wavefront6targetE1EEEvT1_
	.p2align	8
	.type	_ZN7rocprim17ROCPRIM_400000_NS6detail17trampoline_kernelINS0_14default_configENS1_20scan_config_selectorIN3c108BFloat16EEEZZNS1_9scan_implILNS1_25lookback_scan_determinismE0ELb0ELb0ES3_PKS6_PS6_S6_ZZZN2at6native31launch_logcumsumexp_cuda_kernelERKNSD_10TensorBaseESH_lENKUlvE_clEvENKUlvE4_clEvEUlS6_S6_E_S6_EEDaPvRmT3_T4_T5_mT6_P12ihipStream_tbENKUlT_T0_E_clISt17integral_constantIbLb1EESX_IbLb0EEEEDaST_SU_EUlST_E_NS1_11comp_targetILNS1_3genE0ELNS1_11target_archE4294967295ELNS1_3gpuE0ELNS1_3repE0EEENS1_30default_config_static_selectorELNS0_4arch9wavefront6targetE1EEEvT1_,@function
_ZN7rocprim17ROCPRIM_400000_NS6detail17trampoline_kernelINS0_14default_configENS1_20scan_config_selectorIN3c108BFloat16EEEZZNS1_9scan_implILNS1_25lookback_scan_determinismE0ELb0ELb0ES3_PKS6_PS6_S6_ZZZN2at6native31launch_logcumsumexp_cuda_kernelERKNSD_10TensorBaseESH_lENKUlvE_clEvENKUlvE4_clEvEUlS6_S6_E_S6_EEDaPvRmT3_T4_T5_mT6_P12ihipStream_tbENKUlT_T0_E_clISt17integral_constantIbLb1EESX_IbLb0EEEEDaST_SU_EUlST_E_NS1_11comp_targetILNS1_3genE0ELNS1_11target_archE4294967295ELNS1_3gpuE0ELNS1_3repE0EEENS1_30default_config_static_selectorELNS0_4arch9wavefront6targetE1EEEvT1_: ; @_ZN7rocprim17ROCPRIM_400000_NS6detail17trampoline_kernelINS0_14default_configENS1_20scan_config_selectorIN3c108BFloat16EEEZZNS1_9scan_implILNS1_25lookback_scan_determinismE0ELb0ELb0ES3_PKS6_PS6_S6_ZZZN2at6native31launch_logcumsumexp_cuda_kernelERKNSD_10TensorBaseESH_lENKUlvE_clEvENKUlvE4_clEvEUlS6_S6_E_S6_EEDaPvRmT3_T4_T5_mT6_P12ihipStream_tbENKUlT_T0_E_clISt17integral_constantIbLb1EESX_IbLb0EEEEDaST_SU_EUlST_E_NS1_11comp_targetILNS1_3genE0ELNS1_11target_archE4294967295ELNS1_3gpuE0ELNS1_3repE0EEENS1_30default_config_static_selectorELNS0_4arch9wavefront6targetE1EEEvT1_
; %bb.0:
	s_endpgm
	.section	.rodata,"a",@progbits
	.p2align	6, 0x0
	.amdhsa_kernel _ZN7rocprim17ROCPRIM_400000_NS6detail17trampoline_kernelINS0_14default_configENS1_20scan_config_selectorIN3c108BFloat16EEEZZNS1_9scan_implILNS1_25lookback_scan_determinismE0ELb0ELb0ES3_PKS6_PS6_S6_ZZZN2at6native31launch_logcumsumexp_cuda_kernelERKNSD_10TensorBaseESH_lENKUlvE_clEvENKUlvE4_clEvEUlS6_S6_E_S6_EEDaPvRmT3_T4_T5_mT6_P12ihipStream_tbENKUlT_T0_E_clISt17integral_constantIbLb1EESX_IbLb0EEEEDaST_SU_EUlST_E_NS1_11comp_targetILNS1_3genE0ELNS1_11target_archE4294967295ELNS1_3gpuE0ELNS1_3repE0EEENS1_30default_config_static_selectorELNS0_4arch9wavefront6targetE1EEEvT1_
		.amdhsa_group_segment_fixed_size 0
		.amdhsa_private_segment_fixed_size 0
		.amdhsa_kernarg_size 96
		.amdhsa_user_sgpr_count 2
		.amdhsa_user_sgpr_dispatch_ptr 0
		.amdhsa_user_sgpr_queue_ptr 0
		.amdhsa_user_sgpr_kernarg_segment_ptr 1
		.amdhsa_user_sgpr_dispatch_id 0
		.amdhsa_user_sgpr_kernarg_preload_length 0
		.amdhsa_user_sgpr_kernarg_preload_offset 0
		.amdhsa_user_sgpr_private_segment_size 0
		.amdhsa_uses_dynamic_stack 0
		.amdhsa_enable_private_segment 0
		.amdhsa_system_sgpr_workgroup_id_x 1
		.amdhsa_system_sgpr_workgroup_id_y 0
		.amdhsa_system_sgpr_workgroup_id_z 0
		.amdhsa_system_sgpr_workgroup_info 0
		.amdhsa_system_vgpr_workitem_id 0
		.amdhsa_next_free_vgpr 1
		.amdhsa_next_free_sgpr 0
		.amdhsa_accum_offset 4
		.amdhsa_reserve_vcc 0
		.amdhsa_float_round_mode_32 0
		.amdhsa_float_round_mode_16_64 0
		.amdhsa_float_denorm_mode_32 3
		.amdhsa_float_denorm_mode_16_64 3
		.amdhsa_dx10_clamp 1
		.amdhsa_ieee_mode 1
		.amdhsa_fp16_overflow 0
		.amdhsa_tg_split 0
		.amdhsa_exception_fp_ieee_invalid_op 0
		.amdhsa_exception_fp_denorm_src 0
		.amdhsa_exception_fp_ieee_div_zero 0
		.amdhsa_exception_fp_ieee_overflow 0
		.amdhsa_exception_fp_ieee_underflow 0
		.amdhsa_exception_fp_ieee_inexact 0
		.amdhsa_exception_int_div_zero 0
	.end_amdhsa_kernel
	.section	.text._ZN7rocprim17ROCPRIM_400000_NS6detail17trampoline_kernelINS0_14default_configENS1_20scan_config_selectorIN3c108BFloat16EEEZZNS1_9scan_implILNS1_25lookback_scan_determinismE0ELb0ELb0ES3_PKS6_PS6_S6_ZZZN2at6native31launch_logcumsumexp_cuda_kernelERKNSD_10TensorBaseESH_lENKUlvE_clEvENKUlvE4_clEvEUlS6_S6_E_S6_EEDaPvRmT3_T4_T5_mT6_P12ihipStream_tbENKUlT_T0_E_clISt17integral_constantIbLb1EESX_IbLb0EEEEDaST_SU_EUlST_E_NS1_11comp_targetILNS1_3genE0ELNS1_11target_archE4294967295ELNS1_3gpuE0ELNS1_3repE0EEENS1_30default_config_static_selectorELNS0_4arch9wavefront6targetE1EEEvT1_,"axG",@progbits,_ZN7rocprim17ROCPRIM_400000_NS6detail17trampoline_kernelINS0_14default_configENS1_20scan_config_selectorIN3c108BFloat16EEEZZNS1_9scan_implILNS1_25lookback_scan_determinismE0ELb0ELb0ES3_PKS6_PS6_S6_ZZZN2at6native31launch_logcumsumexp_cuda_kernelERKNSD_10TensorBaseESH_lENKUlvE_clEvENKUlvE4_clEvEUlS6_S6_E_S6_EEDaPvRmT3_T4_T5_mT6_P12ihipStream_tbENKUlT_T0_E_clISt17integral_constantIbLb1EESX_IbLb0EEEEDaST_SU_EUlST_E_NS1_11comp_targetILNS1_3genE0ELNS1_11target_archE4294967295ELNS1_3gpuE0ELNS1_3repE0EEENS1_30default_config_static_selectorELNS0_4arch9wavefront6targetE1EEEvT1_,comdat
.Lfunc_end484:
	.size	_ZN7rocprim17ROCPRIM_400000_NS6detail17trampoline_kernelINS0_14default_configENS1_20scan_config_selectorIN3c108BFloat16EEEZZNS1_9scan_implILNS1_25lookback_scan_determinismE0ELb0ELb0ES3_PKS6_PS6_S6_ZZZN2at6native31launch_logcumsumexp_cuda_kernelERKNSD_10TensorBaseESH_lENKUlvE_clEvENKUlvE4_clEvEUlS6_S6_E_S6_EEDaPvRmT3_T4_T5_mT6_P12ihipStream_tbENKUlT_T0_E_clISt17integral_constantIbLb1EESX_IbLb0EEEEDaST_SU_EUlST_E_NS1_11comp_targetILNS1_3genE0ELNS1_11target_archE4294967295ELNS1_3gpuE0ELNS1_3repE0EEENS1_30default_config_static_selectorELNS0_4arch9wavefront6targetE1EEEvT1_, .Lfunc_end484-_ZN7rocprim17ROCPRIM_400000_NS6detail17trampoline_kernelINS0_14default_configENS1_20scan_config_selectorIN3c108BFloat16EEEZZNS1_9scan_implILNS1_25lookback_scan_determinismE0ELb0ELb0ES3_PKS6_PS6_S6_ZZZN2at6native31launch_logcumsumexp_cuda_kernelERKNSD_10TensorBaseESH_lENKUlvE_clEvENKUlvE4_clEvEUlS6_S6_E_S6_EEDaPvRmT3_T4_T5_mT6_P12ihipStream_tbENKUlT_T0_E_clISt17integral_constantIbLb1EESX_IbLb0EEEEDaST_SU_EUlST_E_NS1_11comp_targetILNS1_3genE0ELNS1_11target_archE4294967295ELNS1_3gpuE0ELNS1_3repE0EEENS1_30default_config_static_selectorELNS0_4arch9wavefront6targetE1EEEvT1_
                                        ; -- End function
	.set _ZN7rocprim17ROCPRIM_400000_NS6detail17trampoline_kernelINS0_14default_configENS1_20scan_config_selectorIN3c108BFloat16EEEZZNS1_9scan_implILNS1_25lookback_scan_determinismE0ELb0ELb0ES3_PKS6_PS6_S6_ZZZN2at6native31launch_logcumsumexp_cuda_kernelERKNSD_10TensorBaseESH_lENKUlvE_clEvENKUlvE4_clEvEUlS6_S6_E_S6_EEDaPvRmT3_T4_T5_mT6_P12ihipStream_tbENKUlT_T0_E_clISt17integral_constantIbLb1EESX_IbLb0EEEEDaST_SU_EUlST_E_NS1_11comp_targetILNS1_3genE0ELNS1_11target_archE4294967295ELNS1_3gpuE0ELNS1_3repE0EEENS1_30default_config_static_selectorELNS0_4arch9wavefront6targetE1EEEvT1_.num_vgpr, 0
	.set _ZN7rocprim17ROCPRIM_400000_NS6detail17trampoline_kernelINS0_14default_configENS1_20scan_config_selectorIN3c108BFloat16EEEZZNS1_9scan_implILNS1_25lookback_scan_determinismE0ELb0ELb0ES3_PKS6_PS6_S6_ZZZN2at6native31launch_logcumsumexp_cuda_kernelERKNSD_10TensorBaseESH_lENKUlvE_clEvENKUlvE4_clEvEUlS6_S6_E_S6_EEDaPvRmT3_T4_T5_mT6_P12ihipStream_tbENKUlT_T0_E_clISt17integral_constantIbLb1EESX_IbLb0EEEEDaST_SU_EUlST_E_NS1_11comp_targetILNS1_3genE0ELNS1_11target_archE4294967295ELNS1_3gpuE0ELNS1_3repE0EEENS1_30default_config_static_selectorELNS0_4arch9wavefront6targetE1EEEvT1_.num_agpr, 0
	.set _ZN7rocprim17ROCPRIM_400000_NS6detail17trampoline_kernelINS0_14default_configENS1_20scan_config_selectorIN3c108BFloat16EEEZZNS1_9scan_implILNS1_25lookback_scan_determinismE0ELb0ELb0ES3_PKS6_PS6_S6_ZZZN2at6native31launch_logcumsumexp_cuda_kernelERKNSD_10TensorBaseESH_lENKUlvE_clEvENKUlvE4_clEvEUlS6_S6_E_S6_EEDaPvRmT3_T4_T5_mT6_P12ihipStream_tbENKUlT_T0_E_clISt17integral_constantIbLb1EESX_IbLb0EEEEDaST_SU_EUlST_E_NS1_11comp_targetILNS1_3genE0ELNS1_11target_archE4294967295ELNS1_3gpuE0ELNS1_3repE0EEENS1_30default_config_static_selectorELNS0_4arch9wavefront6targetE1EEEvT1_.numbered_sgpr, 0
	.set _ZN7rocprim17ROCPRIM_400000_NS6detail17trampoline_kernelINS0_14default_configENS1_20scan_config_selectorIN3c108BFloat16EEEZZNS1_9scan_implILNS1_25lookback_scan_determinismE0ELb0ELb0ES3_PKS6_PS6_S6_ZZZN2at6native31launch_logcumsumexp_cuda_kernelERKNSD_10TensorBaseESH_lENKUlvE_clEvENKUlvE4_clEvEUlS6_S6_E_S6_EEDaPvRmT3_T4_T5_mT6_P12ihipStream_tbENKUlT_T0_E_clISt17integral_constantIbLb1EESX_IbLb0EEEEDaST_SU_EUlST_E_NS1_11comp_targetILNS1_3genE0ELNS1_11target_archE4294967295ELNS1_3gpuE0ELNS1_3repE0EEENS1_30default_config_static_selectorELNS0_4arch9wavefront6targetE1EEEvT1_.num_named_barrier, 0
	.set _ZN7rocprim17ROCPRIM_400000_NS6detail17trampoline_kernelINS0_14default_configENS1_20scan_config_selectorIN3c108BFloat16EEEZZNS1_9scan_implILNS1_25lookback_scan_determinismE0ELb0ELb0ES3_PKS6_PS6_S6_ZZZN2at6native31launch_logcumsumexp_cuda_kernelERKNSD_10TensorBaseESH_lENKUlvE_clEvENKUlvE4_clEvEUlS6_S6_E_S6_EEDaPvRmT3_T4_T5_mT6_P12ihipStream_tbENKUlT_T0_E_clISt17integral_constantIbLb1EESX_IbLb0EEEEDaST_SU_EUlST_E_NS1_11comp_targetILNS1_3genE0ELNS1_11target_archE4294967295ELNS1_3gpuE0ELNS1_3repE0EEENS1_30default_config_static_selectorELNS0_4arch9wavefront6targetE1EEEvT1_.private_seg_size, 0
	.set _ZN7rocprim17ROCPRIM_400000_NS6detail17trampoline_kernelINS0_14default_configENS1_20scan_config_selectorIN3c108BFloat16EEEZZNS1_9scan_implILNS1_25lookback_scan_determinismE0ELb0ELb0ES3_PKS6_PS6_S6_ZZZN2at6native31launch_logcumsumexp_cuda_kernelERKNSD_10TensorBaseESH_lENKUlvE_clEvENKUlvE4_clEvEUlS6_S6_E_S6_EEDaPvRmT3_T4_T5_mT6_P12ihipStream_tbENKUlT_T0_E_clISt17integral_constantIbLb1EESX_IbLb0EEEEDaST_SU_EUlST_E_NS1_11comp_targetILNS1_3genE0ELNS1_11target_archE4294967295ELNS1_3gpuE0ELNS1_3repE0EEENS1_30default_config_static_selectorELNS0_4arch9wavefront6targetE1EEEvT1_.uses_vcc, 0
	.set _ZN7rocprim17ROCPRIM_400000_NS6detail17trampoline_kernelINS0_14default_configENS1_20scan_config_selectorIN3c108BFloat16EEEZZNS1_9scan_implILNS1_25lookback_scan_determinismE0ELb0ELb0ES3_PKS6_PS6_S6_ZZZN2at6native31launch_logcumsumexp_cuda_kernelERKNSD_10TensorBaseESH_lENKUlvE_clEvENKUlvE4_clEvEUlS6_S6_E_S6_EEDaPvRmT3_T4_T5_mT6_P12ihipStream_tbENKUlT_T0_E_clISt17integral_constantIbLb1EESX_IbLb0EEEEDaST_SU_EUlST_E_NS1_11comp_targetILNS1_3genE0ELNS1_11target_archE4294967295ELNS1_3gpuE0ELNS1_3repE0EEENS1_30default_config_static_selectorELNS0_4arch9wavefront6targetE1EEEvT1_.uses_flat_scratch, 0
	.set _ZN7rocprim17ROCPRIM_400000_NS6detail17trampoline_kernelINS0_14default_configENS1_20scan_config_selectorIN3c108BFloat16EEEZZNS1_9scan_implILNS1_25lookback_scan_determinismE0ELb0ELb0ES3_PKS6_PS6_S6_ZZZN2at6native31launch_logcumsumexp_cuda_kernelERKNSD_10TensorBaseESH_lENKUlvE_clEvENKUlvE4_clEvEUlS6_S6_E_S6_EEDaPvRmT3_T4_T5_mT6_P12ihipStream_tbENKUlT_T0_E_clISt17integral_constantIbLb1EESX_IbLb0EEEEDaST_SU_EUlST_E_NS1_11comp_targetILNS1_3genE0ELNS1_11target_archE4294967295ELNS1_3gpuE0ELNS1_3repE0EEENS1_30default_config_static_selectorELNS0_4arch9wavefront6targetE1EEEvT1_.has_dyn_sized_stack, 0
	.set _ZN7rocprim17ROCPRIM_400000_NS6detail17trampoline_kernelINS0_14default_configENS1_20scan_config_selectorIN3c108BFloat16EEEZZNS1_9scan_implILNS1_25lookback_scan_determinismE0ELb0ELb0ES3_PKS6_PS6_S6_ZZZN2at6native31launch_logcumsumexp_cuda_kernelERKNSD_10TensorBaseESH_lENKUlvE_clEvENKUlvE4_clEvEUlS6_S6_E_S6_EEDaPvRmT3_T4_T5_mT6_P12ihipStream_tbENKUlT_T0_E_clISt17integral_constantIbLb1EESX_IbLb0EEEEDaST_SU_EUlST_E_NS1_11comp_targetILNS1_3genE0ELNS1_11target_archE4294967295ELNS1_3gpuE0ELNS1_3repE0EEENS1_30default_config_static_selectorELNS0_4arch9wavefront6targetE1EEEvT1_.has_recursion, 0
	.set _ZN7rocprim17ROCPRIM_400000_NS6detail17trampoline_kernelINS0_14default_configENS1_20scan_config_selectorIN3c108BFloat16EEEZZNS1_9scan_implILNS1_25lookback_scan_determinismE0ELb0ELb0ES3_PKS6_PS6_S6_ZZZN2at6native31launch_logcumsumexp_cuda_kernelERKNSD_10TensorBaseESH_lENKUlvE_clEvENKUlvE4_clEvEUlS6_S6_E_S6_EEDaPvRmT3_T4_T5_mT6_P12ihipStream_tbENKUlT_T0_E_clISt17integral_constantIbLb1EESX_IbLb0EEEEDaST_SU_EUlST_E_NS1_11comp_targetILNS1_3genE0ELNS1_11target_archE4294967295ELNS1_3gpuE0ELNS1_3repE0EEENS1_30default_config_static_selectorELNS0_4arch9wavefront6targetE1EEEvT1_.has_indirect_call, 0
	.section	.AMDGPU.csdata,"",@progbits
; Kernel info:
; codeLenInByte = 4
; TotalNumSgprs: 6
; NumVgprs: 0
; NumAgprs: 0
; TotalNumVgprs: 0
; ScratchSize: 0
; MemoryBound: 0
; FloatMode: 240
; IeeeMode: 1
; LDSByteSize: 0 bytes/workgroup (compile time only)
; SGPRBlocks: 0
; VGPRBlocks: 0
; NumSGPRsForWavesPerEU: 6
; NumVGPRsForWavesPerEU: 1
; AccumOffset: 4
; Occupancy: 8
; WaveLimiterHint : 0
; COMPUTE_PGM_RSRC2:SCRATCH_EN: 0
; COMPUTE_PGM_RSRC2:USER_SGPR: 2
; COMPUTE_PGM_RSRC2:TRAP_HANDLER: 0
; COMPUTE_PGM_RSRC2:TGID_X_EN: 1
; COMPUTE_PGM_RSRC2:TGID_Y_EN: 0
; COMPUTE_PGM_RSRC2:TGID_Z_EN: 0
; COMPUTE_PGM_RSRC2:TIDIG_COMP_CNT: 0
; COMPUTE_PGM_RSRC3_GFX90A:ACCUM_OFFSET: 0
; COMPUTE_PGM_RSRC3_GFX90A:TG_SPLIT: 0
	.section	.text._ZN7rocprim17ROCPRIM_400000_NS6detail17trampoline_kernelINS0_14default_configENS1_20scan_config_selectorIN3c108BFloat16EEEZZNS1_9scan_implILNS1_25lookback_scan_determinismE0ELb0ELb0ES3_PKS6_PS6_S6_ZZZN2at6native31launch_logcumsumexp_cuda_kernelERKNSD_10TensorBaseESH_lENKUlvE_clEvENKUlvE4_clEvEUlS6_S6_E_S6_EEDaPvRmT3_T4_T5_mT6_P12ihipStream_tbENKUlT_T0_E_clISt17integral_constantIbLb1EESX_IbLb0EEEEDaST_SU_EUlST_E_NS1_11comp_targetILNS1_3genE5ELNS1_11target_archE942ELNS1_3gpuE9ELNS1_3repE0EEENS1_30default_config_static_selectorELNS0_4arch9wavefront6targetE1EEEvT1_,"axG",@progbits,_ZN7rocprim17ROCPRIM_400000_NS6detail17trampoline_kernelINS0_14default_configENS1_20scan_config_selectorIN3c108BFloat16EEEZZNS1_9scan_implILNS1_25lookback_scan_determinismE0ELb0ELb0ES3_PKS6_PS6_S6_ZZZN2at6native31launch_logcumsumexp_cuda_kernelERKNSD_10TensorBaseESH_lENKUlvE_clEvENKUlvE4_clEvEUlS6_S6_E_S6_EEDaPvRmT3_T4_T5_mT6_P12ihipStream_tbENKUlT_T0_E_clISt17integral_constantIbLb1EESX_IbLb0EEEEDaST_SU_EUlST_E_NS1_11comp_targetILNS1_3genE5ELNS1_11target_archE942ELNS1_3gpuE9ELNS1_3repE0EEENS1_30default_config_static_selectorELNS0_4arch9wavefront6targetE1EEEvT1_,comdat
	.globl	_ZN7rocprim17ROCPRIM_400000_NS6detail17trampoline_kernelINS0_14default_configENS1_20scan_config_selectorIN3c108BFloat16EEEZZNS1_9scan_implILNS1_25lookback_scan_determinismE0ELb0ELb0ES3_PKS6_PS6_S6_ZZZN2at6native31launch_logcumsumexp_cuda_kernelERKNSD_10TensorBaseESH_lENKUlvE_clEvENKUlvE4_clEvEUlS6_S6_E_S6_EEDaPvRmT3_T4_T5_mT6_P12ihipStream_tbENKUlT_T0_E_clISt17integral_constantIbLb1EESX_IbLb0EEEEDaST_SU_EUlST_E_NS1_11comp_targetILNS1_3genE5ELNS1_11target_archE942ELNS1_3gpuE9ELNS1_3repE0EEENS1_30default_config_static_selectorELNS0_4arch9wavefront6targetE1EEEvT1_ ; -- Begin function _ZN7rocprim17ROCPRIM_400000_NS6detail17trampoline_kernelINS0_14default_configENS1_20scan_config_selectorIN3c108BFloat16EEEZZNS1_9scan_implILNS1_25lookback_scan_determinismE0ELb0ELb0ES3_PKS6_PS6_S6_ZZZN2at6native31launch_logcumsumexp_cuda_kernelERKNSD_10TensorBaseESH_lENKUlvE_clEvENKUlvE4_clEvEUlS6_S6_E_S6_EEDaPvRmT3_T4_T5_mT6_P12ihipStream_tbENKUlT_T0_E_clISt17integral_constantIbLb1EESX_IbLb0EEEEDaST_SU_EUlST_E_NS1_11comp_targetILNS1_3genE5ELNS1_11target_archE942ELNS1_3gpuE9ELNS1_3repE0EEENS1_30default_config_static_selectorELNS0_4arch9wavefront6targetE1EEEvT1_
	.p2align	8
	.type	_ZN7rocprim17ROCPRIM_400000_NS6detail17trampoline_kernelINS0_14default_configENS1_20scan_config_selectorIN3c108BFloat16EEEZZNS1_9scan_implILNS1_25lookback_scan_determinismE0ELb0ELb0ES3_PKS6_PS6_S6_ZZZN2at6native31launch_logcumsumexp_cuda_kernelERKNSD_10TensorBaseESH_lENKUlvE_clEvENKUlvE4_clEvEUlS6_S6_E_S6_EEDaPvRmT3_T4_T5_mT6_P12ihipStream_tbENKUlT_T0_E_clISt17integral_constantIbLb1EESX_IbLb0EEEEDaST_SU_EUlST_E_NS1_11comp_targetILNS1_3genE5ELNS1_11target_archE942ELNS1_3gpuE9ELNS1_3repE0EEENS1_30default_config_static_selectorELNS0_4arch9wavefront6targetE1EEEvT1_,@function
_ZN7rocprim17ROCPRIM_400000_NS6detail17trampoline_kernelINS0_14default_configENS1_20scan_config_selectorIN3c108BFloat16EEEZZNS1_9scan_implILNS1_25lookback_scan_determinismE0ELb0ELb0ES3_PKS6_PS6_S6_ZZZN2at6native31launch_logcumsumexp_cuda_kernelERKNSD_10TensorBaseESH_lENKUlvE_clEvENKUlvE4_clEvEUlS6_S6_E_S6_EEDaPvRmT3_T4_T5_mT6_P12ihipStream_tbENKUlT_T0_E_clISt17integral_constantIbLb1EESX_IbLb0EEEEDaST_SU_EUlST_E_NS1_11comp_targetILNS1_3genE5ELNS1_11target_archE942ELNS1_3gpuE9ELNS1_3repE0EEENS1_30default_config_static_selectorELNS0_4arch9wavefront6targetE1EEEvT1_: ; @_ZN7rocprim17ROCPRIM_400000_NS6detail17trampoline_kernelINS0_14default_configENS1_20scan_config_selectorIN3c108BFloat16EEEZZNS1_9scan_implILNS1_25lookback_scan_determinismE0ELb0ELb0ES3_PKS6_PS6_S6_ZZZN2at6native31launch_logcumsumexp_cuda_kernelERKNSD_10TensorBaseESH_lENKUlvE_clEvENKUlvE4_clEvEUlS6_S6_E_S6_EEDaPvRmT3_T4_T5_mT6_P12ihipStream_tbENKUlT_T0_E_clISt17integral_constantIbLb1EESX_IbLb0EEEEDaST_SU_EUlST_E_NS1_11comp_targetILNS1_3genE5ELNS1_11target_archE942ELNS1_3gpuE9ELNS1_3repE0EEENS1_30default_config_static_selectorELNS0_4arch9wavefront6targetE1EEEvT1_
; %bb.0:
	.section	.rodata,"a",@progbits
	.p2align	6, 0x0
	.amdhsa_kernel _ZN7rocprim17ROCPRIM_400000_NS6detail17trampoline_kernelINS0_14default_configENS1_20scan_config_selectorIN3c108BFloat16EEEZZNS1_9scan_implILNS1_25lookback_scan_determinismE0ELb0ELb0ES3_PKS6_PS6_S6_ZZZN2at6native31launch_logcumsumexp_cuda_kernelERKNSD_10TensorBaseESH_lENKUlvE_clEvENKUlvE4_clEvEUlS6_S6_E_S6_EEDaPvRmT3_T4_T5_mT6_P12ihipStream_tbENKUlT_T0_E_clISt17integral_constantIbLb1EESX_IbLb0EEEEDaST_SU_EUlST_E_NS1_11comp_targetILNS1_3genE5ELNS1_11target_archE942ELNS1_3gpuE9ELNS1_3repE0EEENS1_30default_config_static_selectorELNS0_4arch9wavefront6targetE1EEEvT1_
		.amdhsa_group_segment_fixed_size 0
		.amdhsa_private_segment_fixed_size 0
		.amdhsa_kernarg_size 96
		.amdhsa_user_sgpr_count 2
		.amdhsa_user_sgpr_dispatch_ptr 0
		.amdhsa_user_sgpr_queue_ptr 0
		.amdhsa_user_sgpr_kernarg_segment_ptr 1
		.amdhsa_user_sgpr_dispatch_id 0
		.amdhsa_user_sgpr_kernarg_preload_length 0
		.amdhsa_user_sgpr_kernarg_preload_offset 0
		.amdhsa_user_sgpr_private_segment_size 0
		.amdhsa_uses_dynamic_stack 0
		.amdhsa_enable_private_segment 0
		.amdhsa_system_sgpr_workgroup_id_x 1
		.amdhsa_system_sgpr_workgroup_id_y 0
		.amdhsa_system_sgpr_workgroup_id_z 0
		.amdhsa_system_sgpr_workgroup_info 0
		.amdhsa_system_vgpr_workitem_id 0
		.amdhsa_next_free_vgpr 1
		.amdhsa_next_free_sgpr 0
		.amdhsa_accum_offset 4
		.amdhsa_reserve_vcc 0
		.amdhsa_float_round_mode_32 0
		.amdhsa_float_round_mode_16_64 0
		.amdhsa_float_denorm_mode_32 3
		.amdhsa_float_denorm_mode_16_64 3
		.amdhsa_dx10_clamp 1
		.amdhsa_ieee_mode 1
		.amdhsa_fp16_overflow 0
		.amdhsa_tg_split 0
		.amdhsa_exception_fp_ieee_invalid_op 0
		.amdhsa_exception_fp_denorm_src 0
		.amdhsa_exception_fp_ieee_div_zero 0
		.amdhsa_exception_fp_ieee_overflow 0
		.amdhsa_exception_fp_ieee_underflow 0
		.amdhsa_exception_fp_ieee_inexact 0
		.amdhsa_exception_int_div_zero 0
	.end_amdhsa_kernel
	.section	.text._ZN7rocprim17ROCPRIM_400000_NS6detail17trampoline_kernelINS0_14default_configENS1_20scan_config_selectorIN3c108BFloat16EEEZZNS1_9scan_implILNS1_25lookback_scan_determinismE0ELb0ELb0ES3_PKS6_PS6_S6_ZZZN2at6native31launch_logcumsumexp_cuda_kernelERKNSD_10TensorBaseESH_lENKUlvE_clEvENKUlvE4_clEvEUlS6_S6_E_S6_EEDaPvRmT3_T4_T5_mT6_P12ihipStream_tbENKUlT_T0_E_clISt17integral_constantIbLb1EESX_IbLb0EEEEDaST_SU_EUlST_E_NS1_11comp_targetILNS1_3genE5ELNS1_11target_archE942ELNS1_3gpuE9ELNS1_3repE0EEENS1_30default_config_static_selectorELNS0_4arch9wavefront6targetE1EEEvT1_,"axG",@progbits,_ZN7rocprim17ROCPRIM_400000_NS6detail17trampoline_kernelINS0_14default_configENS1_20scan_config_selectorIN3c108BFloat16EEEZZNS1_9scan_implILNS1_25lookback_scan_determinismE0ELb0ELb0ES3_PKS6_PS6_S6_ZZZN2at6native31launch_logcumsumexp_cuda_kernelERKNSD_10TensorBaseESH_lENKUlvE_clEvENKUlvE4_clEvEUlS6_S6_E_S6_EEDaPvRmT3_T4_T5_mT6_P12ihipStream_tbENKUlT_T0_E_clISt17integral_constantIbLb1EESX_IbLb0EEEEDaST_SU_EUlST_E_NS1_11comp_targetILNS1_3genE5ELNS1_11target_archE942ELNS1_3gpuE9ELNS1_3repE0EEENS1_30default_config_static_selectorELNS0_4arch9wavefront6targetE1EEEvT1_,comdat
.Lfunc_end485:
	.size	_ZN7rocprim17ROCPRIM_400000_NS6detail17trampoline_kernelINS0_14default_configENS1_20scan_config_selectorIN3c108BFloat16EEEZZNS1_9scan_implILNS1_25lookback_scan_determinismE0ELb0ELb0ES3_PKS6_PS6_S6_ZZZN2at6native31launch_logcumsumexp_cuda_kernelERKNSD_10TensorBaseESH_lENKUlvE_clEvENKUlvE4_clEvEUlS6_S6_E_S6_EEDaPvRmT3_T4_T5_mT6_P12ihipStream_tbENKUlT_T0_E_clISt17integral_constantIbLb1EESX_IbLb0EEEEDaST_SU_EUlST_E_NS1_11comp_targetILNS1_3genE5ELNS1_11target_archE942ELNS1_3gpuE9ELNS1_3repE0EEENS1_30default_config_static_selectorELNS0_4arch9wavefront6targetE1EEEvT1_, .Lfunc_end485-_ZN7rocprim17ROCPRIM_400000_NS6detail17trampoline_kernelINS0_14default_configENS1_20scan_config_selectorIN3c108BFloat16EEEZZNS1_9scan_implILNS1_25lookback_scan_determinismE0ELb0ELb0ES3_PKS6_PS6_S6_ZZZN2at6native31launch_logcumsumexp_cuda_kernelERKNSD_10TensorBaseESH_lENKUlvE_clEvENKUlvE4_clEvEUlS6_S6_E_S6_EEDaPvRmT3_T4_T5_mT6_P12ihipStream_tbENKUlT_T0_E_clISt17integral_constantIbLb1EESX_IbLb0EEEEDaST_SU_EUlST_E_NS1_11comp_targetILNS1_3genE5ELNS1_11target_archE942ELNS1_3gpuE9ELNS1_3repE0EEENS1_30default_config_static_selectorELNS0_4arch9wavefront6targetE1EEEvT1_
                                        ; -- End function
	.set _ZN7rocprim17ROCPRIM_400000_NS6detail17trampoline_kernelINS0_14default_configENS1_20scan_config_selectorIN3c108BFloat16EEEZZNS1_9scan_implILNS1_25lookback_scan_determinismE0ELb0ELb0ES3_PKS6_PS6_S6_ZZZN2at6native31launch_logcumsumexp_cuda_kernelERKNSD_10TensorBaseESH_lENKUlvE_clEvENKUlvE4_clEvEUlS6_S6_E_S6_EEDaPvRmT3_T4_T5_mT6_P12ihipStream_tbENKUlT_T0_E_clISt17integral_constantIbLb1EESX_IbLb0EEEEDaST_SU_EUlST_E_NS1_11comp_targetILNS1_3genE5ELNS1_11target_archE942ELNS1_3gpuE9ELNS1_3repE0EEENS1_30default_config_static_selectorELNS0_4arch9wavefront6targetE1EEEvT1_.num_vgpr, 0
	.set _ZN7rocprim17ROCPRIM_400000_NS6detail17trampoline_kernelINS0_14default_configENS1_20scan_config_selectorIN3c108BFloat16EEEZZNS1_9scan_implILNS1_25lookback_scan_determinismE0ELb0ELb0ES3_PKS6_PS6_S6_ZZZN2at6native31launch_logcumsumexp_cuda_kernelERKNSD_10TensorBaseESH_lENKUlvE_clEvENKUlvE4_clEvEUlS6_S6_E_S6_EEDaPvRmT3_T4_T5_mT6_P12ihipStream_tbENKUlT_T0_E_clISt17integral_constantIbLb1EESX_IbLb0EEEEDaST_SU_EUlST_E_NS1_11comp_targetILNS1_3genE5ELNS1_11target_archE942ELNS1_3gpuE9ELNS1_3repE0EEENS1_30default_config_static_selectorELNS0_4arch9wavefront6targetE1EEEvT1_.num_agpr, 0
	.set _ZN7rocprim17ROCPRIM_400000_NS6detail17trampoline_kernelINS0_14default_configENS1_20scan_config_selectorIN3c108BFloat16EEEZZNS1_9scan_implILNS1_25lookback_scan_determinismE0ELb0ELb0ES3_PKS6_PS6_S6_ZZZN2at6native31launch_logcumsumexp_cuda_kernelERKNSD_10TensorBaseESH_lENKUlvE_clEvENKUlvE4_clEvEUlS6_S6_E_S6_EEDaPvRmT3_T4_T5_mT6_P12ihipStream_tbENKUlT_T0_E_clISt17integral_constantIbLb1EESX_IbLb0EEEEDaST_SU_EUlST_E_NS1_11comp_targetILNS1_3genE5ELNS1_11target_archE942ELNS1_3gpuE9ELNS1_3repE0EEENS1_30default_config_static_selectorELNS0_4arch9wavefront6targetE1EEEvT1_.numbered_sgpr, 0
	.set _ZN7rocprim17ROCPRIM_400000_NS6detail17trampoline_kernelINS0_14default_configENS1_20scan_config_selectorIN3c108BFloat16EEEZZNS1_9scan_implILNS1_25lookback_scan_determinismE0ELb0ELb0ES3_PKS6_PS6_S6_ZZZN2at6native31launch_logcumsumexp_cuda_kernelERKNSD_10TensorBaseESH_lENKUlvE_clEvENKUlvE4_clEvEUlS6_S6_E_S6_EEDaPvRmT3_T4_T5_mT6_P12ihipStream_tbENKUlT_T0_E_clISt17integral_constantIbLb1EESX_IbLb0EEEEDaST_SU_EUlST_E_NS1_11comp_targetILNS1_3genE5ELNS1_11target_archE942ELNS1_3gpuE9ELNS1_3repE0EEENS1_30default_config_static_selectorELNS0_4arch9wavefront6targetE1EEEvT1_.num_named_barrier, 0
	.set _ZN7rocprim17ROCPRIM_400000_NS6detail17trampoline_kernelINS0_14default_configENS1_20scan_config_selectorIN3c108BFloat16EEEZZNS1_9scan_implILNS1_25lookback_scan_determinismE0ELb0ELb0ES3_PKS6_PS6_S6_ZZZN2at6native31launch_logcumsumexp_cuda_kernelERKNSD_10TensorBaseESH_lENKUlvE_clEvENKUlvE4_clEvEUlS6_S6_E_S6_EEDaPvRmT3_T4_T5_mT6_P12ihipStream_tbENKUlT_T0_E_clISt17integral_constantIbLb1EESX_IbLb0EEEEDaST_SU_EUlST_E_NS1_11comp_targetILNS1_3genE5ELNS1_11target_archE942ELNS1_3gpuE9ELNS1_3repE0EEENS1_30default_config_static_selectorELNS0_4arch9wavefront6targetE1EEEvT1_.private_seg_size, 0
	.set _ZN7rocprim17ROCPRIM_400000_NS6detail17trampoline_kernelINS0_14default_configENS1_20scan_config_selectorIN3c108BFloat16EEEZZNS1_9scan_implILNS1_25lookback_scan_determinismE0ELb0ELb0ES3_PKS6_PS6_S6_ZZZN2at6native31launch_logcumsumexp_cuda_kernelERKNSD_10TensorBaseESH_lENKUlvE_clEvENKUlvE4_clEvEUlS6_S6_E_S6_EEDaPvRmT3_T4_T5_mT6_P12ihipStream_tbENKUlT_T0_E_clISt17integral_constantIbLb1EESX_IbLb0EEEEDaST_SU_EUlST_E_NS1_11comp_targetILNS1_3genE5ELNS1_11target_archE942ELNS1_3gpuE9ELNS1_3repE0EEENS1_30default_config_static_selectorELNS0_4arch9wavefront6targetE1EEEvT1_.uses_vcc, 0
	.set _ZN7rocprim17ROCPRIM_400000_NS6detail17trampoline_kernelINS0_14default_configENS1_20scan_config_selectorIN3c108BFloat16EEEZZNS1_9scan_implILNS1_25lookback_scan_determinismE0ELb0ELb0ES3_PKS6_PS6_S6_ZZZN2at6native31launch_logcumsumexp_cuda_kernelERKNSD_10TensorBaseESH_lENKUlvE_clEvENKUlvE4_clEvEUlS6_S6_E_S6_EEDaPvRmT3_T4_T5_mT6_P12ihipStream_tbENKUlT_T0_E_clISt17integral_constantIbLb1EESX_IbLb0EEEEDaST_SU_EUlST_E_NS1_11comp_targetILNS1_3genE5ELNS1_11target_archE942ELNS1_3gpuE9ELNS1_3repE0EEENS1_30default_config_static_selectorELNS0_4arch9wavefront6targetE1EEEvT1_.uses_flat_scratch, 0
	.set _ZN7rocprim17ROCPRIM_400000_NS6detail17trampoline_kernelINS0_14default_configENS1_20scan_config_selectorIN3c108BFloat16EEEZZNS1_9scan_implILNS1_25lookback_scan_determinismE0ELb0ELb0ES3_PKS6_PS6_S6_ZZZN2at6native31launch_logcumsumexp_cuda_kernelERKNSD_10TensorBaseESH_lENKUlvE_clEvENKUlvE4_clEvEUlS6_S6_E_S6_EEDaPvRmT3_T4_T5_mT6_P12ihipStream_tbENKUlT_T0_E_clISt17integral_constantIbLb1EESX_IbLb0EEEEDaST_SU_EUlST_E_NS1_11comp_targetILNS1_3genE5ELNS1_11target_archE942ELNS1_3gpuE9ELNS1_3repE0EEENS1_30default_config_static_selectorELNS0_4arch9wavefront6targetE1EEEvT1_.has_dyn_sized_stack, 0
	.set _ZN7rocprim17ROCPRIM_400000_NS6detail17trampoline_kernelINS0_14default_configENS1_20scan_config_selectorIN3c108BFloat16EEEZZNS1_9scan_implILNS1_25lookback_scan_determinismE0ELb0ELb0ES3_PKS6_PS6_S6_ZZZN2at6native31launch_logcumsumexp_cuda_kernelERKNSD_10TensorBaseESH_lENKUlvE_clEvENKUlvE4_clEvEUlS6_S6_E_S6_EEDaPvRmT3_T4_T5_mT6_P12ihipStream_tbENKUlT_T0_E_clISt17integral_constantIbLb1EESX_IbLb0EEEEDaST_SU_EUlST_E_NS1_11comp_targetILNS1_3genE5ELNS1_11target_archE942ELNS1_3gpuE9ELNS1_3repE0EEENS1_30default_config_static_selectorELNS0_4arch9wavefront6targetE1EEEvT1_.has_recursion, 0
	.set _ZN7rocprim17ROCPRIM_400000_NS6detail17trampoline_kernelINS0_14default_configENS1_20scan_config_selectorIN3c108BFloat16EEEZZNS1_9scan_implILNS1_25lookback_scan_determinismE0ELb0ELb0ES3_PKS6_PS6_S6_ZZZN2at6native31launch_logcumsumexp_cuda_kernelERKNSD_10TensorBaseESH_lENKUlvE_clEvENKUlvE4_clEvEUlS6_S6_E_S6_EEDaPvRmT3_T4_T5_mT6_P12ihipStream_tbENKUlT_T0_E_clISt17integral_constantIbLb1EESX_IbLb0EEEEDaST_SU_EUlST_E_NS1_11comp_targetILNS1_3genE5ELNS1_11target_archE942ELNS1_3gpuE9ELNS1_3repE0EEENS1_30default_config_static_selectorELNS0_4arch9wavefront6targetE1EEEvT1_.has_indirect_call, 0
	.section	.AMDGPU.csdata,"",@progbits
; Kernel info:
; codeLenInByte = 0
; TotalNumSgprs: 6
; NumVgprs: 0
; NumAgprs: 0
; TotalNumVgprs: 0
; ScratchSize: 0
; MemoryBound: 0
; FloatMode: 240
; IeeeMode: 1
; LDSByteSize: 0 bytes/workgroup (compile time only)
; SGPRBlocks: 0
; VGPRBlocks: 0
; NumSGPRsForWavesPerEU: 6
; NumVGPRsForWavesPerEU: 1
; AccumOffset: 4
; Occupancy: 8
; WaveLimiterHint : 0
; COMPUTE_PGM_RSRC2:SCRATCH_EN: 0
; COMPUTE_PGM_RSRC2:USER_SGPR: 2
; COMPUTE_PGM_RSRC2:TRAP_HANDLER: 0
; COMPUTE_PGM_RSRC2:TGID_X_EN: 1
; COMPUTE_PGM_RSRC2:TGID_Y_EN: 0
; COMPUTE_PGM_RSRC2:TGID_Z_EN: 0
; COMPUTE_PGM_RSRC2:TIDIG_COMP_CNT: 0
; COMPUTE_PGM_RSRC3_GFX90A:ACCUM_OFFSET: 0
; COMPUTE_PGM_RSRC3_GFX90A:TG_SPLIT: 0
	.section	.text._ZN7rocprim17ROCPRIM_400000_NS6detail17trampoline_kernelINS0_14default_configENS1_20scan_config_selectorIN3c108BFloat16EEEZZNS1_9scan_implILNS1_25lookback_scan_determinismE0ELb0ELb0ES3_PKS6_PS6_S6_ZZZN2at6native31launch_logcumsumexp_cuda_kernelERKNSD_10TensorBaseESH_lENKUlvE_clEvENKUlvE4_clEvEUlS6_S6_E_S6_EEDaPvRmT3_T4_T5_mT6_P12ihipStream_tbENKUlT_T0_E_clISt17integral_constantIbLb1EESX_IbLb0EEEEDaST_SU_EUlST_E_NS1_11comp_targetILNS1_3genE4ELNS1_11target_archE910ELNS1_3gpuE8ELNS1_3repE0EEENS1_30default_config_static_selectorELNS0_4arch9wavefront6targetE1EEEvT1_,"axG",@progbits,_ZN7rocprim17ROCPRIM_400000_NS6detail17trampoline_kernelINS0_14default_configENS1_20scan_config_selectorIN3c108BFloat16EEEZZNS1_9scan_implILNS1_25lookback_scan_determinismE0ELb0ELb0ES3_PKS6_PS6_S6_ZZZN2at6native31launch_logcumsumexp_cuda_kernelERKNSD_10TensorBaseESH_lENKUlvE_clEvENKUlvE4_clEvEUlS6_S6_E_S6_EEDaPvRmT3_T4_T5_mT6_P12ihipStream_tbENKUlT_T0_E_clISt17integral_constantIbLb1EESX_IbLb0EEEEDaST_SU_EUlST_E_NS1_11comp_targetILNS1_3genE4ELNS1_11target_archE910ELNS1_3gpuE8ELNS1_3repE0EEENS1_30default_config_static_selectorELNS0_4arch9wavefront6targetE1EEEvT1_,comdat
	.globl	_ZN7rocprim17ROCPRIM_400000_NS6detail17trampoline_kernelINS0_14default_configENS1_20scan_config_selectorIN3c108BFloat16EEEZZNS1_9scan_implILNS1_25lookback_scan_determinismE0ELb0ELb0ES3_PKS6_PS6_S6_ZZZN2at6native31launch_logcumsumexp_cuda_kernelERKNSD_10TensorBaseESH_lENKUlvE_clEvENKUlvE4_clEvEUlS6_S6_E_S6_EEDaPvRmT3_T4_T5_mT6_P12ihipStream_tbENKUlT_T0_E_clISt17integral_constantIbLb1EESX_IbLb0EEEEDaST_SU_EUlST_E_NS1_11comp_targetILNS1_3genE4ELNS1_11target_archE910ELNS1_3gpuE8ELNS1_3repE0EEENS1_30default_config_static_selectorELNS0_4arch9wavefront6targetE1EEEvT1_ ; -- Begin function _ZN7rocprim17ROCPRIM_400000_NS6detail17trampoline_kernelINS0_14default_configENS1_20scan_config_selectorIN3c108BFloat16EEEZZNS1_9scan_implILNS1_25lookback_scan_determinismE0ELb0ELb0ES3_PKS6_PS6_S6_ZZZN2at6native31launch_logcumsumexp_cuda_kernelERKNSD_10TensorBaseESH_lENKUlvE_clEvENKUlvE4_clEvEUlS6_S6_E_S6_EEDaPvRmT3_T4_T5_mT6_P12ihipStream_tbENKUlT_T0_E_clISt17integral_constantIbLb1EESX_IbLb0EEEEDaST_SU_EUlST_E_NS1_11comp_targetILNS1_3genE4ELNS1_11target_archE910ELNS1_3gpuE8ELNS1_3repE0EEENS1_30default_config_static_selectorELNS0_4arch9wavefront6targetE1EEEvT1_
	.p2align	8
	.type	_ZN7rocprim17ROCPRIM_400000_NS6detail17trampoline_kernelINS0_14default_configENS1_20scan_config_selectorIN3c108BFloat16EEEZZNS1_9scan_implILNS1_25lookback_scan_determinismE0ELb0ELb0ES3_PKS6_PS6_S6_ZZZN2at6native31launch_logcumsumexp_cuda_kernelERKNSD_10TensorBaseESH_lENKUlvE_clEvENKUlvE4_clEvEUlS6_S6_E_S6_EEDaPvRmT3_T4_T5_mT6_P12ihipStream_tbENKUlT_T0_E_clISt17integral_constantIbLb1EESX_IbLb0EEEEDaST_SU_EUlST_E_NS1_11comp_targetILNS1_3genE4ELNS1_11target_archE910ELNS1_3gpuE8ELNS1_3repE0EEENS1_30default_config_static_selectorELNS0_4arch9wavefront6targetE1EEEvT1_,@function
_ZN7rocprim17ROCPRIM_400000_NS6detail17trampoline_kernelINS0_14default_configENS1_20scan_config_selectorIN3c108BFloat16EEEZZNS1_9scan_implILNS1_25lookback_scan_determinismE0ELb0ELb0ES3_PKS6_PS6_S6_ZZZN2at6native31launch_logcumsumexp_cuda_kernelERKNSD_10TensorBaseESH_lENKUlvE_clEvENKUlvE4_clEvEUlS6_S6_E_S6_EEDaPvRmT3_T4_T5_mT6_P12ihipStream_tbENKUlT_T0_E_clISt17integral_constantIbLb1EESX_IbLb0EEEEDaST_SU_EUlST_E_NS1_11comp_targetILNS1_3genE4ELNS1_11target_archE910ELNS1_3gpuE8ELNS1_3repE0EEENS1_30default_config_static_selectorELNS0_4arch9wavefront6targetE1EEEvT1_: ; @_ZN7rocprim17ROCPRIM_400000_NS6detail17trampoline_kernelINS0_14default_configENS1_20scan_config_selectorIN3c108BFloat16EEEZZNS1_9scan_implILNS1_25lookback_scan_determinismE0ELb0ELb0ES3_PKS6_PS6_S6_ZZZN2at6native31launch_logcumsumexp_cuda_kernelERKNSD_10TensorBaseESH_lENKUlvE_clEvENKUlvE4_clEvEUlS6_S6_E_S6_EEDaPvRmT3_T4_T5_mT6_P12ihipStream_tbENKUlT_T0_E_clISt17integral_constantIbLb1EESX_IbLb0EEEEDaST_SU_EUlST_E_NS1_11comp_targetILNS1_3genE4ELNS1_11target_archE910ELNS1_3gpuE8ELNS1_3repE0EEENS1_30default_config_static_selectorELNS0_4arch9wavefront6targetE1EEEvT1_
; %bb.0:
	.section	.rodata,"a",@progbits
	.p2align	6, 0x0
	.amdhsa_kernel _ZN7rocprim17ROCPRIM_400000_NS6detail17trampoline_kernelINS0_14default_configENS1_20scan_config_selectorIN3c108BFloat16EEEZZNS1_9scan_implILNS1_25lookback_scan_determinismE0ELb0ELb0ES3_PKS6_PS6_S6_ZZZN2at6native31launch_logcumsumexp_cuda_kernelERKNSD_10TensorBaseESH_lENKUlvE_clEvENKUlvE4_clEvEUlS6_S6_E_S6_EEDaPvRmT3_T4_T5_mT6_P12ihipStream_tbENKUlT_T0_E_clISt17integral_constantIbLb1EESX_IbLb0EEEEDaST_SU_EUlST_E_NS1_11comp_targetILNS1_3genE4ELNS1_11target_archE910ELNS1_3gpuE8ELNS1_3repE0EEENS1_30default_config_static_selectorELNS0_4arch9wavefront6targetE1EEEvT1_
		.amdhsa_group_segment_fixed_size 0
		.amdhsa_private_segment_fixed_size 0
		.amdhsa_kernarg_size 96
		.amdhsa_user_sgpr_count 2
		.amdhsa_user_sgpr_dispatch_ptr 0
		.amdhsa_user_sgpr_queue_ptr 0
		.amdhsa_user_sgpr_kernarg_segment_ptr 1
		.amdhsa_user_sgpr_dispatch_id 0
		.amdhsa_user_sgpr_kernarg_preload_length 0
		.amdhsa_user_sgpr_kernarg_preload_offset 0
		.amdhsa_user_sgpr_private_segment_size 0
		.amdhsa_uses_dynamic_stack 0
		.amdhsa_enable_private_segment 0
		.amdhsa_system_sgpr_workgroup_id_x 1
		.amdhsa_system_sgpr_workgroup_id_y 0
		.amdhsa_system_sgpr_workgroup_id_z 0
		.amdhsa_system_sgpr_workgroup_info 0
		.amdhsa_system_vgpr_workitem_id 0
		.amdhsa_next_free_vgpr 1
		.amdhsa_next_free_sgpr 0
		.amdhsa_accum_offset 4
		.amdhsa_reserve_vcc 0
		.amdhsa_float_round_mode_32 0
		.amdhsa_float_round_mode_16_64 0
		.amdhsa_float_denorm_mode_32 3
		.amdhsa_float_denorm_mode_16_64 3
		.amdhsa_dx10_clamp 1
		.amdhsa_ieee_mode 1
		.amdhsa_fp16_overflow 0
		.amdhsa_tg_split 0
		.amdhsa_exception_fp_ieee_invalid_op 0
		.amdhsa_exception_fp_denorm_src 0
		.amdhsa_exception_fp_ieee_div_zero 0
		.amdhsa_exception_fp_ieee_overflow 0
		.amdhsa_exception_fp_ieee_underflow 0
		.amdhsa_exception_fp_ieee_inexact 0
		.amdhsa_exception_int_div_zero 0
	.end_amdhsa_kernel
	.section	.text._ZN7rocprim17ROCPRIM_400000_NS6detail17trampoline_kernelINS0_14default_configENS1_20scan_config_selectorIN3c108BFloat16EEEZZNS1_9scan_implILNS1_25lookback_scan_determinismE0ELb0ELb0ES3_PKS6_PS6_S6_ZZZN2at6native31launch_logcumsumexp_cuda_kernelERKNSD_10TensorBaseESH_lENKUlvE_clEvENKUlvE4_clEvEUlS6_S6_E_S6_EEDaPvRmT3_T4_T5_mT6_P12ihipStream_tbENKUlT_T0_E_clISt17integral_constantIbLb1EESX_IbLb0EEEEDaST_SU_EUlST_E_NS1_11comp_targetILNS1_3genE4ELNS1_11target_archE910ELNS1_3gpuE8ELNS1_3repE0EEENS1_30default_config_static_selectorELNS0_4arch9wavefront6targetE1EEEvT1_,"axG",@progbits,_ZN7rocprim17ROCPRIM_400000_NS6detail17trampoline_kernelINS0_14default_configENS1_20scan_config_selectorIN3c108BFloat16EEEZZNS1_9scan_implILNS1_25lookback_scan_determinismE0ELb0ELb0ES3_PKS6_PS6_S6_ZZZN2at6native31launch_logcumsumexp_cuda_kernelERKNSD_10TensorBaseESH_lENKUlvE_clEvENKUlvE4_clEvEUlS6_S6_E_S6_EEDaPvRmT3_T4_T5_mT6_P12ihipStream_tbENKUlT_T0_E_clISt17integral_constantIbLb1EESX_IbLb0EEEEDaST_SU_EUlST_E_NS1_11comp_targetILNS1_3genE4ELNS1_11target_archE910ELNS1_3gpuE8ELNS1_3repE0EEENS1_30default_config_static_selectorELNS0_4arch9wavefront6targetE1EEEvT1_,comdat
.Lfunc_end486:
	.size	_ZN7rocprim17ROCPRIM_400000_NS6detail17trampoline_kernelINS0_14default_configENS1_20scan_config_selectorIN3c108BFloat16EEEZZNS1_9scan_implILNS1_25lookback_scan_determinismE0ELb0ELb0ES3_PKS6_PS6_S6_ZZZN2at6native31launch_logcumsumexp_cuda_kernelERKNSD_10TensorBaseESH_lENKUlvE_clEvENKUlvE4_clEvEUlS6_S6_E_S6_EEDaPvRmT3_T4_T5_mT6_P12ihipStream_tbENKUlT_T0_E_clISt17integral_constantIbLb1EESX_IbLb0EEEEDaST_SU_EUlST_E_NS1_11comp_targetILNS1_3genE4ELNS1_11target_archE910ELNS1_3gpuE8ELNS1_3repE0EEENS1_30default_config_static_selectorELNS0_4arch9wavefront6targetE1EEEvT1_, .Lfunc_end486-_ZN7rocprim17ROCPRIM_400000_NS6detail17trampoline_kernelINS0_14default_configENS1_20scan_config_selectorIN3c108BFloat16EEEZZNS1_9scan_implILNS1_25lookback_scan_determinismE0ELb0ELb0ES3_PKS6_PS6_S6_ZZZN2at6native31launch_logcumsumexp_cuda_kernelERKNSD_10TensorBaseESH_lENKUlvE_clEvENKUlvE4_clEvEUlS6_S6_E_S6_EEDaPvRmT3_T4_T5_mT6_P12ihipStream_tbENKUlT_T0_E_clISt17integral_constantIbLb1EESX_IbLb0EEEEDaST_SU_EUlST_E_NS1_11comp_targetILNS1_3genE4ELNS1_11target_archE910ELNS1_3gpuE8ELNS1_3repE0EEENS1_30default_config_static_selectorELNS0_4arch9wavefront6targetE1EEEvT1_
                                        ; -- End function
	.set _ZN7rocprim17ROCPRIM_400000_NS6detail17trampoline_kernelINS0_14default_configENS1_20scan_config_selectorIN3c108BFloat16EEEZZNS1_9scan_implILNS1_25lookback_scan_determinismE0ELb0ELb0ES3_PKS6_PS6_S6_ZZZN2at6native31launch_logcumsumexp_cuda_kernelERKNSD_10TensorBaseESH_lENKUlvE_clEvENKUlvE4_clEvEUlS6_S6_E_S6_EEDaPvRmT3_T4_T5_mT6_P12ihipStream_tbENKUlT_T0_E_clISt17integral_constantIbLb1EESX_IbLb0EEEEDaST_SU_EUlST_E_NS1_11comp_targetILNS1_3genE4ELNS1_11target_archE910ELNS1_3gpuE8ELNS1_3repE0EEENS1_30default_config_static_selectorELNS0_4arch9wavefront6targetE1EEEvT1_.num_vgpr, 0
	.set _ZN7rocprim17ROCPRIM_400000_NS6detail17trampoline_kernelINS0_14default_configENS1_20scan_config_selectorIN3c108BFloat16EEEZZNS1_9scan_implILNS1_25lookback_scan_determinismE0ELb0ELb0ES3_PKS6_PS6_S6_ZZZN2at6native31launch_logcumsumexp_cuda_kernelERKNSD_10TensorBaseESH_lENKUlvE_clEvENKUlvE4_clEvEUlS6_S6_E_S6_EEDaPvRmT3_T4_T5_mT6_P12ihipStream_tbENKUlT_T0_E_clISt17integral_constantIbLb1EESX_IbLb0EEEEDaST_SU_EUlST_E_NS1_11comp_targetILNS1_3genE4ELNS1_11target_archE910ELNS1_3gpuE8ELNS1_3repE0EEENS1_30default_config_static_selectorELNS0_4arch9wavefront6targetE1EEEvT1_.num_agpr, 0
	.set _ZN7rocprim17ROCPRIM_400000_NS6detail17trampoline_kernelINS0_14default_configENS1_20scan_config_selectorIN3c108BFloat16EEEZZNS1_9scan_implILNS1_25lookback_scan_determinismE0ELb0ELb0ES3_PKS6_PS6_S6_ZZZN2at6native31launch_logcumsumexp_cuda_kernelERKNSD_10TensorBaseESH_lENKUlvE_clEvENKUlvE4_clEvEUlS6_S6_E_S6_EEDaPvRmT3_T4_T5_mT6_P12ihipStream_tbENKUlT_T0_E_clISt17integral_constantIbLb1EESX_IbLb0EEEEDaST_SU_EUlST_E_NS1_11comp_targetILNS1_3genE4ELNS1_11target_archE910ELNS1_3gpuE8ELNS1_3repE0EEENS1_30default_config_static_selectorELNS0_4arch9wavefront6targetE1EEEvT1_.numbered_sgpr, 0
	.set _ZN7rocprim17ROCPRIM_400000_NS6detail17trampoline_kernelINS0_14default_configENS1_20scan_config_selectorIN3c108BFloat16EEEZZNS1_9scan_implILNS1_25lookback_scan_determinismE0ELb0ELb0ES3_PKS6_PS6_S6_ZZZN2at6native31launch_logcumsumexp_cuda_kernelERKNSD_10TensorBaseESH_lENKUlvE_clEvENKUlvE4_clEvEUlS6_S6_E_S6_EEDaPvRmT3_T4_T5_mT6_P12ihipStream_tbENKUlT_T0_E_clISt17integral_constantIbLb1EESX_IbLb0EEEEDaST_SU_EUlST_E_NS1_11comp_targetILNS1_3genE4ELNS1_11target_archE910ELNS1_3gpuE8ELNS1_3repE0EEENS1_30default_config_static_selectorELNS0_4arch9wavefront6targetE1EEEvT1_.num_named_barrier, 0
	.set _ZN7rocprim17ROCPRIM_400000_NS6detail17trampoline_kernelINS0_14default_configENS1_20scan_config_selectorIN3c108BFloat16EEEZZNS1_9scan_implILNS1_25lookback_scan_determinismE0ELb0ELb0ES3_PKS6_PS6_S6_ZZZN2at6native31launch_logcumsumexp_cuda_kernelERKNSD_10TensorBaseESH_lENKUlvE_clEvENKUlvE4_clEvEUlS6_S6_E_S6_EEDaPvRmT3_T4_T5_mT6_P12ihipStream_tbENKUlT_T0_E_clISt17integral_constantIbLb1EESX_IbLb0EEEEDaST_SU_EUlST_E_NS1_11comp_targetILNS1_3genE4ELNS1_11target_archE910ELNS1_3gpuE8ELNS1_3repE0EEENS1_30default_config_static_selectorELNS0_4arch9wavefront6targetE1EEEvT1_.private_seg_size, 0
	.set _ZN7rocprim17ROCPRIM_400000_NS6detail17trampoline_kernelINS0_14default_configENS1_20scan_config_selectorIN3c108BFloat16EEEZZNS1_9scan_implILNS1_25lookback_scan_determinismE0ELb0ELb0ES3_PKS6_PS6_S6_ZZZN2at6native31launch_logcumsumexp_cuda_kernelERKNSD_10TensorBaseESH_lENKUlvE_clEvENKUlvE4_clEvEUlS6_S6_E_S6_EEDaPvRmT3_T4_T5_mT6_P12ihipStream_tbENKUlT_T0_E_clISt17integral_constantIbLb1EESX_IbLb0EEEEDaST_SU_EUlST_E_NS1_11comp_targetILNS1_3genE4ELNS1_11target_archE910ELNS1_3gpuE8ELNS1_3repE0EEENS1_30default_config_static_selectorELNS0_4arch9wavefront6targetE1EEEvT1_.uses_vcc, 0
	.set _ZN7rocprim17ROCPRIM_400000_NS6detail17trampoline_kernelINS0_14default_configENS1_20scan_config_selectorIN3c108BFloat16EEEZZNS1_9scan_implILNS1_25lookback_scan_determinismE0ELb0ELb0ES3_PKS6_PS6_S6_ZZZN2at6native31launch_logcumsumexp_cuda_kernelERKNSD_10TensorBaseESH_lENKUlvE_clEvENKUlvE4_clEvEUlS6_S6_E_S6_EEDaPvRmT3_T4_T5_mT6_P12ihipStream_tbENKUlT_T0_E_clISt17integral_constantIbLb1EESX_IbLb0EEEEDaST_SU_EUlST_E_NS1_11comp_targetILNS1_3genE4ELNS1_11target_archE910ELNS1_3gpuE8ELNS1_3repE0EEENS1_30default_config_static_selectorELNS0_4arch9wavefront6targetE1EEEvT1_.uses_flat_scratch, 0
	.set _ZN7rocprim17ROCPRIM_400000_NS6detail17trampoline_kernelINS0_14default_configENS1_20scan_config_selectorIN3c108BFloat16EEEZZNS1_9scan_implILNS1_25lookback_scan_determinismE0ELb0ELb0ES3_PKS6_PS6_S6_ZZZN2at6native31launch_logcumsumexp_cuda_kernelERKNSD_10TensorBaseESH_lENKUlvE_clEvENKUlvE4_clEvEUlS6_S6_E_S6_EEDaPvRmT3_T4_T5_mT6_P12ihipStream_tbENKUlT_T0_E_clISt17integral_constantIbLb1EESX_IbLb0EEEEDaST_SU_EUlST_E_NS1_11comp_targetILNS1_3genE4ELNS1_11target_archE910ELNS1_3gpuE8ELNS1_3repE0EEENS1_30default_config_static_selectorELNS0_4arch9wavefront6targetE1EEEvT1_.has_dyn_sized_stack, 0
	.set _ZN7rocprim17ROCPRIM_400000_NS6detail17trampoline_kernelINS0_14default_configENS1_20scan_config_selectorIN3c108BFloat16EEEZZNS1_9scan_implILNS1_25lookback_scan_determinismE0ELb0ELb0ES3_PKS6_PS6_S6_ZZZN2at6native31launch_logcumsumexp_cuda_kernelERKNSD_10TensorBaseESH_lENKUlvE_clEvENKUlvE4_clEvEUlS6_S6_E_S6_EEDaPvRmT3_T4_T5_mT6_P12ihipStream_tbENKUlT_T0_E_clISt17integral_constantIbLb1EESX_IbLb0EEEEDaST_SU_EUlST_E_NS1_11comp_targetILNS1_3genE4ELNS1_11target_archE910ELNS1_3gpuE8ELNS1_3repE0EEENS1_30default_config_static_selectorELNS0_4arch9wavefront6targetE1EEEvT1_.has_recursion, 0
	.set _ZN7rocprim17ROCPRIM_400000_NS6detail17trampoline_kernelINS0_14default_configENS1_20scan_config_selectorIN3c108BFloat16EEEZZNS1_9scan_implILNS1_25lookback_scan_determinismE0ELb0ELb0ES3_PKS6_PS6_S6_ZZZN2at6native31launch_logcumsumexp_cuda_kernelERKNSD_10TensorBaseESH_lENKUlvE_clEvENKUlvE4_clEvEUlS6_S6_E_S6_EEDaPvRmT3_T4_T5_mT6_P12ihipStream_tbENKUlT_T0_E_clISt17integral_constantIbLb1EESX_IbLb0EEEEDaST_SU_EUlST_E_NS1_11comp_targetILNS1_3genE4ELNS1_11target_archE910ELNS1_3gpuE8ELNS1_3repE0EEENS1_30default_config_static_selectorELNS0_4arch9wavefront6targetE1EEEvT1_.has_indirect_call, 0
	.section	.AMDGPU.csdata,"",@progbits
; Kernel info:
; codeLenInByte = 0
; TotalNumSgprs: 6
; NumVgprs: 0
; NumAgprs: 0
; TotalNumVgprs: 0
; ScratchSize: 0
; MemoryBound: 0
; FloatMode: 240
; IeeeMode: 1
; LDSByteSize: 0 bytes/workgroup (compile time only)
; SGPRBlocks: 0
; VGPRBlocks: 0
; NumSGPRsForWavesPerEU: 6
; NumVGPRsForWavesPerEU: 1
; AccumOffset: 4
; Occupancy: 8
; WaveLimiterHint : 0
; COMPUTE_PGM_RSRC2:SCRATCH_EN: 0
; COMPUTE_PGM_RSRC2:USER_SGPR: 2
; COMPUTE_PGM_RSRC2:TRAP_HANDLER: 0
; COMPUTE_PGM_RSRC2:TGID_X_EN: 1
; COMPUTE_PGM_RSRC2:TGID_Y_EN: 0
; COMPUTE_PGM_RSRC2:TGID_Z_EN: 0
; COMPUTE_PGM_RSRC2:TIDIG_COMP_CNT: 0
; COMPUTE_PGM_RSRC3_GFX90A:ACCUM_OFFSET: 0
; COMPUTE_PGM_RSRC3_GFX90A:TG_SPLIT: 0
	.section	.text._ZN7rocprim17ROCPRIM_400000_NS6detail17trampoline_kernelINS0_14default_configENS1_20scan_config_selectorIN3c108BFloat16EEEZZNS1_9scan_implILNS1_25lookback_scan_determinismE0ELb0ELb0ES3_PKS6_PS6_S6_ZZZN2at6native31launch_logcumsumexp_cuda_kernelERKNSD_10TensorBaseESH_lENKUlvE_clEvENKUlvE4_clEvEUlS6_S6_E_S6_EEDaPvRmT3_T4_T5_mT6_P12ihipStream_tbENKUlT_T0_E_clISt17integral_constantIbLb1EESX_IbLb0EEEEDaST_SU_EUlST_E_NS1_11comp_targetILNS1_3genE3ELNS1_11target_archE908ELNS1_3gpuE7ELNS1_3repE0EEENS1_30default_config_static_selectorELNS0_4arch9wavefront6targetE1EEEvT1_,"axG",@progbits,_ZN7rocprim17ROCPRIM_400000_NS6detail17trampoline_kernelINS0_14default_configENS1_20scan_config_selectorIN3c108BFloat16EEEZZNS1_9scan_implILNS1_25lookback_scan_determinismE0ELb0ELb0ES3_PKS6_PS6_S6_ZZZN2at6native31launch_logcumsumexp_cuda_kernelERKNSD_10TensorBaseESH_lENKUlvE_clEvENKUlvE4_clEvEUlS6_S6_E_S6_EEDaPvRmT3_T4_T5_mT6_P12ihipStream_tbENKUlT_T0_E_clISt17integral_constantIbLb1EESX_IbLb0EEEEDaST_SU_EUlST_E_NS1_11comp_targetILNS1_3genE3ELNS1_11target_archE908ELNS1_3gpuE7ELNS1_3repE0EEENS1_30default_config_static_selectorELNS0_4arch9wavefront6targetE1EEEvT1_,comdat
	.globl	_ZN7rocprim17ROCPRIM_400000_NS6detail17trampoline_kernelINS0_14default_configENS1_20scan_config_selectorIN3c108BFloat16EEEZZNS1_9scan_implILNS1_25lookback_scan_determinismE0ELb0ELb0ES3_PKS6_PS6_S6_ZZZN2at6native31launch_logcumsumexp_cuda_kernelERKNSD_10TensorBaseESH_lENKUlvE_clEvENKUlvE4_clEvEUlS6_S6_E_S6_EEDaPvRmT3_T4_T5_mT6_P12ihipStream_tbENKUlT_T0_E_clISt17integral_constantIbLb1EESX_IbLb0EEEEDaST_SU_EUlST_E_NS1_11comp_targetILNS1_3genE3ELNS1_11target_archE908ELNS1_3gpuE7ELNS1_3repE0EEENS1_30default_config_static_selectorELNS0_4arch9wavefront6targetE1EEEvT1_ ; -- Begin function _ZN7rocprim17ROCPRIM_400000_NS6detail17trampoline_kernelINS0_14default_configENS1_20scan_config_selectorIN3c108BFloat16EEEZZNS1_9scan_implILNS1_25lookback_scan_determinismE0ELb0ELb0ES3_PKS6_PS6_S6_ZZZN2at6native31launch_logcumsumexp_cuda_kernelERKNSD_10TensorBaseESH_lENKUlvE_clEvENKUlvE4_clEvEUlS6_S6_E_S6_EEDaPvRmT3_T4_T5_mT6_P12ihipStream_tbENKUlT_T0_E_clISt17integral_constantIbLb1EESX_IbLb0EEEEDaST_SU_EUlST_E_NS1_11comp_targetILNS1_3genE3ELNS1_11target_archE908ELNS1_3gpuE7ELNS1_3repE0EEENS1_30default_config_static_selectorELNS0_4arch9wavefront6targetE1EEEvT1_
	.p2align	8
	.type	_ZN7rocprim17ROCPRIM_400000_NS6detail17trampoline_kernelINS0_14default_configENS1_20scan_config_selectorIN3c108BFloat16EEEZZNS1_9scan_implILNS1_25lookback_scan_determinismE0ELb0ELb0ES3_PKS6_PS6_S6_ZZZN2at6native31launch_logcumsumexp_cuda_kernelERKNSD_10TensorBaseESH_lENKUlvE_clEvENKUlvE4_clEvEUlS6_S6_E_S6_EEDaPvRmT3_T4_T5_mT6_P12ihipStream_tbENKUlT_T0_E_clISt17integral_constantIbLb1EESX_IbLb0EEEEDaST_SU_EUlST_E_NS1_11comp_targetILNS1_3genE3ELNS1_11target_archE908ELNS1_3gpuE7ELNS1_3repE0EEENS1_30default_config_static_selectorELNS0_4arch9wavefront6targetE1EEEvT1_,@function
_ZN7rocprim17ROCPRIM_400000_NS6detail17trampoline_kernelINS0_14default_configENS1_20scan_config_selectorIN3c108BFloat16EEEZZNS1_9scan_implILNS1_25lookback_scan_determinismE0ELb0ELb0ES3_PKS6_PS6_S6_ZZZN2at6native31launch_logcumsumexp_cuda_kernelERKNSD_10TensorBaseESH_lENKUlvE_clEvENKUlvE4_clEvEUlS6_S6_E_S6_EEDaPvRmT3_T4_T5_mT6_P12ihipStream_tbENKUlT_T0_E_clISt17integral_constantIbLb1EESX_IbLb0EEEEDaST_SU_EUlST_E_NS1_11comp_targetILNS1_3genE3ELNS1_11target_archE908ELNS1_3gpuE7ELNS1_3repE0EEENS1_30default_config_static_selectorELNS0_4arch9wavefront6targetE1EEEvT1_: ; @_ZN7rocprim17ROCPRIM_400000_NS6detail17trampoline_kernelINS0_14default_configENS1_20scan_config_selectorIN3c108BFloat16EEEZZNS1_9scan_implILNS1_25lookback_scan_determinismE0ELb0ELb0ES3_PKS6_PS6_S6_ZZZN2at6native31launch_logcumsumexp_cuda_kernelERKNSD_10TensorBaseESH_lENKUlvE_clEvENKUlvE4_clEvEUlS6_S6_E_S6_EEDaPvRmT3_T4_T5_mT6_P12ihipStream_tbENKUlT_T0_E_clISt17integral_constantIbLb1EESX_IbLb0EEEEDaST_SU_EUlST_E_NS1_11comp_targetILNS1_3genE3ELNS1_11target_archE908ELNS1_3gpuE7ELNS1_3repE0EEENS1_30default_config_static_selectorELNS0_4arch9wavefront6targetE1EEEvT1_
; %bb.0:
	.section	.rodata,"a",@progbits
	.p2align	6, 0x0
	.amdhsa_kernel _ZN7rocprim17ROCPRIM_400000_NS6detail17trampoline_kernelINS0_14default_configENS1_20scan_config_selectorIN3c108BFloat16EEEZZNS1_9scan_implILNS1_25lookback_scan_determinismE0ELb0ELb0ES3_PKS6_PS6_S6_ZZZN2at6native31launch_logcumsumexp_cuda_kernelERKNSD_10TensorBaseESH_lENKUlvE_clEvENKUlvE4_clEvEUlS6_S6_E_S6_EEDaPvRmT3_T4_T5_mT6_P12ihipStream_tbENKUlT_T0_E_clISt17integral_constantIbLb1EESX_IbLb0EEEEDaST_SU_EUlST_E_NS1_11comp_targetILNS1_3genE3ELNS1_11target_archE908ELNS1_3gpuE7ELNS1_3repE0EEENS1_30default_config_static_selectorELNS0_4arch9wavefront6targetE1EEEvT1_
		.amdhsa_group_segment_fixed_size 0
		.amdhsa_private_segment_fixed_size 0
		.amdhsa_kernarg_size 96
		.amdhsa_user_sgpr_count 2
		.amdhsa_user_sgpr_dispatch_ptr 0
		.amdhsa_user_sgpr_queue_ptr 0
		.amdhsa_user_sgpr_kernarg_segment_ptr 1
		.amdhsa_user_sgpr_dispatch_id 0
		.amdhsa_user_sgpr_kernarg_preload_length 0
		.amdhsa_user_sgpr_kernarg_preload_offset 0
		.amdhsa_user_sgpr_private_segment_size 0
		.amdhsa_uses_dynamic_stack 0
		.amdhsa_enable_private_segment 0
		.amdhsa_system_sgpr_workgroup_id_x 1
		.amdhsa_system_sgpr_workgroup_id_y 0
		.amdhsa_system_sgpr_workgroup_id_z 0
		.amdhsa_system_sgpr_workgroup_info 0
		.amdhsa_system_vgpr_workitem_id 0
		.amdhsa_next_free_vgpr 1
		.amdhsa_next_free_sgpr 0
		.amdhsa_accum_offset 4
		.amdhsa_reserve_vcc 0
		.amdhsa_float_round_mode_32 0
		.amdhsa_float_round_mode_16_64 0
		.amdhsa_float_denorm_mode_32 3
		.amdhsa_float_denorm_mode_16_64 3
		.amdhsa_dx10_clamp 1
		.amdhsa_ieee_mode 1
		.amdhsa_fp16_overflow 0
		.amdhsa_tg_split 0
		.amdhsa_exception_fp_ieee_invalid_op 0
		.amdhsa_exception_fp_denorm_src 0
		.amdhsa_exception_fp_ieee_div_zero 0
		.amdhsa_exception_fp_ieee_overflow 0
		.amdhsa_exception_fp_ieee_underflow 0
		.amdhsa_exception_fp_ieee_inexact 0
		.amdhsa_exception_int_div_zero 0
	.end_amdhsa_kernel
	.section	.text._ZN7rocprim17ROCPRIM_400000_NS6detail17trampoline_kernelINS0_14default_configENS1_20scan_config_selectorIN3c108BFloat16EEEZZNS1_9scan_implILNS1_25lookback_scan_determinismE0ELb0ELb0ES3_PKS6_PS6_S6_ZZZN2at6native31launch_logcumsumexp_cuda_kernelERKNSD_10TensorBaseESH_lENKUlvE_clEvENKUlvE4_clEvEUlS6_S6_E_S6_EEDaPvRmT3_T4_T5_mT6_P12ihipStream_tbENKUlT_T0_E_clISt17integral_constantIbLb1EESX_IbLb0EEEEDaST_SU_EUlST_E_NS1_11comp_targetILNS1_3genE3ELNS1_11target_archE908ELNS1_3gpuE7ELNS1_3repE0EEENS1_30default_config_static_selectorELNS0_4arch9wavefront6targetE1EEEvT1_,"axG",@progbits,_ZN7rocprim17ROCPRIM_400000_NS6detail17trampoline_kernelINS0_14default_configENS1_20scan_config_selectorIN3c108BFloat16EEEZZNS1_9scan_implILNS1_25lookback_scan_determinismE0ELb0ELb0ES3_PKS6_PS6_S6_ZZZN2at6native31launch_logcumsumexp_cuda_kernelERKNSD_10TensorBaseESH_lENKUlvE_clEvENKUlvE4_clEvEUlS6_S6_E_S6_EEDaPvRmT3_T4_T5_mT6_P12ihipStream_tbENKUlT_T0_E_clISt17integral_constantIbLb1EESX_IbLb0EEEEDaST_SU_EUlST_E_NS1_11comp_targetILNS1_3genE3ELNS1_11target_archE908ELNS1_3gpuE7ELNS1_3repE0EEENS1_30default_config_static_selectorELNS0_4arch9wavefront6targetE1EEEvT1_,comdat
.Lfunc_end487:
	.size	_ZN7rocprim17ROCPRIM_400000_NS6detail17trampoline_kernelINS0_14default_configENS1_20scan_config_selectorIN3c108BFloat16EEEZZNS1_9scan_implILNS1_25lookback_scan_determinismE0ELb0ELb0ES3_PKS6_PS6_S6_ZZZN2at6native31launch_logcumsumexp_cuda_kernelERKNSD_10TensorBaseESH_lENKUlvE_clEvENKUlvE4_clEvEUlS6_S6_E_S6_EEDaPvRmT3_T4_T5_mT6_P12ihipStream_tbENKUlT_T0_E_clISt17integral_constantIbLb1EESX_IbLb0EEEEDaST_SU_EUlST_E_NS1_11comp_targetILNS1_3genE3ELNS1_11target_archE908ELNS1_3gpuE7ELNS1_3repE0EEENS1_30default_config_static_selectorELNS0_4arch9wavefront6targetE1EEEvT1_, .Lfunc_end487-_ZN7rocprim17ROCPRIM_400000_NS6detail17trampoline_kernelINS0_14default_configENS1_20scan_config_selectorIN3c108BFloat16EEEZZNS1_9scan_implILNS1_25lookback_scan_determinismE0ELb0ELb0ES3_PKS6_PS6_S6_ZZZN2at6native31launch_logcumsumexp_cuda_kernelERKNSD_10TensorBaseESH_lENKUlvE_clEvENKUlvE4_clEvEUlS6_S6_E_S6_EEDaPvRmT3_T4_T5_mT6_P12ihipStream_tbENKUlT_T0_E_clISt17integral_constantIbLb1EESX_IbLb0EEEEDaST_SU_EUlST_E_NS1_11comp_targetILNS1_3genE3ELNS1_11target_archE908ELNS1_3gpuE7ELNS1_3repE0EEENS1_30default_config_static_selectorELNS0_4arch9wavefront6targetE1EEEvT1_
                                        ; -- End function
	.set _ZN7rocprim17ROCPRIM_400000_NS6detail17trampoline_kernelINS0_14default_configENS1_20scan_config_selectorIN3c108BFloat16EEEZZNS1_9scan_implILNS1_25lookback_scan_determinismE0ELb0ELb0ES3_PKS6_PS6_S6_ZZZN2at6native31launch_logcumsumexp_cuda_kernelERKNSD_10TensorBaseESH_lENKUlvE_clEvENKUlvE4_clEvEUlS6_S6_E_S6_EEDaPvRmT3_T4_T5_mT6_P12ihipStream_tbENKUlT_T0_E_clISt17integral_constantIbLb1EESX_IbLb0EEEEDaST_SU_EUlST_E_NS1_11comp_targetILNS1_3genE3ELNS1_11target_archE908ELNS1_3gpuE7ELNS1_3repE0EEENS1_30default_config_static_selectorELNS0_4arch9wavefront6targetE1EEEvT1_.num_vgpr, 0
	.set _ZN7rocprim17ROCPRIM_400000_NS6detail17trampoline_kernelINS0_14default_configENS1_20scan_config_selectorIN3c108BFloat16EEEZZNS1_9scan_implILNS1_25lookback_scan_determinismE0ELb0ELb0ES3_PKS6_PS6_S6_ZZZN2at6native31launch_logcumsumexp_cuda_kernelERKNSD_10TensorBaseESH_lENKUlvE_clEvENKUlvE4_clEvEUlS6_S6_E_S6_EEDaPvRmT3_T4_T5_mT6_P12ihipStream_tbENKUlT_T0_E_clISt17integral_constantIbLb1EESX_IbLb0EEEEDaST_SU_EUlST_E_NS1_11comp_targetILNS1_3genE3ELNS1_11target_archE908ELNS1_3gpuE7ELNS1_3repE0EEENS1_30default_config_static_selectorELNS0_4arch9wavefront6targetE1EEEvT1_.num_agpr, 0
	.set _ZN7rocprim17ROCPRIM_400000_NS6detail17trampoline_kernelINS0_14default_configENS1_20scan_config_selectorIN3c108BFloat16EEEZZNS1_9scan_implILNS1_25lookback_scan_determinismE0ELb0ELb0ES3_PKS6_PS6_S6_ZZZN2at6native31launch_logcumsumexp_cuda_kernelERKNSD_10TensorBaseESH_lENKUlvE_clEvENKUlvE4_clEvEUlS6_S6_E_S6_EEDaPvRmT3_T4_T5_mT6_P12ihipStream_tbENKUlT_T0_E_clISt17integral_constantIbLb1EESX_IbLb0EEEEDaST_SU_EUlST_E_NS1_11comp_targetILNS1_3genE3ELNS1_11target_archE908ELNS1_3gpuE7ELNS1_3repE0EEENS1_30default_config_static_selectorELNS0_4arch9wavefront6targetE1EEEvT1_.numbered_sgpr, 0
	.set _ZN7rocprim17ROCPRIM_400000_NS6detail17trampoline_kernelINS0_14default_configENS1_20scan_config_selectorIN3c108BFloat16EEEZZNS1_9scan_implILNS1_25lookback_scan_determinismE0ELb0ELb0ES3_PKS6_PS6_S6_ZZZN2at6native31launch_logcumsumexp_cuda_kernelERKNSD_10TensorBaseESH_lENKUlvE_clEvENKUlvE4_clEvEUlS6_S6_E_S6_EEDaPvRmT3_T4_T5_mT6_P12ihipStream_tbENKUlT_T0_E_clISt17integral_constantIbLb1EESX_IbLb0EEEEDaST_SU_EUlST_E_NS1_11comp_targetILNS1_3genE3ELNS1_11target_archE908ELNS1_3gpuE7ELNS1_3repE0EEENS1_30default_config_static_selectorELNS0_4arch9wavefront6targetE1EEEvT1_.num_named_barrier, 0
	.set _ZN7rocprim17ROCPRIM_400000_NS6detail17trampoline_kernelINS0_14default_configENS1_20scan_config_selectorIN3c108BFloat16EEEZZNS1_9scan_implILNS1_25lookback_scan_determinismE0ELb0ELb0ES3_PKS6_PS6_S6_ZZZN2at6native31launch_logcumsumexp_cuda_kernelERKNSD_10TensorBaseESH_lENKUlvE_clEvENKUlvE4_clEvEUlS6_S6_E_S6_EEDaPvRmT3_T4_T5_mT6_P12ihipStream_tbENKUlT_T0_E_clISt17integral_constantIbLb1EESX_IbLb0EEEEDaST_SU_EUlST_E_NS1_11comp_targetILNS1_3genE3ELNS1_11target_archE908ELNS1_3gpuE7ELNS1_3repE0EEENS1_30default_config_static_selectorELNS0_4arch9wavefront6targetE1EEEvT1_.private_seg_size, 0
	.set _ZN7rocprim17ROCPRIM_400000_NS6detail17trampoline_kernelINS0_14default_configENS1_20scan_config_selectorIN3c108BFloat16EEEZZNS1_9scan_implILNS1_25lookback_scan_determinismE0ELb0ELb0ES3_PKS6_PS6_S6_ZZZN2at6native31launch_logcumsumexp_cuda_kernelERKNSD_10TensorBaseESH_lENKUlvE_clEvENKUlvE4_clEvEUlS6_S6_E_S6_EEDaPvRmT3_T4_T5_mT6_P12ihipStream_tbENKUlT_T0_E_clISt17integral_constantIbLb1EESX_IbLb0EEEEDaST_SU_EUlST_E_NS1_11comp_targetILNS1_3genE3ELNS1_11target_archE908ELNS1_3gpuE7ELNS1_3repE0EEENS1_30default_config_static_selectorELNS0_4arch9wavefront6targetE1EEEvT1_.uses_vcc, 0
	.set _ZN7rocprim17ROCPRIM_400000_NS6detail17trampoline_kernelINS0_14default_configENS1_20scan_config_selectorIN3c108BFloat16EEEZZNS1_9scan_implILNS1_25lookback_scan_determinismE0ELb0ELb0ES3_PKS6_PS6_S6_ZZZN2at6native31launch_logcumsumexp_cuda_kernelERKNSD_10TensorBaseESH_lENKUlvE_clEvENKUlvE4_clEvEUlS6_S6_E_S6_EEDaPvRmT3_T4_T5_mT6_P12ihipStream_tbENKUlT_T0_E_clISt17integral_constantIbLb1EESX_IbLb0EEEEDaST_SU_EUlST_E_NS1_11comp_targetILNS1_3genE3ELNS1_11target_archE908ELNS1_3gpuE7ELNS1_3repE0EEENS1_30default_config_static_selectorELNS0_4arch9wavefront6targetE1EEEvT1_.uses_flat_scratch, 0
	.set _ZN7rocprim17ROCPRIM_400000_NS6detail17trampoline_kernelINS0_14default_configENS1_20scan_config_selectorIN3c108BFloat16EEEZZNS1_9scan_implILNS1_25lookback_scan_determinismE0ELb0ELb0ES3_PKS6_PS6_S6_ZZZN2at6native31launch_logcumsumexp_cuda_kernelERKNSD_10TensorBaseESH_lENKUlvE_clEvENKUlvE4_clEvEUlS6_S6_E_S6_EEDaPvRmT3_T4_T5_mT6_P12ihipStream_tbENKUlT_T0_E_clISt17integral_constantIbLb1EESX_IbLb0EEEEDaST_SU_EUlST_E_NS1_11comp_targetILNS1_3genE3ELNS1_11target_archE908ELNS1_3gpuE7ELNS1_3repE0EEENS1_30default_config_static_selectorELNS0_4arch9wavefront6targetE1EEEvT1_.has_dyn_sized_stack, 0
	.set _ZN7rocprim17ROCPRIM_400000_NS6detail17trampoline_kernelINS0_14default_configENS1_20scan_config_selectorIN3c108BFloat16EEEZZNS1_9scan_implILNS1_25lookback_scan_determinismE0ELb0ELb0ES3_PKS6_PS6_S6_ZZZN2at6native31launch_logcumsumexp_cuda_kernelERKNSD_10TensorBaseESH_lENKUlvE_clEvENKUlvE4_clEvEUlS6_S6_E_S6_EEDaPvRmT3_T4_T5_mT6_P12ihipStream_tbENKUlT_T0_E_clISt17integral_constantIbLb1EESX_IbLb0EEEEDaST_SU_EUlST_E_NS1_11comp_targetILNS1_3genE3ELNS1_11target_archE908ELNS1_3gpuE7ELNS1_3repE0EEENS1_30default_config_static_selectorELNS0_4arch9wavefront6targetE1EEEvT1_.has_recursion, 0
	.set _ZN7rocprim17ROCPRIM_400000_NS6detail17trampoline_kernelINS0_14default_configENS1_20scan_config_selectorIN3c108BFloat16EEEZZNS1_9scan_implILNS1_25lookback_scan_determinismE0ELb0ELb0ES3_PKS6_PS6_S6_ZZZN2at6native31launch_logcumsumexp_cuda_kernelERKNSD_10TensorBaseESH_lENKUlvE_clEvENKUlvE4_clEvEUlS6_S6_E_S6_EEDaPvRmT3_T4_T5_mT6_P12ihipStream_tbENKUlT_T0_E_clISt17integral_constantIbLb1EESX_IbLb0EEEEDaST_SU_EUlST_E_NS1_11comp_targetILNS1_3genE3ELNS1_11target_archE908ELNS1_3gpuE7ELNS1_3repE0EEENS1_30default_config_static_selectorELNS0_4arch9wavefront6targetE1EEEvT1_.has_indirect_call, 0
	.section	.AMDGPU.csdata,"",@progbits
; Kernel info:
; codeLenInByte = 0
; TotalNumSgprs: 6
; NumVgprs: 0
; NumAgprs: 0
; TotalNumVgprs: 0
; ScratchSize: 0
; MemoryBound: 0
; FloatMode: 240
; IeeeMode: 1
; LDSByteSize: 0 bytes/workgroup (compile time only)
; SGPRBlocks: 0
; VGPRBlocks: 0
; NumSGPRsForWavesPerEU: 6
; NumVGPRsForWavesPerEU: 1
; AccumOffset: 4
; Occupancy: 8
; WaveLimiterHint : 0
; COMPUTE_PGM_RSRC2:SCRATCH_EN: 0
; COMPUTE_PGM_RSRC2:USER_SGPR: 2
; COMPUTE_PGM_RSRC2:TRAP_HANDLER: 0
; COMPUTE_PGM_RSRC2:TGID_X_EN: 1
; COMPUTE_PGM_RSRC2:TGID_Y_EN: 0
; COMPUTE_PGM_RSRC2:TGID_Z_EN: 0
; COMPUTE_PGM_RSRC2:TIDIG_COMP_CNT: 0
; COMPUTE_PGM_RSRC3_GFX90A:ACCUM_OFFSET: 0
; COMPUTE_PGM_RSRC3_GFX90A:TG_SPLIT: 0
	.section	.text._ZN7rocprim17ROCPRIM_400000_NS6detail17trampoline_kernelINS0_14default_configENS1_20scan_config_selectorIN3c108BFloat16EEEZZNS1_9scan_implILNS1_25lookback_scan_determinismE0ELb0ELb0ES3_PKS6_PS6_S6_ZZZN2at6native31launch_logcumsumexp_cuda_kernelERKNSD_10TensorBaseESH_lENKUlvE_clEvENKUlvE4_clEvEUlS6_S6_E_S6_EEDaPvRmT3_T4_T5_mT6_P12ihipStream_tbENKUlT_T0_E_clISt17integral_constantIbLb1EESX_IbLb0EEEEDaST_SU_EUlST_E_NS1_11comp_targetILNS1_3genE2ELNS1_11target_archE906ELNS1_3gpuE6ELNS1_3repE0EEENS1_30default_config_static_selectorELNS0_4arch9wavefront6targetE1EEEvT1_,"axG",@progbits,_ZN7rocprim17ROCPRIM_400000_NS6detail17trampoline_kernelINS0_14default_configENS1_20scan_config_selectorIN3c108BFloat16EEEZZNS1_9scan_implILNS1_25lookback_scan_determinismE0ELb0ELb0ES3_PKS6_PS6_S6_ZZZN2at6native31launch_logcumsumexp_cuda_kernelERKNSD_10TensorBaseESH_lENKUlvE_clEvENKUlvE4_clEvEUlS6_S6_E_S6_EEDaPvRmT3_T4_T5_mT6_P12ihipStream_tbENKUlT_T0_E_clISt17integral_constantIbLb1EESX_IbLb0EEEEDaST_SU_EUlST_E_NS1_11comp_targetILNS1_3genE2ELNS1_11target_archE906ELNS1_3gpuE6ELNS1_3repE0EEENS1_30default_config_static_selectorELNS0_4arch9wavefront6targetE1EEEvT1_,comdat
	.globl	_ZN7rocprim17ROCPRIM_400000_NS6detail17trampoline_kernelINS0_14default_configENS1_20scan_config_selectorIN3c108BFloat16EEEZZNS1_9scan_implILNS1_25lookback_scan_determinismE0ELb0ELb0ES3_PKS6_PS6_S6_ZZZN2at6native31launch_logcumsumexp_cuda_kernelERKNSD_10TensorBaseESH_lENKUlvE_clEvENKUlvE4_clEvEUlS6_S6_E_S6_EEDaPvRmT3_T4_T5_mT6_P12ihipStream_tbENKUlT_T0_E_clISt17integral_constantIbLb1EESX_IbLb0EEEEDaST_SU_EUlST_E_NS1_11comp_targetILNS1_3genE2ELNS1_11target_archE906ELNS1_3gpuE6ELNS1_3repE0EEENS1_30default_config_static_selectorELNS0_4arch9wavefront6targetE1EEEvT1_ ; -- Begin function _ZN7rocprim17ROCPRIM_400000_NS6detail17trampoline_kernelINS0_14default_configENS1_20scan_config_selectorIN3c108BFloat16EEEZZNS1_9scan_implILNS1_25lookback_scan_determinismE0ELb0ELb0ES3_PKS6_PS6_S6_ZZZN2at6native31launch_logcumsumexp_cuda_kernelERKNSD_10TensorBaseESH_lENKUlvE_clEvENKUlvE4_clEvEUlS6_S6_E_S6_EEDaPvRmT3_T4_T5_mT6_P12ihipStream_tbENKUlT_T0_E_clISt17integral_constantIbLb1EESX_IbLb0EEEEDaST_SU_EUlST_E_NS1_11comp_targetILNS1_3genE2ELNS1_11target_archE906ELNS1_3gpuE6ELNS1_3repE0EEENS1_30default_config_static_selectorELNS0_4arch9wavefront6targetE1EEEvT1_
	.p2align	8
	.type	_ZN7rocprim17ROCPRIM_400000_NS6detail17trampoline_kernelINS0_14default_configENS1_20scan_config_selectorIN3c108BFloat16EEEZZNS1_9scan_implILNS1_25lookback_scan_determinismE0ELb0ELb0ES3_PKS6_PS6_S6_ZZZN2at6native31launch_logcumsumexp_cuda_kernelERKNSD_10TensorBaseESH_lENKUlvE_clEvENKUlvE4_clEvEUlS6_S6_E_S6_EEDaPvRmT3_T4_T5_mT6_P12ihipStream_tbENKUlT_T0_E_clISt17integral_constantIbLb1EESX_IbLb0EEEEDaST_SU_EUlST_E_NS1_11comp_targetILNS1_3genE2ELNS1_11target_archE906ELNS1_3gpuE6ELNS1_3repE0EEENS1_30default_config_static_selectorELNS0_4arch9wavefront6targetE1EEEvT1_,@function
_ZN7rocprim17ROCPRIM_400000_NS6detail17trampoline_kernelINS0_14default_configENS1_20scan_config_selectorIN3c108BFloat16EEEZZNS1_9scan_implILNS1_25lookback_scan_determinismE0ELb0ELb0ES3_PKS6_PS6_S6_ZZZN2at6native31launch_logcumsumexp_cuda_kernelERKNSD_10TensorBaseESH_lENKUlvE_clEvENKUlvE4_clEvEUlS6_S6_E_S6_EEDaPvRmT3_T4_T5_mT6_P12ihipStream_tbENKUlT_T0_E_clISt17integral_constantIbLb1EESX_IbLb0EEEEDaST_SU_EUlST_E_NS1_11comp_targetILNS1_3genE2ELNS1_11target_archE906ELNS1_3gpuE6ELNS1_3repE0EEENS1_30default_config_static_selectorELNS0_4arch9wavefront6targetE1EEEvT1_: ; @_ZN7rocprim17ROCPRIM_400000_NS6detail17trampoline_kernelINS0_14default_configENS1_20scan_config_selectorIN3c108BFloat16EEEZZNS1_9scan_implILNS1_25lookback_scan_determinismE0ELb0ELb0ES3_PKS6_PS6_S6_ZZZN2at6native31launch_logcumsumexp_cuda_kernelERKNSD_10TensorBaseESH_lENKUlvE_clEvENKUlvE4_clEvEUlS6_S6_E_S6_EEDaPvRmT3_T4_T5_mT6_P12ihipStream_tbENKUlT_T0_E_clISt17integral_constantIbLb1EESX_IbLb0EEEEDaST_SU_EUlST_E_NS1_11comp_targetILNS1_3genE2ELNS1_11target_archE906ELNS1_3gpuE6ELNS1_3repE0EEENS1_30default_config_static_selectorELNS0_4arch9wavefront6targetE1EEEvT1_
; %bb.0:
	.section	.rodata,"a",@progbits
	.p2align	6, 0x0
	.amdhsa_kernel _ZN7rocprim17ROCPRIM_400000_NS6detail17trampoline_kernelINS0_14default_configENS1_20scan_config_selectorIN3c108BFloat16EEEZZNS1_9scan_implILNS1_25lookback_scan_determinismE0ELb0ELb0ES3_PKS6_PS6_S6_ZZZN2at6native31launch_logcumsumexp_cuda_kernelERKNSD_10TensorBaseESH_lENKUlvE_clEvENKUlvE4_clEvEUlS6_S6_E_S6_EEDaPvRmT3_T4_T5_mT6_P12ihipStream_tbENKUlT_T0_E_clISt17integral_constantIbLb1EESX_IbLb0EEEEDaST_SU_EUlST_E_NS1_11comp_targetILNS1_3genE2ELNS1_11target_archE906ELNS1_3gpuE6ELNS1_3repE0EEENS1_30default_config_static_selectorELNS0_4arch9wavefront6targetE1EEEvT1_
		.amdhsa_group_segment_fixed_size 0
		.amdhsa_private_segment_fixed_size 0
		.amdhsa_kernarg_size 96
		.amdhsa_user_sgpr_count 2
		.amdhsa_user_sgpr_dispatch_ptr 0
		.amdhsa_user_sgpr_queue_ptr 0
		.amdhsa_user_sgpr_kernarg_segment_ptr 1
		.amdhsa_user_sgpr_dispatch_id 0
		.amdhsa_user_sgpr_kernarg_preload_length 0
		.amdhsa_user_sgpr_kernarg_preload_offset 0
		.amdhsa_user_sgpr_private_segment_size 0
		.amdhsa_uses_dynamic_stack 0
		.amdhsa_enable_private_segment 0
		.amdhsa_system_sgpr_workgroup_id_x 1
		.amdhsa_system_sgpr_workgroup_id_y 0
		.amdhsa_system_sgpr_workgroup_id_z 0
		.amdhsa_system_sgpr_workgroup_info 0
		.amdhsa_system_vgpr_workitem_id 0
		.amdhsa_next_free_vgpr 1
		.amdhsa_next_free_sgpr 0
		.amdhsa_accum_offset 4
		.amdhsa_reserve_vcc 0
		.amdhsa_float_round_mode_32 0
		.amdhsa_float_round_mode_16_64 0
		.amdhsa_float_denorm_mode_32 3
		.amdhsa_float_denorm_mode_16_64 3
		.amdhsa_dx10_clamp 1
		.amdhsa_ieee_mode 1
		.amdhsa_fp16_overflow 0
		.amdhsa_tg_split 0
		.amdhsa_exception_fp_ieee_invalid_op 0
		.amdhsa_exception_fp_denorm_src 0
		.amdhsa_exception_fp_ieee_div_zero 0
		.amdhsa_exception_fp_ieee_overflow 0
		.amdhsa_exception_fp_ieee_underflow 0
		.amdhsa_exception_fp_ieee_inexact 0
		.amdhsa_exception_int_div_zero 0
	.end_amdhsa_kernel
	.section	.text._ZN7rocprim17ROCPRIM_400000_NS6detail17trampoline_kernelINS0_14default_configENS1_20scan_config_selectorIN3c108BFloat16EEEZZNS1_9scan_implILNS1_25lookback_scan_determinismE0ELb0ELb0ES3_PKS6_PS6_S6_ZZZN2at6native31launch_logcumsumexp_cuda_kernelERKNSD_10TensorBaseESH_lENKUlvE_clEvENKUlvE4_clEvEUlS6_S6_E_S6_EEDaPvRmT3_T4_T5_mT6_P12ihipStream_tbENKUlT_T0_E_clISt17integral_constantIbLb1EESX_IbLb0EEEEDaST_SU_EUlST_E_NS1_11comp_targetILNS1_3genE2ELNS1_11target_archE906ELNS1_3gpuE6ELNS1_3repE0EEENS1_30default_config_static_selectorELNS0_4arch9wavefront6targetE1EEEvT1_,"axG",@progbits,_ZN7rocprim17ROCPRIM_400000_NS6detail17trampoline_kernelINS0_14default_configENS1_20scan_config_selectorIN3c108BFloat16EEEZZNS1_9scan_implILNS1_25lookback_scan_determinismE0ELb0ELb0ES3_PKS6_PS6_S6_ZZZN2at6native31launch_logcumsumexp_cuda_kernelERKNSD_10TensorBaseESH_lENKUlvE_clEvENKUlvE4_clEvEUlS6_S6_E_S6_EEDaPvRmT3_T4_T5_mT6_P12ihipStream_tbENKUlT_T0_E_clISt17integral_constantIbLb1EESX_IbLb0EEEEDaST_SU_EUlST_E_NS1_11comp_targetILNS1_3genE2ELNS1_11target_archE906ELNS1_3gpuE6ELNS1_3repE0EEENS1_30default_config_static_selectorELNS0_4arch9wavefront6targetE1EEEvT1_,comdat
.Lfunc_end488:
	.size	_ZN7rocprim17ROCPRIM_400000_NS6detail17trampoline_kernelINS0_14default_configENS1_20scan_config_selectorIN3c108BFloat16EEEZZNS1_9scan_implILNS1_25lookback_scan_determinismE0ELb0ELb0ES3_PKS6_PS6_S6_ZZZN2at6native31launch_logcumsumexp_cuda_kernelERKNSD_10TensorBaseESH_lENKUlvE_clEvENKUlvE4_clEvEUlS6_S6_E_S6_EEDaPvRmT3_T4_T5_mT6_P12ihipStream_tbENKUlT_T0_E_clISt17integral_constantIbLb1EESX_IbLb0EEEEDaST_SU_EUlST_E_NS1_11comp_targetILNS1_3genE2ELNS1_11target_archE906ELNS1_3gpuE6ELNS1_3repE0EEENS1_30default_config_static_selectorELNS0_4arch9wavefront6targetE1EEEvT1_, .Lfunc_end488-_ZN7rocprim17ROCPRIM_400000_NS6detail17trampoline_kernelINS0_14default_configENS1_20scan_config_selectorIN3c108BFloat16EEEZZNS1_9scan_implILNS1_25lookback_scan_determinismE0ELb0ELb0ES3_PKS6_PS6_S6_ZZZN2at6native31launch_logcumsumexp_cuda_kernelERKNSD_10TensorBaseESH_lENKUlvE_clEvENKUlvE4_clEvEUlS6_S6_E_S6_EEDaPvRmT3_T4_T5_mT6_P12ihipStream_tbENKUlT_T0_E_clISt17integral_constantIbLb1EESX_IbLb0EEEEDaST_SU_EUlST_E_NS1_11comp_targetILNS1_3genE2ELNS1_11target_archE906ELNS1_3gpuE6ELNS1_3repE0EEENS1_30default_config_static_selectorELNS0_4arch9wavefront6targetE1EEEvT1_
                                        ; -- End function
	.set _ZN7rocprim17ROCPRIM_400000_NS6detail17trampoline_kernelINS0_14default_configENS1_20scan_config_selectorIN3c108BFloat16EEEZZNS1_9scan_implILNS1_25lookback_scan_determinismE0ELb0ELb0ES3_PKS6_PS6_S6_ZZZN2at6native31launch_logcumsumexp_cuda_kernelERKNSD_10TensorBaseESH_lENKUlvE_clEvENKUlvE4_clEvEUlS6_S6_E_S6_EEDaPvRmT3_T4_T5_mT6_P12ihipStream_tbENKUlT_T0_E_clISt17integral_constantIbLb1EESX_IbLb0EEEEDaST_SU_EUlST_E_NS1_11comp_targetILNS1_3genE2ELNS1_11target_archE906ELNS1_3gpuE6ELNS1_3repE0EEENS1_30default_config_static_selectorELNS0_4arch9wavefront6targetE1EEEvT1_.num_vgpr, 0
	.set _ZN7rocprim17ROCPRIM_400000_NS6detail17trampoline_kernelINS0_14default_configENS1_20scan_config_selectorIN3c108BFloat16EEEZZNS1_9scan_implILNS1_25lookback_scan_determinismE0ELb0ELb0ES3_PKS6_PS6_S6_ZZZN2at6native31launch_logcumsumexp_cuda_kernelERKNSD_10TensorBaseESH_lENKUlvE_clEvENKUlvE4_clEvEUlS6_S6_E_S6_EEDaPvRmT3_T4_T5_mT6_P12ihipStream_tbENKUlT_T0_E_clISt17integral_constantIbLb1EESX_IbLb0EEEEDaST_SU_EUlST_E_NS1_11comp_targetILNS1_3genE2ELNS1_11target_archE906ELNS1_3gpuE6ELNS1_3repE0EEENS1_30default_config_static_selectorELNS0_4arch9wavefront6targetE1EEEvT1_.num_agpr, 0
	.set _ZN7rocprim17ROCPRIM_400000_NS6detail17trampoline_kernelINS0_14default_configENS1_20scan_config_selectorIN3c108BFloat16EEEZZNS1_9scan_implILNS1_25lookback_scan_determinismE0ELb0ELb0ES3_PKS6_PS6_S6_ZZZN2at6native31launch_logcumsumexp_cuda_kernelERKNSD_10TensorBaseESH_lENKUlvE_clEvENKUlvE4_clEvEUlS6_S6_E_S6_EEDaPvRmT3_T4_T5_mT6_P12ihipStream_tbENKUlT_T0_E_clISt17integral_constantIbLb1EESX_IbLb0EEEEDaST_SU_EUlST_E_NS1_11comp_targetILNS1_3genE2ELNS1_11target_archE906ELNS1_3gpuE6ELNS1_3repE0EEENS1_30default_config_static_selectorELNS0_4arch9wavefront6targetE1EEEvT1_.numbered_sgpr, 0
	.set _ZN7rocprim17ROCPRIM_400000_NS6detail17trampoline_kernelINS0_14default_configENS1_20scan_config_selectorIN3c108BFloat16EEEZZNS1_9scan_implILNS1_25lookback_scan_determinismE0ELb0ELb0ES3_PKS6_PS6_S6_ZZZN2at6native31launch_logcumsumexp_cuda_kernelERKNSD_10TensorBaseESH_lENKUlvE_clEvENKUlvE4_clEvEUlS6_S6_E_S6_EEDaPvRmT3_T4_T5_mT6_P12ihipStream_tbENKUlT_T0_E_clISt17integral_constantIbLb1EESX_IbLb0EEEEDaST_SU_EUlST_E_NS1_11comp_targetILNS1_3genE2ELNS1_11target_archE906ELNS1_3gpuE6ELNS1_3repE0EEENS1_30default_config_static_selectorELNS0_4arch9wavefront6targetE1EEEvT1_.num_named_barrier, 0
	.set _ZN7rocprim17ROCPRIM_400000_NS6detail17trampoline_kernelINS0_14default_configENS1_20scan_config_selectorIN3c108BFloat16EEEZZNS1_9scan_implILNS1_25lookback_scan_determinismE0ELb0ELb0ES3_PKS6_PS6_S6_ZZZN2at6native31launch_logcumsumexp_cuda_kernelERKNSD_10TensorBaseESH_lENKUlvE_clEvENKUlvE4_clEvEUlS6_S6_E_S6_EEDaPvRmT3_T4_T5_mT6_P12ihipStream_tbENKUlT_T0_E_clISt17integral_constantIbLb1EESX_IbLb0EEEEDaST_SU_EUlST_E_NS1_11comp_targetILNS1_3genE2ELNS1_11target_archE906ELNS1_3gpuE6ELNS1_3repE0EEENS1_30default_config_static_selectorELNS0_4arch9wavefront6targetE1EEEvT1_.private_seg_size, 0
	.set _ZN7rocprim17ROCPRIM_400000_NS6detail17trampoline_kernelINS0_14default_configENS1_20scan_config_selectorIN3c108BFloat16EEEZZNS1_9scan_implILNS1_25lookback_scan_determinismE0ELb0ELb0ES3_PKS6_PS6_S6_ZZZN2at6native31launch_logcumsumexp_cuda_kernelERKNSD_10TensorBaseESH_lENKUlvE_clEvENKUlvE4_clEvEUlS6_S6_E_S6_EEDaPvRmT3_T4_T5_mT6_P12ihipStream_tbENKUlT_T0_E_clISt17integral_constantIbLb1EESX_IbLb0EEEEDaST_SU_EUlST_E_NS1_11comp_targetILNS1_3genE2ELNS1_11target_archE906ELNS1_3gpuE6ELNS1_3repE0EEENS1_30default_config_static_selectorELNS0_4arch9wavefront6targetE1EEEvT1_.uses_vcc, 0
	.set _ZN7rocprim17ROCPRIM_400000_NS6detail17trampoline_kernelINS0_14default_configENS1_20scan_config_selectorIN3c108BFloat16EEEZZNS1_9scan_implILNS1_25lookback_scan_determinismE0ELb0ELb0ES3_PKS6_PS6_S6_ZZZN2at6native31launch_logcumsumexp_cuda_kernelERKNSD_10TensorBaseESH_lENKUlvE_clEvENKUlvE4_clEvEUlS6_S6_E_S6_EEDaPvRmT3_T4_T5_mT6_P12ihipStream_tbENKUlT_T0_E_clISt17integral_constantIbLb1EESX_IbLb0EEEEDaST_SU_EUlST_E_NS1_11comp_targetILNS1_3genE2ELNS1_11target_archE906ELNS1_3gpuE6ELNS1_3repE0EEENS1_30default_config_static_selectorELNS0_4arch9wavefront6targetE1EEEvT1_.uses_flat_scratch, 0
	.set _ZN7rocprim17ROCPRIM_400000_NS6detail17trampoline_kernelINS0_14default_configENS1_20scan_config_selectorIN3c108BFloat16EEEZZNS1_9scan_implILNS1_25lookback_scan_determinismE0ELb0ELb0ES3_PKS6_PS6_S6_ZZZN2at6native31launch_logcumsumexp_cuda_kernelERKNSD_10TensorBaseESH_lENKUlvE_clEvENKUlvE4_clEvEUlS6_S6_E_S6_EEDaPvRmT3_T4_T5_mT6_P12ihipStream_tbENKUlT_T0_E_clISt17integral_constantIbLb1EESX_IbLb0EEEEDaST_SU_EUlST_E_NS1_11comp_targetILNS1_3genE2ELNS1_11target_archE906ELNS1_3gpuE6ELNS1_3repE0EEENS1_30default_config_static_selectorELNS0_4arch9wavefront6targetE1EEEvT1_.has_dyn_sized_stack, 0
	.set _ZN7rocprim17ROCPRIM_400000_NS6detail17trampoline_kernelINS0_14default_configENS1_20scan_config_selectorIN3c108BFloat16EEEZZNS1_9scan_implILNS1_25lookback_scan_determinismE0ELb0ELb0ES3_PKS6_PS6_S6_ZZZN2at6native31launch_logcumsumexp_cuda_kernelERKNSD_10TensorBaseESH_lENKUlvE_clEvENKUlvE4_clEvEUlS6_S6_E_S6_EEDaPvRmT3_T4_T5_mT6_P12ihipStream_tbENKUlT_T0_E_clISt17integral_constantIbLb1EESX_IbLb0EEEEDaST_SU_EUlST_E_NS1_11comp_targetILNS1_3genE2ELNS1_11target_archE906ELNS1_3gpuE6ELNS1_3repE0EEENS1_30default_config_static_selectorELNS0_4arch9wavefront6targetE1EEEvT1_.has_recursion, 0
	.set _ZN7rocprim17ROCPRIM_400000_NS6detail17trampoline_kernelINS0_14default_configENS1_20scan_config_selectorIN3c108BFloat16EEEZZNS1_9scan_implILNS1_25lookback_scan_determinismE0ELb0ELb0ES3_PKS6_PS6_S6_ZZZN2at6native31launch_logcumsumexp_cuda_kernelERKNSD_10TensorBaseESH_lENKUlvE_clEvENKUlvE4_clEvEUlS6_S6_E_S6_EEDaPvRmT3_T4_T5_mT6_P12ihipStream_tbENKUlT_T0_E_clISt17integral_constantIbLb1EESX_IbLb0EEEEDaST_SU_EUlST_E_NS1_11comp_targetILNS1_3genE2ELNS1_11target_archE906ELNS1_3gpuE6ELNS1_3repE0EEENS1_30default_config_static_selectorELNS0_4arch9wavefront6targetE1EEEvT1_.has_indirect_call, 0
	.section	.AMDGPU.csdata,"",@progbits
; Kernel info:
; codeLenInByte = 0
; TotalNumSgprs: 6
; NumVgprs: 0
; NumAgprs: 0
; TotalNumVgprs: 0
; ScratchSize: 0
; MemoryBound: 0
; FloatMode: 240
; IeeeMode: 1
; LDSByteSize: 0 bytes/workgroup (compile time only)
; SGPRBlocks: 0
; VGPRBlocks: 0
; NumSGPRsForWavesPerEU: 6
; NumVGPRsForWavesPerEU: 1
; AccumOffset: 4
; Occupancy: 8
; WaveLimiterHint : 0
; COMPUTE_PGM_RSRC2:SCRATCH_EN: 0
; COMPUTE_PGM_RSRC2:USER_SGPR: 2
; COMPUTE_PGM_RSRC2:TRAP_HANDLER: 0
; COMPUTE_PGM_RSRC2:TGID_X_EN: 1
; COMPUTE_PGM_RSRC2:TGID_Y_EN: 0
; COMPUTE_PGM_RSRC2:TGID_Z_EN: 0
; COMPUTE_PGM_RSRC2:TIDIG_COMP_CNT: 0
; COMPUTE_PGM_RSRC3_GFX90A:ACCUM_OFFSET: 0
; COMPUTE_PGM_RSRC3_GFX90A:TG_SPLIT: 0
	.section	.text._ZN7rocprim17ROCPRIM_400000_NS6detail17trampoline_kernelINS0_14default_configENS1_20scan_config_selectorIN3c108BFloat16EEEZZNS1_9scan_implILNS1_25lookback_scan_determinismE0ELb0ELb0ES3_PKS6_PS6_S6_ZZZN2at6native31launch_logcumsumexp_cuda_kernelERKNSD_10TensorBaseESH_lENKUlvE_clEvENKUlvE4_clEvEUlS6_S6_E_S6_EEDaPvRmT3_T4_T5_mT6_P12ihipStream_tbENKUlT_T0_E_clISt17integral_constantIbLb1EESX_IbLb0EEEEDaST_SU_EUlST_E_NS1_11comp_targetILNS1_3genE10ELNS1_11target_archE1201ELNS1_3gpuE5ELNS1_3repE0EEENS1_30default_config_static_selectorELNS0_4arch9wavefront6targetE1EEEvT1_,"axG",@progbits,_ZN7rocprim17ROCPRIM_400000_NS6detail17trampoline_kernelINS0_14default_configENS1_20scan_config_selectorIN3c108BFloat16EEEZZNS1_9scan_implILNS1_25lookback_scan_determinismE0ELb0ELb0ES3_PKS6_PS6_S6_ZZZN2at6native31launch_logcumsumexp_cuda_kernelERKNSD_10TensorBaseESH_lENKUlvE_clEvENKUlvE4_clEvEUlS6_S6_E_S6_EEDaPvRmT3_T4_T5_mT6_P12ihipStream_tbENKUlT_T0_E_clISt17integral_constantIbLb1EESX_IbLb0EEEEDaST_SU_EUlST_E_NS1_11comp_targetILNS1_3genE10ELNS1_11target_archE1201ELNS1_3gpuE5ELNS1_3repE0EEENS1_30default_config_static_selectorELNS0_4arch9wavefront6targetE1EEEvT1_,comdat
	.globl	_ZN7rocprim17ROCPRIM_400000_NS6detail17trampoline_kernelINS0_14default_configENS1_20scan_config_selectorIN3c108BFloat16EEEZZNS1_9scan_implILNS1_25lookback_scan_determinismE0ELb0ELb0ES3_PKS6_PS6_S6_ZZZN2at6native31launch_logcumsumexp_cuda_kernelERKNSD_10TensorBaseESH_lENKUlvE_clEvENKUlvE4_clEvEUlS6_S6_E_S6_EEDaPvRmT3_T4_T5_mT6_P12ihipStream_tbENKUlT_T0_E_clISt17integral_constantIbLb1EESX_IbLb0EEEEDaST_SU_EUlST_E_NS1_11comp_targetILNS1_3genE10ELNS1_11target_archE1201ELNS1_3gpuE5ELNS1_3repE0EEENS1_30default_config_static_selectorELNS0_4arch9wavefront6targetE1EEEvT1_ ; -- Begin function _ZN7rocprim17ROCPRIM_400000_NS6detail17trampoline_kernelINS0_14default_configENS1_20scan_config_selectorIN3c108BFloat16EEEZZNS1_9scan_implILNS1_25lookback_scan_determinismE0ELb0ELb0ES3_PKS6_PS6_S6_ZZZN2at6native31launch_logcumsumexp_cuda_kernelERKNSD_10TensorBaseESH_lENKUlvE_clEvENKUlvE4_clEvEUlS6_S6_E_S6_EEDaPvRmT3_T4_T5_mT6_P12ihipStream_tbENKUlT_T0_E_clISt17integral_constantIbLb1EESX_IbLb0EEEEDaST_SU_EUlST_E_NS1_11comp_targetILNS1_3genE10ELNS1_11target_archE1201ELNS1_3gpuE5ELNS1_3repE0EEENS1_30default_config_static_selectorELNS0_4arch9wavefront6targetE1EEEvT1_
	.p2align	8
	.type	_ZN7rocprim17ROCPRIM_400000_NS6detail17trampoline_kernelINS0_14default_configENS1_20scan_config_selectorIN3c108BFloat16EEEZZNS1_9scan_implILNS1_25lookback_scan_determinismE0ELb0ELb0ES3_PKS6_PS6_S6_ZZZN2at6native31launch_logcumsumexp_cuda_kernelERKNSD_10TensorBaseESH_lENKUlvE_clEvENKUlvE4_clEvEUlS6_S6_E_S6_EEDaPvRmT3_T4_T5_mT6_P12ihipStream_tbENKUlT_T0_E_clISt17integral_constantIbLb1EESX_IbLb0EEEEDaST_SU_EUlST_E_NS1_11comp_targetILNS1_3genE10ELNS1_11target_archE1201ELNS1_3gpuE5ELNS1_3repE0EEENS1_30default_config_static_selectorELNS0_4arch9wavefront6targetE1EEEvT1_,@function
_ZN7rocprim17ROCPRIM_400000_NS6detail17trampoline_kernelINS0_14default_configENS1_20scan_config_selectorIN3c108BFloat16EEEZZNS1_9scan_implILNS1_25lookback_scan_determinismE0ELb0ELb0ES3_PKS6_PS6_S6_ZZZN2at6native31launch_logcumsumexp_cuda_kernelERKNSD_10TensorBaseESH_lENKUlvE_clEvENKUlvE4_clEvEUlS6_S6_E_S6_EEDaPvRmT3_T4_T5_mT6_P12ihipStream_tbENKUlT_T0_E_clISt17integral_constantIbLb1EESX_IbLb0EEEEDaST_SU_EUlST_E_NS1_11comp_targetILNS1_3genE10ELNS1_11target_archE1201ELNS1_3gpuE5ELNS1_3repE0EEENS1_30default_config_static_selectorELNS0_4arch9wavefront6targetE1EEEvT1_: ; @_ZN7rocprim17ROCPRIM_400000_NS6detail17trampoline_kernelINS0_14default_configENS1_20scan_config_selectorIN3c108BFloat16EEEZZNS1_9scan_implILNS1_25lookback_scan_determinismE0ELb0ELb0ES3_PKS6_PS6_S6_ZZZN2at6native31launch_logcumsumexp_cuda_kernelERKNSD_10TensorBaseESH_lENKUlvE_clEvENKUlvE4_clEvEUlS6_S6_E_S6_EEDaPvRmT3_T4_T5_mT6_P12ihipStream_tbENKUlT_T0_E_clISt17integral_constantIbLb1EESX_IbLb0EEEEDaST_SU_EUlST_E_NS1_11comp_targetILNS1_3genE10ELNS1_11target_archE1201ELNS1_3gpuE5ELNS1_3repE0EEENS1_30default_config_static_selectorELNS0_4arch9wavefront6targetE1EEEvT1_
; %bb.0:
	.section	.rodata,"a",@progbits
	.p2align	6, 0x0
	.amdhsa_kernel _ZN7rocprim17ROCPRIM_400000_NS6detail17trampoline_kernelINS0_14default_configENS1_20scan_config_selectorIN3c108BFloat16EEEZZNS1_9scan_implILNS1_25lookback_scan_determinismE0ELb0ELb0ES3_PKS6_PS6_S6_ZZZN2at6native31launch_logcumsumexp_cuda_kernelERKNSD_10TensorBaseESH_lENKUlvE_clEvENKUlvE4_clEvEUlS6_S6_E_S6_EEDaPvRmT3_T4_T5_mT6_P12ihipStream_tbENKUlT_T0_E_clISt17integral_constantIbLb1EESX_IbLb0EEEEDaST_SU_EUlST_E_NS1_11comp_targetILNS1_3genE10ELNS1_11target_archE1201ELNS1_3gpuE5ELNS1_3repE0EEENS1_30default_config_static_selectorELNS0_4arch9wavefront6targetE1EEEvT1_
		.amdhsa_group_segment_fixed_size 0
		.amdhsa_private_segment_fixed_size 0
		.amdhsa_kernarg_size 96
		.amdhsa_user_sgpr_count 2
		.amdhsa_user_sgpr_dispatch_ptr 0
		.amdhsa_user_sgpr_queue_ptr 0
		.amdhsa_user_sgpr_kernarg_segment_ptr 1
		.amdhsa_user_sgpr_dispatch_id 0
		.amdhsa_user_sgpr_kernarg_preload_length 0
		.amdhsa_user_sgpr_kernarg_preload_offset 0
		.amdhsa_user_sgpr_private_segment_size 0
		.amdhsa_uses_dynamic_stack 0
		.amdhsa_enable_private_segment 0
		.amdhsa_system_sgpr_workgroup_id_x 1
		.amdhsa_system_sgpr_workgroup_id_y 0
		.amdhsa_system_sgpr_workgroup_id_z 0
		.amdhsa_system_sgpr_workgroup_info 0
		.amdhsa_system_vgpr_workitem_id 0
		.amdhsa_next_free_vgpr 1
		.amdhsa_next_free_sgpr 0
		.amdhsa_accum_offset 4
		.amdhsa_reserve_vcc 0
		.amdhsa_float_round_mode_32 0
		.amdhsa_float_round_mode_16_64 0
		.amdhsa_float_denorm_mode_32 3
		.amdhsa_float_denorm_mode_16_64 3
		.amdhsa_dx10_clamp 1
		.amdhsa_ieee_mode 1
		.amdhsa_fp16_overflow 0
		.amdhsa_tg_split 0
		.amdhsa_exception_fp_ieee_invalid_op 0
		.amdhsa_exception_fp_denorm_src 0
		.amdhsa_exception_fp_ieee_div_zero 0
		.amdhsa_exception_fp_ieee_overflow 0
		.amdhsa_exception_fp_ieee_underflow 0
		.amdhsa_exception_fp_ieee_inexact 0
		.amdhsa_exception_int_div_zero 0
	.end_amdhsa_kernel
	.section	.text._ZN7rocprim17ROCPRIM_400000_NS6detail17trampoline_kernelINS0_14default_configENS1_20scan_config_selectorIN3c108BFloat16EEEZZNS1_9scan_implILNS1_25lookback_scan_determinismE0ELb0ELb0ES3_PKS6_PS6_S6_ZZZN2at6native31launch_logcumsumexp_cuda_kernelERKNSD_10TensorBaseESH_lENKUlvE_clEvENKUlvE4_clEvEUlS6_S6_E_S6_EEDaPvRmT3_T4_T5_mT6_P12ihipStream_tbENKUlT_T0_E_clISt17integral_constantIbLb1EESX_IbLb0EEEEDaST_SU_EUlST_E_NS1_11comp_targetILNS1_3genE10ELNS1_11target_archE1201ELNS1_3gpuE5ELNS1_3repE0EEENS1_30default_config_static_selectorELNS0_4arch9wavefront6targetE1EEEvT1_,"axG",@progbits,_ZN7rocprim17ROCPRIM_400000_NS6detail17trampoline_kernelINS0_14default_configENS1_20scan_config_selectorIN3c108BFloat16EEEZZNS1_9scan_implILNS1_25lookback_scan_determinismE0ELb0ELb0ES3_PKS6_PS6_S6_ZZZN2at6native31launch_logcumsumexp_cuda_kernelERKNSD_10TensorBaseESH_lENKUlvE_clEvENKUlvE4_clEvEUlS6_S6_E_S6_EEDaPvRmT3_T4_T5_mT6_P12ihipStream_tbENKUlT_T0_E_clISt17integral_constantIbLb1EESX_IbLb0EEEEDaST_SU_EUlST_E_NS1_11comp_targetILNS1_3genE10ELNS1_11target_archE1201ELNS1_3gpuE5ELNS1_3repE0EEENS1_30default_config_static_selectorELNS0_4arch9wavefront6targetE1EEEvT1_,comdat
.Lfunc_end489:
	.size	_ZN7rocprim17ROCPRIM_400000_NS6detail17trampoline_kernelINS0_14default_configENS1_20scan_config_selectorIN3c108BFloat16EEEZZNS1_9scan_implILNS1_25lookback_scan_determinismE0ELb0ELb0ES3_PKS6_PS6_S6_ZZZN2at6native31launch_logcumsumexp_cuda_kernelERKNSD_10TensorBaseESH_lENKUlvE_clEvENKUlvE4_clEvEUlS6_S6_E_S6_EEDaPvRmT3_T4_T5_mT6_P12ihipStream_tbENKUlT_T0_E_clISt17integral_constantIbLb1EESX_IbLb0EEEEDaST_SU_EUlST_E_NS1_11comp_targetILNS1_3genE10ELNS1_11target_archE1201ELNS1_3gpuE5ELNS1_3repE0EEENS1_30default_config_static_selectorELNS0_4arch9wavefront6targetE1EEEvT1_, .Lfunc_end489-_ZN7rocprim17ROCPRIM_400000_NS6detail17trampoline_kernelINS0_14default_configENS1_20scan_config_selectorIN3c108BFloat16EEEZZNS1_9scan_implILNS1_25lookback_scan_determinismE0ELb0ELb0ES3_PKS6_PS6_S6_ZZZN2at6native31launch_logcumsumexp_cuda_kernelERKNSD_10TensorBaseESH_lENKUlvE_clEvENKUlvE4_clEvEUlS6_S6_E_S6_EEDaPvRmT3_T4_T5_mT6_P12ihipStream_tbENKUlT_T0_E_clISt17integral_constantIbLb1EESX_IbLb0EEEEDaST_SU_EUlST_E_NS1_11comp_targetILNS1_3genE10ELNS1_11target_archE1201ELNS1_3gpuE5ELNS1_3repE0EEENS1_30default_config_static_selectorELNS0_4arch9wavefront6targetE1EEEvT1_
                                        ; -- End function
	.set _ZN7rocprim17ROCPRIM_400000_NS6detail17trampoline_kernelINS0_14default_configENS1_20scan_config_selectorIN3c108BFloat16EEEZZNS1_9scan_implILNS1_25lookback_scan_determinismE0ELb0ELb0ES3_PKS6_PS6_S6_ZZZN2at6native31launch_logcumsumexp_cuda_kernelERKNSD_10TensorBaseESH_lENKUlvE_clEvENKUlvE4_clEvEUlS6_S6_E_S6_EEDaPvRmT3_T4_T5_mT6_P12ihipStream_tbENKUlT_T0_E_clISt17integral_constantIbLb1EESX_IbLb0EEEEDaST_SU_EUlST_E_NS1_11comp_targetILNS1_3genE10ELNS1_11target_archE1201ELNS1_3gpuE5ELNS1_3repE0EEENS1_30default_config_static_selectorELNS0_4arch9wavefront6targetE1EEEvT1_.num_vgpr, 0
	.set _ZN7rocprim17ROCPRIM_400000_NS6detail17trampoline_kernelINS0_14default_configENS1_20scan_config_selectorIN3c108BFloat16EEEZZNS1_9scan_implILNS1_25lookback_scan_determinismE0ELb0ELb0ES3_PKS6_PS6_S6_ZZZN2at6native31launch_logcumsumexp_cuda_kernelERKNSD_10TensorBaseESH_lENKUlvE_clEvENKUlvE4_clEvEUlS6_S6_E_S6_EEDaPvRmT3_T4_T5_mT6_P12ihipStream_tbENKUlT_T0_E_clISt17integral_constantIbLb1EESX_IbLb0EEEEDaST_SU_EUlST_E_NS1_11comp_targetILNS1_3genE10ELNS1_11target_archE1201ELNS1_3gpuE5ELNS1_3repE0EEENS1_30default_config_static_selectorELNS0_4arch9wavefront6targetE1EEEvT1_.num_agpr, 0
	.set _ZN7rocprim17ROCPRIM_400000_NS6detail17trampoline_kernelINS0_14default_configENS1_20scan_config_selectorIN3c108BFloat16EEEZZNS1_9scan_implILNS1_25lookback_scan_determinismE0ELb0ELb0ES3_PKS6_PS6_S6_ZZZN2at6native31launch_logcumsumexp_cuda_kernelERKNSD_10TensorBaseESH_lENKUlvE_clEvENKUlvE4_clEvEUlS6_S6_E_S6_EEDaPvRmT3_T4_T5_mT6_P12ihipStream_tbENKUlT_T0_E_clISt17integral_constantIbLb1EESX_IbLb0EEEEDaST_SU_EUlST_E_NS1_11comp_targetILNS1_3genE10ELNS1_11target_archE1201ELNS1_3gpuE5ELNS1_3repE0EEENS1_30default_config_static_selectorELNS0_4arch9wavefront6targetE1EEEvT1_.numbered_sgpr, 0
	.set _ZN7rocprim17ROCPRIM_400000_NS6detail17trampoline_kernelINS0_14default_configENS1_20scan_config_selectorIN3c108BFloat16EEEZZNS1_9scan_implILNS1_25lookback_scan_determinismE0ELb0ELb0ES3_PKS6_PS6_S6_ZZZN2at6native31launch_logcumsumexp_cuda_kernelERKNSD_10TensorBaseESH_lENKUlvE_clEvENKUlvE4_clEvEUlS6_S6_E_S6_EEDaPvRmT3_T4_T5_mT6_P12ihipStream_tbENKUlT_T0_E_clISt17integral_constantIbLb1EESX_IbLb0EEEEDaST_SU_EUlST_E_NS1_11comp_targetILNS1_3genE10ELNS1_11target_archE1201ELNS1_3gpuE5ELNS1_3repE0EEENS1_30default_config_static_selectorELNS0_4arch9wavefront6targetE1EEEvT1_.num_named_barrier, 0
	.set _ZN7rocprim17ROCPRIM_400000_NS6detail17trampoline_kernelINS0_14default_configENS1_20scan_config_selectorIN3c108BFloat16EEEZZNS1_9scan_implILNS1_25lookback_scan_determinismE0ELb0ELb0ES3_PKS6_PS6_S6_ZZZN2at6native31launch_logcumsumexp_cuda_kernelERKNSD_10TensorBaseESH_lENKUlvE_clEvENKUlvE4_clEvEUlS6_S6_E_S6_EEDaPvRmT3_T4_T5_mT6_P12ihipStream_tbENKUlT_T0_E_clISt17integral_constantIbLb1EESX_IbLb0EEEEDaST_SU_EUlST_E_NS1_11comp_targetILNS1_3genE10ELNS1_11target_archE1201ELNS1_3gpuE5ELNS1_3repE0EEENS1_30default_config_static_selectorELNS0_4arch9wavefront6targetE1EEEvT1_.private_seg_size, 0
	.set _ZN7rocprim17ROCPRIM_400000_NS6detail17trampoline_kernelINS0_14default_configENS1_20scan_config_selectorIN3c108BFloat16EEEZZNS1_9scan_implILNS1_25lookback_scan_determinismE0ELb0ELb0ES3_PKS6_PS6_S6_ZZZN2at6native31launch_logcumsumexp_cuda_kernelERKNSD_10TensorBaseESH_lENKUlvE_clEvENKUlvE4_clEvEUlS6_S6_E_S6_EEDaPvRmT3_T4_T5_mT6_P12ihipStream_tbENKUlT_T0_E_clISt17integral_constantIbLb1EESX_IbLb0EEEEDaST_SU_EUlST_E_NS1_11comp_targetILNS1_3genE10ELNS1_11target_archE1201ELNS1_3gpuE5ELNS1_3repE0EEENS1_30default_config_static_selectorELNS0_4arch9wavefront6targetE1EEEvT1_.uses_vcc, 0
	.set _ZN7rocprim17ROCPRIM_400000_NS6detail17trampoline_kernelINS0_14default_configENS1_20scan_config_selectorIN3c108BFloat16EEEZZNS1_9scan_implILNS1_25lookback_scan_determinismE0ELb0ELb0ES3_PKS6_PS6_S6_ZZZN2at6native31launch_logcumsumexp_cuda_kernelERKNSD_10TensorBaseESH_lENKUlvE_clEvENKUlvE4_clEvEUlS6_S6_E_S6_EEDaPvRmT3_T4_T5_mT6_P12ihipStream_tbENKUlT_T0_E_clISt17integral_constantIbLb1EESX_IbLb0EEEEDaST_SU_EUlST_E_NS1_11comp_targetILNS1_3genE10ELNS1_11target_archE1201ELNS1_3gpuE5ELNS1_3repE0EEENS1_30default_config_static_selectorELNS0_4arch9wavefront6targetE1EEEvT1_.uses_flat_scratch, 0
	.set _ZN7rocprim17ROCPRIM_400000_NS6detail17trampoline_kernelINS0_14default_configENS1_20scan_config_selectorIN3c108BFloat16EEEZZNS1_9scan_implILNS1_25lookback_scan_determinismE0ELb0ELb0ES3_PKS6_PS6_S6_ZZZN2at6native31launch_logcumsumexp_cuda_kernelERKNSD_10TensorBaseESH_lENKUlvE_clEvENKUlvE4_clEvEUlS6_S6_E_S6_EEDaPvRmT3_T4_T5_mT6_P12ihipStream_tbENKUlT_T0_E_clISt17integral_constantIbLb1EESX_IbLb0EEEEDaST_SU_EUlST_E_NS1_11comp_targetILNS1_3genE10ELNS1_11target_archE1201ELNS1_3gpuE5ELNS1_3repE0EEENS1_30default_config_static_selectorELNS0_4arch9wavefront6targetE1EEEvT1_.has_dyn_sized_stack, 0
	.set _ZN7rocprim17ROCPRIM_400000_NS6detail17trampoline_kernelINS0_14default_configENS1_20scan_config_selectorIN3c108BFloat16EEEZZNS1_9scan_implILNS1_25lookback_scan_determinismE0ELb0ELb0ES3_PKS6_PS6_S6_ZZZN2at6native31launch_logcumsumexp_cuda_kernelERKNSD_10TensorBaseESH_lENKUlvE_clEvENKUlvE4_clEvEUlS6_S6_E_S6_EEDaPvRmT3_T4_T5_mT6_P12ihipStream_tbENKUlT_T0_E_clISt17integral_constantIbLb1EESX_IbLb0EEEEDaST_SU_EUlST_E_NS1_11comp_targetILNS1_3genE10ELNS1_11target_archE1201ELNS1_3gpuE5ELNS1_3repE0EEENS1_30default_config_static_selectorELNS0_4arch9wavefront6targetE1EEEvT1_.has_recursion, 0
	.set _ZN7rocprim17ROCPRIM_400000_NS6detail17trampoline_kernelINS0_14default_configENS1_20scan_config_selectorIN3c108BFloat16EEEZZNS1_9scan_implILNS1_25lookback_scan_determinismE0ELb0ELb0ES3_PKS6_PS6_S6_ZZZN2at6native31launch_logcumsumexp_cuda_kernelERKNSD_10TensorBaseESH_lENKUlvE_clEvENKUlvE4_clEvEUlS6_S6_E_S6_EEDaPvRmT3_T4_T5_mT6_P12ihipStream_tbENKUlT_T0_E_clISt17integral_constantIbLb1EESX_IbLb0EEEEDaST_SU_EUlST_E_NS1_11comp_targetILNS1_3genE10ELNS1_11target_archE1201ELNS1_3gpuE5ELNS1_3repE0EEENS1_30default_config_static_selectorELNS0_4arch9wavefront6targetE1EEEvT1_.has_indirect_call, 0
	.section	.AMDGPU.csdata,"",@progbits
; Kernel info:
; codeLenInByte = 0
; TotalNumSgprs: 6
; NumVgprs: 0
; NumAgprs: 0
; TotalNumVgprs: 0
; ScratchSize: 0
; MemoryBound: 0
; FloatMode: 240
; IeeeMode: 1
; LDSByteSize: 0 bytes/workgroup (compile time only)
; SGPRBlocks: 0
; VGPRBlocks: 0
; NumSGPRsForWavesPerEU: 6
; NumVGPRsForWavesPerEU: 1
; AccumOffset: 4
; Occupancy: 8
; WaveLimiterHint : 0
; COMPUTE_PGM_RSRC2:SCRATCH_EN: 0
; COMPUTE_PGM_RSRC2:USER_SGPR: 2
; COMPUTE_PGM_RSRC2:TRAP_HANDLER: 0
; COMPUTE_PGM_RSRC2:TGID_X_EN: 1
; COMPUTE_PGM_RSRC2:TGID_Y_EN: 0
; COMPUTE_PGM_RSRC2:TGID_Z_EN: 0
; COMPUTE_PGM_RSRC2:TIDIG_COMP_CNT: 0
; COMPUTE_PGM_RSRC3_GFX90A:ACCUM_OFFSET: 0
; COMPUTE_PGM_RSRC3_GFX90A:TG_SPLIT: 0
	.section	.text._ZN7rocprim17ROCPRIM_400000_NS6detail17trampoline_kernelINS0_14default_configENS1_20scan_config_selectorIN3c108BFloat16EEEZZNS1_9scan_implILNS1_25lookback_scan_determinismE0ELb0ELb0ES3_PKS6_PS6_S6_ZZZN2at6native31launch_logcumsumexp_cuda_kernelERKNSD_10TensorBaseESH_lENKUlvE_clEvENKUlvE4_clEvEUlS6_S6_E_S6_EEDaPvRmT3_T4_T5_mT6_P12ihipStream_tbENKUlT_T0_E_clISt17integral_constantIbLb1EESX_IbLb0EEEEDaST_SU_EUlST_E_NS1_11comp_targetILNS1_3genE10ELNS1_11target_archE1200ELNS1_3gpuE4ELNS1_3repE0EEENS1_30default_config_static_selectorELNS0_4arch9wavefront6targetE1EEEvT1_,"axG",@progbits,_ZN7rocprim17ROCPRIM_400000_NS6detail17trampoline_kernelINS0_14default_configENS1_20scan_config_selectorIN3c108BFloat16EEEZZNS1_9scan_implILNS1_25lookback_scan_determinismE0ELb0ELb0ES3_PKS6_PS6_S6_ZZZN2at6native31launch_logcumsumexp_cuda_kernelERKNSD_10TensorBaseESH_lENKUlvE_clEvENKUlvE4_clEvEUlS6_S6_E_S6_EEDaPvRmT3_T4_T5_mT6_P12ihipStream_tbENKUlT_T0_E_clISt17integral_constantIbLb1EESX_IbLb0EEEEDaST_SU_EUlST_E_NS1_11comp_targetILNS1_3genE10ELNS1_11target_archE1200ELNS1_3gpuE4ELNS1_3repE0EEENS1_30default_config_static_selectorELNS0_4arch9wavefront6targetE1EEEvT1_,comdat
	.globl	_ZN7rocprim17ROCPRIM_400000_NS6detail17trampoline_kernelINS0_14default_configENS1_20scan_config_selectorIN3c108BFloat16EEEZZNS1_9scan_implILNS1_25lookback_scan_determinismE0ELb0ELb0ES3_PKS6_PS6_S6_ZZZN2at6native31launch_logcumsumexp_cuda_kernelERKNSD_10TensorBaseESH_lENKUlvE_clEvENKUlvE4_clEvEUlS6_S6_E_S6_EEDaPvRmT3_T4_T5_mT6_P12ihipStream_tbENKUlT_T0_E_clISt17integral_constantIbLb1EESX_IbLb0EEEEDaST_SU_EUlST_E_NS1_11comp_targetILNS1_3genE10ELNS1_11target_archE1200ELNS1_3gpuE4ELNS1_3repE0EEENS1_30default_config_static_selectorELNS0_4arch9wavefront6targetE1EEEvT1_ ; -- Begin function _ZN7rocprim17ROCPRIM_400000_NS6detail17trampoline_kernelINS0_14default_configENS1_20scan_config_selectorIN3c108BFloat16EEEZZNS1_9scan_implILNS1_25lookback_scan_determinismE0ELb0ELb0ES3_PKS6_PS6_S6_ZZZN2at6native31launch_logcumsumexp_cuda_kernelERKNSD_10TensorBaseESH_lENKUlvE_clEvENKUlvE4_clEvEUlS6_S6_E_S6_EEDaPvRmT3_T4_T5_mT6_P12ihipStream_tbENKUlT_T0_E_clISt17integral_constantIbLb1EESX_IbLb0EEEEDaST_SU_EUlST_E_NS1_11comp_targetILNS1_3genE10ELNS1_11target_archE1200ELNS1_3gpuE4ELNS1_3repE0EEENS1_30default_config_static_selectorELNS0_4arch9wavefront6targetE1EEEvT1_
	.p2align	8
	.type	_ZN7rocprim17ROCPRIM_400000_NS6detail17trampoline_kernelINS0_14default_configENS1_20scan_config_selectorIN3c108BFloat16EEEZZNS1_9scan_implILNS1_25lookback_scan_determinismE0ELb0ELb0ES3_PKS6_PS6_S6_ZZZN2at6native31launch_logcumsumexp_cuda_kernelERKNSD_10TensorBaseESH_lENKUlvE_clEvENKUlvE4_clEvEUlS6_S6_E_S6_EEDaPvRmT3_T4_T5_mT6_P12ihipStream_tbENKUlT_T0_E_clISt17integral_constantIbLb1EESX_IbLb0EEEEDaST_SU_EUlST_E_NS1_11comp_targetILNS1_3genE10ELNS1_11target_archE1200ELNS1_3gpuE4ELNS1_3repE0EEENS1_30default_config_static_selectorELNS0_4arch9wavefront6targetE1EEEvT1_,@function
_ZN7rocprim17ROCPRIM_400000_NS6detail17trampoline_kernelINS0_14default_configENS1_20scan_config_selectorIN3c108BFloat16EEEZZNS1_9scan_implILNS1_25lookback_scan_determinismE0ELb0ELb0ES3_PKS6_PS6_S6_ZZZN2at6native31launch_logcumsumexp_cuda_kernelERKNSD_10TensorBaseESH_lENKUlvE_clEvENKUlvE4_clEvEUlS6_S6_E_S6_EEDaPvRmT3_T4_T5_mT6_P12ihipStream_tbENKUlT_T0_E_clISt17integral_constantIbLb1EESX_IbLb0EEEEDaST_SU_EUlST_E_NS1_11comp_targetILNS1_3genE10ELNS1_11target_archE1200ELNS1_3gpuE4ELNS1_3repE0EEENS1_30default_config_static_selectorELNS0_4arch9wavefront6targetE1EEEvT1_: ; @_ZN7rocprim17ROCPRIM_400000_NS6detail17trampoline_kernelINS0_14default_configENS1_20scan_config_selectorIN3c108BFloat16EEEZZNS1_9scan_implILNS1_25lookback_scan_determinismE0ELb0ELb0ES3_PKS6_PS6_S6_ZZZN2at6native31launch_logcumsumexp_cuda_kernelERKNSD_10TensorBaseESH_lENKUlvE_clEvENKUlvE4_clEvEUlS6_S6_E_S6_EEDaPvRmT3_T4_T5_mT6_P12ihipStream_tbENKUlT_T0_E_clISt17integral_constantIbLb1EESX_IbLb0EEEEDaST_SU_EUlST_E_NS1_11comp_targetILNS1_3genE10ELNS1_11target_archE1200ELNS1_3gpuE4ELNS1_3repE0EEENS1_30default_config_static_selectorELNS0_4arch9wavefront6targetE1EEEvT1_
; %bb.0:
	.section	.rodata,"a",@progbits
	.p2align	6, 0x0
	.amdhsa_kernel _ZN7rocprim17ROCPRIM_400000_NS6detail17trampoline_kernelINS0_14default_configENS1_20scan_config_selectorIN3c108BFloat16EEEZZNS1_9scan_implILNS1_25lookback_scan_determinismE0ELb0ELb0ES3_PKS6_PS6_S6_ZZZN2at6native31launch_logcumsumexp_cuda_kernelERKNSD_10TensorBaseESH_lENKUlvE_clEvENKUlvE4_clEvEUlS6_S6_E_S6_EEDaPvRmT3_T4_T5_mT6_P12ihipStream_tbENKUlT_T0_E_clISt17integral_constantIbLb1EESX_IbLb0EEEEDaST_SU_EUlST_E_NS1_11comp_targetILNS1_3genE10ELNS1_11target_archE1200ELNS1_3gpuE4ELNS1_3repE0EEENS1_30default_config_static_selectorELNS0_4arch9wavefront6targetE1EEEvT1_
		.amdhsa_group_segment_fixed_size 0
		.amdhsa_private_segment_fixed_size 0
		.amdhsa_kernarg_size 96
		.amdhsa_user_sgpr_count 2
		.amdhsa_user_sgpr_dispatch_ptr 0
		.amdhsa_user_sgpr_queue_ptr 0
		.amdhsa_user_sgpr_kernarg_segment_ptr 1
		.amdhsa_user_sgpr_dispatch_id 0
		.amdhsa_user_sgpr_kernarg_preload_length 0
		.amdhsa_user_sgpr_kernarg_preload_offset 0
		.amdhsa_user_sgpr_private_segment_size 0
		.amdhsa_uses_dynamic_stack 0
		.amdhsa_enable_private_segment 0
		.amdhsa_system_sgpr_workgroup_id_x 1
		.amdhsa_system_sgpr_workgroup_id_y 0
		.amdhsa_system_sgpr_workgroup_id_z 0
		.amdhsa_system_sgpr_workgroup_info 0
		.amdhsa_system_vgpr_workitem_id 0
		.amdhsa_next_free_vgpr 1
		.amdhsa_next_free_sgpr 0
		.amdhsa_accum_offset 4
		.amdhsa_reserve_vcc 0
		.amdhsa_float_round_mode_32 0
		.amdhsa_float_round_mode_16_64 0
		.amdhsa_float_denorm_mode_32 3
		.amdhsa_float_denorm_mode_16_64 3
		.amdhsa_dx10_clamp 1
		.amdhsa_ieee_mode 1
		.amdhsa_fp16_overflow 0
		.amdhsa_tg_split 0
		.amdhsa_exception_fp_ieee_invalid_op 0
		.amdhsa_exception_fp_denorm_src 0
		.amdhsa_exception_fp_ieee_div_zero 0
		.amdhsa_exception_fp_ieee_overflow 0
		.amdhsa_exception_fp_ieee_underflow 0
		.amdhsa_exception_fp_ieee_inexact 0
		.amdhsa_exception_int_div_zero 0
	.end_amdhsa_kernel
	.section	.text._ZN7rocprim17ROCPRIM_400000_NS6detail17trampoline_kernelINS0_14default_configENS1_20scan_config_selectorIN3c108BFloat16EEEZZNS1_9scan_implILNS1_25lookback_scan_determinismE0ELb0ELb0ES3_PKS6_PS6_S6_ZZZN2at6native31launch_logcumsumexp_cuda_kernelERKNSD_10TensorBaseESH_lENKUlvE_clEvENKUlvE4_clEvEUlS6_S6_E_S6_EEDaPvRmT3_T4_T5_mT6_P12ihipStream_tbENKUlT_T0_E_clISt17integral_constantIbLb1EESX_IbLb0EEEEDaST_SU_EUlST_E_NS1_11comp_targetILNS1_3genE10ELNS1_11target_archE1200ELNS1_3gpuE4ELNS1_3repE0EEENS1_30default_config_static_selectorELNS0_4arch9wavefront6targetE1EEEvT1_,"axG",@progbits,_ZN7rocprim17ROCPRIM_400000_NS6detail17trampoline_kernelINS0_14default_configENS1_20scan_config_selectorIN3c108BFloat16EEEZZNS1_9scan_implILNS1_25lookback_scan_determinismE0ELb0ELb0ES3_PKS6_PS6_S6_ZZZN2at6native31launch_logcumsumexp_cuda_kernelERKNSD_10TensorBaseESH_lENKUlvE_clEvENKUlvE4_clEvEUlS6_S6_E_S6_EEDaPvRmT3_T4_T5_mT6_P12ihipStream_tbENKUlT_T0_E_clISt17integral_constantIbLb1EESX_IbLb0EEEEDaST_SU_EUlST_E_NS1_11comp_targetILNS1_3genE10ELNS1_11target_archE1200ELNS1_3gpuE4ELNS1_3repE0EEENS1_30default_config_static_selectorELNS0_4arch9wavefront6targetE1EEEvT1_,comdat
.Lfunc_end490:
	.size	_ZN7rocprim17ROCPRIM_400000_NS6detail17trampoline_kernelINS0_14default_configENS1_20scan_config_selectorIN3c108BFloat16EEEZZNS1_9scan_implILNS1_25lookback_scan_determinismE0ELb0ELb0ES3_PKS6_PS6_S6_ZZZN2at6native31launch_logcumsumexp_cuda_kernelERKNSD_10TensorBaseESH_lENKUlvE_clEvENKUlvE4_clEvEUlS6_S6_E_S6_EEDaPvRmT3_T4_T5_mT6_P12ihipStream_tbENKUlT_T0_E_clISt17integral_constantIbLb1EESX_IbLb0EEEEDaST_SU_EUlST_E_NS1_11comp_targetILNS1_3genE10ELNS1_11target_archE1200ELNS1_3gpuE4ELNS1_3repE0EEENS1_30default_config_static_selectorELNS0_4arch9wavefront6targetE1EEEvT1_, .Lfunc_end490-_ZN7rocprim17ROCPRIM_400000_NS6detail17trampoline_kernelINS0_14default_configENS1_20scan_config_selectorIN3c108BFloat16EEEZZNS1_9scan_implILNS1_25lookback_scan_determinismE0ELb0ELb0ES3_PKS6_PS6_S6_ZZZN2at6native31launch_logcumsumexp_cuda_kernelERKNSD_10TensorBaseESH_lENKUlvE_clEvENKUlvE4_clEvEUlS6_S6_E_S6_EEDaPvRmT3_T4_T5_mT6_P12ihipStream_tbENKUlT_T0_E_clISt17integral_constantIbLb1EESX_IbLb0EEEEDaST_SU_EUlST_E_NS1_11comp_targetILNS1_3genE10ELNS1_11target_archE1200ELNS1_3gpuE4ELNS1_3repE0EEENS1_30default_config_static_selectorELNS0_4arch9wavefront6targetE1EEEvT1_
                                        ; -- End function
	.set _ZN7rocprim17ROCPRIM_400000_NS6detail17trampoline_kernelINS0_14default_configENS1_20scan_config_selectorIN3c108BFloat16EEEZZNS1_9scan_implILNS1_25lookback_scan_determinismE0ELb0ELb0ES3_PKS6_PS6_S6_ZZZN2at6native31launch_logcumsumexp_cuda_kernelERKNSD_10TensorBaseESH_lENKUlvE_clEvENKUlvE4_clEvEUlS6_S6_E_S6_EEDaPvRmT3_T4_T5_mT6_P12ihipStream_tbENKUlT_T0_E_clISt17integral_constantIbLb1EESX_IbLb0EEEEDaST_SU_EUlST_E_NS1_11comp_targetILNS1_3genE10ELNS1_11target_archE1200ELNS1_3gpuE4ELNS1_3repE0EEENS1_30default_config_static_selectorELNS0_4arch9wavefront6targetE1EEEvT1_.num_vgpr, 0
	.set _ZN7rocprim17ROCPRIM_400000_NS6detail17trampoline_kernelINS0_14default_configENS1_20scan_config_selectorIN3c108BFloat16EEEZZNS1_9scan_implILNS1_25lookback_scan_determinismE0ELb0ELb0ES3_PKS6_PS6_S6_ZZZN2at6native31launch_logcumsumexp_cuda_kernelERKNSD_10TensorBaseESH_lENKUlvE_clEvENKUlvE4_clEvEUlS6_S6_E_S6_EEDaPvRmT3_T4_T5_mT6_P12ihipStream_tbENKUlT_T0_E_clISt17integral_constantIbLb1EESX_IbLb0EEEEDaST_SU_EUlST_E_NS1_11comp_targetILNS1_3genE10ELNS1_11target_archE1200ELNS1_3gpuE4ELNS1_3repE0EEENS1_30default_config_static_selectorELNS0_4arch9wavefront6targetE1EEEvT1_.num_agpr, 0
	.set _ZN7rocprim17ROCPRIM_400000_NS6detail17trampoline_kernelINS0_14default_configENS1_20scan_config_selectorIN3c108BFloat16EEEZZNS1_9scan_implILNS1_25lookback_scan_determinismE0ELb0ELb0ES3_PKS6_PS6_S6_ZZZN2at6native31launch_logcumsumexp_cuda_kernelERKNSD_10TensorBaseESH_lENKUlvE_clEvENKUlvE4_clEvEUlS6_S6_E_S6_EEDaPvRmT3_T4_T5_mT6_P12ihipStream_tbENKUlT_T0_E_clISt17integral_constantIbLb1EESX_IbLb0EEEEDaST_SU_EUlST_E_NS1_11comp_targetILNS1_3genE10ELNS1_11target_archE1200ELNS1_3gpuE4ELNS1_3repE0EEENS1_30default_config_static_selectorELNS0_4arch9wavefront6targetE1EEEvT1_.numbered_sgpr, 0
	.set _ZN7rocprim17ROCPRIM_400000_NS6detail17trampoline_kernelINS0_14default_configENS1_20scan_config_selectorIN3c108BFloat16EEEZZNS1_9scan_implILNS1_25lookback_scan_determinismE0ELb0ELb0ES3_PKS6_PS6_S6_ZZZN2at6native31launch_logcumsumexp_cuda_kernelERKNSD_10TensorBaseESH_lENKUlvE_clEvENKUlvE4_clEvEUlS6_S6_E_S6_EEDaPvRmT3_T4_T5_mT6_P12ihipStream_tbENKUlT_T0_E_clISt17integral_constantIbLb1EESX_IbLb0EEEEDaST_SU_EUlST_E_NS1_11comp_targetILNS1_3genE10ELNS1_11target_archE1200ELNS1_3gpuE4ELNS1_3repE0EEENS1_30default_config_static_selectorELNS0_4arch9wavefront6targetE1EEEvT1_.num_named_barrier, 0
	.set _ZN7rocprim17ROCPRIM_400000_NS6detail17trampoline_kernelINS0_14default_configENS1_20scan_config_selectorIN3c108BFloat16EEEZZNS1_9scan_implILNS1_25lookback_scan_determinismE0ELb0ELb0ES3_PKS6_PS6_S6_ZZZN2at6native31launch_logcumsumexp_cuda_kernelERKNSD_10TensorBaseESH_lENKUlvE_clEvENKUlvE4_clEvEUlS6_S6_E_S6_EEDaPvRmT3_T4_T5_mT6_P12ihipStream_tbENKUlT_T0_E_clISt17integral_constantIbLb1EESX_IbLb0EEEEDaST_SU_EUlST_E_NS1_11comp_targetILNS1_3genE10ELNS1_11target_archE1200ELNS1_3gpuE4ELNS1_3repE0EEENS1_30default_config_static_selectorELNS0_4arch9wavefront6targetE1EEEvT1_.private_seg_size, 0
	.set _ZN7rocprim17ROCPRIM_400000_NS6detail17trampoline_kernelINS0_14default_configENS1_20scan_config_selectorIN3c108BFloat16EEEZZNS1_9scan_implILNS1_25lookback_scan_determinismE0ELb0ELb0ES3_PKS6_PS6_S6_ZZZN2at6native31launch_logcumsumexp_cuda_kernelERKNSD_10TensorBaseESH_lENKUlvE_clEvENKUlvE4_clEvEUlS6_S6_E_S6_EEDaPvRmT3_T4_T5_mT6_P12ihipStream_tbENKUlT_T0_E_clISt17integral_constantIbLb1EESX_IbLb0EEEEDaST_SU_EUlST_E_NS1_11comp_targetILNS1_3genE10ELNS1_11target_archE1200ELNS1_3gpuE4ELNS1_3repE0EEENS1_30default_config_static_selectorELNS0_4arch9wavefront6targetE1EEEvT1_.uses_vcc, 0
	.set _ZN7rocprim17ROCPRIM_400000_NS6detail17trampoline_kernelINS0_14default_configENS1_20scan_config_selectorIN3c108BFloat16EEEZZNS1_9scan_implILNS1_25lookback_scan_determinismE0ELb0ELb0ES3_PKS6_PS6_S6_ZZZN2at6native31launch_logcumsumexp_cuda_kernelERKNSD_10TensorBaseESH_lENKUlvE_clEvENKUlvE4_clEvEUlS6_S6_E_S6_EEDaPvRmT3_T4_T5_mT6_P12ihipStream_tbENKUlT_T0_E_clISt17integral_constantIbLb1EESX_IbLb0EEEEDaST_SU_EUlST_E_NS1_11comp_targetILNS1_3genE10ELNS1_11target_archE1200ELNS1_3gpuE4ELNS1_3repE0EEENS1_30default_config_static_selectorELNS0_4arch9wavefront6targetE1EEEvT1_.uses_flat_scratch, 0
	.set _ZN7rocprim17ROCPRIM_400000_NS6detail17trampoline_kernelINS0_14default_configENS1_20scan_config_selectorIN3c108BFloat16EEEZZNS1_9scan_implILNS1_25lookback_scan_determinismE0ELb0ELb0ES3_PKS6_PS6_S6_ZZZN2at6native31launch_logcumsumexp_cuda_kernelERKNSD_10TensorBaseESH_lENKUlvE_clEvENKUlvE4_clEvEUlS6_S6_E_S6_EEDaPvRmT3_T4_T5_mT6_P12ihipStream_tbENKUlT_T0_E_clISt17integral_constantIbLb1EESX_IbLb0EEEEDaST_SU_EUlST_E_NS1_11comp_targetILNS1_3genE10ELNS1_11target_archE1200ELNS1_3gpuE4ELNS1_3repE0EEENS1_30default_config_static_selectorELNS0_4arch9wavefront6targetE1EEEvT1_.has_dyn_sized_stack, 0
	.set _ZN7rocprim17ROCPRIM_400000_NS6detail17trampoline_kernelINS0_14default_configENS1_20scan_config_selectorIN3c108BFloat16EEEZZNS1_9scan_implILNS1_25lookback_scan_determinismE0ELb0ELb0ES3_PKS6_PS6_S6_ZZZN2at6native31launch_logcumsumexp_cuda_kernelERKNSD_10TensorBaseESH_lENKUlvE_clEvENKUlvE4_clEvEUlS6_S6_E_S6_EEDaPvRmT3_T4_T5_mT6_P12ihipStream_tbENKUlT_T0_E_clISt17integral_constantIbLb1EESX_IbLb0EEEEDaST_SU_EUlST_E_NS1_11comp_targetILNS1_3genE10ELNS1_11target_archE1200ELNS1_3gpuE4ELNS1_3repE0EEENS1_30default_config_static_selectorELNS0_4arch9wavefront6targetE1EEEvT1_.has_recursion, 0
	.set _ZN7rocprim17ROCPRIM_400000_NS6detail17trampoline_kernelINS0_14default_configENS1_20scan_config_selectorIN3c108BFloat16EEEZZNS1_9scan_implILNS1_25lookback_scan_determinismE0ELb0ELb0ES3_PKS6_PS6_S6_ZZZN2at6native31launch_logcumsumexp_cuda_kernelERKNSD_10TensorBaseESH_lENKUlvE_clEvENKUlvE4_clEvEUlS6_S6_E_S6_EEDaPvRmT3_T4_T5_mT6_P12ihipStream_tbENKUlT_T0_E_clISt17integral_constantIbLb1EESX_IbLb0EEEEDaST_SU_EUlST_E_NS1_11comp_targetILNS1_3genE10ELNS1_11target_archE1200ELNS1_3gpuE4ELNS1_3repE0EEENS1_30default_config_static_selectorELNS0_4arch9wavefront6targetE1EEEvT1_.has_indirect_call, 0
	.section	.AMDGPU.csdata,"",@progbits
; Kernel info:
; codeLenInByte = 0
; TotalNumSgprs: 6
; NumVgprs: 0
; NumAgprs: 0
; TotalNumVgprs: 0
; ScratchSize: 0
; MemoryBound: 0
; FloatMode: 240
; IeeeMode: 1
; LDSByteSize: 0 bytes/workgroup (compile time only)
; SGPRBlocks: 0
; VGPRBlocks: 0
; NumSGPRsForWavesPerEU: 6
; NumVGPRsForWavesPerEU: 1
; AccumOffset: 4
; Occupancy: 8
; WaveLimiterHint : 0
; COMPUTE_PGM_RSRC2:SCRATCH_EN: 0
; COMPUTE_PGM_RSRC2:USER_SGPR: 2
; COMPUTE_PGM_RSRC2:TRAP_HANDLER: 0
; COMPUTE_PGM_RSRC2:TGID_X_EN: 1
; COMPUTE_PGM_RSRC2:TGID_Y_EN: 0
; COMPUTE_PGM_RSRC2:TGID_Z_EN: 0
; COMPUTE_PGM_RSRC2:TIDIG_COMP_CNT: 0
; COMPUTE_PGM_RSRC3_GFX90A:ACCUM_OFFSET: 0
; COMPUTE_PGM_RSRC3_GFX90A:TG_SPLIT: 0
	.section	.text._ZN7rocprim17ROCPRIM_400000_NS6detail17trampoline_kernelINS0_14default_configENS1_20scan_config_selectorIN3c108BFloat16EEEZZNS1_9scan_implILNS1_25lookback_scan_determinismE0ELb0ELb0ES3_PKS6_PS6_S6_ZZZN2at6native31launch_logcumsumexp_cuda_kernelERKNSD_10TensorBaseESH_lENKUlvE_clEvENKUlvE4_clEvEUlS6_S6_E_S6_EEDaPvRmT3_T4_T5_mT6_P12ihipStream_tbENKUlT_T0_E_clISt17integral_constantIbLb1EESX_IbLb0EEEEDaST_SU_EUlST_E_NS1_11comp_targetILNS1_3genE9ELNS1_11target_archE1100ELNS1_3gpuE3ELNS1_3repE0EEENS1_30default_config_static_selectorELNS0_4arch9wavefront6targetE1EEEvT1_,"axG",@progbits,_ZN7rocprim17ROCPRIM_400000_NS6detail17trampoline_kernelINS0_14default_configENS1_20scan_config_selectorIN3c108BFloat16EEEZZNS1_9scan_implILNS1_25lookback_scan_determinismE0ELb0ELb0ES3_PKS6_PS6_S6_ZZZN2at6native31launch_logcumsumexp_cuda_kernelERKNSD_10TensorBaseESH_lENKUlvE_clEvENKUlvE4_clEvEUlS6_S6_E_S6_EEDaPvRmT3_T4_T5_mT6_P12ihipStream_tbENKUlT_T0_E_clISt17integral_constantIbLb1EESX_IbLb0EEEEDaST_SU_EUlST_E_NS1_11comp_targetILNS1_3genE9ELNS1_11target_archE1100ELNS1_3gpuE3ELNS1_3repE0EEENS1_30default_config_static_selectorELNS0_4arch9wavefront6targetE1EEEvT1_,comdat
	.globl	_ZN7rocprim17ROCPRIM_400000_NS6detail17trampoline_kernelINS0_14default_configENS1_20scan_config_selectorIN3c108BFloat16EEEZZNS1_9scan_implILNS1_25lookback_scan_determinismE0ELb0ELb0ES3_PKS6_PS6_S6_ZZZN2at6native31launch_logcumsumexp_cuda_kernelERKNSD_10TensorBaseESH_lENKUlvE_clEvENKUlvE4_clEvEUlS6_S6_E_S6_EEDaPvRmT3_T4_T5_mT6_P12ihipStream_tbENKUlT_T0_E_clISt17integral_constantIbLb1EESX_IbLb0EEEEDaST_SU_EUlST_E_NS1_11comp_targetILNS1_3genE9ELNS1_11target_archE1100ELNS1_3gpuE3ELNS1_3repE0EEENS1_30default_config_static_selectorELNS0_4arch9wavefront6targetE1EEEvT1_ ; -- Begin function _ZN7rocprim17ROCPRIM_400000_NS6detail17trampoline_kernelINS0_14default_configENS1_20scan_config_selectorIN3c108BFloat16EEEZZNS1_9scan_implILNS1_25lookback_scan_determinismE0ELb0ELb0ES3_PKS6_PS6_S6_ZZZN2at6native31launch_logcumsumexp_cuda_kernelERKNSD_10TensorBaseESH_lENKUlvE_clEvENKUlvE4_clEvEUlS6_S6_E_S6_EEDaPvRmT3_T4_T5_mT6_P12ihipStream_tbENKUlT_T0_E_clISt17integral_constantIbLb1EESX_IbLb0EEEEDaST_SU_EUlST_E_NS1_11comp_targetILNS1_3genE9ELNS1_11target_archE1100ELNS1_3gpuE3ELNS1_3repE0EEENS1_30default_config_static_selectorELNS0_4arch9wavefront6targetE1EEEvT1_
	.p2align	8
	.type	_ZN7rocprim17ROCPRIM_400000_NS6detail17trampoline_kernelINS0_14default_configENS1_20scan_config_selectorIN3c108BFloat16EEEZZNS1_9scan_implILNS1_25lookback_scan_determinismE0ELb0ELb0ES3_PKS6_PS6_S6_ZZZN2at6native31launch_logcumsumexp_cuda_kernelERKNSD_10TensorBaseESH_lENKUlvE_clEvENKUlvE4_clEvEUlS6_S6_E_S6_EEDaPvRmT3_T4_T5_mT6_P12ihipStream_tbENKUlT_T0_E_clISt17integral_constantIbLb1EESX_IbLb0EEEEDaST_SU_EUlST_E_NS1_11comp_targetILNS1_3genE9ELNS1_11target_archE1100ELNS1_3gpuE3ELNS1_3repE0EEENS1_30default_config_static_selectorELNS0_4arch9wavefront6targetE1EEEvT1_,@function
_ZN7rocprim17ROCPRIM_400000_NS6detail17trampoline_kernelINS0_14default_configENS1_20scan_config_selectorIN3c108BFloat16EEEZZNS1_9scan_implILNS1_25lookback_scan_determinismE0ELb0ELb0ES3_PKS6_PS6_S6_ZZZN2at6native31launch_logcumsumexp_cuda_kernelERKNSD_10TensorBaseESH_lENKUlvE_clEvENKUlvE4_clEvEUlS6_S6_E_S6_EEDaPvRmT3_T4_T5_mT6_P12ihipStream_tbENKUlT_T0_E_clISt17integral_constantIbLb1EESX_IbLb0EEEEDaST_SU_EUlST_E_NS1_11comp_targetILNS1_3genE9ELNS1_11target_archE1100ELNS1_3gpuE3ELNS1_3repE0EEENS1_30default_config_static_selectorELNS0_4arch9wavefront6targetE1EEEvT1_: ; @_ZN7rocprim17ROCPRIM_400000_NS6detail17trampoline_kernelINS0_14default_configENS1_20scan_config_selectorIN3c108BFloat16EEEZZNS1_9scan_implILNS1_25lookback_scan_determinismE0ELb0ELb0ES3_PKS6_PS6_S6_ZZZN2at6native31launch_logcumsumexp_cuda_kernelERKNSD_10TensorBaseESH_lENKUlvE_clEvENKUlvE4_clEvEUlS6_S6_E_S6_EEDaPvRmT3_T4_T5_mT6_P12ihipStream_tbENKUlT_T0_E_clISt17integral_constantIbLb1EESX_IbLb0EEEEDaST_SU_EUlST_E_NS1_11comp_targetILNS1_3genE9ELNS1_11target_archE1100ELNS1_3gpuE3ELNS1_3repE0EEENS1_30default_config_static_selectorELNS0_4arch9wavefront6targetE1EEEvT1_
; %bb.0:
	.section	.rodata,"a",@progbits
	.p2align	6, 0x0
	.amdhsa_kernel _ZN7rocprim17ROCPRIM_400000_NS6detail17trampoline_kernelINS0_14default_configENS1_20scan_config_selectorIN3c108BFloat16EEEZZNS1_9scan_implILNS1_25lookback_scan_determinismE0ELb0ELb0ES3_PKS6_PS6_S6_ZZZN2at6native31launch_logcumsumexp_cuda_kernelERKNSD_10TensorBaseESH_lENKUlvE_clEvENKUlvE4_clEvEUlS6_S6_E_S6_EEDaPvRmT3_T4_T5_mT6_P12ihipStream_tbENKUlT_T0_E_clISt17integral_constantIbLb1EESX_IbLb0EEEEDaST_SU_EUlST_E_NS1_11comp_targetILNS1_3genE9ELNS1_11target_archE1100ELNS1_3gpuE3ELNS1_3repE0EEENS1_30default_config_static_selectorELNS0_4arch9wavefront6targetE1EEEvT1_
		.amdhsa_group_segment_fixed_size 0
		.amdhsa_private_segment_fixed_size 0
		.amdhsa_kernarg_size 96
		.amdhsa_user_sgpr_count 2
		.amdhsa_user_sgpr_dispatch_ptr 0
		.amdhsa_user_sgpr_queue_ptr 0
		.amdhsa_user_sgpr_kernarg_segment_ptr 1
		.amdhsa_user_sgpr_dispatch_id 0
		.amdhsa_user_sgpr_kernarg_preload_length 0
		.amdhsa_user_sgpr_kernarg_preload_offset 0
		.amdhsa_user_sgpr_private_segment_size 0
		.amdhsa_uses_dynamic_stack 0
		.amdhsa_enable_private_segment 0
		.amdhsa_system_sgpr_workgroup_id_x 1
		.amdhsa_system_sgpr_workgroup_id_y 0
		.amdhsa_system_sgpr_workgroup_id_z 0
		.amdhsa_system_sgpr_workgroup_info 0
		.amdhsa_system_vgpr_workitem_id 0
		.amdhsa_next_free_vgpr 1
		.amdhsa_next_free_sgpr 0
		.amdhsa_accum_offset 4
		.amdhsa_reserve_vcc 0
		.amdhsa_float_round_mode_32 0
		.amdhsa_float_round_mode_16_64 0
		.amdhsa_float_denorm_mode_32 3
		.amdhsa_float_denorm_mode_16_64 3
		.amdhsa_dx10_clamp 1
		.amdhsa_ieee_mode 1
		.amdhsa_fp16_overflow 0
		.amdhsa_tg_split 0
		.amdhsa_exception_fp_ieee_invalid_op 0
		.amdhsa_exception_fp_denorm_src 0
		.amdhsa_exception_fp_ieee_div_zero 0
		.amdhsa_exception_fp_ieee_overflow 0
		.amdhsa_exception_fp_ieee_underflow 0
		.amdhsa_exception_fp_ieee_inexact 0
		.amdhsa_exception_int_div_zero 0
	.end_amdhsa_kernel
	.section	.text._ZN7rocprim17ROCPRIM_400000_NS6detail17trampoline_kernelINS0_14default_configENS1_20scan_config_selectorIN3c108BFloat16EEEZZNS1_9scan_implILNS1_25lookback_scan_determinismE0ELb0ELb0ES3_PKS6_PS6_S6_ZZZN2at6native31launch_logcumsumexp_cuda_kernelERKNSD_10TensorBaseESH_lENKUlvE_clEvENKUlvE4_clEvEUlS6_S6_E_S6_EEDaPvRmT3_T4_T5_mT6_P12ihipStream_tbENKUlT_T0_E_clISt17integral_constantIbLb1EESX_IbLb0EEEEDaST_SU_EUlST_E_NS1_11comp_targetILNS1_3genE9ELNS1_11target_archE1100ELNS1_3gpuE3ELNS1_3repE0EEENS1_30default_config_static_selectorELNS0_4arch9wavefront6targetE1EEEvT1_,"axG",@progbits,_ZN7rocprim17ROCPRIM_400000_NS6detail17trampoline_kernelINS0_14default_configENS1_20scan_config_selectorIN3c108BFloat16EEEZZNS1_9scan_implILNS1_25lookback_scan_determinismE0ELb0ELb0ES3_PKS6_PS6_S6_ZZZN2at6native31launch_logcumsumexp_cuda_kernelERKNSD_10TensorBaseESH_lENKUlvE_clEvENKUlvE4_clEvEUlS6_S6_E_S6_EEDaPvRmT3_T4_T5_mT6_P12ihipStream_tbENKUlT_T0_E_clISt17integral_constantIbLb1EESX_IbLb0EEEEDaST_SU_EUlST_E_NS1_11comp_targetILNS1_3genE9ELNS1_11target_archE1100ELNS1_3gpuE3ELNS1_3repE0EEENS1_30default_config_static_selectorELNS0_4arch9wavefront6targetE1EEEvT1_,comdat
.Lfunc_end491:
	.size	_ZN7rocprim17ROCPRIM_400000_NS6detail17trampoline_kernelINS0_14default_configENS1_20scan_config_selectorIN3c108BFloat16EEEZZNS1_9scan_implILNS1_25lookback_scan_determinismE0ELb0ELb0ES3_PKS6_PS6_S6_ZZZN2at6native31launch_logcumsumexp_cuda_kernelERKNSD_10TensorBaseESH_lENKUlvE_clEvENKUlvE4_clEvEUlS6_S6_E_S6_EEDaPvRmT3_T4_T5_mT6_P12ihipStream_tbENKUlT_T0_E_clISt17integral_constantIbLb1EESX_IbLb0EEEEDaST_SU_EUlST_E_NS1_11comp_targetILNS1_3genE9ELNS1_11target_archE1100ELNS1_3gpuE3ELNS1_3repE0EEENS1_30default_config_static_selectorELNS0_4arch9wavefront6targetE1EEEvT1_, .Lfunc_end491-_ZN7rocprim17ROCPRIM_400000_NS6detail17trampoline_kernelINS0_14default_configENS1_20scan_config_selectorIN3c108BFloat16EEEZZNS1_9scan_implILNS1_25lookback_scan_determinismE0ELb0ELb0ES3_PKS6_PS6_S6_ZZZN2at6native31launch_logcumsumexp_cuda_kernelERKNSD_10TensorBaseESH_lENKUlvE_clEvENKUlvE4_clEvEUlS6_S6_E_S6_EEDaPvRmT3_T4_T5_mT6_P12ihipStream_tbENKUlT_T0_E_clISt17integral_constantIbLb1EESX_IbLb0EEEEDaST_SU_EUlST_E_NS1_11comp_targetILNS1_3genE9ELNS1_11target_archE1100ELNS1_3gpuE3ELNS1_3repE0EEENS1_30default_config_static_selectorELNS0_4arch9wavefront6targetE1EEEvT1_
                                        ; -- End function
	.set _ZN7rocprim17ROCPRIM_400000_NS6detail17trampoline_kernelINS0_14default_configENS1_20scan_config_selectorIN3c108BFloat16EEEZZNS1_9scan_implILNS1_25lookback_scan_determinismE0ELb0ELb0ES3_PKS6_PS6_S6_ZZZN2at6native31launch_logcumsumexp_cuda_kernelERKNSD_10TensorBaseESH_lENKUlvE_clEvENKUlvE4_clEvEUlS6_S6_E_S6_EEDaPvRmT3_T4_T5_mT6_P12ihipStream_tbENKUlT_T0_E_clISt17integral_constantIbLb1EESX_IbLb0EEEEDaST_SU_EUlST_E_NS1_11comp_targetILNS1_3genE9ELNS1_11target_archE1100ELNS1_3gpuE3ELNS1_3repE0EEENS1_30default_config_static_selectorELNS0_4arch9wavefront6targetE1EEEvT1_.num_vgpr, 0
	.set _ZN7rocprim17ROCPRIM_400000_NS6detail17trampoline_kernelINS0_14default_configENS1_20scan_config_selectorIN3c108BFloat16EEEZZNS1_9scan_implILNS1_25lookback_scan_determinismE0ELb0ELb0ES3_PKS6_PS6_S6_ZZZN2at6native31launch_logcumsumexp_cuda_kernelERKNSD_10TensorBaseESH_lENKUlvE_clEvENKUlvE4_clEvEUlS6_S6_E_S6_EEDaPvRmT3_T4_T5_mT6_P12ihipStream_tbENKUlT_T0_E_clISt17integral_constantIbLb1EESX_IbLb0EEEEDaST_SU_EUlST_E_NS1_11comp_targetILNS1_3genE9ELNS1_11target_archE1100ELNS1_3gpuE3ELNS1_3repE0EEENS1_30default_config_static_selectorELNS0_4arch9wavefront6targetE1EEEvT1_.num_agpr, 0
	.set _ZN7rocprim17ROCPRIM_400000_NS6detail17trampoline_kernelINS0_14default_configENS1_20scan_config_selectorIN3c108BFloat16EEEZZNS1_9scan_implILNS1_25lookback_scan_determinismE0ELb0ELb0ES3_PKS6_PS6_S6_ZZZN2at6native31launch_logcumsumexp_cuda_kernelERKNSD_10TensorBaseESH_lENKUlvE_clEvENKUlvE4_clEvEUlS6_S6_E_S6_EEDaPvRmT3_T4_T5_mT6_P12ihipStream_tbENKUlT_T0_E_clISt17integral_constantIbLb1EESX_IbLb0EEEEDaST_SU_EUlST_E_NS1_11comp_targetILNS1_3genE9ELNS1_11target_archE1100ELNS1_3gpuE3ELNS1_3repE0EEENS1_30default_config_static_selectorELNS0_4arch9wavefront6targetE1EEEvT1_.numbered_sgpr, 0
	.set _ZN7rocprim17ROCPRIM_400000_NS6detail17trampoline_kernelINS0_14default_configENS1_20scan_config_selectorIN3c108BFloat16EEEZZNS1_9scan_implILNS1_25lookback_scan_determinismE0ELb0ELb0ES3_PKS6_PS6_S6_ZZZN2at6native31launch_logcumsumexp_cuda_kernelERKNSD_10TensorBaseESH_lENKUlvE_clEvENKUlvE4_clEvEUlS6_S6_E_S6_EEDaPvRmT3_T4_T5_mT6_P12ihipStream_tbENKUlT_T0_E_clISt17integral_constantIbLb1EESX_IbLb0EEEEDaST_SU_EUlST_E_NS1_11comp_targetILNS1_3genE9ELNS1_11target_archE1100ELNS1_3gpuE3ELNS1_3repE0EEENS1_30default_config_static_selectorELNS0_4arch9wavefront6targetE1EEEvT1_.num_named_barrier, 0
	.set _ZN7rocprim17ROCPRIM_400000_NS6detail17trampoline_kernelINS0_14default_configENS1_20scan_config_selectorIN3c108BFloat16EEEZZNS1_9scan_implILNS1_25lookback_scan_determinismE0ELb0ELb0ES3_PKS6_PS6_S6_ZZZN2at6native31launch_logcumsumexp_cuda_kernelERKNSD_10TensorBaseESH_lENKUlvE_clEvENKUlvE4_clEvEUlS6_S6_E_S6_EEDaPvRmT3_T4_T5_mT6_P12ihipStream_tbENKUlT_T0_E_clISt17integral_constantIbLb1EESX_IbLb0EEEEDaST_SU_EUlST_E_NS1_11comp_targetILNS1_3genE9ELNS1_11target_archE1100ELNS1_3gpuE3ELNS1_3repE0EEENS1_30default_config_static_selectorELNS0_4arch9wavefront6targetE1EEEvT1_.private_seg_size, 0
	.set _ZN7rocprim17ROCPRIM_400000_NS6detail17trampoline_kernelINS0_14default_configENS1_20scan_config_selectorIN3c108BFloat16EEEZZNS1_9scan_implILNS1_25lookback_scan_determinismE0ELb0ELb0ES3_PKS6_PS6_S6_ZZZN2at6native31launch_logcumsumexp_cuda_kernelERKNSD_10TensorBaseESH_lENKUlvE_clEvENKUlvE4_clEvEUlS6_S6_E_S6_EEDaPvRmT3_T4_T5_mT6_P12ihipStream_tbENKUlT_T0_E_clISt17integral_constantIbLb1EESX_IbLb0EEEEDaST_SU_EUlST_E_NS1_11comp_targetILNS1_3genE9ELNS1_11target_archE1100ELNS1_3gpuE3ELNS1_3repE0EEENS1_30default_config_static_selectorELNS0_4arch9wavefront6targetE1EEEvT1_.uses_vcc, 0
	.set _ZN7rocprim17ROCPRIM_400000_NS6detail17trampoline_kernelINS0_14default_configENS1_20scan_config_selectorIN3c108BFloat16EEEZZNS1_9scan_implILNS1_25lookback_scan_determinismE0ELb0ELb0ES3_PKS6_PS6_S6_ZZZN2at6native31launch_logcumsumexp_cuda_kernelERKNSD_10TensorBaseESH_lENKUlvE_clEvENKUlvE4_clEvEUlS6_S6_E_S6_EEDaPvRmT3_T4_T5_mT6_P12ihipStream_tbENKUlT_T0_E_clISt17integral_constantIbLb1EESX_IbLb0EEEEDaST_SU_EUlST_E_NS1_11comp_targetILNS1_3genE9ELNS1_11target_archE1100ELNS1_3gpuE3ELNS1_3repE0EEENS1_30default_config_static_selectorELNS0_4arch9wavefront6targetE1EEEvT1_.uses_flat_scratch, 0
	.set _ZN7rocprim17ROCPRIM_400000_NS6detail17trampoline_kernelINS0_14default_configENS1_20scan_config_selectorIN3c108BFloat16EEEZZNS1_9scan_implILNS1_25lookback_scan_determinismE0ELb0ELb0ES3_PKS6_PS6_S6_ZZZN2at6native31launch_logcumsumexp_cuda_kernelERKNSD_10TensorBaseESH_lENKUlvE_clEvENKUlvE4_clEvEUlS6_S6_E_S6_EEDaPvRmT3_T4_T5_mT6_P12ihipStream_tbENKUlT_T0_E_clISt17integral_constantIbLb1EESX_IbLb0EEEEDaST_SU_EUlST_E_NS1_11comp_targetILNS1_3genE9ELNS1_11target_archE1100ELNS1_3gpuE3ELNS1_3repE0EEENS1_30default_config_static_selectorELNS0_4arch9wavefront6targetE1EEEvT1_.has_dyn_sized_stack, 0
	.set _ZN7rocprim17ROCPRIM_400000_NS6detail17trampoline_kernelINS0_14default_configENS1_20scan_config_selectorIN3c108BFloat16EEEZZNS1_9scan_implILNS1_25lookback_scan_determinismE0ELb0ELb0ES3_PKS6_PS6_S6_ZZZN2at6native31launch_logcumsumexp_cuda_kernelERKNSD_10TensorBaseESH_lENKUlvE_clEvENKUlvE4_clEvEUlS6_S6_E_S6_EEDaPvRmT3_T4_T5_mT6_P12ihipStream_tbENKUlT_T0_E_clISt17integral_constantIbLb1EESX_IbLb0EEEEDaST_SU_EUlST_E_NS1_11comp_targetILNS1_3genE9ELNS1_11target_archE1100ELNS1_3gpuE3ELNS1_3repE0EEENS1_30default_config_static_selectorELNS0_4arch9wavefront6targetE1EEEvT1_.has_recursion, 0
	.set _ZN7rocprim17ROCPRIM_400000_NS6detail17trampoline_kernelINS0_14default_configENS1_20scan_config_selectorIN3c108BFloat16EEEZZNS1_9scan_implILNS1_25lookback_scan_determinismE0ELb0ELb0ES3_PKS6_PS6_S6_ZZZN2at6native31launch_logcumsumexp_cuda_kernelERKNSD_10TensorBaseESH_lENKUlvE_clEvENKUlvE4_clEvEUlS6_S6_E_S6_EEDaPvRmT3_T4_T5_mT6_P12ihipStream_tbENKUlT_T0_E_clISt17integral_constantIbLb1EESX_IbLb0EEEEDaST_SU_EUlST_E_NS1_11comp_targetILNS1_3genE9ELNS1_11target_archE1100ELNS1_3gpuE3ELNS1_3repE0EEENS1_30default_config_static_selectorELNS0_4arch9wavefront6targetE1EEEvT1_.has_indirect_call, 0
	.section	.AMDGPU.csdata,"",@progbits
; Kernel info:
; codeLenInByte = 0
; TotalNumSgprs: 6
; NumVgprs: 0
; NumAgprs: 0
; TotalNumVgprs: 0
; ScratchSize: 0
; MemoryBound: 0
; FloatMode: 240
; IeeeMode: 1
; LDSByteSize: 0 bytes/workgroup (compile time only)
; SGPRBlocks: 0
; VGPRBlocks: 0
; NumSGPRsForWavesPerEU: 6
; NumVGPRsForWavesPerEU: 1
; AccumOffset: 4
; Occupancy: 8
; WaveLimiterHint : 0
; COMPUTE_PGM_RSRC2:SCRATCH_EN: 0
; COMPUTE_PGM_RSRC2:USER_SGPR: 2
; COMPUTE_PGM_RSRC2:TRAP_HANDLER: 0
; COMPUTE_PGM_RSRC2:TGID_X_EN: 1
; COMPUTE_PGM_RSRC2:TGID_Y_EN: 0
; COMPUTE_PGM_RSRC2:TGID_Z_EN: 0
; COMPUTE_PGM_RSRC2:TIDIG_COMP_CNT: 0
; COMPUTE_PGM_RSRC3_GFX90A:ACCUM_OFFSET: 0
; COMPUTE_PGM_RSRC3_GFX90A:TG_SPLIT: 0
	.section	.text._ZN7rocprim17ROCPRIM_400000_NS6detail17trampoline_kernelINS0_14default_configENS1_20scan_config_selectorIN3c108BFloat16EEEZZNS1_9scan_implILNS1_25lookback_scan_determinismE0ELb0ELb0ES3_PKS6_PS6_S6_ZZZN2at6native31launch_logcumsumexp_cuda_kernelERKNSD_10TensorBaseESH_lENKUlvE_clEvENKUlvE4_clEvEUlS6_S6_E_S6_EEDaPvRmT3_T4_T5_mT6_P12ihipStream_tbENKUlT_T0_E_clISt17integral_constantIbLb1EESX_IbLb0EEEEDaST_SU_EUlST_E_NS1_11comp_targetILNS1_3genE8ELNS1_11target_archE1030ELNS1_3gpuE2ELNS1_3repE0EEENS1_30default_config_static_selectorELNS0_4arch9wavefront6targetE1EEEvT1_,"axG",@progbits,_ZN7rocprim17ROCPRIM_400000_NS6detail17trampoline_kernelINS0_14default_configENS1_20scan_config_selectorIN3c108BFloat16EEEZZNS1_9scan_implILNS1_25lookback_scan_determinismE0ELb0ELb0ES3_PKS6_PS6_S6_ZZZN2at6native31launch_logcumsumexp_cuda_kernelERKNSD_10TensorBaseESH_lENKUlvE_clEvENKUlvE4_clEvEUlS6_S6_E_S6_EEDaPvRmT3_T4_T5_mT6_P12ihipStream_tbENKUlT_T0_E_clISt17integral_constantIbLb1EESX_IbLb0EEEEDaST_SU_EUlST_E_NS1_11comp_targetILNS1_3genE8ELNS1_11target_archE1030ELNS1_3gpuE2ELNS1_3repE0EEENS1_30default_config_static_selectorELNS0_4arch9wavefront6targetE1EEEvT1_,comdat
	.globl	_ZN7rocprim17ROCPRIM_400000_NS6detail17trampoline_kernelINS0_14default_configENS1_20scan_config_selectorIN3c108BFloat16EEEZZNS1_9scan_implILNS1_25lookback_scan_determinismE0ELb0ELb0ES3_PKS6_PS6_S6_ZZZN2at6native31launch_logcumsumexp_cuda_kernelERKNSD_10TensorBaseESH_lENKUlvE_clEvENKUlvE4_clEvEUlS6_S6_E_S6_EEDaPvRmT3_T4_T5_mT6_P12ihipStream_tbENKUlT_T0_E_clISt17integral_constantIbLb1EESX_IbLb0EEEEDaST_SU_EUlST_E_NS1_11comp_targetILNS1_3genE8ELNS1_11target_archE1030ELNS1_3gpuE2ELNS1_3repE0EEENS1_30default_config_static_selectorELNS0_4arch9wavefront6targetE1EEEvT1_ ; -- Begin function _ZN7rocprim17ROCPRIM_400000_NS6detail17trampoline_kernelINS0_14default_configENS1_20scan_config_selectorIN3c108BFloat16EEEZZNS1_9scan_implILNS1_25lookback_scan_determinismE0ELb0ELb0ES3_PKS6_PS6_S6_ZZZN2at6native31launch_logcumsumexp_cuda_kernelERKNSD_10TensorBaseESH_lENKUlvE_clEvENKUlvE4_clEvEUlS6_S6_E_S6_EEDaPvRmT3_T4_T5_mT6_P12ihipStream_tbENKUlT_T0_E_clISt17integral_constantIbLb1EESX_IbLb0EEEEDaST_SU_EUlST_E_NS1_11comp_targetILNS1_3genE8ELNS1_11target_archE1030ELNS1_3gpuE2ELNS1_3repE0EEENS1_30default_config_static_selectorELNS0_4arch9wavefront6targetE1EEEvT1_
	.p2align	8
	.type	_ZN7rocprim17ROCPRIM_400000_NS6detail17trampoline_kernelINS0_14default_configENS1_20scan_config_selectorIN3c108BFloat16EEEZZNS1_9scan_implILNS1_25lookback_scan_determinismE0ELb0ELb0ES3_PKS6_PS6_S6_ZZZN2at6native31launch_logcumsumexp_cuda_kernelERKNSD_10TensorBaseESH_lENKUlvE_clEvENKUlvE4_clEvEUlS6_S6_E_S6_EEDaPvRmT3_T4_T5_mT6_P12ihipStream_tbENKUlT_T0_E_clISt17integral_constantIbLb1EESX_IbLb0EEEEDaST_SU_EUlST_E_NS1_11comp_targetILNS1_3genE8ELNS1_11target_archE1030ELNS1_3gpuE2ELNS1_3repE0EEENS1_30default_config_static_selectorELNS0_4arch9wavefront6targetE1EEEvT1_,@function
_ZN7rocprim17ROCPRIM_400000_NS6detail17trampoline_kernelINS0_14default_configENS1_20scan_config_selectorIN3c108BFloat16EEEZZNS1_9scan_implILNS1_25lookback_scan_determinismE0ELb0ELb0ES3_PKS6_PS6_S6_ZZZN2at6native31launch_logcumsumexp_cuda_kernelERKNSD_10TensorBaseESH_lENKUlvE_clEvENKUlvE4_clEvEUlS6_S6_E_S6_EEDaPvRmT3_T4_T5_mT6_P12ihipStream_tbENKUlT_T0_E_clISt17integral_constantIbLb1EESX_IbLb0EEEEDaST_SU_EUlST_E_NS1_11comp_targetILNS1_3genE8ELNS1_11target_archE1030ELNS1_3gpuE2ELNS1_3repE0EEENS1_30default_config_static_selectorELNS0_4arch9wavefront6targetE1EEEvT1_: ; @_ZN7rocprim17ROCPRIM_400000_NS6detail17trampoline_kernelINS0_14default_configENS1_20scan_config_selectorIN3c108BFloat16EEEZZNS1_9scan_implILNS1_25lookback_scan_determinismE0ELb0ELb0ES3_PKS6_PS6_S6_ZZZN2at6native31launch_logcumsumexp_cuda_kernelERKNSD_10TensorBaseESH_lENKUlvE_clEvENKUlvE4_clEvEUlS6_S6_E_S6_EEDaPvRmT3_T4_T5_mT6_P12ihipStream_tbENKUlT_T0_E_clISt17integral_constantIbLb1EESX_IbLb0EEEEDaST_SU_EUlST_E_NS1_11comp_targetILNS1_3genE8ELNS1_11target_archE1030ELNS1_3gpuE2ELNS1_3repE0EEENS1_30default_config_static_selectorELNS0_4arch9wavefront6targetE1EEEvT1_
; %bb.0:
	.section	.rodata,"a",@progbits
	.p2align	6, 0x0
	.amdhsa_kernel _ZN7rocprim17ROCPRIM_400000_NS6detail17trampoline_kernelINS0_14default_configENS1_20scan_config_selectorIN3c108BFloat16EEEZZNS1_9scan_implILNS1_25lookback_scan_determinismE0ELb0ELb0ES3_PKS6_PS6_S6_ZZZN2at6native31launch_logcumsumexp_cuda_kernelERKNSD_10TensorBaseESH_lENKUlvE_clEvENKUlvE4_clEvEUlS6_S6_E_S6_EEDaPvRmT3_T4_T5_mT6_P12ihipStream_tbENKUlT_T0_E_clISt17integral_constantIbLb1EESX_IbLb0EEEEDaST_SU_EUlST_E_NS1_11comp_targetILNS1_3genE8ELNS1_11target_archE1030ELNS1_3gpuE2ELNS1_3repE0EEENS1_30default_config_static_selectorELNS0_4arch9wavefront6targetE1EEEvT1_
		.amdhsa_group_segment_fixed_size 0
		.amdhsa_private_segment_fixed_size 0
		.amdhsa_kernarg_size 96
		.amdhsa_user_sgpr_count 2
		.amdhsa_user_sgpr_dispatch_ptr 0
		.amdhsa_user_sgpr_queue_ptr 0
		.amdhsa_user_sgpr_kernarg_segment_ptr 1
		.amdhsa_user_sgpr_dispatch_id 0
		.amdhsa_user_sgpr_kernarg_preload_length 0
		.amdhsa_user_sgpr_kernarg_preload_offset 0
		.amdhsa_user_sgpr_private_segment_size 0
		.amdhsa_uses_dynamic_stack 0
		.amdhsa_enable_private_segment 0
		.amdhsa_system_sgpr_workgroup_id_x 1
		.amdhsa_system_sgpr_workgroup_id_y 0
		.amdhsa_system_sgpr_workgroup_id_z 0
		.amdhsa_system_sgpr_workgroup_info 0
		.amdhsa_system_vgpr_workitem_id 0
		.amdhsa_next_free_vgpr 1
		.amdhsa_next_free_sgpr 0
		.amdhsa_accum_offset 4
		.amdhsa_reserve_vcc 0
		.amdhsa_float_round_mode_32 0
		.amdhsa_float_round_mode_16_64 0
		.amdhsa_float_denorm_mode_32 3
		.amdhsa_float_denorm_mode_16_64 3
		.amdhsa_dx10_clamp 1
		.amdhsa_ieee_mode 1
		.amdhsa_fp16_overflow 0
		.amdhsa_tg_split 0
		.amdhsa_exception_fp_ieee_invalid_op 0
		.amdhsa_exception_fp_denorm_src 0
		.amdhsa_exception_fp_ieee_div_zero 0
		.amdhsa_exception_fp_ieee_overflow 0
		.amdhsa_exception_fp_ieee_underflow 0
		.amdhsa_exception_fp_ieee_inexact 0
		.amdhsa_exception_int_div_zero 0
	.end_amdhsa_kernel
	.section	.text._ZN7rocprim17ROCPRIM_400000_NS6detail17trampoline_kernelINS0_14default_configENS1_20scan_config_selectorIN3c108BFloat16EEEZZNS1_9scan_implILNS1_25lookback_scan_determinismE0ELb0ELb0ES3_PKS6_PS6_S6_ZZZN2at6native31launch_logcumsumexp_cuda_kernelERKNSD_10TensorBaseESH_lENKUlvE_clEvENKUlvE4_clEvEUlS6_S6_E_S6_EEDaPvRmT3_T4_T5_mT6_P12ihipStream_tbENKUlT_T0_E_clISt17integral_constantIbLb1EESX_IbLb0EEEEDaST_SU_EUlST_E_NS1_11comp_targetILNS1_3genE8ELNS1_11target_archE1030ELNS1_3gpuE2ELNS1_3repE0EEENS1_30default_config_static_selectorELNS0_4arch9wavefront6targetE1EEEvT1_,"axG",@progbits,_ZN7rocprim17ROCPRIM_400000_NS6detail17trampoline_kernelINS0_14default_configENS1_20scan_config_selectorIN3c108BFloat16EEEZZNS1_9scan_implILNS1_25lookback_scan_determinismE0ELb0ELb0ES3_PKS6_PS6_S6_ZZZN2at6native31launch_logcumsumexp_cuda_kernelERKNSD_10TensorBaseESH_lENKUlvE_clEvENKUlvE4_clEvEUlS6_S6_E_S6_EEDaPvRmT3_T4_T5_mT6_P12ihipStream_tbENKUlT_T0_E_clISt17integral_constantIbLb1EESX_IbLb0EEEEDaST_SU_EUlST_E_NS1_11comp_targetILNS1_3genE8ELNS1_11target_archE1030ELNS1_3gpuE2ELNS1_3repE0EEENS1_30default_config_static_selectorELNS0_4arch9wavefront6targetE1EEEvT1_,comdat
.Lfunc_end492:
	.size	_ZN7rocprim17ROCPRIM_400000_NS6detail17trampoline_kernelINS0_14default_configENS1_20scan_config_selectorIN3c108BFloat16EEEZZNS1_9scan_implILNS1_25lookback_scan_determinismE0ELb0ELb0ES3_PKS6_PS6_S6_ZZZN2at6native31launch_logcumsumexp_cuda_kernelERKNSD_10TensorBaseESH_lENKUlvE_clEvENKUlvE4_clEvEUlS6_S6_E_S6_EEDaPvRmT3_T4_T5_mT6_P12ihipStream_tbENKUlT_T0_E_clISt17integral_constantIbLb1EESX_IbLb0EEEEDaST_SU_EUlST_E_NS1_11comp_targetILNS1_3genE8ELNS1_11target_archE1030ELNS1_3gpuE2ELNS1_3repE0EEENS1_30default_config_static_selectorELNS0_4arch9wavefront6targetE1EEEvT1_, .Lfunc_end492-_ZN7rocprim17ROCPRIM_400000_NS6detail17trampoline_kernelINS0_14default_configENS1_20scan_config_selectorIN3c108BFloat16EEEZZNS1_9scan_implILNS1_25lookback_scan_determinismE0ELb0ELb0ES3_PKS6_PS6_S6_ZZZN2at6native31launch_logcumsumexp_cuda_kernelERKNSD_10TensorBaseESH_lENKUlvE_clEvENKUlvE4_clEvEUlS6_S6_E_S6_EEDaPvRmT3_T4_T5_mT6_P12ihipStream_tbENKUlT_T0_E_clISt17integral_constantIbLb1EESX_IbLb0EEEEDaST_SU_EUlST_E_NS1_11comp_targetILNS1_3genE8ELNS1_11target_archE1030ELNS1_3gpuE2ELNS1_3repE0EEENS1_30default_config_static_selectorELNS0_4arch9wavefront6targetE1EEEvT1_
                                        ; -- End function
	.set _ZN7rocprim17ROCPRIM_400000_NS6detail17trampoline_kernelINS0_14default_configENS1_20scan_config_selectorIN3c108BFloat16EEEZZNS1_9scan_implILNS1_25lookback_scan_determinismE0ELb0ELb0ES3_PKS6_PS6_S6_ZZZN2at6native31launch_logcumsumexp_cuda_kernelERKNSD_10TensorBaseESH_lENKUlvE_clEvENKUlvE4_clEvEUlS6_S6_E_S6_EEDaPvRmT3_T4_T5_mT6_P12ihipStream_tbENKUlT_T0_E_clISt17integral_constantIbLb1EESX_IbLb0EEEEDaST_SU_EUlST_E_NS1_11comp_targetILNS1_3genE8ELNS1_11target_archE1030ELNS1_3gpuE2ELNS1_3repE0EEENS1_30default_config_static_selectorELNS0_4arch9wavefront6targetE1EEEvT1_.num_vgpr, 0
	.set _ZN7rocprim17ROCPRIM_400000_NS6detail17trampoline_kernelINS0_14default_configENS1_20scan_config_selectorIN3c108BFloat16EEEZZNS1_9scan_implILNS1_25lookback_scan_determinismE0ELb0ELb0ES3_PKS6_PS6_S6_ZZZN2at6native31launch_logcumsumexp_cuda_kernelERKNSD_10TensorBaseESH_lENKUlvE_clEvENKUlvE4_clEvEUlS6_S6_E_S6_EEDaPvRmT3_T4_T5_mT6_P12ihipStream_tbENKUlT_T0_E_clISt17integral_constantIbLb1EESX_IbLb0EEEEDaST_SU_EUlST_E_NS1_11comp_targetILNS1_3genE8ELNS1_11target_archE1030ELNS1_3gpuE2ELNS1_3repE0EEENS1_30default_config_static_selectorELNS0_4arch9wavefront6targetE1EEEvT1_.num_agpr, 0
	.set _ZN7rocprim17ROCPRIM_400000_NS6detail17trampoline_kernelINS0_14default_configENS1_20scan_config_selectorIN3c108BFloat16EEEZZNS1_9scan_implILNS1_25lookback_scan_determinismE0ELb0ELb0ES3_PKS6_PS6_S6_ZZZN2at6native31launch_logcumsumexp_cuda_kernelERKNSD_10TensorBaseESH_lENKUlvE_clEvENKUlvE4_clEvEUlS6_S6_E_S6_EEDaPvRmT3_T4_T5_mT6_P12ihipStream_tbENKUlT_T0_E_clISt17integral_constantIbLb1EESX_IbLb0EEEEDaST_SU_EUlST_E_NS1_11comp_targetILNS1_3genE8ELNS1_11target_archE1030ELNS1_3gpuE2ELNS1_3repE0EEENS1_30default_config_static_selectorELNS0_4arch9wavefront6targetE1EEEvT1_.numbered_sgpr, 0
	.set _ZN7rocprim17ROCPRIM_400000_NS6detail17trampoline_kernelINS0_14default_configENS1_20scan_config_selectorIN3c108BFloat16EEEZZNS1_9scan_implILNS1_25lookback_scan_determinismE0ELb0ELb0ES3_PKS6_PS6_S6_ZZZN2at6native31launch_logcumsumexp_cuda_kernelERKNSD_10TensorBaseESH_lENKUlvE_clEvENKUlvE4_clEvEUlS6_S6_E_S6_EEDaPvRmT3_T4_T5_mT6_P12ihipStream_tbENKUlT_T0_E_clISt17integral_constantIbLb1EESX_IbLb0EEEEDaST_SU_EUlST_E_NS1_11comp_targetILNS1_3genE8ELNS1_11target_archE1030ELNS1_3gpuE2ELNS1_3repE0EEENS1_30default_config_static_selectorELNS0_4arch9wavefront6targetE1EEEvT1_.num_named_barrier, 0
	.set _ZN7rocprim17ROCPRIM_400000_NS6detail17trampoline_kernelINS0_14default_configENS1_20scan_config_selectorIN3c108BFloat16EEEZZNS1_9scan_implILNS1_25lookback_scan_determinismE0ELb0ELb0ES3_PKS6_PS6_S6_ZZZN2at6native31launch_logcumsumexp_cuda_kernelERKNSD_10TensorBaseESH_lENKUlvE_clEvENKUlvE4_clEvEUlS6_S6_E_S6_EEDaPvRmT3_T4_T5_mT6_P12ihipStream_tbENKUlT_T0_E_clISt17integral_constantIbLb1EESX_IbLb0EEEEDaST_SU_EUlST_E_NS1_11comp_targetILNS1_3genE8ELNS1_11target_archE1030ELNS1_3gpuE2ELNS1_3repE0EEENS1_30default_config_static_selectorELNS0_4arch9wavefront6targetE1EEEvT1_.private_seg_size, 0
	.set _ZN7rocprim17ROCPRIM_400000_NS6detail17trampoline_kernelINS0_14default_configENS1_20scan_config_selectorIN3c108BFloat16EEEZZNS1_9scan_implILNS1_25lookback_scan_determinismE0ELb0ELb0ES3_PKS6_PS6_S6_ZZZN2at6native31launch_logcumsumexp_cuda_kernelERKNSD_10TensorBaseESH_lENKUlvE_clEvENKUlvE4_clEvEUlS6_S6_E_S6_EEDaPvRmT3_T4_T5_mT6_P12ihipStream_tbENKUlT_T0_E_clISt17integral_constantIbLb1EESX_IbLb0EEEEDaST_SU_EUlST_E_NS1_11comp_targetILNS1_3genE8ELNS1_11target_archE1030ELNS1_3gpuE2ELNS1_3repE0EEENS1_30default_config_static_selectorELNS0_4arch9wavefront6targetE1EEEvT1_.uses_vcc, 0
	.set _ZN7rocprim17ROCPRIM_400000_NS6detail17trampoline_kernelINS0_14default_configENS1_20scan_config_selectorIN3c108BFloat16EEEZZNS1_9scan_implILNS1_25lookback_scan_determinismE0ELb0ELb0ES3_PKS6_PS6_S6_ZZZN2at6native31launch_logcumsumexp_cuda_kernelERKNSD_10TensorBaseESH_lENKUlvE_clEvENKUlvE4_clEvEUlS6_S6_E_S6_EEDaPvRmT3_T4_T5_mT6_P12ihipStream_tbENKUlT_T0_E_clISt17integral_constantIbLb1EESX_IbLb0EEEEDaST_SU_EUlST_E_NS1_11comp_targetILNS1_3genE8ELNS1_11target_archE1030ELNS1_3gpuE2ELNS1_3repE0EEENS1_30default_config_static_selectorELNS0_4arch9wavefront6targetE1EEEvT1_.uses_flat_scratch, 0
	.set _ZN7rocprim17ROCPRIM_400000_NS6detail17trampoline_kernelINS0_14default_configENS1_20scan_config_selectorIN3c108BFloat16EEEZZNS1_9scan_implILNS1_25lookback_scan_determinismE0ELb0ELb0ES3_PKS6_PS6_S6_ZZZN2at6native31launch_logcumsumexp_cuda_kernelERKNSD_10TensorBaseESH_lENKUlvE_clEvENKUlvE4_clEvEUlS6_S6_E_S6_EEDaPvRmT3_T4_T5_mT6_P12ihipStream_tbENKUlT_T0_E_clISt17integral_constantIbLb1EESX_IbLb0EEEEDaST_SU_EUlST_E_NS1_11comp_targetILNS1_3genE8ELNS1_11target_archE1030ELNS1_3gpuE2ELNS1_3repE0EEENS1_30default_config_static_selectorELNS0_4arch9wavefront6targetE1EEEvT1_.has_dyn_sized_stack, 0
	.set _ZN7rocprim17ROCPRIM_400000_NS6detail17trampoline_kernelINS0_14default_configENS1_20scan_config_selectorIN3c108BFloat16EEEZZNS1_9scan_implILNS1_25lookback_scan_determinismE0ELb0ELb0ES3_PKS6_PS6_S6_ZZZN2at6native31launch_logcumsumexp_cuda_kernelERKNSD_10TensorBaseESH_lENKUlvE_clEvENKUlvE4_clEvEUlS6_S6_E_S6_EEDaPvRmT3_T4_T5_mT6_P12ihipStream_tbENKUlT_T0_E_clISt17integral_constantIbLb1EESX_IbLb0EEEEDaST_SU_EUlST_E_NS1_11comp_targetILNS1_3genE8ELNS1_11target_archE1030ELNS1_3gpuE2ELNS1_3repE0EEENS1_30default_config_static_selectorELNS0_4arch9wavefront6targetE1EEEvT1_.has_recursion, 0
	.set _ZN7rocprim17ROCPRIM_400000_NS6detail17trampoline_kernelINS0_14default_configENS1_20scan_config_selectorIN3c108BFloat16EEEZZNS1_9scan_implILNS1_25lookback_scan_determinismE0ELb0ELb0ES3_PKS6_PS6_S6_ZZZN2at6native31launch_logcumsumexp_cuda_kernelERKNSD_10TensorBaseESH_lENKUlvE_clEvENKUlvE4_clEvEUlS6_S6_E_S6_EEDaPvRmT3_T4_T5_mT6_P12ihipStream_tbENKUlT_T0_E_clISt17integral_constantIbLb1EESX_IbLb0EEEEDaST_SU_EUlST_E_NS1_11comp_targetILNS1_3genE8ELNS1_11target_archE1030ELNS1_3gpuE2ELNS1_3repE0EEENS1_30default_config_static_selectorELNS0_4arch9wavefront6targetE1EEEvT1_.has_indirect_call, 0
	.section	.AMDGPU.csdata,"",@progbits
; Kernel info:
; codeLenInByte = 0
; TotalNumSgprs: 6
; NumVgprs: 0
; NumAgprs: 0
; TotalNumVgprs: 0
; ScratchSize: 0
; MemoryBound: 0
; FloatMode: 240
; IeeeMode: 1
; LDSByteSize: 0 bytes/workgroup (compile time only)
; SGPRBlocks: 0
; VGPRBlocks: 0
; NumSGPRsForWavesPerEU: 6
; NumVGPRsForWavesPerEU: 1
; AccumOffset: 4
; Occupancy: 8
; WaveLimiterHint : 0
; COMPUTE_PGM_RSRC2:SCRATCH_EN: 0
; COMPUTE_PGM_RSRC2:USER_SGPR: 2
; COMPUTE_PGM_RSRC2:TRAP_HANDLER: 0
; COMPUTE_PGM_RSRC2:TGID_X_EN: 1
; COMPUTE_PGM_RSRC2:TGID_Y_EN: 0
; COMPUTE_PGM_RSRC2:TGID_Z_EN: 0
; COMPUTE_PGM_RSRC2:TIDIG_COMP_CNT: 0
; COMPUTE_PGM_RSRC3_GFX90A:ACCUM_OFFSET: 0
; COMPUTE_PGM_RSRC3_GFX90A:TG_SPLIT: 0
	.section	.text._ZN7rocprim17ROCPRIM_400000_NS6detail17trampoline_kernelINS0_14default_configENS1_20scan_config_selectorIN3c108BFloat16EEEZZNS1_9scan_implILNS1_25lookback_scan_determinismE0ELb0ELb0ES3_PKS6_PS6_S6_ZZZN2at6native31launch_logcumsumexp_cuda_kernelERKNSD_10TensorBaseESH_lENKUlvE_clEvENKUlvE4_clEvEUlS6_S6_E_S6_EEDaPvRmT3_T4_T5_mT6_P12ihipStream_tbENKUlT_T0_E_clISt17integral_constantIbLb1EESX_IbLb0EEEEDaST_SU_EUlST_E0_NS1_11comp_targetILNS1_3genE0ELNS1_11target_archE4294967295ELNS1_3gpuE0ELNS1_3repE0EEENS1_30default_config_static_selectorELNS0_4arch9wavefront6targetE1EEEvT1_,"axG",@progbits,_ZN7rocprim17ROCPRIM_400000_NS6detail17trampoline_kernelINS0_14default_configENS1_20scan_config_selectorIN3c108BFloat16EEEZZNS1_9scan_implILNS1_25lookback_scan_determinismE0ELb0ELb0ES3_PKS6_PS6_S6_ZZZN2at6native31launch_logcumsumexp_cuda_kernelERKNSD_10TensorBaseESH_lENKUlvE_clEvENKUlvE4_clEvEUlS6_S6_E_S6_EEDaPvRmT3_T4_T5_mT6_P12ihipStream_tbENKUlT_T0_E_clISt17integral_constantIbLb1EESX_IbLb0EEEEDaST_SU_EUlST_E0_NS1_11comp_targetILNS1_3genE0ELNS1_11target_archE4294967295ELNS1_3gpuE0ELNS1_3repE0EEENS1_30default_config_static_selectorELNS0_4arch9wavefront6targetE1EEEvT1_,comdat
	.globl	_ZN7rocprim17ROCPRIM_400000_NS6detail17trampoline_kernelINS0_14default_configENS1_20scan_config_selectorIN3c108BFloat16EEEZZNS1_9scan_implILNS1_25lookback_scan_determinismE0ELb0ELb0ES3_PKS6_PS6_S6_ZZZN2at6native31launch_logcumsumexp_cuda_kernelERKNSD_10TensorBaseESH_lENKUlvE_clEvENKUlvE4_clEvEUlS6_S6_E_S6_EEDaPvRmT3_T4_T5_mT6_P12ihipStream_tbENKUlT_T0_E_clISt17integral_constantIbLb1EESX_IbLb0EEEEDaST_SU_EUlST_E0_NS1_11comp_targetILNS1_3genE0ELNS1_11target_archE4294967295ELNS1_3gpuE0ELNS1_3repE0EEENS1_30default_config_static_selectorELNS0_4arch9wavefront6targetE1EEEvT1_ ; -- Begin function _ZN7rocprim17ROCPRIM_400000_NS6detail17trampoline_kernelINS0_14default_configENS1_20scan_config_selectorIN3c108BFloat16EEEZZNS1_9scan_implILNS1_25lookback_scan_determinismE0ELb0ELb0ES3_PKS6_PS6_S6_ZZZN2at6native31launch_logcumsumexp_cuda_kernelERKNSD_10TensorBaseESH_lENKUlvE_clEvENKUlvE4_clEvEUlS6_S6_E_S6_EEDaPvRmT3_T4_T5_mT6_P12ihipStream_tbENKUlT_T0_E_clISt17integral_constantIbLb1EESX_IbLb0EEEEDaST_SU_EUlST_E0_NS1_11comp_targetILNS1_3genE0ELNS1_11target_archE4294967295ELNS1_3gpuE0ELNS1_3repE0EEENS1_30default_config_static_selectorELNS0_4arch9wavefront6targetE1EEEvT1_
	.p2align	8
	.type	_ZN7rocprim17ROCPRIM_400000_NS6detail17trampoline_kernelINS0_14default_configENS1_20scan_config_selectorIN3c108BFloat16EEEZZNS1_9scan_implILNS1_25lookback_scan_determinismE0ELb0ELb0ES3_PKS6_PS6_S6_ZZZN2at6native31launch_logcumsumexp_cuda_kernelERKNSD_10TensorBaseESH_lENKUlvE_clEvENKUlvE4_clEvEUlS6_S6_E_S6_EEDaPvRmT3_T4_T5_mT6_P12ihipStream_tbENKUlT_T0_E_clISt17integral_constantIbLb1EESX_IbLb0EEEEDaST_SU_EUlST_E0_NS1_11comp_targetILNS1_3genE0ELNS1_11target_archE4294967295ELNS1_3gpuE0ELNS1_3repE0EEENS1_30default_config_static_selectorELNS0_4arch9wavefront6targetE1EEEvT1_,@function
_ZN7rocprim17ROCPRIM_400000_NS6detail17trampoline_kernelINS0_14default_configENS1_20scan_config_selectorIN3c108BFloat16EEEZZNS1_9scan_implILNS1_25lookback_scan_determinismE0ELb0ELb0ES3_PKS6_PS6_S6_ZZZN2at6native31launch_logcumsumexp_cuda_kernelERKNSD_10TensorBaseESH_lENKUlvE_clEvENKUlvE4_clEvEUlS6_S6_E_S6_EEDaPvRmT3_T4_T5_mT6_P12ihipStream_tbENKUlT_T0_E_clISt17integral_constantIbLb1EESX_IbLb0EEEEDaST_SU_EUlST_E0_NS1_11comp_targetILNS1_3genE0ELNS1_11target_archE4294967295ELNS1_3gpuE0ELNS1_3repE0EEENS1_30default_config_static_selectorELNS0_4arch9wavefront6targetE1EEEvT1_: ; @_ZN7rocprim17ROCPRIM_400000_NS6detail17trampoline_kernelINS0_14default_configENS1_20scan_config_selectorIN3c108BFloat16EEEZZNS1_9scan_implILNS1_25lookback_scan_determinismE0ELb0ELb0ES3_PKS6_PS6_S6_ZZZN2at6native31launch_logcumsumexp_cuda_kernelERKNSD_10TensorBaseESH_lENKUlvE_clEvENKUlvE4_clEvEUlS6_S6_E_S6_EEDaPvRmT3_T4_T5_mT6_P12ihipStream_tbENKUlT_T0_E_clISt17integral_constantIbLb1EESX_IbLb0EEEEDaST_SU_EUlST_E0_NS1_11comp_targetILNS1_3genE0ELNS1_11target_archE4294967295ELNS1_3gpuE0ELNS1_3repE0EEENS1_30default_config_static_selectorELNS0_4arch9wavefront6targetE1EEEvT1_
; %bb.0:
	s_load_dwordx4 s[28:31], s[0:1], 0x0
	v_mov_b32_e32 v1, 0
	v_lshlrev_b32_e32 v8, 1, v0
	s_waitcnt lgkmcnt(0)
	global_load_ushort v1, v1, s[28:29]
	v_cmp_gt_u32_e64 s[58:59], s30, v0
	s_waitcnt vmcnt(0)
	v_mov_b32_e32 v2, v1
	s_and_saveexec_b64 s[2:3], s[58:59]
	s_cbranch_execz .LBB493_2
; %bb.1:
	global_load_ushort v2, v8, s[28:29]
.LBB493_2:
	s_or_b64 exec, exec, s[2:3]
	v_or_b32_e32 v3, 0x80, v0
	v_cmp_gt_u32_e64 s[2:3], s30, v3
	v_mov_b32_e32 v3, v1
	s_and_saveexec_b64 s[4:5], s[2:3]
	s_cbranch_execz .LBB493_4
; %bb.3:
	global_load_ushort v3, v8, s[28:29] offset:256
.LBB493_4:
	s_or_b64 exec, exec, s[4:5]
	v_or_b32_e32 v4, 0x100, v0
	v_cmp_gt_u32_e64 s[4:5], s30, v4
	v_mov_b32_e32 v4, v1
	s_and_saveexec_b64 s[6:7], s[4:5]
	s_cbranch_execz .LBB493_6
; %bb.5:
	global_load_ushort v4, v8, s[28:29] offset:512
.LBB493_6:
	;; [unrolled: 9-line block ×12, first 2 shown]
	s_or_b64 exec, exec, s[26:27]
	v_or_b32_e32 v16, 0x680, v0
	v_cmp_gt_u32_e64 s[26:27], s30, v16
	v_cmp_le_u32_e32 vcc, s30, v16
	s_and_saveexec_b64 s[30:31], vcc
	s_xor_b64 s[30:31], exec, s[30:31]
	s_andn2_saveexec_b64 s[30:31], s[30:31]
	s_cbranch_execz .LBB493_28
; %bb.27:
	v_lshlrev_b32_e32 v1, 1, v0
	global_load_ushort v1, v1, s[28:29] offset:3328
.LBB493_28:
	s_or_b64 exec, exec, s[30:31]
	s_waitcnt vmcnt(0)
	ds_write_b16 v8, v2
	ds_write_b16 v8, v3 offset:256
	ds_write_b16 v8, v4 offset:512
	;; [unrolled: 1-line block ×13, first 2 shown]
	v_mad_u32_u24 v1, v0, 26, v8
	s_waitcnt lgkmcnt(0)
	s_barrier
	ds_read2_b32 v[2:3], v1 offset1:1
	ds_read2_b32 v[6:7], v1 offset0:2 offset1:3
	ds_read2_b32 v[4:5], v1 offset0:4 offset1:5
	ds_read_b32 v26, v1 offset:24
	s_movk_i32 s33, 0x1f8
	s_waitcnt lgkmcnt(3)
	v_lshlrev_b32_e32 v29, 16, v2
	v_and_b32_e32 v1, 0xffff0000, v2
	v_max_f32_e32 v16, v1, v1
	v_max_f32_e32 v31, v29, v29
	v_min_f32_e32 v30, v31, v16
	v_cmp_u_f32_e64 s[56:57], v29, v29
	v_cmp_u_f32_e64 s[28:29], v1, v1
	v_max_f32_e32 v32, v31, v16
	v_cndmask_b32_e64 v9, v30, v29, s[56:57]
	v_cndmask_b32_e64 v11, v9, v1, s[28:29]
	;; [unrolled: 1-line block ×4, first 2 shown]
	v_cmp_neq_f32_e32 vcc, v11, v9
	v_cmp_class_f32_e64 s[30:31], v11, s33
	s_or_b64 s[34:35], vcc, s[30:31]
	v_mov_b32_e32 v10, v29
	s_waitcnt lgkmcnt(0)
	s_barrier
	s_and_saveexec_b64 s[30:31], s[34:35]
	s_cbranch_execz .LBB493_30
; %bb.29:
	v_sub_f32_e32 v10, v11, v9
	s_mov_b32 s34, 0x3fb8aa3b
	v_mul_f32_e32 v11, 0x3fb8aa3b, v10
	v_fma_f32 v12, v10, s34, -v11
	v_rndne_f32_e32 v13, v11
	v_fmamk_f32 v12, v10, 0x32a5705f, v12
	v_sub_f32_e32 v11, v11, v13
	v_add_f32_e32 v11, v11, v12
	v_exp_f32_e32 v11, v11
	v_cvt_i32_f32_e32 v12, v13
	s_mov_b32 s34, 0xc2ce8ed0
	v_cmp_ngt_f32_e32 vcc, s34, v10
	s_mov_b32 s34, 0x42b17218
	v_ldexp_f32 v11, v11, v12
	v_cndmask_b32_e32 v11, 0, v11, vcc
	v_mov_b32_e32 v17, 0x7f800000
	v_cmp_nlt_f32_e32 vcc, s34, v10
	s_mov_b32 s34, 0x3f2aaaab
	s_mov_b32 s35, 0x7f800000
	v_cndmask_b32_e32 v27, v17, v11, vcc
	v_add_f32_e32 v12, 1.0, v27
	v_add_f32_e32 v10, -1.0, v12
	v_sub_f32_e32 v11, v10, v12
	v_add_f32_e32 v11, 1.0, v11
	v_sub_f32_e32 v10, v27, v10
	v_add_f32_e32 v13, v10, v11
	v_frexp_mant_f32_e32 v14, v12
	v_cvt_f64_f32_e32 v[10:11], v12
	v_frexp_exp_i32_f64_e32 v10, v[10:11]
	v_cmp_gt_f32_e32 vcc, s34, v14
	s_mov_b32 s34, 0x3f317218
	s_nop 0
	v_subbrev_co_u32_e32 v20, vcc, 0, v10, vcc
	v_sub_u32_e32 v10, 0, v20
	v_ldexp_f32 v11, v12, v10
	v_add_f32_e32 v12, -1.0, v11
	v_add_f32_e32 v14, 1.0, v11
	v_ldexp_f32 v10, v13, v10
	v_add_f32_e32 v13, 1.0, v12
	v_add_f32_e32 v15, -1.0, v14
	v_sub_f32_e32 v13, v11, v13
	v_sub_f32_e32 v11, v11, v15
	v_add_f32_e32 v13, v10, v13
	v_add_f32_e32 v10, v10, v11
	;; [unrolled: 1-line block ×3, first 2 shown]
	v_rcp_f32_e32 v23, v21
	v_sub_f32_e32 v11, v14, v21
	v_add_f32_e32 v22, v10, v11
	v_add_f32_e32 v11, v12, v13
	v_mul_f32_e32 v25, v11, v23
	v_sub_f32_e32 v10, v12, v11
	v_mul_f32_e32 v12, v21, v25
	v_fma_f32 v14, v25, v21, -v12
	v_fmac_f32_e32 v14, v25, v22
	v_add_f32_e32 v24, v13, v10
	v_add_f32_e32 v10, v12, v14
	v_sub_f32_e32 v13, v11, v10
	v_pk_add_f32 v[18:19], v[10:11], v[12:13] neg_lo:[0,1] neg_hi:[0,1]
	v_mov_b32_e32 v15, v10
	v_pk_add_f32 v[10:11], v[18:19], v[14:15] neg_lo:[0,1] neg_hi:[0,1]
	v_cmp_neq_f32_e32 vcc, s35, v27
	v_add_f32_e32 v11, v24, v11
	v_add_f32_e32 v10, v10, v11
	;; [unrolled: 1-line block ×3, first 2 shown]
	v_mul_f32_e32 v24, v23, v11
	v_mul_f32_e32 v12, v21, v24
	v_fma_f32 v14, v24, v21, -v12
	v_fmac_f32_e32 v14, v24, v22
	v_sub_f32_e32 v13, v13, v11
	v_add_f32_e32 v21, v10, v13
	v_add_f32_e32 v10, v12, v14
	v_sub_f32_e32 v13, v11, v10
	v_pk_add_f32 v[18:19], v[10:11], v[12:13] neg_lo:[0,1] neg_hi:[0,1]
	v_mov_b32_e32 v15, v10
	v_pk_add_f32 v[10:11], v[18:19], v[14:15] neg_lo:[0,1] neg_hi:[0,1]
	v_cvt_f32_i32_e32 v12, v20
	v_add_f32_e32 v11, v21, v11
	v_add_f32_e32 v10, v10, v11
	;; [unrolled: 1-line block ×4, first 2 shown]
	v_sub_f32_e32 v11, v13, v25
	v_mul_f32_e32 v10, v23, v10
	v_sub_f32_e32 v11, v24, v11
	v_add_f32_e32 v10, v11, v10
	v_add_f32_e32 v14, v13, v10
	v_mul_f32_e32 v18, v14, v14
	v_mov_b32_e32 v11, 0x3ecc95a3
	v_sub_f32_e32 v13, v14, v13
	v_fmac_f32_e32 v11, 0x3e9b6dac, v18
	v_sub_f32_e32 v10, v10, v13
	v_fmaak_f32 v11, v18, v11, 0x3f2aaada
	v_ldexp_f32 v19, v10, 1
	v_mul_f32_e32 v13, v14, v18
	v_mov_b32_e32 v10, 0x3f317218
	v_pk_mul_f32 v[10:11], v[12:13], v[10:11]
	v_ldexp_f32 v15, v14, 1
	v_fma_f32 v13, v12, s34, -v10
	v_fmamk_f32 v14, v12, 0xb102e308, v13
	v_pk_add_f32 v[12:13], v[10:11], v[14:15]
	v_mov_b32_e32 v18, v10
	v_sub_f32_e32 v15, v13, v15
	v_sub_f32_e32 v15, v11, v15
	v_add_f32_e32 v19, v19, v15
	v_pk_add_f32 v[10:11], v[12:13], v[10:11] neg_lo:[0,1] neg_hi:[0,1]
	v_pk_add_f32 v[20:21], v[12:13], v[18:19]
	v_mov_b32_e32 v15, v12
	v_mov_b32_e32 v11, v21
	v_pk_add_f32 v[22:23], v[14:15], v[10:11] neg_lo:[0,1] neg_hi:[0,1]
	v_pk_add_f32 v[10:11], v[14:15], v[10:11]
	v_mov_b32_e32 v18, v19
	v_pk_add_f32 v[14:15], v[10:11], v[12:13] op_sel:[1,0] op_sel_hi:[0,1] neg_lo:[0,1] neg_hi:[0,1]
	v_pk_add_f32 v[24:25], v[20:21], v[14:15] op_sel_hi:[1,0] neg_lo:[0,1] neg_hi:[0,1]
	v_mov_b32_e32 v20, v21
	v_mov_b32_e32 v21, v11
	v_pk_mov_b32 v[14:15], v[12:13], v[14:15] op_sel:[1,0]
	v_mov_b32_e32 v19, v12
	v_pk_add_f32 v[14:15], v[20:21], v[14:15] neg_lo:[0,1] neg_hi:[0,1]
	v_mov_b32_e32 v24, v22
	v_pk_add_f32 v[12:13], v[18:19], v[14:15] neg_lo:[0,1] neg_hi:[0,1]
	v_mov_b32_e32 v23, v11
	v_pk_add_f32 v[14:15], v[24:25], v[12:13]
	s_mov_b32 s34, 0x33800000
	v_pk_add_f32 v[18:19], v[14:15], v[14:15] op_sel:[0,1] op_sel_hi:[1,0]
	s_nop 0
	v_pk_add_f32 v[10:11], v[10:11], v[18:19] op_sel:[1,0] op_sel_hi:[0,1]
	v_mov_b32_e32 v15, v10
	v_pk_add_f32 v[20:21], v[14:15], v[22:23] neg_lo:[0,1] neg_hi:[0,1]
	v_mov_b32_e32 v13, v18
	v_sub_f32_e32 v11, v14, v20
	v_pk_add_f32 v[12:13], v[12:13], v[20:21] neg_lo:[0,1] neg_hi:[0,1]
	v_sub_f32_e32 v11, v22, v11
	v_add_f32_e32 v11, v12, v11
	v_add_f32_e32 v11, v11, v13
	;; [unrolled: 1-line block ×3, first 2 shown]
	v_cndmask_b32_e32 v10, v17, v10, vcc
	v_cmp_lt_f32_e64 vcc, |v27|, s34
	s_nop 1
	v_cndmask_b32_e32 v10, v10, v27, vcc
	v_add_f32_e32 v10, v9, v10
.LBB493_30:
	s_or_b64 exec, exec, s[30:31]
	v_bfe_u32 v9, v10, 16, 1
	s_movk_i32 s36, 0x7fff
	v_add3_u32 v9, v10, v9, s36
	v_and_b32_e32 v9, 0xffff0000, v9
	v_mov_b32_e32 v11, 0x7fc00000
	v_cmp_o_f32_e32 vcc, v10, v10
	s_nop 1
	v_cndmask_b32_e32 v13, v11, v9, vcc
	v_lshlrev_b32_e32 v9, 16, v3
	v_max_f32_e32 v12, v13, v13
	v_max_f32_e32 v10, v9, v9
	v_min_f32_e32 v14, v12, v10
	v_cmp_u_f32_e32 vcc, v13, v13
	v_max_f32_e32 v12, v12, v10
	v_cmp_u_f32_e64 s[30:31], v9, v9
	v_cndmask_b32_e32 v14, v14, v13, vcc
	v_cndmask_b32_e32 v12, v12, v13, vcc
	v_cndmask_b32_e64 v14, v14, v9, s[30:31]
	v_cndmask_b32_e64 v12, v12, v9, s[30:31]
	v_cmp_neq_f32_e32 vcc, v14, v12
	v_cmp_class_f32_e64 s[34:35], v14, s33
	s_or_b64 s[38:39], vcc, s[34:35]
	s_and_saveexec_b64 s[34:35], s[38:39]
	s_cbranch_execz .LBB493_32
; %bb.31:
	v_sub_f32_e32 v13, v14, v12
	s_mov_b32 s33, 0x3fb8aa3b
	v_mul_f32_e32 v14, 0x3fb8aa3b, v13
	v_fma_f32 v15, v13, s33, -v14
	v_rndne_f32_e32 v17, v14
	v_fmamk_f32 v15, v13, 0x32a5705f, v15
	v_sub_f32_e32 v14, v14, v17
	v_add_f32_e32 v14, v14, v15
	v_exp_f32_e32 v14, v14
	v_cvt_i32_f32_e32 v15, v17
	s_mov_b32 s33, 0xc2ce8ed0
	v_cmp_ngt_f32_e32 vcc, s33, v13
	s_mov_b32 s33, 0x42b17218
	v_ldexp_f32 v14, v14, v15
	v_cndmask_b32_e32 v14, 0, v14, vcc
	v_mov_b32_e32 v17, 0x7f800000
	v_cmp_nlt_f32_e32 vcc, s33, v13
	s_mov_b32 s33, 0x3f2aaaab
	s_mov_b32 s37, 0x7f800000
	v_cndmask_b32_e32 v13, v17, v14, vcc
	v_add_f32_e32 v18, 1.0, v13
	v_add_f32_e32 v14, -1.0, v18
	v_sub_f32_e32 v15, v14, v18
	v_add_f32_e32 v15, 1.0, v15
	v_sub_f32_e32 v14, v13, v14
	v_add_f32_e32 v19, v14, v15
	v_frexp_mant_f32_e32 v20, v18
	v_cvt_f64_f32_e32 v[14:15], v18
	v_frexp_exp_i32_f64_e32 v14, v[14:15]
	v_cmp_gt_f32_e32 vcc, s33, v20
	s_mov_b32 s33, 0x3f317218
	s_nop 0
	v_subbrev_co_u32_e32 v24, vcc, 0, v14, vcc
	v_sub_u32_e32 v14, 0, v24
	v_ldexp_f32 v15, v18, v14
	v_add_f32_e32 v18, -1.0, v15
	v_add_f32_e32 v20, 1.0, v15
	v_ldexp_f32 v14, v19, v14
	v_add_f32_e32 v19, 1.0, v18
	v_add_f32_e32 v21, -1.0, v20
	v_sub_f32_e32 v19, v15, v19
	v_sub_f32_e32 v15, v15, v21
	v_add_f32_e32 v19, v14, v19
	v_add_f32_e32 v14, v14, v15
	;; [unrolled: 1-line block ×3, first 2 shown]
	v_rcp_f32_e32 v28, v25
	v_sub_f32_e32 v15, v20, v25
	v_add_f32_e32 v27, v14, v15
	v_add_f32_e32 v15, v18, v19
	v_mul_f32_e32 v34, v15, v28
	v_sub_f32_e32 v14, v18, v15
	v_mul_f32_e32 v18, v25, v34
	v_fma_f32 v20, v34, v25, -v18
	v_fmac_f32_e32 v20, v34, v27
	v_add_f32_e32 v33, v19, v14
	v_add_f32_e32 v14, v18, v20
	v_sub_f32_e32 v19, v15, v14
	v_pk_add_f32 v[22:23], v[14:15], v[18:19] neg_lo:[0,1] neg_hi:[0,1]
	v_mov_b32_e32 v21, v14
	v_pk_add_f32 v[14:15], v[22:23], v[20:21] neg_lo:[0,1] neg_hi:[0,1]
	v_cmp_neq_f32_e32 vcc, s37, v13
	v_add_f32_e32 v15, v33, v15
	v_add_f32_e32 v14, v14, v15
	;; [unrolled: 1-line block ×3, first 2 shown]
	v_mul_f32_e32 v33, v28, v15
	v_mul_f32_e32 v18, v25, v33
	v_fma_f32 v20, v33, v25, -v18
	v_fmac_f32_e32 v20, v33, v27
	v_sub_f32_e32 v19, v19, v15
	v_add_f32_e32 v25, v14, v19
	v_add_f32_e32 v14, v18, v20
	v_sub_f32_e32 v19, v15, v14
	v_pk_add_f32 v[22:23], v[14:15], v[18:19] neg_lo:[0,1] neg_hi:[0,1]
	v_mov_b32_e32 v21, v14
	v_pk_add_f32 v[14:15], v[22:23], v[20:21] neg_lo:[0,1] neg_hi:[0,1]
	v_cvt_f32_i32_e32 v18, v24
	v_add_f32_e32 v15, v25, v15
	v_add_f32_e32 v14, v14, v15
	;; [unrolled: 1-line block ×4, first 2 shown]
	v_sub_f32_e32 v15, v19, v34
	v_mul_f32_e32 v14, v28, v14
	v_sub_f32_e32 v15, v33, v15
	v_add_f32_e32 v14, v15, v14
	v_add_f32_e32 v20, v19, v14
	v_mul_f32_e32 v22, v20, v20
	v_mov_b32_e32 v15, 0x3ecc95a3
	v_sub_f32_e32 v19, v20, v19
	v_fmac_f32_e32 v15, 0x3e9b6dac, v22
	v_sub_f32_e32 v14, v14, v19
	v_fmaak_f32 v15, v22, v15, 0x3f2aaada
	v_ldexp_f32 v23, v14, 1
	v_mul_f32_e32 v19, v20, v22
	v_mov_b32_e32 v14, 0x3f317218
	v_pk_mul_f32 v[14:15], v[18:19], v[14:15]
	v_ldexp_f32 v21, v20, 1
	v_fma_f32 v19, v18, s33, -v14
	v_fmamk_f32 v20, v18, 0xb102e308, v19
	v_pk_add_f32 v[18:19], v[14:15], v[20:21]
	v_mov_b32_e32 v22, v14
	v_sub_f32_e32 v21, v19, v21
	v_sub_f32_e32 v21, v15, v21
	v_add_f32_e32 v23, v23, v21
	v_pk_add_f32 v[14:15], v[18:19], v[14:15] neg_lo:[0,1] neg_hi:[0,1]
	v_pk_add_f32 v[24:25], v[18:19], v[22:23]
	v_mov_b32_e32 v21, v18
	v_mov_b32_e32 v15, v25
	v_pk_add_f32 v[34:35], v[20:21], v[14:15] neg_lo:[0,1] neg_hi:[0,1]
	v_pk_add_f32 v[14:15], v[20:21], v[14:15]
	v_mov_b32_e32 v22, v23
	v_pk_add_f32 v[20:21], v[14:15], v[18:19] op_sel:[1,0] op_sel_hi:[0,1] neg_lo:[0,1] neg_hi:[0,1]
	v_pk_add_f32 v[36:37], v[24:25], v[20:21] op_sel_hi:[1,0] neg_lo:[0,1] neg_hi:[0,1]
	v_mov_b32_e32 v24, v25
	v_mov_b32_e32 v25, v15
	v_pk_mov_b32 v[20:21], v[18:19], v[20:21] op_sel:[1,0]
	v_mov_b32_e32 v23, v18
	v_pk_add_f32 v[20:21], v[24:25], v[20:21] neg_lo:[0,1] neg_hi:[0,1]
	v_mov_b32_e32 v36, v34
	v_pk_add_f32 v[18:19], v[22:23], v[20:21] neg_lo:[0,1] neg_hi:[0,1]
	v_mov_b32_e32 v35, v15
	v_pk_add_f32 v[20:21], v[36:37], v[18:19]
	s_mov_b32 s33, 0x33800000
	v_pk_add_f32 v[22:23], v[20:21], v[20:21] op_sel:[0,1] op_sel_hi:[1,0]
	s_nop 0
	v_pk_add_f32 v[14:15], v[14:15], v[22:23] op_sel:[1,0] op_sel_hi:[0,1]
	v_mov_b32_e32 v21, v14
	v_pk_add_f32 v[24:25], v[20:21], v[34:35] neg_lo:[0,1] neg_hi:[0,1]
	v_mov_b32_e32 v19, v22
	v_sub_f32_e32 v15, v20, v24
	v_pk_add_f32 v[18:19], v[18:19], v[24:25] neg_lo:[0,1] neg_hi:[0,1]
	v_sub_f32_e32 v15, v34, v15
	v_add_f32_e32 v15, v18, v15
	v_add_f32_e32 v15, v15, v19
	;; [unrolled: 1-line block ×3, first 2 shown]
	v_cndmask_b32_e32 v14, v17, v14, vcc
	v_cmp_lt_f32_e64 vcc, |v13|, s33
	s_nop 1
	v_cndmask_b32_e32 v13, v14, v13, vcc
	v_add_f32_e32 v13, v12, v13
.LBB493_32:
	s_or_b64 exec, exec, s[34:35]
	v_bfe_u32 v12, v13, 16, 1
	v_add3_u32 v12, v13, v12, s36
	v_and_b32_e32 v12, 0xffff0000, v12
	v_cmp_o_f32_e32 vcc, v13, v13
	v_and_b32_e32 v3, 0xffff0000, v3
	v_cmp_u_f32_e64 s[34:35], v3, v3
	v_cndmask_b32_e32 v13, v11, v12, vcc
	v_max_f32_e32 v11, v13, v13
	v_max_f32_e32 v12, v3, v3
	v_min_f32_e32 v14, v11, v12
	v_cmp_u_f32_e32 vcc, v13, v13
	v_max_f32_e32 v11, v11, v12
	s_movk_i32 s33, 0x1f8
	v_cndmask_b32_e32 v14, v14, v13, vcc
	v_cndmask_b32_e32 v11, v11, v13, vcc
	v_cndmask_b32_e64 v14, v14, v3, s[34:35]
	v_cndmask_b32_e64 v11, v11, v3, s[34:35]
	v_cmp_neq_f32_e32 vcc, v14, v11
	v_cmp_class_f32_e64 s[36:37], v14, s33
	s_or_b64 s[38:39], vcc, s[36:37]
	s_and_saveexec_b64 s[36:37], s[38:39]
	s_cbranch_execz .LBB493_34
; %bb.33:
	v_sub_f32_e32 v13, v14, v11
	s_mov_b32 s38, 0x3fb8aa3b
	v_mul_f32_e32 v14, 0x3fb8aa3b, v13
	v_fma_f32 v15, v13, s38, -v14
	v_rndne_f32_e32 v17, v14
	v_fmamk_f32 v15, v13, 0x32a5705f, v15
	v_sub_f32_e32 v14, v14, v17
	v_add_f32_e32 v14, v14, v15
	v_exp_f32_e32 v14, v14
	v_cvt_i32_f32_e32 v15, v17
	s_mov_b32 s38, 0xc2ce8ed0
	v_cmp_ngt_f32_e32 vcc, s38, v13
	s_mov_b32 s38, 0x42b17218
	v_ldexp_f32 v14, v14, v15
	v_cndmask_b32_e32 v14, 0, v14, vcc
	v_mov_b32_e32 v17, 0x7f800000
	v_cmp_nlt_f32_e32 vcc, s38, v13
	s_mov_b32 s38, 0x3f2aaaab
	s_mov_b32 s39, 0x7f800000
	v_cndmask_b32_e32 v13, v17, v14, vcc
	v_add_f32_e32 v18, 1.0, v13
	v_add_f32_e32 v14, -1.0, v18
	v_sub_f32_e32 v15, v14, v18
	v_add_f32_e32 v15, 1.0, v15
	v_sub_f32_e32 v14, v13, v14
	v_add_f32_e32 v19, v14, v15
	v_frexp_mant_f32_e32 v20, v18
	v_cvt_f64_f32_e32 v[14:15], v18
	v_frexp_exp_i32_f64_e32 v14, v[14:15]
	v_cmp_gt_f32_e32 vcc, s38, v20
	s_mov_b32 s38, 0x3f317218
	s_nop 0
	v_subbrev_co_u32_e32 v24, vcc, 0, v14, vcc
	v_sub_u32_e32 v14, 0, v24
	v_ldexp_f32 v15, v18, v14
	v_add_f32_e32 v18, -1.0, v15
	v_add_f32_e32 v20, 1.0, v15
	v_ldexp_f32 v14, v19, v14
	v_add_f32_e32 v19, 1.0, v18
	v_add_f32_e32 v21, -1.0, v20
	v_sub_f32_e32 v19, v15, v19
	v_sub_f32_e32 v15, v15, v21
	v_add_f32_e32 v19, v14, v19
	v_add_f32_e32 v14, v14, v15
	;; [unrolled: 1-line block ×3, first 2 shown]
	v_rcp_f32_e32 v28, v25
	v_sub_f32_e32 v15, v20, v25
	v_add_f32_e32 v27, v14, v15
	v_add_f32_e32 v15, v18, v19
	v_mul_f32_e32 v34, v15, v28
	v_sub_f32_e32 v14, v18, v15
	v_mul_f32_e32 v18, v25, v34
	v_fma_f32 v20, v34, v25, -v18
	v_fmac_f32_e32 v20, v34, v27
	v_add_f32_e32 v33, v19, v14
	v_add_f32_e32 v14, v18, v20
	v_sub_f32_e32 v19, v15, v14
	v_pk_add_f32 v[22:23], v[14:15], v[18:19] neg_lo:[0,1] neg_hi:[0,1]
	v_mov_b32_e32 v21, v14
	v_pk_add_f32 v[14:15], v[22:23], v[20:21] neg_lo:[0,1] neg_hi:[0,1]
	v_cmp_neq_f32_e32 vcc, s39, v13
	v_add_f32_e32 v15, v33, v15
	v_add_f32_e32 v14, v14, v15
	;; [unrolled: 1-line block ×3, first 2 shown]
	v_mul_f32_e32 v33, v28, v15
	v_mul_f32_e32 v18, v25, v33
	v_fma_f32 v20, v33, v25, -v18
	v_fmac_f32_e32 v20, v33, v27
	v_sub_f32_e32 v19, v19, v15
	v_add_f32_e32 v25, v14, v19
	v_add_f32_e32 v14, v18, v20
	v_sub_f32_e32 v19, v15, v14
	v_pk_add_f32 v[22:23], v[14:15], v[18:19] neg_lo:[0,1] neg_hi:[0,1]
	v_mov_b32_e32 v21, v14
	v_pk_add_f32 v[14:15], v[22:23], v[20:21] neg_lo:[0,1] neg_hi:[0,1]
	v_cvt_f32_i32_e32 v18, v24
	v_add_f32_e32 v15, v25, v15
	v_add_f32_e32 v14, v14, v15
	;; [unrolled: 1-line block ×4, first 2 shown]
	v_sub_f32_e32 v15, v19, v34
	v_mul_f32_e32 v14, v28, v14
	v_sub_f32_e32 v15, v33, v15
	v_add_f32_e32 v14, v15, v14
	v_add_f32_e32 v20, v19, v14
	v_mul_f32_e32 v22, v20, v20
	v_mov_b32_e32 v15, 0x3ecc95a3
	v_sub_f32_e32 v19, v20, v19
	v_fmac_f32_e32 v15, 0x3e9b6dac, v22
	v_sub_f32_e32 v14, v14, v19
	v_fmaak_f32 v15, v22, v15, 0x3f2aaada
	v_ldexp_f32 v23, v14, 1
	v_mul_f32_e32 v19, v20, v22
	v_mov_b32_e32 v14, 0x3f317218
	v_pk_mul_f32 v[14:15], v[18:19], v[14:15]
	v_ldexp_f32 v21, v20, 1
	v_fma_f32 v19, v18, s38, -v14
	v_fmamk_f32 v20, v18, 0xb102e308, v19
	v_pk_add_f32 v[18:19], v[14:15], v[20:21]
	v_mov_b32_e32 v22, v14
	v_sub_f32_e32 v21, v19, v21
	v_sub_f32_e32 v21, v15, v21
	v_add_f32_e32 v23, v23, v21
	v_pk_add_f32 v[14:15], v[18:19], v[14:15] neg_lo:[0,1] neg_hi:[0,1]
	v_pk_add_f32 v[24:25], v[18:19], v[22:23]
	v_mov_b32_e32 v21, v18
	v_mov_b32_e32 v15, v25
	v_pk_add_f32 v[34:35], v[20:21], v[14:15] neg_lo:[0,1] neg_hi:[0,1]
	v_pk_add_f32 v[14:15], v[20:21], v[14:15]
	v_mov_b32_e32 v22, v23
	v_pk_add_f32 v[20:21], v[14:15], v[18:19] op_sel:[1,0] op_sel_hi:[0,1] neg_lo:[0,1] neg_hi:[0,1]
	v_pk_add_f32 v[36:37], v[24:25], v[20:21] op_sel_hi:[1,0] neg_lo:[0,1] neg_hi:[0,1]
	v_mov_b32_e32 v24, v25
	v_mov_b32_e32 v25, v15
	v_pk_mov_b32 v[20:21], v[18:19], v[20:21] op_sel:[1,0]
	v_mov_b32_e32 v23, v18
	v_pk_add_f32 v[20:21], v[24:25], v[20:21] neg_lo:[0,1] neg_hi:[0,1]
	v_mov_b32_e32 v36, v34
	v_pk_add_f32 v[18:19], v[22:23], v[20:21] neg_lo:[0,1] neg_hi:[0,1]
	v_mov_b32_e32 v35, v15
	v_pk_add_f32 v[20:21], v[36:37], v[18:19]
	s_mov_b32 s38, 0x33800000
	v_pk_add_f32 v[22:23], v[20:21], v[20:21] op_sel:[0,1] op_sel_hi:[1,0]
	s_nop 0
	v_pk_add_f32 v[14:15], v[14:15], v[22:23] op_sel:[1,0] op_sel_hi:[0,1]
	v_mov_b32_e32 v21, v14
	v_pk_add_f32 v[24:25], v[20:21], v[34:35] neg_lo:[0,1] neg_hi:[0,1]
	v_mov_b32_e32 v19, v22
	v_sub_f32_e32 v15, v20, v24
	v_pk_add_f32 v[18:19], v[18:19], v[24:25] neg_lo:[0,1] neg_hi:[0,1]
	v_sub_f32_e32 v15, v34, v15
	v_add_f32_e32 v15, v18, v15
	v_add_f32_e32 v15, v15, v19
	;; [unrolled: 1-line block ×3, first 2 shown]
	v_cndmask_b32_e32 v14, v17, v14, vcc
	v_cmp_lt_f32_e64 vcc, |v13|, s38
	s_nop 1
	v_cndmask_b32_e32 v13, v14, v13, vcc
	v_add_f32_e32 v13, v11, v13
.LBB493_34:
	s_or_b64 exec, exec, s[36:37]
	v_bfe_u32 v11, v13, 16, 1
	s_movk_i32 s40, 0x7fff
	v_add3_u32 v11, v13, v11, s40
	v_and_b32_e32 v11, 0xffff0000, v11
	v_mov_b32_e32 v14, 0x7fc00000
	v_cmp_o_f32_e32 vcc, v13, v13
	s_nop 1
	v_cndmask_b32_e32 v17, v14, v11, vcc
	v_lshlrev_b32_e32 v11, 16, v6
	v_max_f32_e32 v15, v17, v17
	v_max_f32_e32 v13, v11, v11
	v_min_f32_e32 v18, v15, v13
	v_cmp_u_f32_e32 vcc, v17, v17
	v_max_f32_e32 v15, v15, v13
	v_cmp_u_f32_e64 s[36:37], v11, v11
	v_cndmask_b32_e32 v18, v18, v17, vcc
	v_cndmask_b32_e32 v15, v15, v17, vcc
	v_cndmask_b32_e64 v18, v18, v11, s[36:37]
	v_cndmask_b32_e64 v15, v15, v11, s[36:37]
	v_cmp_neq_f32_e32 vcc, v18, v15
	v_cmp_class_f32_e64 s[38:39], v18, s33
	s_or_b64 s[42:43], vcc, s[38:39]
	s_and_saveexec_b64 s[38:39], s[42:43]
	s_cbranch_execz .LBB493_36
; %bb.35:
	v_sub_f32_e32 v17, v18, v15
	s_mov_b32 s33, 0x3fb8aa3b
	v_mul_f32_e32 v18, 0x3fb8aa3b, v17
	v_fma_f32 v19, v17, s33, -v18
	v_rndne_f32_e32 v20, v18
	v_fmamk_f32 v19, v17, 0x32a5705f, v19
	v_sub_f32_e32 v18, v18, v20
	v_add_f32_e32 v18, v18, v19
	v_exp_f32_e32 v18, v18
	v_cvt_i32_f32_e32 v19, v20
	s_mov_b32 s33, 0xc2ce8ed0
	v_cmp_ngt_f32_e32 vcc, s33, v17
	s_mov_b32 s33, 0x42b17218
	v_ldexp_f32 v18, v18, v19
	v_cndmask_b32_e32 v18, 0, v18, vcc
	v_mov_b32_e32 v27, 0x7f800000
	v_cmp_nlt_f32_e32 vcc, s33, v17
	s_mov_b32 s33, 0x3f2aaaab
	s_mov_b32 s41, 0x7f800000
	v_cndmask_b32_e32 v17, v27, v18, vcc
	v_add_f32_e32 v20, 1.0, v17
	v_add_f32_e32 v18, -1.0, v20
	v_sub_f32_e32 v19, v18, v20
	v_add_f32_e32 v19, 1.0, v19
	v_sub_f32_e32 v18, v17, v18
	v_add_f32_e32 v21, v18, v19
	v_frexp_mant_f32_e32 v22, v20
	v_cvt_f64_f32_e32 v[18:19], v20
	v_frexp_exp_i32_f64_e32 v18, v[18:19]
	v_cmp_gt_f32_e32 vcc, s33, v22
	s_mov_b32 s33, 0x3f317218
	s_nop 0
	v_subbrev_co_u32_e32 v28, vcc, 0, v18, vcc
	v_sub_u32_e32 v18, 0, v28
	v_ldexp_f32 v19, v20, v18
	v_add_f32_e32 v20, -1.0, v19
	v_add_f32_e32 v22, 1.0, v19
	v_ldexp_f32 v18, v21, v18
	v_add_f32_e32 v21, 1.0, v20
	v_add_f32_e32 v23, -1.0, v22
	v_sub_f32_e32 v21, v19, v21
	v_sub_f32_e32 v19, v19, v23
	v_add_f32_e32 v21, v18, v21
	v_add_f32_e32 v18, v18, v19
	;; [unrolled: 1-line block ×3, first 2 shown]
	v_rcp_f32_e32 v35, v33
	v_sub_f32_e32 v19, v22, v33
	v_add_f32_e32 v34, v18, v19
	v_add_f32_e32 v19, v20, v21
	v_mul_f32_e32 v37, v19, v35
	v_sub_f32_e32 v18, v20, v19
	v_mul_f32_e32 v20, v33, v37
	v_fma_f32 v22, v37, v33, -v20
	v_fmac_f32_e32 v22, v37, v34
	v_add_f32_e32 v36, v21, v18
	v_add_f32_e32 v18, v20, v22
	v_sub_f32_e32 v21, v19, v18
	v_pk_add_f32 v[24:25], v[18:19], v[20:21] neg_lo:[0,1] neg_hi:[0,1]
	v_mov_b32_e32 v23, v18
	v_pk_add_f32 v[18:19], v[24:25], v[22:23] neg_lo:[0,1] neg_hi:[0,1]
	v_cmp_neq_f32_e32 vcc, s41, v17
	v_add_f32_e32 v19, v36, v19
	v_add_f32_e32 v18, v18, v19
	;; [unrolled: 1-line block ×3, first 2 shown]
	v_mul_f32_e32 v36, v35, v19
	v_mul_f32_e32 v20, v33, v36
	v_fma_f32 v22, v36, v33, -v20
	v_fmac_f32_e32 v22, v36, v34
	v_sub_f32_e32 v21, v21, v19
	v_add_f32_e32 v33, v18, v21
	v_add_f32_e32 v18, v20, v22
	v_sub_f32_e32 v21, v19, v18
	v_pk_add_f32 v[24:25], v[18:19], v[20:21] neg_lo:[0,1] neg_hi:[0,1]
	v_mov_b32_e32 v23, v18
	v_pk_add_f32 v[18:19], v[24:25], v[22:23] neg_lo:[0,1] neg_hi:[0,1]
	v_cvt_f32_i32_e32 v20, v28
	v_add_f32_e32 v19, v33, v19
	v_add_f32_e32 v18, v18, v19
	;; [unrolled: 1-line block ×4, first 2 shown]
	v_sub_f32_e32 v19, v21, v37
	v_mul_f32_e32 v18, v35, v18
	v_sub_f32_e32 v19, v36, v19
	v_add_f32_e32 v18, v19, v18
	v_add_f32_e32 v22, v21, v18
	v_mul_f32_e32 v24, v22, v22
	v_mov_b32_e32 v19, 0x3ecc95a3
	v_sub_f32_e32 v21, v22, v21
	v_fmac_f32_e32 v19, 0x3e9b6dac, v24
	v_sub_f32_e32 v18, v18, v21
	v_fmaak_f32 v19, v24, v19, 0x3f2aaada
	v_ldexp_f32 v25, v18, 1
	v_mul_f32_e32 v21, v22, v24
	v_mov_b32_e32 v18, 0x3f317218
	v_pk_mul_f32 v[18:19], v[20:21], v[18:19]
	v_ldexp_f32 v23, v22, 1
	v_fma_f32 v21, v20, s33, -v18
	v_fmamk_f32 v22, v20, 0xb102e308, v21
	v_pk_add_f32 v[20:21], v[18:19], v[22:23]
	v_mov_b32_e32 v24, v18
	v_sub_f32_e32 v23, v21, v23
	v_sub_f32_e32 v23, v19, v23
	v_add_f32_e32 v25, v25, v23
	v_pk_add_f32 v[18:19], v[20:21], v[18:19] neg_lo:[0,1] neg_hi:[0,1]
	v_pk_add_f32 v[34:35], v[20:21], v[24:25]
	v_mov_b32_e32 v23, v20
	v_mov_b32_e32 v19, v35
	v_pk_add_f32 v[36:37], v[22:23], v[18:19] neg_lo:[0,1] neg_hi:[0,1]
	v_pk_add_f32 v[18:19], v[22:23], v[18:19]
	v_mov_b32_e32 v24, v25
	v_pk_add_f32 v[22:23], v[18:19], v[20:21] op_sel:[1,0] op_sel_hi:[0,1] neg_lo:[0,1] neg_hi:[0,1]
	v_pk_add_f32 v[38:39], v[34:35], v[22:23] op_sel_hi:[1,0] neg_lo:[0,1] neg_hi:[0,1]
	v_mov_b32_e32 v34, v35
	v_mov_b32_e32 v35, v19
	v_pk_mov_b32 v[22:23], v[20:21], v[22:23] op_sel:[1,0]
	v_mov_b32_e32 v25, v20
	v_pk_add_f32 v[22:23], v[34:35], v[22:23] neg_lo:[0,1] neg_hi:[0,1]
	v_mov_b32_e32 v38, v36
	v_pk_add_f32 v[20:21], v[24:25], v[22:23] neg_lo:[0,1] neg_hi:[0,1]
	v_mov_b32_e32 v37, v19
	v_pk_add_f32 v[22:23], v[38:39], v[20:21]
	s_mov_b32 s33, 0x33800000
	v_pk_add_f32 v[24:25], v[22:23], v[22:23] op_sel:[0,1] op_sel_hi:[1,0]
	s_nop 0
	v_pk_add_f32 v[18:19], v[18:19], v[24:25] op_sel:[1,0] op_sel_hi:[0,1]
	v_mov_b32_e32 v23, v18
	v_pk_add_f32 v[34:35], v[22:23], v[36:37] neg_lo:[0,1] neg_hi:[0,1]
	v_mov_b32_e32 v21, v24
	v_sub_f32_e32 v19, v22, v34
	v_pk_add_f32 v[20:21], v[20:21], v[34:35] neg_lo:[0,1] neg_hi:[0,1]
	v_sub_f32_e32 v19, v36, v19
	v_add_f32_e32 v19, v20, v19
	v_add_f32_e32 v19, v19, v21
	v_add_f32_e32 v18, v18, v19
	v_cndmask_b32_e32 v18, v27, v18, vcc
	v_cmp_lt_f32_e64 vcc, |v17|, s33
	s_nop 1
	v_cndmask_b32_e32 v17, v18, v17, vcc
	v_add_f32_e32 v17, v15, v17
.LBB493_36:
	s_or_b64 exec, exec, s[38:39]
	v_bfe_u32 v15, v17, 16, 1
	v_add3_u32 v15, v17, v15, s40
	v_and_b32_e32 v15, 0xffff0000, v15
	v_cmp_o_f32_e32 vcc, v17, v17
	v_and_b32_e32 v6, 0xffff0000, v6
	v_cmp_u_f32_e64 s[38:39], v6, v6
	v_cndmask_b32_e32 v17, v14, v15, vcc
	v_max_f32_e32 v14, v17, v17
	v_max_f32_e32 v15, v6, v6
	v_min_f32_e32 v18, v14, v15
	v_cmp_u_f32_e32 vcc, v17, v17
	v_max_f32_e32 v14, v14, v15
	s_movk_i32 s33, 0x1f8
	v_cndmask_b32_e32 v18, v18, v17, vcc
	v_cndmask_b32_e32 v14, v14, v17, vcc
	v_cndmask_b32_e64 v18, v18, v6, s[38:39]
	v_cndmask_b32_e64 v14, v14, v6, s[38:39]
	v_cmp_neq_f32_e32 vcc, v18, v14
	v_cmp_class_f32_e64 s[40:41], v18, s33
	s_or_b64 s[42:43], vcc, s[40:41]
	s_and_saveexec_b64 s[40:41], s[42:43]
	s_cbranch_execz .LBB493_38
; %bb.37:
	v_sub_f32_e32 v17, v18, v14
	s_mov_b32 s42, 0x3fb8aa3b
	v_mul_f32_e32 v18, 0x3fb8aa3b, v17
	v_fma_f32 v19, v17, s42, -v18
	v_rndne_f32_e32 v20, v18
	v_fmamk_f32 v19, v17, 0x32a5705f, v19
	v_sub_f32_e32 v18, v18, v20
	v_add_f32_e32 v18, v18, v19
	v_exp_f32_e32 v18, v18
	v_cvt_i32_f32_e32 v19, v20
	s_mov_b32 s42, 0xc2ce8ed0
	v_cmp_ngt_f32_e32 vcc, s42, v17
	s_mov_b32 s42, 0x42b17218
	v_ldexp_f32 v18, v18, v19
	v_cndmask_b32_e32 v18, 0, v18, vcc
	v_mov_b32_e32 v27, 0x7f800000
	v_cmp_nlt_f32_e32 vcc, s42, v17
	s_mov_b32 s42, 0x3f2aaaab
	s_mov_b32 s43, 0x7f800000
	v_cndmask_b32_e32 v17, v27, v18, vcc
	v_add_f32_e32 v20, 1.0, v17
	v_add_f32_e32 v18, -1.0, v20
	v_sub_f32_e32 v19, v18, v20
	v_add_f32_e32 v19, 1.0, v19
	v_sub_f32_e32 v18, v17, v18
	v_add_f32_e32 v21, v18, v19
	v_frexp_mant_f32_e32 v22, v20
	v_cvt_f64_f32_e32 v[18:19], v20
	v_frexp_exp_i32_f64_e32 v18, v[18:19]
	v_cmp_gt_f32_e32 vcc, s42, v22
	s_mov_b32 s42, 0x3f317218
	s_nop 0
	v_subbrev_co_u32_e32 v28, vcc, 0, v18, vcc
	v_sub_u32_e32 v18, 0, v28
	v_ldexp_f32 v19, v20, v18
	v_add_f32_e32 v20, -1.0, v19
	v_add_f32_e32 v22, 1.0, v19
	v_ldexp_f32 v18, v21, v18
	v_add_f32_e32 v21, 1.0, v20
	v_add_f32_e32 v23, -1.0, v22
	v_sub_f32_e32 v21, v19, v21
	v_sub_f32_e32 v19, v19, v23
	v_add_f32_e32 v21, v18, v21
	v_add_f32_e32 v18, v18, v19
	;; [unrolled: 1-line block ×3, first 2 shown]
	v_rcp_f32_e32 v35, v33
	v_sub_f32_e32 v19, v22, v33
	v_add_f32_e32 v34, v18, v19
	v_add_f32_e32 v19, v20, v21
	v_mul_f32_e32 v37, v19, v35
	v_sub_f32_e32 v18, v20, v19
	v_mul_f32_e32 v20, v33, v37
	v_fma_f32 v22, v37, v33, -v20
	v_fmac_f32_e32 v22, v37, v34
	v_add_f32_e32 v36, v21, v18
	v_add_f32_e32 v18, v20, v22
	v_sub_f32_e32 v21, v19, v18
	v_pk_add_f32 v[24:25], v[18:19], v[20:21] neg_lo:[0,1] neg_hi:[0,1]
	v_mov_b32_e32 v23, v18
	v_pk_add_f32 v[18:19], v[24:25], v[22:23] neg_lo:[0,1] neg_hi:[0,1]
	v_cmp_neq_f32_e32 vcc, s43, v17
	v_add_f32_e32 v19, v36, v19
	v_add_f32_e32 v18, v18, v19
	;; [unrolled: 1-line block ×3, first 2 shown]
	v_mul_f32_e32 v36, v35, v19
	v_mul_f32_e32 v20, v33, v36
	v_fma_f32 v22, v36, v33, -v20
	v_fmac_f32_e32 v22, v36, v34
	v_sub_f32_e32 v21, v21, v19
	v_add_f32_e32 v33, v18, v21
	v_add_f32_e32 v18, v20, v22
	v_sub_f32_e32 v21, v19, v18
	v_pk_add_f32 v[24:25], v[18:19], v[20:21] neg_lo:[0,1] neg_hi:[0,1]
	v_mov_b32_e32 v23, v18
	v_pk_add_f32 v[18:19], v[24:25], v[22:23] neg_lo:[0,1] neg_hi:[0,1]
	v_cvt_f32_i32_e32 v20, v28
	v_add_f32_e32 v19, v33, v19
	v_add_f32_e32 v18, v18, v19
	;; [unrolled: 1-line block ×4, first 2 shown]
	v_sub_f32_e32 v19, v21, v37
	v_mul_f32_e32 v18, v35, v18
	v_sub_f32_e32 v19, v36, v19
	v_add_f32_e32 v18, v19, v18
	v_add_f32_e32 v22, v21, v18
	v_mul_f32_e32 v24, v22, v22
	v_mov_b32_e32 v19, 0x3ecc95a3
	v_sub_f32_e32 v21, v22, v21
	v_fmac_f32_e32 v19, 0x3e9b6dac, v24
	v_sub_f32_e32 v18, v18, v21
	v_fmaak_f32 v19, v24, v19, 0x3f2aaada
	v_ldexp_f32 v25, v18, 1
	v_mul_f32_e32 v21, v22, v24
	v_mov_b32_e32 v18, 0x3f317218
	v_pk_mul_f32 v[18:19], v[20:21], v[18:19]
	v_ldexp_f32 v23, v22, 1
	v_fma_f32 v21, v20, s42, -v18
	v_fmamk_f32 v22, v20, 0xb102e308, v21
	v_pk_add_f32 v[20:21], v[18:19], v[22:23]
	v_mov_b32_e32 v24, v18
	v_sub_f32_e32 v23, v21, v23
	v_sub_f32_e32 v23, v19, v23
	v_add_f32_e32 v25, v25, v23
	v_pk_add_f32 v[18:19], v[20:21], v[18:19] neg_lo:[0,1] neg_hi:[0,1]
	v_pk_add_f32 v[34:35], v[20:21], v[24:25]
	v_mov_b32_e32 v23, v20
	v_mov_b32_e32 v19, v35
	v_pk_add_f32 v[36:37], v[22:23], v[18:19] neg_lo:[0,1] neg_hi:[0,1]
	v_pk_add_f32 v[18:19], v[22:23], v[18:19]
	v_mov_b32_e32 v24, v25
	v_pk_add_f32 v[22:23], v[18:19], v[20:21] op_sel:[1,0] op_sel_hi:[0,1] neg_lo:[0,1] neg_hi:[0,1]
	v_pk_add_f32 v[38:39], v[34:35], v[22:23] op_sel_hi:[1,0] neg_lo:[0,1] neg_hi:[0,1]
	v_mov_b32_e32 v34, v35
	v_mov_b32_e32 v35, v19
	v_pk_mov_b32 v[22:23], v[20:21], v[22:23] op_sel:[1,0]
	v_mov_b32_e32 v25, v20
	v_pk_add_f32 v[22:23], v[34:35], v[22:23] neg_lo:[0,1] neg_hi:[0,1]
	v_mov_b32_e32 v38, v36
	v_pk_add_f32 v[20:21], v[24:25], v[22:23] neg_lo:[0,1] neg_hi:[0,1]
	v_mov_b32_e32 v37, v19
	v_pk_add_f32 v[22:23], v[38:39], v[20:21]
	s_mov_b32 s42, 0x33800000
	v_pk_add_f32 v[24:25], v[22:23], v[22:23] op_sel:[0,1] op_sel_hi:[1,0]
	s_nop 0
	v_pk_add_f32 v[18:19], v[18:19], v[24:25] op_sel:[1,0] op_sel_hi:[0,1]
	v_mov_b32_e32 v23, v18
	v_pk_add_f32 v[34:35], v[22:23], v[36:37] neg_lo:[0,1] neg_hi:[0,1]
	v_mov_b32_e32 v21, v24
	v_sub_f32_e32 v19, v22, v34
	v_pk_add_f32 v[20:21], v[20:21], v[34:35] neg_lo:[0,1] neg_hi:[0,1]
	v_sub_f32_e32 v19, v36, v19
	v_add_f32_e32 v19, v20, v19
	v_add_f32_e32 v19, v19, v21
	;; [unrolled: 1-line block ×3, first 2 shown]
	v_cndmask_b32_e32 v18, v27, v18, vcc
	v_cmp_lt_f32_e64 vcc, |v17|, s42
	s_nop 1
	v_cndmask_b32_e32 v17, v18, v17, vcc
	v_add_f32_e32 v17, v14, v17
.LBB493_38:
	s_or_b64 exec, exec, s[40:41]
	v_bfe_u32 v14, v17, 16, 1
	s_movk_i32 s44, 0x7fff
	v_add3_u32 v14, v17, v14, s44
	v_and_b32_e32 v14, 0xffff0000, v14
	v_mov_b32_e32 v18, 0x7fc00000
	v_cmp_o_f32_e32 vcc, v17, v17
	s_nop 1
	v_cndmask_b32_e32 v20, v18, v14, vcc
	v_lshlrev_b32_e32 v14, 16, v7
	v_max_f32_e32 v19, v20, v20
	v_max_f32_e32 v17, v14, v14
	v_min_f32_e32 v21, v19, v17
	v_cmp_u_f32_e32 vcc, v20, v20
	v_max_f32_e32 v19, v19, v17
	v_cmp_u_f32_e64 s[40:41], v14, v14
	v_cndmask_b32_e32 v21, v21, v20, vcc
	v_cndmask_b32_e32 v19, v19, v20, vcc
	v_cndmask_b32_e64 v21, v21, v14, s[40:41]
	v_cndmask_b32_e64 v19, v19, v14, s[40:41]
	v_cmp_neq_f32_e32 vcc, v21, v19
	v_cmp_class_f32_e64 s[42:43], v21, s33
	s_or_b64 s[46:47], vcc, s[42:43]
	s_and_saveexec_b64 s[42:43], s[46:47]
	s_cbranch_execz .LBB493_40
; %bb.39:
	v_sub_f32_e32 v20, v21, v19
	s_mov_b32 s33, 0x3fb8aa3b
	v_mul_f32_e32 v21, 0x3fb8aa3b, v20
	v_fma_f32 v22, v20, s33, -v21
	v_rndne_f32_e32 v23, v21
	v_fmamk_f32 v22, v20, 0x32a5705f, v22
	v_sub_f32_e32 v21, v21, v23
	v_add_f32_e32 v21, v21, v22
	v_exp_f32_e32 v21, v21
	v_cvt_i32_f32_e32 v22, v23
	s_mov_b32 s33, 0xc2ce8ed0
	v_cmp_ngt_f32_e32 vcc, s33, v20
	s_mov_b32 s33, 0x42b17218
	v_ldexp_f32 v21, v21, v22
	v_cndmask_b32_e32 v21, 0, v21, vcc
	v_mov_b32_e32 v27, 0x7f800000
	v_cmp_nlt_f32_e32 vcc, s33, v20
	s_mov_b32 s33, 0x3f2aaaab
	s_mov_b32 s45, 0x7f800000
	v_cndmask_b32_e32 v28, v27, v21, vcc
	v_add_f32_e32 v22, 1.0, v28
	v_add_f32_e32 v20, -1.0, v22
	v_sub_f32_e32 v21, v20, v22
	v_add_f32_e32 v21, 1.0, v21
	v_sub_f32_e32 v20, v28, v20
	v_add_f32_e32 v23, v20, v21
	v_frexp_mant_f32_e32 v24, v22
	v_cvt_f64_f32_e32 v[20:21], v22
	v_frexp_exp_i32_f64_e32 v20, v[20:21]
	v_cmp_gt_f32_e32 vcc, s33, v24
	s_mov_b32 s33, 0x3f317218
	s_nop 0
	v_subbrev_co_u32_e32 v33, vcc, 0, v20, vcc
	v_sub_u32_e32 v20, 0, v33
	v_ldexp_f32 v21, v22, v20
	v_add_f32_e32 v22, -1.0, v21
	v_add_f32_e32 v24, 1.0, v21
	v_ldexp_f32 v20, v23, v20
	v_add_f32_e32 v23, 1.0, v22
	v_add_f32_e32 v25, -1.0, v24
	v_sub_f32_e32 v23, v21, v23
	v_sub_f32_e32 v21, v21, v25
	v_add_f32_e32 v23, v20, v23
	v_add_f32_e32 v20, v20, v21
	v_add_f32_e32 v36, v24, v20
	v_rcp_f32_e32 v38, v36
	v_sub_f32_e32 v21, v24, v36
	v_add_f32_e32 v37, v20, v21
	v_add_f32_e32 v21, v22, v23
	v_mul_f32_e32 v40, v21, v38
	v_sub_f32_e32 v20, v22, v21
	v_mul_f32_e32 v22, v36, v40
	v_fma_f32 v24, v40, v36, -v22
	v_fmac_f32_e32 v24, v40, v37
	v_add_f32_e32 v39, v23, v20
	v_add_f32_e32 v20, v22, v24
	v_sub_f32_e32 v23, v21, v20
	v_pk_add_f32 v[34:35], v[20:21], v[22:23] neg_lo:[0,1] neg_hi:[0,1]
	v_mov_b32_e32 v25, v20
	v_pk_add_f32 v[20:21], v[34:35], v[24:25] neg_lo:[0,1] neg_hi:[0,1]
	v_cmp_neq_f32_e32 vcc, s45, v28
	v_add_f32_e32 v21, v39, v21
	v_add_f32_e32 v20, v20, v21
	;; [unrolled: 1-line block ×3, first 2 shown]
	v_mul_f32_e32 v39, v38, v21
	v_mul_f32_e32 v22, v36, v39
	v_fma_f32 v24, v39, v36, -v22
	v_fmac_f32_e32 v24, v39, v37
	v_sub_f32_e32 v23, v23, v21
	v_add_f32_e32 v36, v20, v23
	v_add_f32_e32 v20, v22, v24
	v_sub_f32_e32 v23, v21, v20
	v_pk_add_f32 v[34:35], v[20:21], v[22:23] neg_lo:[0,1] neg_hi:[0,1]
	v_mov_b32_e32 v25, v20
	v_pk_add_f32 v[20:21], v[34:35], v[24:25] neg_lo:[0,1] neg_hi:[0,1]
	v_cvt_f32_i32_e32 v22, v33
	v_add_f32_e32 v21, v36, v21
	v_add_f32_e32 v20, v20, v21
	;; [unrolled: 1-line block ×4, first 2 shown]
	v_sub_f32_e32 v21, v23, v40
	v_mul_f32_e32 v20, v38, v20
	v_sub_f32_e32 v21, v39, v21
	v_add_f32_e32 v20, v21, v20
	v_add_f32_e32 v24, v23, v20
	v_mul_f32_e32 v34, v24, v24
	v_mov_b32_e32 v21, 0x3ecc95a3
	v_sub_f32_e32 v23, v24, v23
	v_fmac_f32_e32 v21, 0x3e9b6dac, v34
	v_sub_f32_e32 v20, v20, v23
	v_fmaak_f32 v21, v34, v21, 0x3f2aaada
	v_ldexp_f32 v33, v20, 1
	v_mul_f32_e32 v23, v24, v34
	v_mov_b32_e32 v20, 0x3f317218
	v_pk_mul_f32 v[20:21], v[22:23], v[20:21]
	v_ldexp_f32 v25, v24, 1
	v_fma_f32 v23, v22, s33, -v20
	v_fmamk_f32 v24, v22, 0xb102e308, v23
	v_pk_add_f32 v[22:23], v[20:21], v[24:25]
	v_mov_b32_e32 v34, v20
	v_sub_f32_e32 v25, v23, v25
	v_sub_f32_e32 v25, v21, v25
	v_add_f32_e32 v35, v33, v25
	v_pk_add_f32 v[20:21], v[22:23], v[20:21] neg_lo:[0,1] neg_hi:[0,1]
	v_pk_add_f32 v[36:37], v[22:23], v[34:35]
	v_mov_b32_e32 v25, v22
	v_mov_b32_e32 v21, v37
	v_pk_add_f32 v[38:39], v[24:25], v[20:21] neg_lo:[0,1] neg_hi:[0,1]
	v_pk_add_f32 v[20:21], v[24:25], v[20:21]
	v_mov_b32_e32 v34, v35
	v_pk_add_f32 v[24:25], v[20:21], v[22:23] op_sel:[1,0] op_sel_hi:[0,1] neg_lo:[0,1] neg_hi:[0,1]
	v_pk_add_f32 v[40:41], v[36:37], v[24:25] op_sel_hi:[1,0] neg_lo:[0,1] neg_hi:[0,1]
	v_mov_b32_e32 v36, v37
	v_mov_b32_e32 v37, v21
	v_pk_mov_b32 v[24:25], v[22:23], v[24:25] op_sel:[1,0]
	v_mov_b32_e32 v35, v22
	v_pk_add_f32 v[24:25], v[36:37], v[24:25] neg_lo:[0,1] neg_hi:[0,1]
	v_mov_b32_e32 v40, v38
	v_pk_add_f32 v[22:23], v[34:35], v[24:25] neg_lo:[0,1] neg_hi:[0,1]
	v_mov_b32_e32 v39, v21
	v_pk_add_f32 v[24:25], v[40:41], v[22:23]
	s_mov_b32 s33, 0x33800000
	v_pk_add_f32 v[34:35], v[24:25], v[24:25] op_sel:[0,1] op_sel_hi:[1,0]
	s_nop 0
	v_pk_add_f32 v[20:21], v[20:21], v[34:35] op_sel:[1,0] op_sel_hi:[0,1]
	v_mov_b32_e32 v25, v20
	v_pk_add_f32 v[36:37], v[24:25], v[38:39] neg_lo:[0,1] neg_hi:[0,1]
	v_mov_b32_e32 v23, v34
	v_sub_f32_e32 v21, v24, v36
	v_pk_add_f32 v[22:23], v[22:23], v[36:37] neg_lo:[0,1] neg_hi:[0,1]
	v_sub_f32_e32 v21, v38, v21
	v_add_f32_e32 v21, v22, v21
	v_add_f32_e32 v21, v21, v23
	;; [unrolled: 1-line block ×3, first 2 shown]
	v_cndmask_b32_e32 v20, v27, v20, vcc
	v_cmp_lt_f32_e64 vcc, |v28|, s33
	s_nop 1
	v_cndmask_b32_e32 v20, v20, v28, vcc
	v_add_f32_e32 v20, v19, v20
.LBB493_40:
	s_or_b64 exec, exec, s[42:43]
	v_bfe_u32 v19, v20, 16, 1
	v_add3_u32 v19, v20, v19, s44
	v_and_b32_e32 v19, 0xffff0000, v19
	v_cmp_o_f32_e32 vcc, v20, v20
	v_and_b32_e32 v7, 0xffff0000, v7
	v_cmp_u_f32_e64 s[42:43], v7, v7
	v_cndmask_b32_e32 v20, v18, v19, vcc
	v_max_f32_e32 v18, v20, v20
	v_max_f32_e32 v19, v7, v7
	v_min_f32_e32 v21, v18, v19
	v_cmp_u_f32_e32 vcc, v20, v20
	v_max_f32_e32 v18, v18, v19
	s_movk_i32 s33, 0x1f8
	v_cndmask_b32_e32 v21, v21, v20, vcc
	v_cndmask_b32_e32 v18, v18, v20, vcc
	v_cndmask_b32_e64 v21, v21, v7, s[42:43]
	v_cndmask_b32_e64 v18, v18, v7, s[42:43]
	v_cmp_neq_f32_e32 vcc, v21, v18
	v_cmp_class_f32_e64 s[44:45], v21, s33
	s_or_b64 s[46:47], vcc, s[44:45]
	s_and_saveexec_b64 s[44:45], s[46:47]
	s_cbranch_execz .LBB493_42
; %bb.41:
	v_sub_f32_e32 v20, v21, v18
	s_mov_b32 s46, 0x3fb8aa3b
	v_mul_f32_e32 v21, 0x3fb8aa3b, v20
	v_fma_f32 v22, v20, s46, -v21
	v_rndne_f32_e32 v23, v21
	v_fmamk_f32 v22, v20, 0x32a5705f, v22
	v_sub_f32_e32 v21, v21, v23
	v_add_f32_e32 v21, v21, v22
	v_exp_f32_e32 v21, v21
	v_cvt_i32_f32_e32 v22, v23
	s_mov_b32 s46, 0xc2ce8ed0
	v_cmp_ngt_f32_e32 vcc, s46, v20
	s_mov_b32 s46, 0x42b17218
	v_ldexp_f32 v21, v21, v22
	v_cndmask_b32_e32 v21, 0, v21, vcc
	v_mov_b32_e32 v27, 0x7f800000
	v_cmp_nlt_f32_e32 vcc, s46, v20
	s_mov_b32 s46, 0x3f2aaaab
	s_mov_b32 s47, 0x7f800000
	v_cndmask_b32_e32 v28, v27, v21, vcc
	v_add_f32_e32 v22, 1.0, v28
	v_add_f32_e32 v20, -1.0, v22
	v_sub_f32_e32 v21, v20, v22
	v_add_f32_e32 v21, 1.0, v21
	v_sub_f32_e32 v20, v28, v20
	v_add_f32_e32 v23, v20, v21
	v_frexp_mant_f32_e32 v24, v22
	v_cvt_f64_f32_e32 v[20:21], v22
	v_frexp_exp_i32_f64_e32 v20, v[20:21]
	v_cmp_gt_f32_e32 vcc, s46, v24
	s_mov_b32 s46, 0x3f317218
	s_nop 0
	v_subbrev_co_u32_e32 v33, vcc, 0, v20, vcc
	v_sub_u32_e32 v20, 0, v33
	v_ldexp_f32 v21, v22, v20
	v_add_f32_e32 v22, -1.0, v21
	v_add_f32_e32 v24, 1.0, v21
	v_ldexp_f32 v20, v23, v20
	v_add_f32_e32 v23, 1.0, v22
	v_add_f32_e32 v25, -1.0, v24
	v_sub_f32_e32 v23, v21, v23
	v_sub_f32_e32 v21, v21, v25
	v_add_f32_e32 v23, v20, v23
	v_add_f32_e32 v20, v20, v21
	;; [unrolled: 1-line block ×3, first 2 shown]
	v_rcp_f32_e32 v38, v36
	v_sub_f32_e32 v21, v24, v36
	v_add_f32_e32 v37, v20, v21
	v_add_f32_e32 v21, v22, v23
	v_mul_f32_e32 v40, v21, v38
	v_sub_f32_e32 v20, v22, v21
	v_mul_f32_e32 v22, v36, v40
	v_fma_f32 v24, v40, v36, -v22
	v_fmac_f32_e32 v24, v40, v37
	v_add_f32_e32 v39, v23, v20
	v_add_f32_e32 v20, v22, v24
	v_sub_f32_e32 v23, v21, v20
	v_pk_add_f32 v[34:35], v[20:21], v[22:23] neg_lo:[0,1] neg_hi:[0,1]
	v_mov_b32_e32 v25, v20
	v_pk_add_f32 v[20:21], v[34:35], v[24:25] neg_lo:[0,1] neg_hi:[0,1]
	v_cmp_neq_f32_e32 vcc, s47, v28
	v_add_f32_e32 v21, v39, v21
	v_add_f32_e32 v20, v20, v21
	;; [unrolled: 1-line block ×3, first 2 shown]
	v_mul_f32_e32 v39, v38, v21
	v_mul_f32_e32 v22, v36, v39
	v_fma_f32 v24, v39, v36, -v22
	v_fmac_f32_e32 v24, v39, v37
	v_sub_f32_e32 v23, v23, v21
	v_add_f32_e32 v36, v20, v23
	v_add_f32_e32 v20, v22, v24
	v_sub_f32_e32 v23, v21, v20
	v_pk_add_f32 v[34:35], v[20:21], v[22:23] neg_lo:[0,1] neg_hi:[0,1]
	v_mov_b32_e32 v25, v20
	v_pk_add_f32 v[20:21], v[34:35], v[24:25] neg_lo:[0,1] neg_hi:[0,1]
	v_cvt_f32_i32_e32 v22, v33
	v_add_f32_e32 v21, v36, v21
	v_add_f32_e32 v20, v20, v21
	;; [unrolled: 1-line block ×4, first 2 shown]
	v_sub_f32_e32 v21, v23, v40
	v_mul_f32_e32 v20, v38, v20
	v_sub_f32_e32 v21, v39, v21
	v_add_f32_e32 v20, v21, v20
	v_add_f32_e32 v24, v23, v20
	v_mul_f32_e32 v34, v24, v24
	v_mov_b32_e32 v21, 0x3ecc95a3
	v_sub_f32_e32 v23, v24, v23
	v_fmac_f32_e32 v21, 0x3e9b6dac, v34
	v_sub_f32_e32 v20, v20, v23
	v_fmaak_f32 v21, v34, v21, 0x3f2aaada
	v_ldexp_f32 v33, v20, 1
	v_mul_f32_e32 v23, v24, v34
	v_mov_b32_e32 v20, 0x3f317218
	v_pk_mul_f32 v[20:21], v[22:23], v[20:21]
	v_ldexp_f32 v25, v24, 1
	v_fma_f32 v23, v22, s46, -v20
	v_fmamk_f32 v24, v22, 0xb102e308, v23
	v_pk_add_f32 v[22:23], v[20:21], v[24:25]
	v_mov_b32_e32 v34, v20
	v_sub_f32_e32 v25, v23, v25
	v_sub_f32_e32 v25, v21, v25
	v_add_f32_e32 v35, v33, v25
	v_pk_add_f32 v[20:21], v[22:23], v[20:21] neg_lo:[0,1] neg_hi:[0,1]
	v_pk_add_f32 v[36:37], v[22:23], v[34:35]
	v_mov_b32_e32 v25, v22
	v_mov_b32_e32 v21, v37
	v_pk_add_f32 v[38:39], v[24:25], v[20:21] neg_lo:[0,1] neg_hi:[0,1]
	v_pk_add_f32 v[20:21], v[24:25], v[20:21]
	v_mov_b32_e32 v34, v35
	v_pk_add_f32 v[24:25], v[20:21], v[22:23] op_sel:[1,0] op_sel_hi:[0,1] neg_lo:[0,1] neg_hi:[0,1]
	v_pk_add_f32 v[40:41], v[36:37], v[24:25] op_sel_hi:[1,0] neg_lo:[0,1] neg_hi:[0,1]
	v_mov_b32_e32 v36, v37
	v_mov_b32_e32 v37, v21
	v_pk_mov_b32 v[24:25], v[22:23], v[24:25] op_sel:[1,0]
	v_mov_b32_e32 v35, v22
	v_pk_add_f32 v[24:25], v[36:37], v[24:25] neg_lo:[0,1] neg_hi:[0,1]
	v_mov_b32_e32 v40, v38
	v_pk_add_f32 v[22:23], v[34:35], v[24:25] neg_lo:[0,1] neg_hi:[0,1]
	v_mov_b32_e32 v39, v21
	v_pk_add_f32 v[24:25], v[40:41], v[22:23]
	s_mov_b32 s46, 0x33800000
	v_pk_add_f32 v[34:35], v[24:25], v[24:25] op_sel:[0,1] op_sel_hi:[1,0]
	s_nop 0
	v_pk_add_f32 v[20:21], v[20:21], v[34:35] op_sel:[1,0] op_sel_hi:[0,1]
	v_mov_b32_e32 v25, v20
	v_pk_add_f32 v[36:37], v[24:25], v[38:39] neg_lo:[0,1] neg_hi:[0,1]
	v_mov_b32_e32 v23, v34
	v_sub_f32_e32 v21, v24, v36
	v_pk_add_f32 v[22:23], v[22:23], v[36:37] neg_lo:[0,1] neg_hi:[0,1]
	v_sub_f32_e32 v21, v38, v21
	v_add_f32_e32 v21, v22, v21
	v_add_f32_e32 v21, v21, v23
	v_add_f32_e32 v20, v20, v21
	v_cndmask_b32_e32 v20, v27, v20, vcc
	v_cmp_lt_f32_e64 vcc, |v28|, s46
	s_nop 1
	v_cndmask_b32_e32 v20, v20, v28, vcc
	v_add_f32_e32 v20, v18, v20
.LBB493_42:
	s_or_b64 exec, exec, s[44:45]
	v_bfe_u32 v18, v20, 16, 1
	s_movk_i32 s48, 0x7fff
	v_add3_u32 v18, v20, v18, s48
	v_and_b32_e32 v18, 0xffff0000, v18
	v_mov_b32_e32 v21, 0x7fc00000
	v_cmp_o_f32_e32 vcc, v20, v20
	s_nop 1
	v_cndmask_b32_e32 v23, v21, v18, vcc
	v_lshlrev_b32_e32 v18, 16, v4
	v_max_f32_e32 v22, v23, v23
	v_max_f32_e32 v20, v18, v18
	v_min_f32_e32 v24, v22, v20
	v_cmp_u_f32_e32 vcc, v23, v23
	v_max_f32_e32 v22, v22, v20
	v_cmp_u_f32_e64 s[44:45], v18, v18
	v_cndmask_b32_e32 v24, v24, v23, vcc
	v_cndmask_b32_e32 v22, v22, v23, vcc
	v_cndmask_b32_e64 v24, v24, v18, s[44:45]
	v_cndmask_b32_e64 v22, v22, v18, s[44:45]
	v_cmp_neq_f32_e32 vcc, v24, v22
	v_cmp_class_f32_e64 s[46:47], v24, s33
	s_or_b64 s[50:51], vcc, s[46:47]
	s_and_saveexec_b64 s[46:47], s[50:51]
	s_cbranch_execz .LBB493_44
; %bb.43:
	v_sub_f32_e32 v23, v24, v22
	s_mov_b32 s33, 0x3fb8aa3b
	v_mul_f32_e32 v24, 0x3fb8aa3b, v23
	v_fma_f32 v25, v23, s33, -v24
	v_rndne_f32_e32 v27, v24
	v_fmamk_f32 v25, v23, 0x32a5705f, v25
	v_sub_f32_e32 v24, v24, v27
	v_add_f32_e32 v24, v24, v25
	v_exp_f32_e32 v24, v24
	v_cvt_i32_f32_e32 v25, v27
	s_mov_b32 s33, 0xc2ce8ed0
	v_cmp_ngt_f32_e32 vcc, s33, v23
	s_mov_b32 s33, 0x42b17218
	v_ldexp_f32 v24, v24, v25
	v_cndmask_b32_e32 v24, 0, v24, vcc
	v_mov_b32_e32 v27, 0x7f800000
	v_cmp_nlt_f32_e32 vcc, s33, v23
	s_mov_b32 s33, 0x3f2aaaab
	s_mov_b32 s49, 0x7f800000
	v_cndmask_b32_e32 v23, v27, v24, vcc
	v_add_f32_e32 v28, 1.0, v23
	v_add_f32_e32 v24, -1.0, v28
	v_sub_f32_e32 v25, v24, v28
	v_add_f32_e32 v25, 1.0, v25
	v_sub_f32_e32 v24, v23, v24
	v_add_f32_e32 v33, v24, v25
	v_frexp_mant_f32_e32 v34, v28
	v_cvt_f64_f32_e32 v[24:25], v28
	v_frexp_exp_i32_f64_e32 v24, v[24:25]
	v_cmp_gt_f32_e32 vcc, s33, v34
	s_mov_b32 s33, 0x3f317218
	s_nop 0
	v_subbrev_co_u32_e32 v40, vcc, 0, v24, vcc
	v_sub_u32_e32 v24, 0, v40
	v_ldexp_f32 v25, v28, v24
	v_add_f32_e32 v28, -1.0, v25
	v_add_f32_e32 v34, 1.0, v25
	v_ldexp_f32 v24, v33, v24
	v_add_f32_e32 v33, 1.0, v28
	v_add_f32_e32 v35, -1.0, v34
	v_sub_f32_e32 v33, v25, v33
	v_sub_f32_e32 v25, v25, v35
	v_add_f32_e32 v33, v24, v33
	v_add_f32_e32 v24, v24, v25
	;; [unrolled: 1-line block ×3, first 2 shown]
	v_rcp_f32_e32 v43, v41
	v_sub_f32_e32 v25, v34, v41
	v_add_f32_e32 v42, v24, v25
	v_add_f32_e32 v25, v28, v33
	v_sub_f32_e32 v24, v28, v25
	v_add_f32_e32 v28, v33, v24
	v_mul_f32_e32 v33, v25, v43
	v_mul_f32_e32 v34, v41, v33
	v_fma_f32 v36, v33, v41, -v34
	v_fmac_f32_e32 v36, v33, v42
	v_add_f32_e32 v24, v34, v36
	v_sub_f32_e32 v35, v25, v24
	v_pk_add_f32 v[38:39], v[24:25], v[34:35] neg_lo:[0,1] neg_hi:[0,1]
	v_mov_b32_e32 v37, v24
	v_pk_add_f32 v[24:25], v[38:39], v[36:37] neg_lo:[0,1] neg_hi:[0,1]
	v_cmp_neq_f32_e32 vcc, s49, v23
	v_add_f32_e32 v25, v28, v25
	v_add_f32_e32 v24, v24, v25
	;; [unrolled: 1-line block ×3, first 2 shown]
	v_mul_f32_e32 v28, v43, v25
	v_mul_f32_e32 v34, v41, v28
	v_fma_f32 v36, v28, v41, -v34
	v_fmac_f32_e32 v36, v28, v42
	v_sub_f32_e32 v35, v35, v25
	v_add_f32_e32 v41, v24, v35
	v_add_f32_e32 v24, v34, v36
	v_sub_f32_e32 v35, v25, v24
	v_pk_add_f32 v[38:39], v[24:25], v[34:35] neg_lo:[0,1] neg_hi:[0,1]
	v_mov_b32_e32 v37, v24
	v_pk_add_f32 v[24:25], v[38:39], v[36:37] neg_lo:[0,1] neg_hi:[0,1]
	v_cvt_f32_i32_e32 v34, v40
	v_add_f32_e32 v25, v41, v25
	v_add_f32_e32 v24, v24, v25
	;; [unrolled: 1-line block ×4, first 2 shown]
	v_sub_f32_e32 v25, v35, v33
	v_mul_f32_e32 v24, v43, v24
	v_sub_f32_e32 v25, v28, v25
	v_add_f32_e32 v24, v25, v24
	v_add_f32_e32 v28, v35, v24
	v_mul_f32_e32 v33, v28, v28
	v_mov_b32_e32 v25, 0x3ecc95a3
	v_sub_f32_e32 v35, v28, v35
	v_fmac_f32_e32 v25, 0x3e9b6dac, v33
	v_sub_f32_e32 v24, v24, v35
	v_fmaak_f32 v25, v33, v25, 0x3f2aaada
	v_ldexp_f32 v38, v24, 1
	v_mul_f32_e32 v35, v28, v33
	v_mov_b32_e32 v24, 0x3f317218
	v_pk_mul_f32 v[24:25], v[34:35], v[24:25]
	v_ldexp_f32 v37, v28, 1
	v_fma_f32 v28, v34, s33, -v24
	v_fmamk_f32 v36, v34, 0xb102e308, v28
	v_pk_add_f32 v[34:35], v[24:25], v[36:37]
	s_mov_b32 s33, 0x33800000
	v_sub_f32_e32 v28, v35, v37
	v_sub_f32_e32 v28, v25, v28
	v_add_f32_e32 v39, v38, v28
	v_mov_b32_e32 v38, v24
	v_pk_add_f32 v[24:25], v[34:35], v[24:25] neg_lo:[0,1] neg_hi:[0,1]
	v_pk_add_f32 v[40:41], v[34:35], v[38:39]
	v_mov_b32_e32 v37, v34
	v_mov_b32_e32 v25, v41
	v_pk_add_f32 v[42:43], v[36:37], v[24:25] neg_lo:[0,1] neg_hi:[0,1]
	v_pk_add_f32 v[24:25], v[36:37], v[24:25]
	v_mov_b32_e32 v38, v39
	v_pk_add_f32 v[36:37], v[24:25], v[34:35] op_sel:[1,0] op_sel_hi:[0,1] neg_lo:[0,1] neg_hi:[0,1]
	v_pk_add_f32 v[44:45], v[40:41], v[36:37] op_sel_hi:[1,0] neg_lo:[0,1] neg_hi:[0,1]
	v_mov_b32_e32 v40, v41
	v_mov_b32_e32 v41, v25
	v_pk_mov_b32 v[36:37], v[34:35], v[36:37] op_sel:[1,0]
	v_mov_b32_e32 v39, v34
	v_pk_add_f32 v[36:37], v[40:41], v[36:37] neg_lo:[0,1] neg_hi:[0,1]
	v_mov_b32_e32 v44, v42
	v_pk_add_f32 v[34:35], v[38:39], v[36:37] neg_lo:[0,1] neg_hi:[0,1]
	v_mov_b32_e32 v43, v25
	v_pk_add_f32 v[36:37], v[44:45], v[34:35]
	s_nop 0
	v_pk_add_f32 v[38:39], v[36:37], v[36:37] op_sel:[0,1] op_sel_hi:[1,0]
	s_nop 0
	v_pk_add_f32 v[24:25], v[24:25], v[38:39] op_sel:[1,0] op_sel_hi:[0,1]
	v_mov_b32_e32 v37, v24
	v_pk_add_f32 v[40:41], v[36:37], v[42:43] neg_lo:[0,1] neg_hi:[0,1]
	v_mov_b32_e32 v35, v38
	v_sub_f32_e32 v25, v36, v40
	v_pk_add_f32 v[34:35], v[34:35], v[40:41] neg_lo:[0,1] neg_hi:[0,1]
	v_sub_f32_e32 v25, v42, v25
	v_add_f32_e32 v25, v34, v25
	v_add_f32_e32 v25, v25, v35
	;; [unrolled: 1-line block ×3, first 2 shown]
	v_cndmask_b32_e32 v24, v27, v24, vcc
	v_cmp_lt_f32_e64 vcc, |v23|, s33
	s_nop 1
	v_cndmask_b32_e32 v23, v24, v23, vcc
	v_add_f32_e32 v23, v22, v23
.LBB493_44:
	s_or_b64 exec, exec, s[46:47]
	v_bfe_u32 v22, v23, 16, 1
	v_add3_u32 v22, v23, v22, s48
	v_and_b32_e32 v22, 0xffff0000, v22
	v_cmp_o_f32_e32 vcc, v23, v23
	v_and_b32_e32 v4, 0xffff0000, v4
	v_cmp_u_f32_e64 s[46:47], v4, v4
	v_cndmask_b32_e32 v23, v21, v22, vcc
	v_max_f32_e32 v21, v23, v23
	v_max_f32_e32 v22, v4, v4
	v_min_f32_e32 v24, v21, v22
	v_cmp_u_f32_e32 vcc, v23, v23
	v_max_f32_e32 v21, v21, v22
	s_movk_i32 s33, 0x1f8
	v_cndmask_b32_e32 v24, v24, v23, vcc
	v_cndmask_b32_e32 v21, v21, v23, vcc
	v_cndmask_b32_e64 v24, v24, v4, s[46:47]
	v_cndmask_b32_e64 v21, v21, v4, s[46:47]
	v_cmp_neq_f32_e32 vcc, v24, v21
	v_cmp_class_f32_e64 s[48:49], v24, s33
	s_or_b64 s[50:51], vcc, s[48:49]
	s_and_saveexec_b64 s[48:49], s[50:51]
	s_cbranch_execz .LBB493_46
; %bb.45:
	v_sub_f32_e32 v23, v24, v21
	s_mov_b32 s50, 0x3fb8aa3b
	v_mul_f32_e32 v24, 0x3fb8aa3b, v23
	v_fma_f32 v25, v23, s50, -v24
	v_rndne_f32_e32 v27, v24
	v_fmamk_f32 v25, v23, 0x32a5705f, v25
	v_sub_f32_e32 v24, v24, v27
	v_add_f32_e32 v24, v24, v25
	v_exp_f32_e32 v24, v24
	v_cvt_i32_f32_e32 v25, v27
	s_mov_b32 s50, 0xc2ce8ed0
	v_cmp_ngt_f32_e32 vcc, s50, v23
	s_mov_b32 s50, 0x42b17218
	v_ldexp_f32 v24, v24, v25
	v_cndmask_b32_e32 v24, 0, v24, vcc
	v_mov_b32_e32 v27, 0x7f800000
	v_cmp_nlt_f32_e32 vcc, s50, v23
	s_mov_b32 s50, 0x3f2aaaab
	s_mov_b32 s51, 0x7f800000
	v_cndmask_b32_e32 v23, v27, v24, vcc
	v_add_f32_e32 v28, 1.0, v23
	v_add_f32_e32 v24, -1.0, v28
	v_sub_f32_e32 v25, v24, v28
	v_add_f32_e32 v25, 1.0, v25
	v_sub_f32_e32 v24, v23, v24
	v_add_f32_e32 v33, v24, v25
	v_frexp_mant_f32_e32 v34, v28
	v_cvt_f64_f32_e32 v[24:25], v28
	v_frexp_exp_i32_f64_e32 v24, v[24:25]
	v_cmp_gt_f32_e32 vcc, s50, v34
	s_mov_b32 s50, 0x3f317218
	s_nop 0
	v_subbrev_co_u32_e32 v40, vcc, 0, v24, vcc
	v_sub_u32_e32 v24, 0, v40
	v_ldexp_f32 v25, v28, v24
	v_add_f32_e32 v28, -1.0, v25
	v_add_f32_e32 v34, 1.0, v25
	v_ldexp_f32 v24, v33, v24
	v_add_f32_e32 v33, 1.0, v28
	v_add_f32_e32 v35, -1.0, v34
	v_sub_f32_e32 v33, v25, v33
	v_sub_f32_e32 v25, v25, v35
	v_add_f32_e32 v33, v24, v33
	v_add_f32_e32 v24, v24, v25
	;; [unrolled: 1-line block ×3, first 2 shown]
	v_rcp_f32_e32 v43, v41
	v_sub_f32_e32 v25, v34, v41
	v_add_f32_e32 v42, v24, v25
	v_add_f32_e32 v25, v28, v33
	v_sub_f32_e32 v24, v28, v25
	v_add_f32_e32 v28, v33, v24
	v_mul_f32_e32 v33, v25, v43
	v_mul_f32_e32 v34, v41, v33
	v_fma_f32 v36, v33, v41, -v34
	v_fmac_f32_e32 v36, v33, v42
	v_add_f32_e32 v24, v34, v36
	v_sub_f32_e32 v35, v25, v24
	v_pk_add_f32 v[38:39], v[24:25], v[34:35] neg_lo:[0,1] neg_hi:[0,1]
	v_mov_b32_e32 v37, v24
	v_pk_add_f32 v[24:25], v[38:39], v[36:37] neg_lo:[0,1] neg_hi:[0,1]
	v_cmp_neq_f32_e32 vcc, s51, v23
	v_add_f32_e32 v25, v28, v25
	v_add_f32_e32 v24, v24, v25
	;; [unrolled: 1-line block ×3, first 2 shown]
	v_mul_f32_e32 v28, v43, v25
	v_mul_f32_e32 v34, v41, v28
	v_fma_f32 v36, v28, v41, -v34
	v_fmac_f32_e32 v36, v28, v42
	v_sub_f32_e32 v35, v35, v25
	v_add_f32_e32 v41, v24, v35
	v_add_f32_e32 v24, v34, v36
	v_sub_f32_e32 v35, v25, v24
	v_pk_add_f32 v[38:39], v[24:25], v[34:35] neg_lo:[0,1] neg_hi:[0,1]
	v_mov_b32_e32 v37, v24
	v_pk_add_f32 v[24:25], v[38:39], v[36:37] neg_lo:[0,1] neg_hi:[0,1]
	v_cvt_f32_i32_e32 v34, v40
	v_add_f32_e32 v25, v41, v25
	v_add_f32_e32 v24, v24, v25
	;; [unrolled: 1-line block ×4, first 2 shown]
	v_sub_f32_e32 v25, v35, v33
	v_mul_f32_e32 v24, v43, v24
	v_sub_f32_e32 v25, v28, v25
	v_add_f32_e32 v24, v25, v24
	v_add_f32_e32 v28, v35, v24
	v_mul_f32_e32 v33, v28, v28
	v_mov_b32_e32 v25, 0x3ecc95a3
	v_sub_f32_e32 v35, v28, v35
	v_fmac_f32_e32 v25, 0x3e9b6dac, v33
	v_sub_f32_e32 v24, v24, v35
	v_fmaak_f32 v25, v33, v25, 0x3f2aaada
	v_ldexp_f32 v38, v24, 1
	v_mul_f32_e32 v35, v28, v33
	v_mov_b32_e32 v24, 0x3f317218
	v_pk_mul_f32 v[24:25], v[34:35], v[24:25]
	v_ldexp_f32 v37, v28, 1
	v_fma_f32 v28, v34, s50, -v24
	v_fmamk_f32 v36, v34, 0xb102e308, v28
	v_pk_add_f32 v[34:35], v[24:25], v[36:37]
	s_mov_b32 s50, 0x33800000
	v_sub_f32_e32 v28, v35, v37
	v_sub_f32_e32 v28, v25, v28
	v_add_f32_e32 v39, v38, v28
	v_mov_b32_e32 v38, v24
	v_pk_add_f32 v[24:25], v[34:35], v[24:25] neg_lo:[0,1] neg_hi:[0,1]
	v_pk_add_f32 v[40:41], v[34:35], v[38:39]
	v_mov_b32_e32 v37, v34
	v_mov_b32_e32 v25, v41
	v_pk_add_f32 v[42:43], v[36:37], v[24:25] neg_lo:[0,1] neg_hi:[0,1]
	v_pk_add_f32 v[24:25], v[36:37], v[24:25]
	v_mov_b32_e32 v38, v39
	v_pk_add_f32 v[36:37], v[24:25], v[34:35] op_sel:[1,0] op_sel_hi:[0,1] neg_lo:[0,1] neg_hi:[0,1]
	v_pk_add_f32 v[44:45], v[40:41], v[36:37] op_sel_hi:[1,0] neg_lo:[0,1] neg_hi:[0,1]
	v_mov_b32_e32 v40, v41
	v_mov_b32_e32 v41, v25
	v_pk_mov_b32 v[36:37], v[34:35], v[36:37] op_sel:[1,0]
	v_mov_b32_e32 v39, v34
	v_pk_add_f32 v[36:37], v[40:41], v[36:37] neg_lo:[0,1] neg_hi:[0,1]
	v_mov_b32_e32 v44, v42
	v_pk_add_f32 v[34:35], v[38:39], v[36:37] neg_lo:[0,1] neg_hi:[0,1]
	v_mov_b32_e32 v43, v25
	v_pk_add_f32 v[36:37], v[44:45], v[34:35]
	s_nop 0
	v_pk_add_f32 v[38:39], v[36:37], v[36:37] op_sel:[0,1] op_sel_hi:[1,0]
	s_nop 0
	v_pk_add_f32 v[24:25], v[24:25], v[38:39] op_sel:[1,0] op_sel_hi:[0,1]
	v_mov_b32_e32 v37, v24
	v_pk_add_f32 v[40:41], v[36:37], v[42:43] neg_lo:[0,1] neg_hi:[0,1]
	v_mov_b32_e32 v35, v38
	v_sub_f32_e32 v25, v36, v40
	v_pk_add_f32 v[34:35], v[34:35], v[40:41] neg_lo:[0,1] neg_hi:[0,1]
	v_sub_f32_e32 v25, v42, v25
	v_add_f32_e32 v25, v34, v25
	v_add_f32_e32 v25, v25, v35
	;; [unrolled: 1-line block ×3, first 2 shown]
	v_cndmask_b32_e32 v24, v27, v24, vcc
	v_cmp_lt_f32_e64 vcc, |v23|, s50
	s_nop 1
	v_cndmask_b32_e32 v23, v24, v23, vcc
	v_add_f32_e32 v23, v21, v23
.LBB493_46:
	s_or_b64 exec, exec, s[48:49]
	v_bfe_u32 v21, v23, 16, 1
	s_movk_i32 s52, 0x7fff
	v_add3_u32 v21, v23, v21, s52
	v_and_b32_e32 v21, 0xffff0000, v21
	v_mov_b32_e32 v24, 0x7fc00000
	v_cmp_o_f32_e32 vcc, v23, v23
	s_nop 1
	v_cndmask_b32_e32 v27, v24, v21, vcc
	v_lshlrev_b32_e32 v21, 16, v5
	v_max_f32_e32 v25, v27, v27
	v_max_f32_e32 v23, v21, v21
	v_min_f32_e32 v28, v25, v23
	v_cmp_u_f32_e32 vcc, v27, v27
	v_max_f32_e32 v25, v25, v23
	v_cmp_u_f32_e64 s[48:49], v21, v21
	v_cndmask_b32_e32 v28, v28, v27, vcc
	v_cndmask_b32_e32 v25, v25, v27, vcc
	v_cndmask_b32_e64 v28, v28, v21, s[48:49]
	v_cndmask_b32_e64 v25, v25, v21, s[48:49]
	v_cmp_neq_f32_e32 vcc, v28, v25
	v_cmp_class_f32_e64 s[50:51], v28, s33
	s_or_b64 s[54:55], vcc, s[50:51]
	s_and_saveexec_b64 s[50:51], s[54:55]
	s_cbranch_execz .LBB493_48
; %bb.47:
	v_sub_f32_e32 v27, v28, v25
	s_mov_b32 s33, 0x3fb8aa3b
	v_mul_f32_e32 v28, 0x3fb8aa3b, v27
	v_fma_f32 v33, v27, s33, -v28
	v_rndne_f32_e32 v34, v28
	v_fmamk_f32 v33, v27, 0x32a5705f, v33
	v_sub_f32_e32 v28, v28, v34
	v_add_f32_e32 v28, v28, v33
	v_exp_f32_e32 v28, v28
	v_cvt_i32_f32_e32 v33, v34
	s_mov_b32 s33, 0xc2ce8ed0
	v_cmp_ngt_f32_e32 vcc, s33, v27
	s_mov_b32 s33, 0x42b17218
	v_ldexp_f32 v28, v28, v33
	v_cndmask_b32_e32 v28, 0, v28, vcc
	v_mov_b32_e32 v33, 0x7f800000
	v_cmp_nlt_f32_e32 vcc, s33, v27
	s_mov_b32 s33, 0x3f2aaaab
	s_mov_b32 s53, 0x7f800000
	v_cndmask_b32_e32 v27, v33, v28, vcc
	v_add_f32_e32 v28, 1.0, v27
	v_add_f32_e32 v34, -1.0, v28
	v_sub_f32_e32 v35, v34, v28
	v_add_f32_e32 v35, 1.0, v35
	v_sub_f32_e32 v34, v27, v34
	v_add_f32_e32 v36, v34, v35
	v_frexp_mant_f32_e32 v37, v28
	v_cvt_f64_f32_e32 v[34:35], v28
	v_frexp_exp_i32_f64_e32 v34, v[34:35]
	v_cmp_gt_f32_e32 vcc, s33, v37
	s_mov_b32 s33, 0x3f317218
	s_nop 0
	v_subbrev_co_u32_e32 v42, vcc, 0, v34, vcc
	v_sub_u32_e32 v34, 0, v42
	v_ldexp_f32 v28, v28, v34
	v_ldexp_f32 v34, v36, v34
	v_add_f32_e32 v36, -1.0, v28
	v_add_f32_e32 v35, 1.0, v36
	v_sub_f32_e32 v35, v28, v35
	v_add_f32_e32 v37, v34, v35
	v_add_f32_e32 v35, 1.0, v28
	v_add_f32_e32 v38, -1.0, v35
	v_sub_f32_e32 v28, v28, v38
	v_add_f32_e32 v28, v34, v28
	v_add_f32_e32 v43, v35, v28
	v_rcp_f32_e32 v44, v43
	v_sub_f32_e32 v34, v35, v43
	v_add_f32_e32 v35, v36, v37
	v_add_f32_e32 v28, v28, v34
	v_mul_f32_e32 v46, v35, v44
	v_sub_f32_e32 v34, v36, v35
	v_mul_f32_e32 v36, v43, v46
	v_fma_f32 v38, v46, v43, -v36
	v_fmac_f32_e32 v38, v46, v28
	v_add_f32_e32 v45, v37, v34
	v_add_f32_e32 v34, v36, v38
	v_sub_f32_e32 v37, v35, v34
	v_pk_add_f32 v[40:41], v[34:35], v[36:37] neg_lo:[0,1] neg_hi:[0,1]
	v_mov_b32_e32 v39, v34
	v_pk_add_f32 v[34:35], v[40:41], v[38:39] neg_lo:[0,1] neg_hi:[0,1]
	v_cmp_neq_f32_e32 vcc, s53, v27
	v_add_f32_e32 v35, v45, v35
	v_add_f32_e32 v34, v34, v35
	;; [unrolled: 1-line block ×3, first 2 shown]
	v_mul_f32_e32 v45, v44, v35
	v_mul_f32_e32 v36, v43, v45
	v_fma_f32 v38, v45, v43, -v36
	v_fmac_f32_e32 v38, v45, v28
	v_sub_f32_e32 v28, v37, v35
	v_add_f32_e32 v28, v34, v28
	v_add_f32_e32 v34, v36, v38
	v_sub_f32_e32 v37, v35, v34
	v_pk_add_f32 v[40:41], v[34:35], v[36:37] neg_lo:[0,1] neg_hi:[0,1]
	v_mov_b32_e32 v39, v34
	v_pk_add_f32 v[34:35], v[40:41], v[38:39] neg_lo:[0,1] neg_hi:[0,1]
	v_cvt_f32_i32_e32 v36, v42
	v_add_f32_e32 v28, v28, v35
	v_add_f32_e32 v28, v34, v28
	;; [unrolled: 1-line block ×4, first 2 shown]
	v_sub_f32_e32 v35, v34, v46
	v_mul_f32_e32 v28, v44, v28
	v_sub_f32_e32 v35, v45, v35
	v_add_f32_e32 v28, v35, v28
	v_add_f32_e32 v37, v34, v28
	v_mul_f32_e32 v38, v37, v37
	v_mov_b32_e32 v35, 0x3ecc95a3
	v_fmac_f32_e32 v35, 0x3e9b6dac, v38
	v_sub_f32_e32 v34, v37, v34
	v_fmaak_f32 v35, v38, v35, 0x3f2aaada
	v_sub_f32_e32 v28, v28, v34
	v_ldexp_f32 v39, v37, 1
	v_mul_f32_e32 v37, v37, v38
	v_mov_b32_e32 v34, 0x3f317218
	v_pk_mul_f32 v[34:35], v[36:37], v[34:35]
	v_ldexp_f32 v28, v28, 1
	v_fma_f32 v37, v36, s33, -v34
	v_fmamk_f32 v38, v36, 0xb102e308, v37
	v_pk_add_f32 v[36:37], v[34:35], v[38:39]
	v_mov_b32_e32 v40, v34
	v_sub_f32_e32 v39, v37, v39
	v_sub_f32_e32 v39, v35, v39
	v_add_f32_e32 v41, v28, v39
	v_pk_add_f32 v[34:35], v[36:37], v[34:35] neg_lo:[0,1] neg_hi:[0,1]
	v_pk_add_f32 v[42:43], v[36:37], v[40:41]
	v_mov_b32_e32 v39, v36
	v_mov_b32_e32 v35, v43
	v_pk_add_f32 v[44:45], v[38:39], v[34:35] neg_lo:[0,1] neg_hi:[0,1]
	v_pk_add_f32 v[34:35], v[38:39], v[34:35]
	v_mov_b32_e32 v40, v41
	v_pk_add_f32 v[38:39], v[34:35], v[36:37] op_sel:[1,0] op_sel_hi:[0,1] neg_lo:[0,1] neg_hi:[0,1]
	v_pk_add_f32 v[46:47], v[42:43], v[38:39] op_sel_hi:[1,0] neg_lo:[0,1] neg_hi:[0,1]
	v_mov_b32_e32 v42, v43
	v_mov_b32_e32 v43, v35
	v_pk_mov_b32 v[38:39], v[36:37], v[38:39] op_sel:[1,0]
	v_mov_b32_e32 v41, v36
	v_pk_add_f32 v[38:39], v[42:43], v[38:39] neg_lo:[0,1] neg_hi:[0,1]
	v_mov_b32_e32 v46, v44
	v_pk_add_f32 v[36:37], v[40:41], v[38:39] neg_lo:[0,1] neg_hi:[0,1]
	v_mov_b32_e32 v45, v35
	v_pk_add_f32 v[38:39], v[46:47], v[36:37]
	s_mov_b32 s33, 0x33800000
	v_pk_add_f32 v[40:41], v[38:39], v[38:39] op_sel:[0,1] op_sel_hi:[1,0]
	s_nop 0
	v_pk_add_f32 v[34:35], v[34:35], v[40:41] op_sel:[1,0] op_sel_hi:[0,1]
	v_mov_b32_e32 v39, v34
	v_pk_add_f32 v[42:43], v[38:39], v[44:45] neg_lo:[0,1] neg_hi:[0,1]
	v_mov_b32_e32 v37, v40
	v_sub_f32_e32 v28, v38, v42
	v_pk_add_f32 v[36:37], v[36:37], v[42:43] neg_lo:[0,1] neg_hi:[0,1]
	v_sub_f32_e32 v28, v44, v28
	v_add_f32_e32 v28, v36, v28
	v_add_f32_e32 v28, v28, v37
	;; [unrolled: 1-line block ×3, first 2 shown]
	v_cndmask_b32_e32 v28, v33, v28, vcc
	v_cmp_lt_f32_e64 vcc, |v27|, s33
	s_nop 1
	v_cndmask_b32_e32 v27, v28, v27, vcc
	v_add_f32_e32 v27, v25, v27
.LBB493_48:
	s_or_b64 exec, exec, s[50:51]
	v_bfe_u32 v25, v27, 16, 1
	v_add3_u32 v25, v27, v25, s52
	v_and_b32_e32 v25, 0xffff0000, v25
	v_cmp_o_f32_e32 vcc, v27, v27
	v_and_b32_e32 v5, 0xffff0000, v5
	v_cmp_u_f32_e64 s[50:51], v5, v5
	v_cndmask_b32_e32 v27, v24, v25, vcc
	v_max_f32_e32 v24, v27, v27
	v_max_f32_e32 v25, v5, v5
	v_min_f32_e32 v28, v24, v25
	v_cmp_u_f32_e32 vcc, v27, v27
	v_max_f32_e32 v24, v24, v25
	s_movk_i32 s33, 0x1f8
	v_cndmask_b32_e32 v28, v28, v27, vcc
	v_cndmask_b32_e32 v24, v24, v27, vcc
	v_cndmask_b32_e64 v28, v28, v5, s[50:51]
	v_cndmask_b32_e64 v24, v24, v5, s[50:51]
	v_cmp_neq_f32_e32 vcc, v28, v24
	v_cmp_class_f32_e64 s[52:53], v28, s33
	s_or_b64 s[54:55], vcc, s[52:53]
	s_and_saveexec_b64 s[52:53], s[54:55]
	s_cbranch_execz .LBB493_50
; %bb.49:
	v_sub_f32_e32 v27, v28, v24
	s_mov_b32 s54, 0x3fb8aa3b
	v_mul_f32_e32 v28, 0x3fb8aa3b, v27
	v_fma_f32 v33, v27, s54, -v28
	v_rndne_f32_e32 v34, v28
	v_fmamk_f32 v33, v27, 0x32a5705f, v33
	v_sub_f32_e32 v28, v28, v34
	v_add_f32_e32 v28, v28, v33
	v_exp_f32_e32 v28, v28
	v_cvt_i32_f32_e32 v33, v34
	s_mov_b32 s54, 0xc2ce8ed0
	v_cmp_ngt_f32_e32 vcc, s54, v27
	s_mov_b32 s54, 0x42b17218
	v_ldexp_f32 v28, v28, v33
	v_cndmask_b32_e32 v28, 0, v28, vcc
	v_mov_b32_e32 v33, 0x7f800000
	v_cmp_nlt_f32_e32 vcc, s54, v27
	s_mov_b32 s54, 0x3f2aaaab
	s_mov_b32 s55, 0x7f800000
	v_cndmask_b32_e32 v27, v33, v28, vcc
	v_add_f32_e32 v28, 1.0, v27
	v_add_f32_e32 v34, -1.0, v28
	v_sub_f32_e32 v35, v34, v28
	v_add_f32_e32 v35, 1.0, v35
	v_sub_f32_e32 v34, v27, v34
	v_add_f32_e32 v36, v34, v35
	v_frexp_mant_f32_e32 v37, v28
	v_cvt_f64_f32_e32 v[34:35], v28
	v_frexp_exp_i32_f64_e32 v34, v[34:35]
	v_cmp_gt_f32_e32 vcc, s54, v37
	s_mov_b32 s54, 0x3f317218
	s_nop 0
	v_subbrev_co_u32_e32 v42, vcc, 0, v34, vcc
	v_sub_u32_e32 v34, 0, v42
	v_ldexp_f32 v28, v28, v34
	v_ldexp_f32 v34, v36, v34
	v_add_f32_e32 v36, -1.0, v28
	v_add_f32_e32 v35, 1.0, v36
	v_sub_f32_e32 v35, v28, v35
	v_add_f32_e32 v37, v34, v35
	v_add_f32_e32 v35, 1.0, v28
	v_add_f32_e32 v38, -1.0, v35
	v_sub_f32_e32 v28, v28, v38
	v_add_f32_e32 v28, v34, v28
	v_add_f32_e32 v43, v35, v28
	v_rcp_f32_e32 v44, v43
	v_sub_f32_e32 v34, v35, v43
	v_add_f32_e32 v35, v36, v37
	v_add_f32_e32 v28, v28, v34
	v_mul_f32_e32 v46, v35, v44
	v_sub_f32_e32 v34, v36, v35
	v_mul_f32_e32 v36, v43, v46
	v_fma_f32 v38, v46, v43, -v36
	v_fmac_f32_e32 v38, v46, v28
	v_add_f32_e32 v45, v37, v34
	v_add_f32_e32 v34, v36, v38
	v_sub_f32_e32 v37, v35, v34
	v_pk_add_f32 v[40:41], v[34:35], v[36:37] neg_lo:[0,1] neg_hi:[0,1]
	v_mov_b32_e32 v39, v34
	v_pk_add_f32 v[34:35], v[40:41], v[38:39] neg_lo:[0,1] neg_hi:[0,1]
	v_cmp_neq_f32_e32 vcc, s55, v27
	v_add_f32_e32 v35, v45, v35
	v_add_f32_e32 v34, v34, v35
	;; [unrolled: 1-line block ×3, first 2 shown]
	v_mul_f32_e32 v45, v44, v35
	v_mul_f32_e32 v36, v43, v45
	v_fma_f32 v38, v45, v43, -v36
	v_fmac_f32_e32 v38, v45, v28
	v_sub_f32_e32 v28, v37, v35
	v_add_f32_e32 v28, v34, v28
	v_add_f32_e32 v34, v36, v38
	v_sub_f32_e32 v37, v35, v34
	v_pk_add_f32 v[40:41], v[34:35], v[36:37] neg_lo:[0,1] neg_hi:[0,1]
	v_mov_b32_e32 v39, v34
	v_pk_add_f32 v[34:35], v[40:41], v[38:39] neg_lo:[0,1] neg_hi:[0,1]
	v_cvt_f32_i32_e32 v36, v42
	v_add_f32_e32 v28, v28, v35
	v_add_f32_e32 v28, v34, v28
	;; [unrolled: 1-line block ×4, first 2 shown]
	v_sub_f32_e32 v35, v34, v46
	v_mul_f32_e32 v28, v44, v28
	v_sub_f32_e32 v35, v45, v35
	v_add_f32_e32 v28, v35, v28
	v_add_f32_e32 v37, v34, v28
	v_mul_f32_e32 v38, v37, v37
	v_mov_b32_e32 v35, 0x3ecc95a3
	v_fmac_f32_e32 v35, 0x3e9b6dac, v38
	v_sub_f32_e32 v34, v37, v34
	v_fmaak_f32 v35, v38, v35, 0x3f2aaada
	v_sub_f32_e32 v28, v28, v34
	v_ldexp_f32 v39, v37, 1
	v_mul_f32_e32 v37, v37, v38
	v_mov_b32_e32 v34, 0x3f317218
	v_pk_mul_f32 v[34:35], v[36:37], v[34:35]
	v_ldexp_f32 v28, v28, 1
	v_fma_f32 v37, v36, s54, -v34
	v_fmamk_f32 v38, v36, 0xb102e308, v37
	v_pk_add_f32 v[36:37], v[34:35], v[38:39]
	v_mov_b32_e32 v40, v34
	v_sub_f32_e32 v39, v37, v39
	v_sub_f32_e32 v39, v35, v39
	v_add_f32_e32 v41, v28, v39
	v_pk_add_f32 v[34:35], v[36:37], v[34:35] neg_lo:[0,1] neg_hi:[0,1]
	v_pk_add_f32 v[42:43], v[36:37], v[40:41]
	v_mov_b32_e32 v39, v36
	v_mov_b32_e32 v35, v43
	v_pk_add_f32 v[44:45], v[38:39], v[34:35] neg_lo:[0,1] neg_hi:[0,1]
	v_pk_add_f32 v[34:35], v[38:39], v[34:35]
	v_mov_b32_e32 v40, v41
	v_pk_add_f32 v[38:39], v[34:35], v[36:37] op_sel:[1,0] op_sel_hi:[0,1] neg_lo:[0,1] neg_hi:[0,1]
	v_pk_add_f32 v[46:47], v[42:43], v[38:39] op_sel_hi:[1,0] neg_lo:[0,1] neg_hi:[0,1]
	v_mov_b32_e32 v42, v43
	v_mov_b32_e32 v43, v35
	v_pk_mov_b32 v[38:39], v[36:37], v[38:39] op_sel:[1,0]
	v_mov_b32_e32 v41, v36
	v_pk_add_f32 v[38:39], v[42:43], v[38:39] neg_lo:[0,1] neg_hi:[0,1]
	v_mov_b32_e32 v46, v44
	v_pk_add_f32 v[36:37], v[40:41], v[38:39] neg_lo:[0,1] neg_hi:[0,1]
	v_mov_b32_e32 v45, v35
	v_pk_add_f32 v[38:39], v[46:47], v[36:37]
	s_mov_b32 s54, 0x33800000
	v_pk_add_f32 v[40:41], v[38:39], v[38:39] op_sel:[0,1] op_sel_hi:[1,0]
	s_nop 0
	v_pk_add_f32 v[34:35], v[34:35], v[40:41] op_sel:[1,0] op_sel_hi:[0,1]
	v_mov_b32_e32 v39, v34
	v_pk_add_f32 v[42:43], v[38:39], v[44:45] neg_lo:[0,1] neg_hi:[0,1]
	v_mov_b32_e32 v37, v40
	v_sub_f32_e32 v28, v38, v42
	v_pk_add_f32 v[36:37], v[36:37], v[42:43] neg_lo:[0,1] neg_hi:[0,1]
	v_sub_f32_e32 v28, v44, v28
	v_add_f32_e32 v28, v36, v28
	v_add_f32_e32 v28, v28, v37
	;; [unrolled: 1-line block ×3, first 2 shown]
	v_cndmask_b32_e32 v28, v33, v28, vcc
	v_cmp_lt_f32_e64 vcc, |v27|, s54
	s_nop 1
	v_cndmask_b32_e32 v27, v28, v27, vcc
	v_add_f32_e32 v27, v24, v27
.LBB493_50:
	s_or_b64 exec, exec, s[52:53]
	v_bfe_u32 v24, v27, 16, 1
	s_movk_i32 s60, 0x7fff
	v_add3_u32 v24, v27, v24, s60
	v_and_b32_e32 v24, 0xffff0000, v24
	v_mov_b32_e32 v28, 0x7fc00000
	v_cmp_o_f32_e32 vcc, v27, v27
	s_nop 1
	v_cndmask_b32_e32 v34, v28, v24, vcc
	v_lshlrev_b32_e32 v24, 16, v26
	v_max_f32_e32 v33, v34, v34
	v_max_f32_e32 v27, v24, v24
	v_min_f32_e32 v35, v33, v27
	v_cmp_u_f32_e32 vcc, v34, v34
	v_max_f32_e32 v33, v33, v27
	v_cmp_u_f32_e64 s[52:53], v24, v24
	v_cndmask_b32_e32 v35, v35, v34, vcc
	v_cndmask_b32_e32 v33, v33, v34, vcc
	v_cndmask_b32_e64 v35, v35, v24, s[52:53]
	v_cndmask_b32_e64 v33, v33, v24, s[52:53]
	v_cmp_neq_f32_e32 vcc, v35, v33
	v_cmp_class_f32_e64 s[54:55], v35, s33
	s_or_b64 s[62:63], vcc, s[54:55]
	s_and_saveexec_b64 s[54:55], s[62:63]
	s_cbranch_execz .LBB493_52
; %bb.51:
	v_sub_f32_e32 v34, v35, v33
	s_mov_b32 s33, 0x3fb8aa3b
	v_mul_f32_e32 v35, 0x3fb8aa3b, v34
	v_fma_f32 v36, v34, s33, -v35
	v_rndne_f32_e32 v37, v35
	v_fmamk_f32 v36, v34, 0x32a5705f, v36
	v_sub_f32_e32 v35, v35, v37
	v_add_f32_e32 v35, v35, v36
	v_exp_f32_e32 v35, v35
	v_cvt_i32_f32_e32 v36, v37
	s_mov_b32 s33, 0xc2ce8ed0
	v_cmp_ngt_f32_e32 vcc, s33, v34
	s_mov_b32 s33, 0x42b17218
	v_ldexp_f32 v35, v35, v36
	v_cndmask_b32_e32 v35, 0, v35, vcc
	v_mov_b32_e32 v48, 0x7f800000
	v_cmp_nlt_f32_e32 vcc, s33, v34
	s_mov_b32 s33, 0x3f2aaaab
	s_mov_b32 s61, 0x7f800000
	v_cndmask_b32_e32 v49, v48, v35, vcc
	v_add_f32_e32 v36, 1.0, v49
	v_add_f32_e32 v34, -1.0, v36
	v_sub_f32_e32 v35, v34, v36
	v_add_f32_e32 v35, 1.0, v35
	v_sub_f32_e32 v34, v49, v34
	v_add_f32_e32 v37, v34, v35
	v_frexp_mant_f32_e32 v38, v36
	v_cvt_f64_f32_e32 v[34:35], v36
	v_frexp_exp_i32_f64_e32 v34, v[34:35]
	v_cmp_gt_f32_e32 vcc, s33, v38
	s_mov_b32 s33, 0x3f317218
	s_nop 0
	v_subbrev_co_u32_e32 v42, vcc, 0, v34, vcc
	v_sub_u32_e32 v34, 0, v42
	v_ldexp_f32 v35, v36, v34
	v_add_f32_e32 v36, -1.0, v35
	v_add_f32_e32 v38, 1.0, v35
	v_ldexp_f32 v34, v37, v34
	v_add_f32_e32 v37, 1.0, v36
	v_add_f32_e32 v39, -1.0, v38
	v_sub_f32_e32 v37, v35, v37
	v_sub_f32_e32 v35, v35, v39
	v_add_f32_e32 v37, v34, v37
	v_add_f32_e32 v34, v34, v35
	;; [unrolled: 1-line block ×3, first 2 shown]
	v_rcp_f32_e32 v45, v43
	v_sub_f32_e32 v35, v38, v43
	v_add_f32_e32 v44, v34, v35
	v_add_f32_e32 v35, v36, v37
	v_mul_f32_e32 v47, v35, v45
	v_sub_f32_e32 v34, v36, v35
	v_mul_f32_e32 v36, v43, v47
	v_fma_f32 v38, v47, v43, -v36
	v_fmac_f32_e32 v38, v47, v44
	v_add_f32_e32 v46, v37, v34
	v_add_f32_e32 v34, v36, v38
	v_sub_f32_e32 v37, v35, v34
	v_pk_add_f32 v[40:41], v[34:35], v[36:37] neg_lo:[0,1] neg_hi:[0,1]
	v_mov_b32_e32 v39, v34
	v_pk_add_f32 v[34:35], v[40:41], v[38:39] neg_lo:[0,1] neg_hi:[0,1]
	v_cmp_neq_f32_e32 vcc, s61, v49
	v_add_f32_e32 v35, v46, v35
	v_add_f32_e32 v34, v34, v35
	;; [unrolled: 1-line block ×3, first 2 shown]
	v_mul_f32_e32 v46, v45, v35
	v_mul_f32_e32 v36, v43, v46
	v_fma_f32 v38, v46, v43, -v36
	v_fmac_f32_e32 v38, v46, v44
	v_sub_f32_e32 v37, v37, v35
	v_add_f32_e32 v43, v34, v37
	v_add_f32_e32 v34, v36, v38
	v_sub_f32_e32 v37, v35, v34
	v_pk_add_f32 v[40:41], v[34:35], v[36:37] neg_lo:[0,1] neg_hi:[0,1]
	v_mov_b32_e32 v39, v34
	v_pk_add_f32 v[34:35], v[40:41], v[38:39] neg_lo:[0,1] neg_hi:[0,1]
	v_cvt_f32_i32_e32 v36, v42
	v_add_f32_e32 v35, v43, v35
	v_add_f32_e32 v34, v34, v35
	;; [unrolled: 1-line block ×4, first 2 shown]
	v_sub_f32_e32 v35, v37, v47
	v_mul_f32_e32 v34, v45, v34
	v_sub_f32_e32 v35, v46, v35
	v_add_f32_e32 v34, v35, v34
	v_add_f32_e32 v38, v37, v34
	v_mul_f32_e32 v40, v38, v38
	v_mov_b32_e32 v35, 0x3ecc95a3
	v_sub_f32_e32 v37, v38, v37
	v_fmac_f32_e32 v35, 0x3e9b6dac, v40
	v_sub_f32_e32 v34, v34, v37
	v_fmaak_f32 v35, v40, v35, 0x3f2aaada
	v_ldexp_f32 v41, v34, 1
	v_mul_f32_e32 v37, v38, v40
	v_mov_b32_e32 v34, 0x3f317218
	v_pk_mul_f32 v[34:35], v[36:37], v[34:35]
	v_ldexp_f32 v39, v38, 1
	v_fma_f32 v37, v36, s33, -v34
	v_fmamk_f32 v38, v36, 0xb102e308, v37
	v_pk_add_f32 v[36:37], v[34:35], v[38:39]
	v_mov_b32_e32 v40, v34
	v_sub_f32_e32 v39, v37, v39
	v_sub_f32_e32 v39, v35, v39
	v_add_f32_e32 v41, v41, v39
	v_pk_add_f32 v[34:35], v[36:37], v[34:35] neg_lo:[0,1] neg_hi:[0,1]
	v_pk_add_f32 v[42:43], v[36:37], v[40:41]
	v_mov_b32_e32 v39, v36
	v_mov_b32_e32 v35, v43
	v_pk_add_f32 v[44:45], v[38:39], v[34:35] neg_lo:[0,1] neg_hi:[0,1]
	v_pk_add_f32 v[34:35], v[38:39], v[34:35]
	v_mov_b32_e32 v40, v41
	v_pk_add_f32 v[38:39], v[34:35], v[36:37] op_sel:[1,0] op_sel_hi:[0,1] neg_lo:[0,1] neg_hi:[0,1]
	v_pk_add_f32 v[46:47], v[42:43], v[38:39] op_sel_hi:[1,0] neg_lo:[0,1] neg_hi:[0,1]
	v_mov_b32_e32 v42, v43
	v_mov_b32_e32 v43, v35
	v_pk_mov_b32 v[38:39], v[36:37], v[38:39] op_sel:[1,0]
	v_mov_b32_e32 v41, v36
	v_pk_add_f32 v[38:39], v[42:43], v[38:39] neg_lo:[0,1] neg_hi:[0,1]
	v_mov_b32_e32 v46, v44
	v_pk_add_f32 v[36:37], v[40:41], v[38:39] neg_lo:[0,1] neg_hi:[0,1]
	v_mov_b32_e32 v45, v35
	v_pk_add_f32 v[38:39], v[46:47], v[36:37]
	s_mov_b32 s33, 0x33800000
	v_pk_add_f32 v[40:41], v[38:39], v[38:39] op_sel:[0,1] op_sel_hi:[1,0]
	s_nop 0
	v_pk_add_f32 v[34:35], v[34:35], v[40:41] op_sel:[1,0] op_sel_hi:[0,1]
	v_mov_b32_e32 v39, v34
	v_pk_add_f32 v[42:43], v[38:39], v[44:45] neg_lo:[0,1] neg_hi:[0,1]
	v_mov_b32_e32 v37, v40
	v_sub_f32_e32 v35, v38, v42
	v_pk_add_f32 v[36:37], v[36:37], v[42:43] neg_lo:[0,1] neg_hi:[0,1]
	v_sub_f32_e32 v35, v44, v35
	v_add_f32_e32 v35, v36, v35
	v_add_f32_e32 v35, v35, v37
	v_add_f32_e32 v34, v34, v35
	v_cndmask_b32_e32 v34, v48, v34, vcc
	v_cmp_lt_f32_e64 vcc, |v49|, s33
	s_nop 1
	v_cndmask_b32_e32 v34, v34, v49, vcc
	v_add_f32_e32 v34, v33, v34
.LBB493_52:
	s_or_b64 exec, exec, s[54:55]
	v_bfe_u32 v33, v34, 16, 1
	v_add3_u32 v33, v34, v33, s60
	v_and_b32_e32 v33, 0xffff0000, v33
	v_cmp_o_f32_e32 vcc, v34, v34
	v_and_b32_e32 v26, 0xffff0000, v26
	v_cmp_u_f32_e64 s[54:55], v26, v26
	v_cndmask_b32_e32 v34, v28, v33, vcc
	v_max_f32_e32 v33, v34, v34
	v_max_f32_e32 v28, v26, v26
	v_min_f32_e32 v35, v33, v28
	v_cmp_u_f32_e32 vcc, v34, v34
	v_max_f32_e32 v33, v33, v28
	s_movk_i32 s33, 0x1f8
	v_cndmask_b32_e32 v35, v35, v34, vcc
	v_cndmask_b32_e32 v33, v33, v34, vcc
	v_cndmask_b32_e64 v35, v35, v26, s[54:55]
	v_cndmask_b32_e64 v33, v33, v26, s[54:55]
	v_cmp_neq_f32_e32 vcc, v35, v33
	v_cmp_class_f32_e64 s[60:61], v35, s33
	s_or_b64 s[62:63], vcc, s[60:61]
	s_and_saveexec_b64 s[60:61], s[62:63]
	s_cbranch_execz .LBB493_54
; %bb.53:
	v_sub_f32_e32 v34, v35, v33
	s_mov_b32 s33, 0x3fb8aa3b
	v_mul_f32_e32 v35, 0x3fb8aa3b, v34
	v_fma_f32 v36, v34, s33, -v35
	v_rndne_f32_e32 v37, v35
	v_fmamk_f32 v36, v34, 0x32a5705f, v36
	v_sub_f32_e32 v35, v35, v37
	v_add_f32_e32 v35, v35, v36
	v_exp_f32_e32 v35, v35
	v_cvt_i32_f32_e32 v36, v37
	s_mov_b32 s33, 0xc2ce8ed0
	v_cmp_ngt_f32_e32 vcc, s33, v34
	s_mov_b32 s33, 0x42b17218
	v_ldexp_f32 v35, v35, v36
	v_cndmask_b32_e32 v35, 0, v35, vcc
	v_mov_b32_e32 v48, 0x7f800000
	v_cmp_nlt_f32_e32 vcc, s33, v34
	s_mov_b32 s33, 0x3f2aaaab
	s_mov_b32 s62, 0x7f800000
	v_cndmask_b32_e32 v49, v48, v35, vcc
	v_add_f32_e32 v36, 1.0, v49
	v_add_f32_e32 v34, -1.0, v36
	v_sub_f32_e32 v35, v34, v36
	v_add_f32_e32 v35, 1.0, v35
	v_sub_f32_e32 v34, v49, v34
	v_add_f32_e32 v37, v34, v35
	v_frexp_mant_f32_e32 v38, v36
	v_cvt_f64_f32_e32 v[34:35], v36
	v_frexp_exp_i32_f64_e32 v34, v[34:35]
	v_cmp_gt_f32_e32 vcc, s33, v38
	s_mov_b32 s33, 0x3f317218
	s_nop 0
	v_subbrev_co_u32_e32 v42, vcc, 0, v34, vcc
	v_sub_u32_e32 v34, 0, v42
	v_ldexp_f32 v35, v36, v34
	v_add_f32_e32 v36, -1.0, v35
	v_add_f32_e32 v38, 1.0, v35
	v_ldexp_f32 v34, v37, v34
	v_add_f32_e32 v37, 1.0, v36
	v_add_f32_e32 v39, -1.0, v38
	v_sub_f32_e32 v37, v35, v37
	v_sub_f32_e32 v35, v35, v39
	v_add_f32_e32 v37, v34, v37
	v_add_f32_e32 v34, v34, v35
	;; [unrolled: 1-line block ×3, first 2 shown]
	v_rcp_f32_e32 v45, v43
	v_sub_f32_e32 v35, v38, v43
	v_add_f32_e32 v44, v34, v35
	v_add_f32_e32 v35, v36, v37
	v_mul_f32_e32 v47, v35, v45
	v_sub_f32_e32 v34, v36, v35
	v_mul_f32_e32 v36, v43, v47
	v_fma_f32 v38, v47, v43, -v36
	v_fmac_f32_e32 v38, v47, v44
	v_add_f32_e32 v46, v37, v34
	v_add_f32_e32 v34, v36, v38
	v_sub_f32_e32 v37, v35, v34
	v_pk_add_f32 v[40:41], v[34:35], v[36:37] neg_lo:[0,1] neg_hi:[0,1]
	v_mov_b32_e32 v39, v34
	v_pk_add_f32 v[34:35], v[40:41], v[38:39] neg_lo:[0,1] neg_hi:[0,1]
	v_cmp_neq_f32_e32 vcc, s62, v49
	v_add_f32_e32 v35, v46, v35
	v_add_f32_e32 v34, v34, v35
	;; [unrolled: 1-line block ×3, first 2 shown]
	v_mul_f32_e32 v46, v45, v35
	v_mul_f32_e32 v36, v43, v46
	v_fma_f32 v38, v46, v43, -v36
	v_fmac_f32_e32 v38, v46, v44
	v_sub_f32_e32 v37, v37, v35
	v_add_f32_e32 v43, v34, v37
	v_add_f32_e32 v34, v36, v38
	v_sub_f32_e32 v37, v35, v34
	v_pk_add_f32 v[40:41], v[34:35], v[36:37] neg_lo:[0,1] neg_hi:[0,1]
	v_mov_b32_e32 v39, v34
	v_pk_add_f32 v[34:35], v[40:41], v[38:39] neg_lo:[0,1] neg_hi:[0,1]
	v_cvt_f32_i32_e32 v36, v42
	v_add_f32_e32 v35, v43, v35
	v_add_f32_e32 v34, v34, v35
	;; [unrolled: 1-line block ×4, first 2 shown]
	v_sub_f32_e32 v35, v37, v47
	v_mul_f32_e32 v34, v45, v34
	v_sub_f32_e32 v35, v46, v35
	v_add_f32_e32 v34, v35, v34
	v_add_f32_e32 v38, v37, v34
	v_mul_f32_e32 v40, v38, v38
	v_mov_b32_e32 v35, 0x3ecc95a3
	v_sub_f32_e32 v37, v38, v37
	v_fmac_f32_e32 v35, 0x3e9b6dac, v40
	v_sub_f32_e32 v34, v34, v37
	v_fmaak_f32 v35, v40, v35, 0x3f2aaada
	v_ldexp_f32 v41, v34, 1
	v_mul_f32_e32 v37, v38, v40
	v_mov_b32_e32 v34, 0x3f317218
	v_pk_mul_f32 v[34:35], v[36:37], v[34:35]
	v_ldexp_f32 v39, v38, 1
	v_fma_f32 v37, v36, s33, -v34
	v_fmamk_f32 v38, v36, 0xb102e308, v37
	v_pk_add_f32 v[36:37], v[34:35], v[38:39]
	v_mov_b32_e32 v40, v34
	v_sub_f32_e32 v39, v37, v39
	v_sub_f32_e32 v39, v35, v39
	v_add_f32_e32 v41, v41, v39
	v_pk_add_f32 v[34:35], v[36:37], v[34:35] neg_lo:[0,1] neg_hi:[0,1]
	v_pk_add_f32 v[42:43], v[36:37], v[40:41]
	v_mov_b32_e32 v39, v36
	v_mov_b32_e32 v35, v43
	v_pk_add_f32 v[44:45], v[38:39], v[34:35] neg_lo:[0,1] neg_hi:[0,1]
	v_pk_add_f32 v[34:35], v[38:39], v[34:35]
	v_mov_b32_e32 v40, v41
	v_pk_add_f32 v[38:39], v[34:35], v[36:37] op_sel:[1,0] op_sel_hi:[0,1] neg_lo:[0,1] neg_hi:[0,1]
	v_pk_add_f32 v[46:47], v[42:43], v[38:39] op_sel_hi:[1,0] neg_lo:[0,1] neg_hi:[0,1]
	v_mov_b32_e32 v42, v43
	v_mov_b32_e32 v43, v35
	v_pk_mov_b32 v[38:39], v[36:37], v[38:39] op_sel:[1,0]
	v_mov_b32_e32 v41, v36
	v_pk_add_f32 v[38:39], v[42:43], v[38:39] neg_lo:[0,1] neg_hi:[0,1]
	v_mov_b32_e32 v46, v44
	v_pk_add_f32 v[36:37], v[40:41], v[38:39] neg_lo:[0,1] neg_hi:[0,1]
	v_mov_b32_e32 v45, v35
	v_pk_add_f32 v[38:39], v[46:47], v[36:37]
	s_mov_b32 s33, 0x33800000
	v_pk_add_f32 v[40:41], v[38:39], v[38:39] op_sel:[0,1] op_sel_hi:[1,0]
	s_nop 0
	v_pk_add_f32 v[34:35], v[34:35], v[40:41] op_sel:[1,0] op_sel_hi:[0,1]
	v_mov_b32_e32 v39, v34
	v_pk_add_f32 v[42:43], v[38:39], v[44:45] neg_lo:[0,1] neg_hi:[0,1]
	v_mov_b32_e32 v37, v40
	v_sub_f32_e32 v35, v38, v42
	v_pk_add_f32 v[36:37], v[36:37], v[42:43] neg_lo:[0,1] neg_hi:[0,1]
	v_sub_f32_e32 v35, v44, v35
	v_add_f32_e32 v35, v36, v35
	v_add_f32_e32 v35, v35, v37
	;; [unrolled: 1-line block ×3, first 2 shown]
	v_cndmask_b32_e32 v34, v48, v34, vcc
	v_cmp_lt_f32_e64 vcc, |v49|, s33
	s_nop 1
	v_cndmask_b32_e32 v34, v34, v49, vcc
	v_add_f32_e32 v34, v33, v34
.LBB493_54:
	s_or_b64 exec, exec, s[60:61]
	v_bfe_u32 v33, v34, 16, 1
	s_movk_i32 s33, 0x7fff
	v_add3_u32 v33, v34, v33, s33
	v_cmp_o_f32_e32 vcc, v34, v34
	v_mov_b32_e32 v34, 0x7fc0
	s_nop 0
	v_cndmask_b32_sdwa v36, v34, v33, vcc dst_sel:DWORD dst_unused:UNUSED_PAD src0_sel:DWORD src1_sel:WORD_1
	v_mbcnt_lo_u32_b32 v33, -1, 0
	v_mbcnt_hi_u32_b32 v34, -1, v33
	v_and_b32_e32 v35, 15, v34
	v_and_b32_e32 v37, 0xffff, v36
	v_cmp_ne_u32_e32 vcc, 0, v35
	s_nop 0
	v_mov_b32_dpp v33, v37 row_shr:1 row_mask:0xf bank_mask:0xf
	s_and_saveexec_b64 s[62:63], vcc
	s_cbranch_execz .LBB493_58
; %bb.55:
	v_lshlrev_b32_e32 v36, 16, v33
	v_lshlrev_b32_e32 v33, 16, v37
	v_max_f32_e32 v38, v33, v33
	v_max_f32_e32 v39, v36, v36
	v_min_f32_e32 v37, v39, v38
	v_cmp_u_f32_e32 vcc, v36, v36
	v_max_f32_e32 v38, v39, v38
	v_cmp_u_f32_e64 s[60:61], v33, v33
	v_cndmask_b32_e32 v37, v37, v36, vcc
	v_cndmask_b32_e32 v38, v38, v36, vcc
	v_cndmask_b32_e64 v37, v37, v33, s[60:61]
	v_cndmask_b32_e64 v33, v38, v33, s[60:61]
	s_movk_i32 s33, 0x1f8
	v_cmp_neq_f32_e32 vcc, v37, v33
	v_cmp_class_f32_e64 s[60:61], v37, s33
	s_or_b64 s[64:65], vcc, s[60:61]
	s_and_saveexec_b64 s[60:61], s[64:65]
	s_cbranch_execz .LBB493_57
; %bb.56:
	v_sub_f32_e32 v36, v37, v33
	s_mov_b32 s33, 0x3fb8aa3b
	v_mul_f32_e32 v37, 0x3fb8aa3b, v36
	v_fma_f32 v38, v36, s33, -v37
	v_rndne_f32_e32 v39, v37
	v_fmamk_f32 v38, v36, 0x32a5705f, v38
	v_sub_f32_e32 v37, v37, v39
	v_add_f32_e32 v37, v37, v38
	v_exp_f32_e32 v37, v37
	v_cvt_i32_f32_e32 v38, v39
	s_mov_b32 s33, 0xc2ce8ed0
	v_cmp_ngt_f32_e32 vcc, s33, v36
	s_mov_b32 s33, 0x42b17218
	v_ldexp_f32 v37, v37, v38
	v_cndmask_b32_e32 v37, 0, v37, vcc
	v_mov_b32_e32 v50, 0x7f800000
	v_cmp_nlt_f32_e32 vcc, s33, v36
	s_mov_b32 s33, 0x3f2aaaab
	s_mov_b32 s64, 0x7f800000
	v_cndmask_b32_e32 v51, v50, v37, vcc
	v_add_f32_e32 v38, 1.0, v51
	v_add_f32_e32 v36, -1.0, v38
	v_sub_f32_e32 v37, v36, v38
	v_add_f32_e32 v37, 1.0, v37
	v_sub_f32_e32 v36, v51, v36
	v_add_f32_e32 v39, v36, v37
	v_frexp_mant_f32_e32 v40, v38
	v_cvt_f64_f32_e32 v[36:37], v38
	v_frexp_exp_i32_f64_e32 v36, v[36:37]
	v_cmp_gt_f32_e32 vcc, s33, v40
	s_mov_b32 s33, 0x3f317218
	s_nop 0
	v_subbrev_co_u32_e32 v44, vcc, 0, v36, vcc
	v_sub_u32_e32 v36, 0, v44
	v_ldexp_f32 v37, v38, v36
	v_add_f32_e32 v38, -1.0, v37
	v_add_f32_e32 v40, 1.0, v37
	v_ldexp_f32 v36, v39, v36
	v_add_f32_e32 v39, 1.0, v38
	v_add_f32_e32 v41, -1.0, v40
	v_sub_f32_e32 v39, v37, v39
	v_sub_f32_e32 v37, v37, v41
	v_add_f32_e32 v39, v36, v39
	v_add_f32_e32 v36, v36, v37
	;; [unrolled: 1-line block ×3, first 2 shown]
	v_rcp_f32_e32 v47, v45
	v_sub_f32_e32 v37, v40, v45
	v_add_f32_e32 v46, v36, v37
	v_add_f32_e32 v37, v38, v39
	v_mul_f32_e32 v49, v37, v47
	v_sub_f32_e32 v36, v38, v37
	v_mul_f32_e32 v38, v45, v49
	v_fma_f32 v40, v49, v45, -v38
	v_fmac_f32_e32 v40, v49, v46
	v_add_f32_e32 v48, v39, v36
	v_add_f32_e32 v36, v38, v40
	v_sub_f32_e32 v39, v37, v36
	v_pk_add_f32 v[42:43], v[36:37], v[38:39] neg_lo:[0,1] neg_hi:[0,1]
	v_mov_b32_e32 v41, v36
	v_pk_add_f32 v[36:37], v[42:43], v[40:41] neg_lo:[0,1] neg_hi:[0,1]
	v_cmp_neq_f32_e32 vcc, s64, v51
	v_add_f32_e32 v37, v48, v37
	v_add_f32_e32 v36, v36, v37
	;; [unrolled: 1-line block ×3, first 2 shown]
	v_mul_f32_e32 v48, v47, v37
	v_mul_f32_e32 v38, v45, v48
	v_fma_f32 v40, v48, v45, -v38
	v_fmac_f32_e32 v40, v48, v46
	v_sub_f32_e32 v39, v39, v37
	v_add_f32_e32 v45, v36, v39
	v_add_f32_e32 v36, v38, v40
	v_sub_f32_e32 v39, v37, v36
	v_pk_add_f32 v[42:43], v[36:37], v[38:39] neg_lo:[0,1] neg_hi:[0,1]
	v_mov_b32_e32 v41, v36
	v_pk_add_f32 v[36:37], v[42:43], v[40:41] neg_lo:[0,1] neg_hi:[0,1]
	v_cvt_f32_i32_e32 v38, v44
	v_add_f32_e32 v37, v45, v37
	v_add_f32_e32 v36, v36, v37
	;; [unrolled: 1-line block ×4, first 2 shown]
	v_sub_f32_e32 v37, v39, v49
	v_mul_f32_e32 v36, v47, v36
	v_sub_f32_e32 v37, v48, v37
	v_add_f32_e32 v36, v37, v36
	v_add_f32_e32 v40, v39, v36
	v_mul_f32_e32 v42, v40, v40
	v_mov_b32_e32 v37, 0x3ecc95a3
	v_sub_f32_e32 v39, v40, v39
	v_fmac_f32_e32 v37, 0x3e9b6dac, v42
	v_sub_f32_e32 v36, v36, v39
	v_fmaak_f32 v37, v42, v37, 0x3f2aaada
	v_ldexp_f32 v43, v36, 1
	v_mul_f32_e32 v39, v40, v42
	v_mov_b32_e32 v36, 0x3f317218
	v_pk_mul_f32 v[36:37], v[38:39], v[36:37]
	v_ldexp_f32 v41, v40, 1
	v_fma_f32 v39, v38, s33, -v36
	v_fmamk_f32 v40, v38, 0xb102e308, v39
	v_pk_add_f32 v[38:39], v[36:37], v[40:41]
	v_mov_b32_e32 v42, v36
	v_sub_f32_e32 v41, v39, v41
	v_sub_f32_e32 v41, v37, v41
	v_add_f32_e32 v43, v43, v41
	v_pk_add_f32 v[36:37], v[38:39], v[36:37] neg_lo:[0,1] neg_hi:[0,1]
	v_pk_add_f32 v[44:45], v[38:39], v[42:43]
	v_mov_b32_e32 v41, v38
	v_mov_b32_e32 v37, v45
	v_pk_add_f32 v[46:47], v[40:41], v[36:37] neg_lo:[0,1] neg_hi:[0,1]
	v_pk_add_f32 v[36:37], v[40:41], v[36:37]
	v_mov_b32_e32 v42, v43
	v_pk_add_f32 v[40:41], v[36:37], v[38:39] op_sel:[1,0] op_sel_hi:[0,1] neg_lo:[0,1] neg_hi:[0,1]
	v_pk_add_f32 v[48:49], v[44:45], v[40:41] op_sel_hi:[1,0] neg_lo:[0,1] neg_hi:[0,1]
	v_mov_b32_e32 v44, v45
	v_mov_b32_e32 v45, v37
	v_pk_mov_b32 v[40:41], v[38:39], v[40:41] op_sel:[1,0]
	v_mov_b32_e32 v43, v38
	v_pk_add_f32 v[40:41], v[44:45], v[40:41] neg_lo:[0,1] neg_hi:[0,1]
	v_mov_b32_e32 v48, v46
	v_pk_add_f32 v[38:39], v[42:43], v[40:41] neg_lo:[0,1] neg_hi:[0,1]
	v_mov_b32_e32 v47, v37
	v_pk_add_f32 v[40:41], v[48:49], v[38:39]
	s_mov_b32 s33, 0x33800000
	v_pk_add_f32 v[42:43], v[40:41], v[40:41] op_sel:[0,1] op_sel_hi:[1,0]
	s_nop 0
	v_pk_add_f32 v[36:37], v[36:37], v[42:43] op_sel:[1,0] op_sel_hi:[0,1]
	v_mov_b32_e32 v41, v36
	v_pk_add_f32 v[44:45], v[40:41], v[46:47] neg_lo:[0,1] neg_hi:[0,1]
	v_mov_b32_e32 v39, v42
	v_sub_f32_e32 v37, v40, v44
	v_pk_add_f32 v[38:39], v[38:39], v[44:45] neg_lo:[0,1] neg_hi:[0,1]
	v_sub_f32_e32 v37, v46, v37
	v_add_f32_e32 v37, v38, v37
	v_add_f32_e32 v37, v37, v39
	;; [unrolled: 1-line block ×3, first 2 shown]
	v_cndmask_b32_e32 v36, v50, v36, vcc
	v_cmp_lt_f32_e64 vcc, |v51|, s33
	s_nop 1
	v_cndmask_b32_e32 v36, v36, v51, vcc
	v_add_f32_e32 v36, v33, v36
.LBB493_57:
	s_or_b64 exec, exec, s[60:61]
	v_bfe_u32 v33, v36, 16, 1
	s_movk_i32 s33, 0x7fff
	v_add3_u32 v33, v36, v33, s33
	v_cmp_o_f32_e32 vcc, v36, v36
	v_mov_b32_e32 v36, 0x7fc0
	s_nop 0
	v_cndmask_b32_sdwa v36, v36, v33, vcc dst_sel:DWORD dst_unused:UNUSED_PAD src0_sel:DWORD src1_sel:WORD_1
	v_and_b32_e32 v37, 0xffff, v36
.LBB493_58:
	s_or_b64 exec, exec, s[62:63]
	s_load_dwordx2 s[60:61], s[0:1], 0x18
	v_mul_u32_u24_e32 v33, 26, v0
	v_mov_b32_dpp v38, v37 row_shr:2 row_mask:0xf bank_mask:0xf
	v_cmp_lt_u32_e32 vcc, 1, v35
	s_and_saveexec_b64 s[62:63], vcc
	s_cbranch_execz .LBB493_62
; %bb.59:
	v_lshlrev_b32_e32 v38, 16, v38
	v_lshlrev_b32_e32 v36, 16, v37
	v_max_f32_e32 v39, v36, v36
	v_max_f32_e32 v40, v38, v38
	v_min_f32_e32 v37, v40, v39
	v_cmp_u_f32_e32 vcc, v38, v38
	v_max_f32_e32 v39, v40, v39
	v_cmp_u_f32_e64 s[0:1], v36, v36
	v_cndmask_b32_e32 v37, v37, v38, vcc
	v_cndmask_b32_e32 v39, v39, v38, vcc
	v_cndmask_b32_e64 v37, v37, v36, s[0:1]
	v_cndmask_b32_e64 v36, v39, v36, s[0:1]
	s_movk_i32 s0, 0x1f8
	v_cmp_neq_f32_e32 vcc, v37, v36
	v_cmp_class_f32_e64 s[0:1], v37, s0
	s_or_b64 s[64:65], vcc, s[0:1]
	s_and_saveexec_b64 s[0:1], s[64:65]
	s_cbranch_execz .LBB493_61
; %bb.60:
	v_sub_f32_e32 v37, v37, v36
	s_mov_b32 s33, 0x3fb8aa3b
	v_mul_f32_e32 v38, 0x3fb8aa3b, v37
	v_fma_f32 v39, v37, s33, -v38
	v_rndne_f32_e32 v40, v38
	v_fmamk_f32 v39, v37, 0x32a5705f, v39
	v_sub_f32_e32 v38, v38, v40
	v_add_f32_e32 v38, v38, v39
	v_exp_f32_e32 v38, v38
	v_cvt_i32_f32_e32 v39, v40
	s_mov_b32 s33, 0xc2ce8ed0
	v_cmp_ngt_f32_e32 vcc, s33, v37
	s_mov_b32 s33, 0x42b17218
	v_ldexp_f32 v38, v38, v39
	v_cndmask_b32_e32 v38, 0, v38, vcc
	v_mov_b32_e32 v52, 0x7f800000
	v_cmp_nlt_f32_e32 vcc, s33, v37
	s_mov_b32 s33, 0x3f2aaaab
	s_mov_b32 s64, 0x7f800000
	v_cndmask_b32_e32 v37, v52, v38, vcc
	v_add_f32_e32 v40, 1.0, v37
	v_add_f32_e32 v38, -1.0, v40
	v_sub_f32_e32 v39, v38, v40
	v_add_f32_e32 v39, 1.0, v39
	v_sub_f32_e32 v38, v37, v38
	v_add_f32_e32 v41, v38, v39
	v_frexp_mant_f32_e32 v42, v40
	v_cvt_f64_f32_e32 v[38:39], v40
	v_frexp_exp_i32_f64_e32 v38, v[38:39]
	v_cmp_gt_f32_e32 vcc, s33, v42
	s_mov_b32 s33, 0x3f317218
	s_nop 0
	v_subbrev_co_u32_e32 v46, vcc, 0, v38, vcc
	v_sub_u32_e32 v38, 0, v46
	v_ldexp_f32 v39, v40, v38
	v_add_f32_e32 v40, -1.0, v39
	v_add_f32_e32 v42, 1.0, v39
	v_ldexp_f32 v38, v41, v38
	v_add_f32_e32 v41, 1.0, v40
	v_add_f32_e32 v43, -1.0, v42
	v_sub_f32_e32 v41, v39, v41
	v_sub_f32_e32 v39, v39, v43
	v_add_f32_e32 v41, v38, v41
	v_add_f32_e32 v38, v38, v39
	;; [unrolled: 1-line block ×3, first 2 shown]
	v_rcp_f32_e32 v49, v47
	v_sub_f32_e32 v39, v42, v47
	v_add_f32_e32 v48, v38, v39
	v_add_f32_e32 v39, v40, v41
	v_mul_f32_e32 v51, v39, v49
	v_sub_f32_e32 v38, v40, v39
	v_mul_f32_e32 v40, v47, v51
	v_fma_f32 v42, v51, v47, -v40
	v_fmac_f32_e32 v42, v51, v48
	v_add_f32_e32 v50, v41, v38
	v_add_f32_e32 v38, v40, v42
	v_sub_f32_e32 v41, v39, v38
	v_pk_add_f32 v[44:45], v[38:39], v[40:41] neg_lo:[0,1] neg_hi:[0,1]
	v_mov_b32_e32 v43, v38
	v_pk_add_f32 v[38:39], v[44:45], v[42:43] neg_lo:[0,1] neg_hi:[0,1]
	v_cmp_neq_f32_e32 vcc, s64, v37
	v_add_f32_e32 v39, v50, v39
	v_add_f32_e32 v38, v38, v39
	;; [unrolled: 1-line block ×3, first 2 shown]
	v_mul_f32_e32 v50, v49, v39
	v_mul_f32_e32 v40, v47, v50
	v_fma_f32 v42, v50, v47, -v40
	v_fmac_f32_e32 v42, v50, v48
	v_sub_f32_e32 v41, v41, v39
	v_add_f32_e32 v47, v38, v41
	v_add_f32_e32 v38, v40, v42
	v_sub_f32_e32 v41, v39, v38
	v_pk_add_f32 v[44:45], v[38:39], v[40:41] neg_lo:[0,1] neg_hi:[0,1]
	v_mov_b32_e32 v43, v38
	v_pk_add_f32 v[38:39], v[44:45], v[42:43] neg_lo:[0,1] neg_hi:[0,1]
	v_cvt_f32_i32_e32 v40, v46
	v_add_f32_e32 v39, v47, v39
	v_add_f32_e32 v38, v38, v39
	;; [unrolled: 1-line block ×4, first 2 shown]
	v_sub_f32_e32 v39, v41, v51
	v_mul_f32_e32 v38, v49, v38
	v_sub_f32_e32 v39, v50, v39
	v_add_f32_e32 v38, v39, v38
	v_add_f32_e32 v42, v41, v38
	v_mul_f32_e32 v44, v42, v42
	v_mov_b32_e32 v39, 0x3ecc95a3
	v_sub_f32_e32 v41, v42, v41
	v_fmac_f32_e32 v39, 0x3e9b6dac, v44
	v_sub_f32_e32 v38, v38, v41
	v_fmaak_f32 v39, v44, v39, 0x3f2aaada
	v_ldexp_f32 v45, v38, 1
	v_mul_f32_e32 v41, v42, v44
	v_mov_b32_e32 v38, 0x3f317218
	v_pk_mul_f32 v[38:39], v[40:41], v[38:39]
	v_ldexp_f32 v43, v42, 1
	v_fma_f32 v41, v40, s33, -v38
	v_fmamk_f32 v42, v40, 0xb102e308, v41
	v_pk_add_f32 v[40:41], v[38:39], v[42:43]
	v_mov_b32_e32 v44, v38
	v_sub_f32_e32 v43, v41, v43
	v_sub_f32_e32 v43, v39, v43
	v_add_f32_e32 v45, v45, v43
	v_pk_add_f32 v[38:39], v[40:41], v[38:39] neg_lo:[0,1] neg_hi:[0,1]
	v_pk_add_f32 v[46:47], v[40:41], v[44:45]
	v_mov_b32_e32 v43, v40
	v_mov_b32_e32 v39, v47
	v_pk_add_f32 v[48:49], v[42:43], v[38:39] neg_lo:[0,1] neg_hi:[0,1]
	v_pk_add_f32 v[38:39], v[42:43], v[38:39]
	v_mov_b32_e32 v44, v45
	v_pk_add_f32 v[42:43], v[38:39], v[40:41] op_sel:[1,0] op_sel_hi:[0,1] neg_lo:[0,1] neg_hi:[0,1]
	v_pk_add_f32 v[50:51], v[46:47], v[42:43] op_sel_hi:[1,0] neg_lo:[0,1] neg_hi:[0,1]
	v_mov_b32_e32 v46, v47
	v_mov_b32_e32 v47, v39
	v_pk_mov_b32 v[42:43], v[40:41], v[42:43] op_sel:[1,0]
	v_mov_b32_e32 v45, v40
	v_pk_add_f32 v[42:43], v[46:47], v[42:43] neg_lo:[0,1] neg_hi:[0,1]
	v_mov_b32_e32 v50, v48
	v_pk_add_f32 v[40:41], v[44:45], v[42:43] neg_lo:[0,1] neg_hi:[0,1]
	v_mov_b32_e32 v49, v39
	v_pk_add_f32 v[42:43], v[50:51], v[40:41]
	s_mov_b32 s33, 0x33800000
	v_pk_add_f32 v[44:45], v[42:43], v[42:43] op_sel:[0,1] op_sel_hi:[1,0]
	s_nop 0
	v_pk_add_f32 v[38:39], v[38:39], v[44:45] op_sel:[1,0] op_sel_hi:[0,1]
	v_mov_b32_e32 v43, v38
	v_pk_add_f32 v[46:47], v[42:43], v[48:49] neg_lo:[0,1] neg_hi:[0,1]
	v_mov_b32_e32 v41, v44
	v_sub_f32_e32 v39, v42, v46
	v_pk_add_f32 v[40:41], v[40:41], v[46:47] neg_lo:[0,1] neg_hi:[0,1]
	v_sub_f32_e32 v39, v48, v39
	v_add_f32_e32 v39, v40, v39
	v_add_f32_e32 v39, v39, v41
	;; [unrolled: 1-line block ×3, first 2 shown]
	v_cndmask_b32_e32 v38, v52, v38, vcc
	v_cmp_lt_f32_e64 vcc, |v37|, s33
	s_nop 1
	v_cndmask_b32_e32 v37, v38, v37, vcc
	v_add_f32_e32 v38, v36, v37
.LBB493_61:
	s_or_b64 exec, exec, s[0:1]
	v_bfe_u32 v36, v38, 16, 1
	s_movk_i32 s0, 0x7fff
	v_add3_u32 v36, v38, v36, s0
	v_cmp_o_f32_e32 vcc, v38, v38
	v_mov_b32_e32 v37, 0x7fc0
	s_nop 0
	v_cndmask_b32_sdwa v36, v37, v36, vcc dst_sel:DWORD dst_unused:UNUSED_PAD src0_sel:DWORD src1_sel:WORD_1
	v_and_b32_e32 v37, 0xffff, v36
.LBB493_62:
	s_or_b64 exec, exec, s[62:63]
	s_nop 0
	v_mov_b32_dpp v38, v37 row_shr:4 row_mask:0xf bank_mask:0xf
	v_cmp_lt_u32_e32 vcc, 3, v35
	s_and_saveexec_b64 s[62:63], vcc
	s_cbranch_execz .LBB493_66
; %bb.63:
	v_lshlrev_b32_e32 v38, 16, v38
	v_lshlrev_b32_e32 v36, 16, v37
	v_max_f32_e32 v39, v36, v36
	v_max_f32_e32 v40, v38, v38
	v_min_f32_e32 v37, v40, v39
	v_cmp_u_f32_e32 vcc, v38, v38
	v_max_f32_e32 v39, v40, v39
	v_cmp_u_f32_e64 s[0:1], v36, v36
	v_cndmask_b32_e32 v37, v37, v38, vcc
	v_cndmask_b32_e32 v39, v39, v38, vcc
	v_cndmask_b32_e64 v37, v37, v36, s[0:1]
	v_cndmask_b32_e64 v36, v39, v36, s[0:1]
	s_movk_i32 s0, 0x1f8
	v_cmp_neq_f32_e32 vcc, v37, v36
	v_cmp_class_f32_e64 s[0:1], v37, s0
	s_or_b64 s[64:65], vcc, s[0:1]
	s_and_saveexec_b64 s[0:1], s[64:65]
	s_cbranch_execz .LBB493_65
; %bb.64:
	v_sub_f32_e32 v37, v37, v36
	s_mov_b32 s33, 0x3fb8aa3b
	v_mul_f32_e32 v38, 0x3fb8aa3b, v37
	v_fma_f32 v39, v37, s33, -v38
	v_rndne_f32_e32 v40, v38
	v_fmamk_f32 v39, v37, 0x32a5705f, v39
	v_sub_f32_e32 v38, v38, v40
	v_add_f32_e32 v38, v38, v39
	v_exp_f32_e32 v38, v38
	v_cvt_i32_f32_e32 v39, v40
	s_mov_b32 s33, 0xc2ce8ed0
	v_cmp_ngt_f32_e32 vcc, s33, v37
	s_mov_b32 s33, 0x42b17218
	v_ldexp_f32 v38, v38, v39
	v_cndmask_b32_e32 v38, 0, v38, vcc
	v_mov_b32_e32 v52, 0x7f800000
	v_cmp_nlt_f32_e32 vcc, s33, v37
	s_mov_b32 s33, 0x3f2aaaab
	s_mov_b32 s64, 0x7f800000
	v_cndmask_b32_e32 v37, v52, v38, vcc
	v_add_f32_e32 v40, 1.0, v37
	v_add_f32_e32 v38, -1.0, v40
	v_sub_f32_e32 v39, v38, v40
	v_add_f32_e32 v39, 1.0, v39
	v_sub_f32_e32 v38, v37, v38
	v_add_f32_e32 v41, v38, v39
	v_frexp_mant_f32_e32 v42, v40
	v_cvt_f64_f32_e32 v[38:39], v40
	v_frexp_exp_i32_f64_e32 v38, v[38:39]
	v_cmp_gt_f32_e32 vcc, s33, v42
	s_mov_b32 s33, 0x3f317218
	s_nop 0
	v_subbrev_co_u32_e32 v46, vcc, 0, v38, vcc
	v_sub_u32_e32 v38, 0, v46
	v_ldexp_f32 v39, v40, v38
	v_add_f32_e32 v40, -1.0, v39
	v_add_f32_e32 v42, 1.0, v39
	v_ldexp_f32 v38, v41, v38
	v_add_f32_e32 v41, 1.0, v40
	v_add_f32_e32 v43, -1.0, v42
	v_sub_f32_e32 v41, v39, v41
	v_sub_f32_e32 v39, v39, v43
	v_add_f32_e32 v41, v38, v41
	v_add_f32_e32 v38, v38, v39
	;; [unrolled: 1-line block ×3, first 2 shown]
	v_rcp_f32_e32 v49, v47
	v_sub_f32_e32 v39, v42, v47
	v_add_f32_e32 v48, v38, v39
	v_add_f32_e32 v39, v40, v41
	v_mul_f32_e32 v51, v39, v49
	v_sub_f32_e32 v38, v40, v39
	v_mul_f32_e32 v40, v47, v51
	v_fma_f32 v42, v51, v47, -v40
	v_fmac_f32_e32 v42, v51, v48
	v_add_f32_e32 v50, v41, v38
	v_add_f32_e32 v38, v40, v42
	v_sub_f32_e32 v41, v39, v38
	v_pk_add_f32 v[44:45], v[38:39], v[40:41] neg_lo:[0,1] neg_hi:[0,1]
	v_mov_b32_e32 v43, v38
	v_pk_add_f32 v[38:39], v[44:45], v[42:43] neg_lo:[0,1] neg_hi:[0,1]
	v_cmp_neq_f32_e32 vcc, s64, v37
	v_add_f32_e32 v39, v50, v39
	v_add_f32_e32 v38, v38, v39
	;; [unrolled: 1-line block ×3, first 2 shown]
	v_mul_f32_e32 v50, v49, v39
	v_mul_f32_e32 v40, v47, v50
	v_fma_f32 v42, v50, v47, -v40
	v_fmac_f32_e32 v42, v50, v48
	v_sub_f32_e32 v41, v41, v39
	v_add_f32_e32 v47, v38, v41
	v_add_f32_e32 v38, v40, v42
	v_sub_f32_e32 v41, v39, v38
	v_pk_add_f32 v[44:45], v[38:39], v[40:41] neg_lo:[0,1] neg_hi:[0,1]
	v_mov_b32_e32 v43, v38
	v_pk_add_f32 v[38:39], v[44:45], v[42:43] neg_lo:[0,1] neg_hi:[0,1]
	v_cvt_f32_i32_e32 v40, v46
	v_add_f32_e32 v39, v47, v39
	v_add_f32_e32 v38, v38, v39
	;; [unrolled: 1-line block ×4, first 2 shown]
	v_sub_f32_e32 v39, v41, v51
	v_mul_f32_e32 v38, v49, v38
	v_sub_f32_e32 v39, v50, v39
	v_add_f32_e32 v38, v39, v38
	v_add_f32_e32 v42, v41, v38
	v_mul_f32_e32 v44, v42, v42
	v_mov_b32_e32 v39, 0x3ecc95a3
	v_sub_f32_e32 v41, v42, v41
	v_fmac_f32_e32 v39, 0x3e9b6dac, v44
	v_sub_f32_e32 v38, v38, v41
	v_fmaak_f32 v39, v44, v39, 0x3f2aaada
	v_ldexp_f32 v45, v38, 1
	v_mul_f32_e32 v41, v42, v44
	v_mov_b32_e32 v38, 0x3f317218
	v_pk_mul_f32 v[38:39], v[40:41], v[38:39]
	v_ldexp_f32 v43, v42, 1
	v_fma_f32 v41, v40, s33, -v38
	v_fmamk_f32 v42, v40, 0xb102e308, v41
	v_pk_add_f32 v[40:41], v[38:39], v[42:43]
	v_mov_b32_e32 v44, v38
	v_sub_f32_e32 v43, v41, v43
	v_sub_f32_e32 v43, v39, v43
	v_add_f32_e32 v45, v45, v43
	v_pk_add_f32 v[38:39], v[40:41], v[38:39] neg_lo:[0,1] neg_hi:[0,1]
	v_pk_add_f32 v[46:47], v[40:41], v[44:45]
	v_mov_b32_e32 v43, v40
	v_mov_b32_e32 v39, v47
	v_pk_add_f32 v[48:49], v[42:43], v[38:39] neg_lo:[0,1] neg_hi:[0,1]
	v_pk_add_f32 v[38:39], v[42:43], v[38:39]
	v_mov_b32_e32 v44, v45
	v_pk_add_f32 v[42:43], v[38:39], v[40:41] op_sel:[1,0] op_sel_hi:[0,1] neg_lo:[0,1] neg_hi:[0,1]
	v_pk_add_f32 v[50:51], v[46:47], v[42:43] op_sel_hi:[1,0] neg_lo:[0,1] neg_hi:[0,1]
	v_mov_b32_e32 v46, v47
	v_mov_b32_e32 v47, v39
	v_pk_mov_b32 v[42:43], v[40:41], v[42:43] op_sel:[1,0]
	v_mov_b32_e32 v45, v40
	v_pk_add_f32 v[42:43], v[46:47], v[42:43] neg_lo:[0,1] neg_hi:[0,1]
	v_mov_b32_e32 v50, v48
	v_pk_add_f32 v[40:41], v[44:45], v[42:43] neg_lo:[0,1] neg_hi:[0,1]
	v_mov_b32_e32 v49, v39
	v_pk_add_f32 v[42:43], v[50:51], v[40:41]
	s_mov_b32 s33, 0x33800000
	v_pk_add_f32 v[44:45], v[42:43], v[42:43] op_sel:[0,1] op_sel_hi:[1,0]
	s_nop 0
	v_pk_add_f32 v[38:39], v[38:39], v[44:45] op_sel:[1,0] op_sel_hi:[0,1]
	v_mov_b32_e32 v43, v38
	v_pk_add_f32 v[46:47], v[42:43], v[48:49] neg_lo:[0,1] neg_hi:[0,1]
	v_mov_b32_e32 v41, v44
	v_sub_f32_e32 v39, v42, v46
	v_pk_add_f32 v[40:41], v[40:41], v[46:47] neg_lo:[0,1] neg_hi:[0,1]
	v_sub_f32_e32 v39, v48, v39
	v_add_f32_e32 v39, v40, v39
	v_add_f32_e32 v39, v39, v41
	;; [unrolled: 1-line block ×3, first 2 shown]
	v_cndmask_b32_e32 v38, v52, v38, vcc
	v_cmp_lt_f32_e64 vcc, |v37|, s33
	s_nop 1
	v_cndmask_b32_e32 v37, v38, v37, vcc
	v_add_f32_e32 v38, v36, v37
.LBB493_65:
	s_or_b64 exec, exec, s[0:1]
	v_bfe_u32 v36, v38, 16, 1
	s_movk_i32 s0, 0x7fff
	v_add3_u32 v36, v38, v36, s0
	v_cmp_o_f32_e32 vcc, v38, v38
	v_mov_b32_e32 v37, 0x7fc0
	s_nop 0
	v_cndmask_b32_sdwa v36, v37, v36, vcc dst_sel:DWORD dst_unused:UNUSED_PAD src0_sel:DWORD src1_sel:WORD_1
	v_and_b32_e32 v37, 0xffff, v36
.LBB493_66:
	s_or_b64 exec, exec, s[62:63]
	s_nop 0
	v_mov_b32_dpp v38, v37 row_shr:8 row_mask:0xf bank_mask:0xf
	v_cmp_lt_u32_e32 vcc, 7, v35
	s_and_saveexec_b64 s[62:63], vcc
	s_cbranch_execz .LBB493_70
; %bb.67:
	v_lshlrev_b32_e32 v36, 16, v38
	v_lshlrev_b32_e32 v35, 16, v37
	v_max_f32_e32 v38, v35, v35
	v_max_f32_e32 v39, v36, v36
	v_min_f32_e32 v37, v39, v38
	v_cmp_u_f32_e32 vcc, v36, v36
	v_max_f32_e32 v38, v39, v38
	v_cmp_u_f32_e64 s[0:1], v35, v35
	v_cndmask_b32_e32 v37, v37, v36, vcc
	v_cndmask_b32_e32 v38, v38, v36, vcc
	v_cndmask_b32_e64 v37, v37, v35, s[0:1]
	v_cndmask_b32_e64 v35, v38, v35, s[0:1]
	s_movk_i32 s0, 0x1f8
	v_cmp_neq_f32_e32 vcc, v37, v35
	v_cmp_class_f32_e64 s[0:1], v37, s0
	s_or_b64 s[64:65], vcc, s[0:1]
	s_and_saveexec_b64 s[0:1], s[64:65]
	s_cbranch_execz .LBB493_69
; %bb.68:
	v_sub_f32_e32 v36, v37, v35
	s_mov_b32 s33, 0x3fb8aa3b
	v_mul_f32_e32 v37, 0x3fb8aa3b, v36
	v_fma_f32 v38, v36, s33, -v37
	v_rndne_f32_e32 v39, v37
	v_fmamk_f32 v38, v36, 0x32a5705f, v38
	v_sub_f32_e32 v37, v37, v39
	v_add_f32_e32 v37, v37, v38
	v_exp_f32_e32 v37, v37
	v_cvt_i32_f32_e32 v38, v39
	s_mov_b32 s33, 0xc2ce8ed0
	v_cmp_ngt_f32_e32 vcc, s33, v36
	s_mov_b32 s33, 0x42b17218
	v_ldexp_f32 v37, v37, v38
	v_cndmask_b32_e32 v37, 0, v37, vcc
	v_mov_b32_e32 v50, 0x7f800000
	v_cmp_nlt_f32_e32 vcc, s33, v36
	s_mov_b32 s33, 0x3f2aaaab
	s_mov_b32 s64, 0x7f800000
	v_cndmask_b32_e32 v51, v50, v37, vcc
	v_add_f32_e32 v38, 1.0, v51
	v_add_f32_e32 v36, -1.0, v38
	v_sub_f32_e32 v37, v36, v38
	v_add_f32_e32 v37, 1.0, v37
	v_sub_f32_e32 v36, v51, v36
	v_add_f32_e32 v39, v36, v37
	v_frexp_mant_f32_e32 v40, v38
	v_cvt_f64_f32_e32 v[36:37], v38
	v_frexp_exp_i32_f64_e32 v36, v[36:37]
	v_cmp_gt_f32_e32 vcc, s33, v40
	s_mov_b32 s33, 0x3f317218
	s_nop 0
	v_subbrev_co_u32_e32 v44, vcc, 0, v36, vcc
	v_sub_u32_e32 v36, 0, v44
	v_ldexp_f32 v37, v38, v36
	v_add_f32_e32 v38, -1.0, v37
	v_add_f32_e32 v40, 1.0, v37
	v_ldexp_f32 v36, v39, v36
	v_add_f32_e32 v39, 1.0, v38
	v_add_f32_e32 v41, -1.0, v40
	v_sub_f32_e32 v39, v37, v39
	v_sub_f32_e32 v37, v37, v41
	v_add_f32_e32 v39, v36, v39
	v_add_f32_e32 v36, v36, v37
	;; [unrolled: 1-line block ×3, first 2 shown]
	v_rcp_f32_e32 v47, v45
	v_sub_f32_e32 v37, v40, v45
	v_add_f32_e32 v46, v36, v37
	v_add_f32_e32 v37, v38, v39
	v_mul_f32_e32 v49, v37, v47
	v_sub_f32_e32 v36, v38, v37
	v_mul_f32_e32 v38, v45, v49
	v_fma_f32 v40, v49, v45, -v38
	v_fmac_f32_e32 v40, v49, v46
	v_add_f32_e32 v48, v39, v36
	v_add_f32_e32 v36, v38, v40
	v_sub_f32_e32 v39, v37, v36
	v_pk_add_f32 v[42:43], v[36:37], v[38:39] neg_lo:[0,1] neg_hi:[0,1]
	v_mov_b32_e32 v41, v36
	v_pk_add_f32 v[36:37], v[42:43], v[40:41] neg_lo:[0,1] neg_hi:[0,1]
	v_cmp_neq_f32_e32 vcc, s64, v51
	v_add_f32_e32 v37, v48, v37
	v_add_f32_e32 v36, v36, v37
	;; [unrolled: 1-line block ×3, first 2 shown]
	v_mul_f32_e32 v48, v47, v37
	v_mul_f32_e32 v38, v45, v48
	v_fma_f32 v40, v48, v45, -v38
	v_fmac_f32_e32 v40, v48, v46
	v_sub_f32_e32 v39, v39, v37
	v_add_f32_e32 v45, v36, v39
	v_add_f32_e32 v36, v38, v40
	v_sub_f32_e32 v39, v37, v36
	v_pk_add_f32 v[42:43], v[36:37], v[38:39] neg_lo:[0,1] neg_hi:[0,1]
	v_mov_b32_e32 v41, v36
	v_pk_add_f32 v[36:37], v[42:43], v[40:41] neg_lo:[0,1] neg_hi:[0,1]
	v_cvt_f32_i32_e32 v38, v44
	v_add_f32_e32 v37, v45, v37
	v_add_f32_e32 v36, v36, v37
	;; [unrolled: 1-line block ×4, first 2 shown]
	v_sub_f32_e32 v37, v39, v49
	v_mul_f32_e32 v36, v47, v36
	v_sub_f32_e32 v37, v48, v37
	v_add_f32_e32 v36, v37, v36
	v_add_f32_e32 v40, v39, v36
	v_mul_f32_e32 v42, v40, v40
	v_mov_b32_e32 v37, 0x3ecc95a3
	v_sub_f32_e32 v39, v40, v39
	v_fmac_f32_e32 v37, 0x3e9b6dac, v42
	v_sub_f32_e32 v36, v36, v39
	v_fmaak_f32 v37, v42, v37, 0x3f2aaada
	v_ldexp_f32 v43, v36, 1
	v_mul_f32_e32 v39, v40, v42
	v_mov_b32_e32 v36, 0x3f317218
	v_pk_mul_f32 v[36:37], v[38:39], v[36:37]
	v_ldexp_f32 v41, v40, 1
	v_fma_f32 v39, v38, s33, -v36
	v_fmamk_f32 v40, v38, 0xb102e308, v39
	v_pk_add_f32 v[38:39], v[36:37], v[40:41]
	v_mov_b32_e32 v42, v36
	v_sub_f32_e32 v41, v39, v41
	v_sub_f32_e32 v41, v37, v41
	v_add_f32_e32 v43, v43, v41
	v_pk_add_f32 v[36:37], v[38:39], v[36:37] neg_lo:[0,1] neg_hi:[0,1]
	v_pk_add_f32 v[44:45], v[38:39], v[42:43]
	v_mov_b32_e32 v41, v38
	v_mov_b32_e32 v37, v45
	v_pk_add_f32 v[46:47], v[40:41], v[36:37] neg_lo:[0,1] neg_hi:[0,1]
	v_pk_add_f32 v[36:37], v[40:41], v[36:37]
	v_mov_b32_e32 v42, v43
	v_pk_add_f32 v[40:41], v[36:37], v[38:39] op_sel:[1,0] op_sel_hi:[0,1] neg_lo:[0,1] neg_hi:[0,1]
	v_pk_add_f32 v[48:49], v[44:45], v[40:41] op_sel_hi:[1,0] neg_lo:[0,1] neg_hi:[0,1]
	v_mov_b32_e32 v44, v45
	v_mov_b32_e32 v45, v37
	v_pk_mov_b32 v[40:41], v[38:39], v[40:41] op_sel:[1,0]
	v_mov_b32_e32 v43, v38
	v_pk_add_f32 v[40:41], v[44:45], v[40:41] neg_lo:[0,1] neg_hi:[0,1]
	v_mov_b32_e32 v48, v46
	v_pk_add_f32 v[38:39], v[42:43], v[40:41] neg_lo:[0,1] neg_hi:[0,1]
	v_mov_b32_e32 v47, v37
	v_pk_add_f32 v[40:41], v[48:49], v[38:39]
	s_mov_b32 s33, 0x33800000
	v_pk_add_f32 v[42:43], v[40:41], v[40:41] op_sel:[0,1] op_sel_hi:[1,0]
	s_nop 0
	v_pk_add_f32 v[36:37], v[36:37], v[42:43] op_sel:[1,0] op_sel_hi:[0,1]
	v_mov_b32_e32 v41, v36
	v_pk_add_f32 v[44:45], v[40:41], v[46:47] neg_lo:[0,1] neg_hi:[0,1]
	v_mov_b32_e32 v39, v42
	v_sub_f32_e32 v37, v40, v44
	v_pk_add_f32 v[38:39], v[38:39], v[44:45] neg_lo:[0,1] neg_hi:[0,1]
	v_sub_f32_e32 v37, v46, v37
	v_add_f32_e32 v37, v38, v37
	v_add_f32_e32 v37, v37, v39
	;; [unrolled: 1-line block ×3, first 2 shown]
	v_cndmask_b32_e32 v36, v50, v36, vcc
	v_cmp_lt_f32_e64 vcc, |v51|, s33
	s_nop 1
	v_cndmask_b32_e32 v36, v36, v51, vcc
	v_add_f32_e32 v36, v35, v36
.LBB493_69:
	s_or_b64 exec, exec, s[0:1]
	v_bfe_u32 v35, v36, 16, 1
	s_movk_i32 s0, 0x7fff
	v_add3_u32 v35, v36, v35, s0
	v_cmp_o_f32_e32 vcc, v36, v36
	v_mov_b32_e32 v36, 0x7fc0
	s_nop 0
	v_cndmask_b32_sdwa v36, v36, v35, vcc dst_sel:DWORD dst_unused:UNUSED_PAD src0_sel:DWORD src1_sel:WORD_1
	v_and_b32_e32 v37, 0xffff, v36
.LBB493_70:
	s_or_b64 exec, exec, s[62:63]
	v_and_b32_e32 v38, 16, v34
	v_mov_b32_dpp v35, v37 row_bcast:15 row_mask:0xf bank_mask:0xf
	v_cmp_ne_u32_e32 vcc, 0, v38
	s_and_saveexec_b64 s[62:63], vcc
	s_cbranch_execz .LBB493_74
; %bb.71:
	v_lshlrev_b32_e32 v36, 16, v35
	v_lshlrev_b32_e32 v35, 16, v37
	v_max_f32_e32 v38, v35, v35
	v_max_f32_e32 v39, v36, v36
	v_min_f32_e32 v37, v39, v38
	v_cmp_u_f32_e32 vcc, v36, v36
	v_max_f32_e32 v38, v39, v38
	v_cmp_u_f32_e64 s[0:1], v35, v35
	v_cndmask_b32_e32 v37, v37, v36, vcc
	v_cndmask_b32_e32 v38, v38, v36, vcc
	v_cndmask_b32_e64 v37, v37, v35, s[0:1]
	v_cndmask_b32_e64 v35, v38, v35, s[0:1]
	s_movk_i32 s0, 0x1f8
	v_cmp_neq_f32_e32 vcc, v37, v35
	v_cmp_class_f32_e64 s[0:1], v37, s0
	s_or_b64 s[64:65], vcc, s[0:1]
	s_and_saveexec_b64 s[0:1], s[64:65]
	s_cbranch_execz .LBB493_73
; %bb.72:
	v_sub_f32_e32 v36, v37, v35
	s_mov_b32 s33, 0x3fb8aa3b
	v_mul_f32_e32 v37, 0x3fb8aa3b, v36
	v_fma_f32 v38, v36, s33, -v37
	v_rndne_f32_e32 v39, v37
	v_fmamk_f32 v38, v36, 0x32a5705f, v38
	v_sub_f32_e32 v37, v37, v39
	v_add_f32_e32 v37, v37, v38
	v_exp_f32_e32 v37, v37
	v_cvt_i32_f32_e32 v38, v39
	s_mov_b32 s33, 0xc2ce8ed0
	v_cmp_ngt_f32_e32 vcc, s33, v36
	s_mov_b32 s33, 0x42b17218
	v_ldexp_f32 v37, v37, v38
	v_cndmask_b32_e32 v37, 0, v37, vcc
	v_mov_b32_e32 v50, 0x7f800000
	v_cmp_nlt_f32_e32 vcc, s33, v36
	s_mov_b32 s33, 0x3f2aaaab
	s_mov_b32 s64, 0x7f800000
	v_cndmask_b32_e32 v51, v50, v37, vcc
	v_add_f32_e32 v38, 1.0, v51
	v_add_f32_e32 v36, -1.0, v38
	v_sub_f32_e32 v37, v36, v38
	v_add_f32_e32 v37, 1.0, v37
	v_sub_f32_e32 v36, v51, v36
	v_add_f32_e32 v39, v36, v37
	v_frexp_mant_f32_e32 v40, v38
	v_cvt_f64_f32_e32 v[36:37], v38
	v_frexp_exp_i32_f64_e32 v36, v[36:37]
	v_cmp_gt_f32_e32 vcc, s33, v40
	s_mov_b32 s33, 0x3f317218
	s_nop 0
	v_subbrev_co_u32_e32 v44, vcc, 0, v36, vcc
	v_sub_u32_e32 v36, 0, v44
	v_ldexp_f32 v37, v38, v36
	v_add_f32_e32 v38, -1.0, v37
	v_add_f32_e32 v40, 1.0, v37
	v_ldexp_f32 v36, v39, v36
	v_add_f32_e32 v39, 1.0, v38
	v_add_f32_e32 v41, -1.0, v40
	v_sub_f32_e32 v39, v37, v39
	v_sub_f32_e32 v37, v37, v41
	v_add_f32_e32 v39, v36, v39
	v_add_f32_e32 v36, v36, v37
	;; [unrolled: 1-line block ×3, first 2 shown]
	v_rcp_f32_e32 v47, v45
	v_sub_f32_e32 v37, v40, v45
	v_add_f32_e32 v46, v36, v37
	v_add_f32_e32 v37, v38, v39
	v_mul_f32_e32 v49, v37, v47
	v_sub_f32_e32 v36, v38, v37
	v_mul_f32_e32 v38, v45, v49
	v_fma_f32 v40, v49, v45, -v38
	v_fmac_f32_e32 v40, v49, v46
	v_add_f32_e32 v48, v39, v36
	v_add_f32_e32 v36, v38, v40
	v_sub_f32_e32 v39, v37, v36
	v_pk_add_f32 v[42:43], v[36:37], v[38:39] neg_lo:[0,1] neg_hi:[0,1]
	v_mov_b32_e32 v41, v36
	v_pk_add_f32 v[36:37], v[42:43], v[40:41] neg_lo:[0,1] neg_hi:[0,1]
	v_cmp_neq_f32_e32 vcc, s64, v51
	v_add_f32_e32 v37, v48, v37
	v_add_f32_e32 v36, v36, v37
	;; [unrolled: 1-line block ×3, first 2 shown]
	v_mul_f32_e32 v48, v47, v37
	v_mul_f32_e32 v38, v45, v48
	v_fma_f32 v40, v48, v45, -v38
	v_fmac_f32_e32 v40, v48, v46
	v_sub_f32_e32 v39, v39, v37
	v_add_f32_e32 v45, v36, v39
	v_add_f32_e32 v36, v38, v40
	v_sub_f32_e32 v39, v37, v36
	v_pk_add_f32 v[42:43], v[36:37], v[38:39] neg_lo:[0,1] neg_hi:[0,1]
	v_mov_b32_e32 v41, v36
	v_pk_add_f32 v[36:37], v[42:43], v[40:41] neg_lo:[0,1] neg_hi:[0,1]
	v_cvt_f32_i32_e32 v38, v44
	v_add_f32_e32 v37, v45, v37
	v_add_f32_e32 v36, v36, v37
	;; [unrolled: 1-line block ×4, first 2 shown]
	v_sub_f32_e32 v37, v39, v49
	v_mul_f32_e32 v36, v47, v36
	v_sub_f32_e32 v37, v48, v37
	v_add_f32_e32 v36, v37, v36
	v_add_f32_e32 v40, v39, v36
	v_mul_f32_e32 v42, v40, v40
	v_mov_b32_e32 v37, 0x3ecc95a3
	v_sub_f32_e32 v39, v40, v39
	v_fmac_f32_e32 v37, 0x3e9b6dac, v42
	v_sub_f32_e32 v36, v36, v39
	v_fmaak_f32 v37, v42, v37, 0x3f2aaada
	v_ldexp_f32 v43, v36, 1
	v_mul_f32_e32 v39, v40, v42
	v_mov_b32_e32 v36, 0x3f317218
	v_pk_mul_f32 v[36:37], v[38:39], v[36:37]
	v_ldexp_f32 v41, v40, 1
	v_fma_f32 v39, v38, s33, -v36
	v_fmamk_f32 v40, v38, 0xb102e308, v39
	v_pk_add_f32 v[38:39], v[36:37], v[40:41]
	v_mov_b32_e32 v42, v36
	v_sub_f32_e32 v41, v39, v41
	v_sub_f32_e32 v41, v37, v41
	v_add_f32_e32 v43, v43, v41
	v_pk_add_f32 v[36:37], v[38:39], v[36:37] neg_lo:[0,1] neg_hi:[0,1]
	v_pk_add_f32 v[44:45], v[38:39], v[42:43]
	v_mov_b32_e32 v41, v38
	v_mov_b32_e32 v37, v45
	v_pk_add_f32 v[46:47], v[40:41], v[36:37] neg_lo:[0,1] neg_hi:[0,1]
	v_pk_add_f32 v[36:37], v[40:41], v[36:37]
	v_mov_b32_e32 v42, v43
	v_pk_add_f32 v[40:41], v[36:37], v[38:39] op_sel:[1,0] op_sel_hi:[0,1] neg_lo:[0,1] neg_hi:[0,1]
	v_pk_add_f32 v[48:49], v[44:45], v[40:41] op_sel_hi:[1,0] neg_lo:[0,1] neg_hi:[0,1]
	v_mov_b32_e32 v44, v45
	v_mov_b32_e32 v45, v37
	v_pk_mov_b32 v[40:41], v[38:39], v[40:41] op_sel:[1,0]
	v_mov_b32_e32 v43, v38
	v_pk_add_f32 v[40:41], v[44:45], v[40:41] neg_lo:[0,1] neg_hi:[0,1]
	v_mov_b32_e32 v48, v46
	v_pk_add_f32 v[38:39], v[42:43], v[40:41] neg_lo:[0,1] neg_hi:[0,1]
	v_mov_b32_e32 v47, v37
	v_pk_add_f32 v[40:41], v[48:49], v[38:39]
	s_mov_b32 s33, 0x33800000
	v_pk_add_f32 v[42:43], v[40:41], v[40:41] op_sel:[0,1] op_sel_hi:[1,0]
	s_nop 0
	v_pk_add_f32 v[36:37], v[36:37], v[42:43] op_sel:[1,0] op_sel_hi:[0,1]
	v_mov_b32_e32 v41, v36
	v_pk_add_f32 v[44:45], v[40:41], v[46:47] neg_lo:[0,1] neg_hi:[0,1]
	v_mov_b32_e32 v39, v42
	v_sub_f32_e32 v37, v40, v44
	v_pk_add_f32 v[38:39], v[38:39], v[44:45] neg_lo:[0,1] neg_hi:[0,1]
	v_sub_f32_e32 v37, v46, v37
	v_add_f32_e32 v37, v38, v37
	v_add_f32_e32 v37, v37, v39
	;; [unrolled: 1-line block ×3, first 2 shown]
	v_cndmask_b32_e32 v36, v50, v36, vcc
	v_cmp_lt_f32_e64 vcc, |v51|, s33
	s_nop 1
	v_cndmask_b32_e32 v36, v36, v51, vcc
	v_add_f32_e32 v36, v35, v36
.LBB493_73:
	s_or_b64 exec, exec, s[0:1]
	v_bfe_u32 v35, v36, 16, 1
	s_movk_i32 s0, 0x7fff
	v_add3_u32 v35, v36, v35, s0
	v_cmp_o_f32_e32 vcc, v36, v36
	v_mov_b32_e32 v36, 0x7fc0
	s_nop 0
	v_cndmask_b32_sdwa v36, v36, v35, vcc dst_sel:DWORD dst_unused:UNUSED_PAD src0_sel:DWORD src1_sel:WORD_1
	v_and_b32_e32 v37, 0xffff, v36
.LBB493_74:
	s_or_b64 exec, exec, s[62:63]
	s_nop 0
	v_mov_b32_dpp v35, v37 row_bcast:31 row_mask:0xf bank_mask:0xf
	v_cmp_lt_u32_e32 vcc, 31, v34
	s_and_saveexec_b64 s[62:63], vcc
	s_cbranch_execz .LBB493_78
; %bb.75:
	v_lshlrev_b32_e32 v36, 16, v35
	v_lshlrev_b32_e32 v35, 16, v37
	v_max_f32_e32 v38, v35, v35
	v_max_f32_e32 v39, v36, v36
	v_min_f32_e32 v37, v39, v38
	v_cmp_u_f32_e32 vcc, v36, v36
	v_max_f32_e32 v38, v39, v38
	v_cmp_u_f32_e64 s[0:1], v35, v35
	v_cndmask_b32_e32 v37, v37, v36, vcc
	v_cndmask_b32_e32 v38, v38, v36, vcc
	v_cndmask_b32_e64 v37, v37, v35, s[0:1]
	v_cndmask_b32_e64 v35, v38, v35, s[0:1]
	s_movk_i32 s0, 0x1f8
	v_cmp_neq_f32_e32 vcc, v37, v35
	v_cmp_class_f32_e64 s[0:1], v37, s0
	s_or_b64 s[64:65], vcc, s[0:1]
	s_and_saveexec_b64 s[0:1], s[64:65]
	s_cbranch_execz .LBB493_77
; %bb.76:
	v_sub_f32_e32 v36, v37, v35
	s_mov_b32 s33, 0x3fb8aa3b
	v_mul_f32_e32 v37, 0x3fb8aa3b, v36
	v_fma_f32 v38, v36, s33, -v37
	v_rndne_f32_e32 v39, v37
	v_fmamk_f32 v38, v36, 0x32a5705f, v38
	v_sub_f32_e32 v37, v37, v39
	v_add_f32_e32 v37, v37, v38
	v_exp_f32_e32 v37, v37
	v_cvt_i32_f32_e32 v38, v39
	s_mov_b32 s33, 0xc2ce8ed0
	v_cmp_ngt_f32_e32 vcc, s33, v36
	s_mov_b32 s33, 0x42b17218
	v_ldexp_f32 v37, v37, v38
	v_cndmask_b32_e32 v37, 0, v37, vcc
	v_mov_b32_e32 v50, 0x7f800000
	v_cmp_nlt_f32_e32 vcc, s33, v36
	s_mov_b32 s33, 0x3f2aaaab
	s_mov_b32 s64, 0x7f800000
	v_cndmask_b32_e32 v51, v50, v37, vcc
	v_add_f32_e32 v38, 1.0, v51
	v_add_f32_e32 v36, -1.0, v38
	v_sub_f32_e32 v37, v36, v38
	v_add_f32_e32 v37, 1.0, v37
	v_sub_f32_e32 v36, v51, v36
	v_add_f32_e32 v39, v36, v37
	v_frexp_mant_f32_e32 v40, v38
	v_cvt_f64_f32_e32 v[36:37], v38
	v_frexp_exp_i32_f64_e32 v36, v[36:37]
	v_cmp_gt_f32_e32 vcc, s33, v40
	s_mov_b32 s33, 0x3f317218
	s_nop 0
	v_subbrev_co_u32_e32 v44, vcc, 0, v36, vcc
	v_sub_u32_e32 v36, 0, v44
	v_ldexp_f32 v37, v38, v36
	v_add_f32_e32 v38, -1.0, v37
	v_add_f32_e32 v40, 1.0, v37
	v_ldexp_f32 v36, v39, v36
	v_add_f32_e32 v39, 1.0, v38
	v_add_f32_e32 v41, -1.0, v40
	v_sub_f32_e32 v39, v37, v39
	v_sub_f32_e32 v37, v37, v41
	v_add_f32_e32 v39, v36, v39
	v_add_f32_e32 v36, v36, v37
	;; [unrolled: 1-line block ×3, first 2 shown]
	v_rcp_f32_e32 v47, v45
	v_sub_f32_e32 v37, v40, v45
	v_add_f32_e32 v46, v36, v37
	v_add_f32_e32 v37, v38, v39
	v_mul_f32_e32 v49, v37, v47
	v_sub_f32_e32 v36, v38, v37
	v_mul_f32_e32 v38, v45, v49
	v_fma_f32 v40, v49, v45, -v38
	v_fmac_f32_e32 v40, v49, v46
	v_add_f32_e32 v48, v39, v36
	v_add_f32_e32 v36, v38, v40
	v_sub_f32_e32 v39, v37, v36
	v_pk_add_f32 v[42:43], v[36:37], v[38:39] neg_lo:[0,1] neg_hi:[0,1]
	v_mov_b32_e32 v41, v36
	v_pk_add_f32 v[36:37], v[42:43], v[40:41] neg_lo:[0,1] neg_hi:[0,1]
	v_cmp_neq_f32_e32 vcc, s64, v51
	v_add_f32_e32 v37, v48, v37
	v_add_f32_e32 v36, v36, v37
	;; [unrolled: 1-line block ×3, first 2 shown]
	v_mul_f32_e32 v48, v47, v37
	v_mul_f32_e32 v38, v45, v48
	v_fma_f32 v40, v48, v45, -v38
	v_fmac_f32_e32 v40, v48, v46
	v_sub_f32_e32 v39, v39, v37
	v_add_f32_e32 v45, v36, v39
	v_add_f32_e32 v36, v38, v40
	v_sub_f32_e32 v39, v37, v36
	v_pk_add_f32 v[42:43], v[36:37], v[38:39] neg_lo:[0,1] neg_hi:[0,1]
	v_mov_b32_e32 v41, v36
	v_pk_add_f32 v[36:37], v[42:43], v[40:41] neg_lo:[0,1] neg_hi:[0,1]
	v_cvt_f32_i32_e32 v38, v44
	v_add_f32_e32 v37, v45, v37
	v_add_f32_e32 v36, v36, v37
	;; [unrolled: 1-line block ×4, first 2 shown]
	v_sub_f32_e32 v37, v39, v49
	v_mul_f32_e32 v36, v47, v36
	v_sub_f32_e32 v37, v48, v37
	v_add_f32_e32 v36, v37, v36
	v_add_f32_e32 v40, v39, v36
	v_mul_f32_e32 v42, v40, v40
	v_mov_b32_e32 v37, 0x3ecc95a3
	v_sub_f32_e32 v39, v40, v39
	v_fmac_f32_e32 v37, 0x3e9b6dac, v42
	v_sub_f32_e32 v36, v36, v39
	v_fmaak_f32 v37, v42, v37, 0x3f2aaada
	v_ldexp_f32 v43, v36, 1
	v_mul_f32_e32 v39, v40, v42
	v_mov_b32_e32 v36, 0x3f317218
	v_pk_mul_f32 v[36:37], v[38:39], v[36:37]
	v_ldexp_f32 v41, v40, 1
	v_fma_f32 v39, v38, s33, -v36
	v_fmamk_f32 v40, v38, 0xb102e308, v39
	v_pk_add_f32 v[38:39], v[36:37], v[40:41]
	v_mov_b32_e32 v42, v36
	v_sub_f32_e32 v41, v39, v41
	v_sub_f32_e32 v41, v37, v41
	v_add_f32_e32 v43, v43, v41
	v_pk_add_f32 v[36:37], v[38:39], v[36:37] neg_lo:[0,1] neg_hi:[0,1]
	v_pk_add_f32 v[44:45], v[38:39], v[42:43]
	v_mov_b32_e32 v41, v38
	v_mov_b32_e32 v37, v45
	v_pk_add_f32 v[46:47], v[40:41], v[36:37] neg_lo:[0,1] neg_hi:[0,1]
	v_pk_add_f32 v[36:37], v[40:41], v[36:37]
	v_mov_b32_e32 v42, v43
	v_pk_add_f32 v[40:41], v[36:37], v[38:39] op_sel:[1,0] op_sel_hi:[0,1] neg_lo:[0,1] neg_hi:[0,1]
	v_pk_add_f32 v[48:49], v[44:45], v[40:41] op_sel_hi:[1,0] neg_lo:[0,1] neg_hi:[0,1]
	v_mov_b32_e32 v44, v45
	v_mov_b32_e32 v45, v37
	v_pk_mov_b32 v[40:41], v[38:39], v[40:41] op_sel:[1,0]
	v_mov_b32_e32 v43, v38
	v_pk_add_f32 v[40:41], v[44:45], v[40:41] neg_lo:[0,1] neg_hi:[0,1]
	v_mov_b32_e32 v48, v46
	v_pk_add_f32 v[38:39], v[42:43], v[40:41] neg_lo:[0,1] neg_hi:[0,1]
	v_mov_b32_e32 v47, v37
	v_pk_add_f32 v[40:41], v[48:49], v[38:39]
	s_mov_b32 s33, 0x33800000
	v_pk_add_f32 v[42:43], v[40:41], v[40:41] op_sel:[0,1] op_sel_hi:[1,0]
	s_nop 0
	v_pk_add_f32 v[36:37], v[36:37], v[42:43] op_sel:[1,0] op_sel_hi:[0,1]
	v_mov_b32_e32 v41, v36
	v_pk_add_f32 v[44:45], v[40:41], v[46:47] neg_lo:[0,1] neg_hi:[0,1]
	v_mov_b32_e32 v39, v42
	v_sub_f32_e32 v37, v40, v44
	v_pk_add_f32 v[38:39], v[38:39], v[44:45] neg_lo:[0,1] neg_hi:[0,1]
	v_sub_f32_e32 v37, v46, v37
	v_add_f32_e32 v37, v38, v37
	v_add_f32_e32 v37, v37, v39
	;; [unrolled: 1-line block ×3, first 2 shown]
	v_cndmask_b32_e32 v36, v50, v36, vcc
	v_cmp_lt_f32_e64 vcc, |v51|, s33
	s_nop 1
	v_cndmask_b32_e32 v36, v36, v51, vcc
	v_add_f32_e32 v36, v35, v36
.LBB493_77:
	s_or_b64 exec, exec, s[0:1]
	v_bfe_u32 v35, v36, 16, 1
	s_movk_i32 s0, 0x7fff
	v_add3_u32 v35, v36, v35, s0
	v_cmp_o_f32_e32 vcc, v36, v36
	v_mov_b32_e32 v36, 0x7fc0
	s_nop 0
	v_cndmask_b32_sdwa v36, v36, v35, vcc dst_sel:DWORD dst_unused:UNUSED_PAD src0_sel:DWORD src1_sel:WORD_1
.LBB493_78:
	s_or_b64 exec, exec, s[62:63]
	v_or_b32_e32 v37, 63, v0
	v_lshrrev_b32_e32 v35, 6, v0
	v_cmp_eq_u32_e32 vcc, v0, v37
	s_and_saveexec_b64 s[0:1], vcc
; %bb.79:
	v_lshlrev_b32_e32 v37, 1, v35
	ds_write_b16 v37, v36
; %bb.80:
	s_or_b64 exec, exec, s[0:1]
	v_cmp_gt_u32_e32 vcc, 2, v0
	s_waitcnt lgkmcnt(0)
	s_barrier
	s_and_saveexec_b64 s[62:63], vcc
	s_cbranch_execz .LBB493_86
; %bb.81:
	ds_read_u16 v37, v8
	v_and_b32_e32 v40, 1, v34
	v_cmp_eq_u32_e32 vcc, 1, v40
	s_waitcnt lgkmcnt(0)
	v_and_b32_e32 v39, 0xffff, v37
	s_nop 1
	v_mov_b32_dpp v38, v39 row_shr:1 row_mask:0xf bank_mask:0xf
	s_and_saveexec_b64 s[64:65], vcc
	s_cbranch_execz .LBB493_85
; %bb.82:
	v_lshlrev_b32_e32 v38, 16, v38
	v_lshlrev_b32_e32 v37, 16, v39
	v_max_f32_e32 v40, v37, v37
	v_max_f32_e32 v41, v38, v38
	v_min_f32_e32 v39, v41, v40
	v_cmp_u_f32_e32 vcc, v38, v38
	v_max_f32_e32 v40, v41, v40
	v_cmp_u_f32_e64 s[0:1], v37, v37
	v_cndmask_b32_e32 v39, v39, v38, vcc
	v_cndmask_b32_e32 v40, v40, v38, vcc
	v_cndmask_b32_e64 v39, v39, v37, s[0:1]
	v_cndmask_b32_e64 v37, v40, v37, s[0:1]
	s_movk_i32 s0, 0x1f8
	v_cmp_neq_f32_e32 vcc, v39, v37
	v_cmp_class_f32_e64 s[0:1], v39, s0
	s_or_b64 s[66:67], vcc, s[0:1]
	s_and_saveexec_b64 s[0:1], s[66:67]
	s_cbranch_execz .LBB493_84
; %bb.83:
	v_sub_f32_e32 v38, v39, v37
	s_mov_b32 s33, 0x3fb8aa3b
	v_mul_f32_e32 v39, 0x3fb8aa3b, v38
	v_fma_f32 v40, v38, s33, -v39
	v_rndne_f32_e32 v41, v39
	v_fmamk_f32 v40, v38, 0x32a5705f, v40
	v_sub_f32_e32 v39, v39, v41
	v_add_f32_e32 v39, v39, v40
	v_exp_f32_e32 v39, v39
	v_cvt_i32_f32_e32 v40, v41
	s_mov_b32 s33, 0xc2ce8ed0
	v_cmp_ngt_f32_e32 vcc, s33, v38
	s_mov_b32 s33, 0x42b17218
	v_ldexp_f32 v39, v39, v40
	v_cndmask_b32_e32 v39, 0, v39, vcc
	v_mov_b32_e32 v52, 0x7f800000
	v_cmp_nlt_f32_e32 vcc, s33, v38
	s_mov_b32 s33, 0x3f2aaaab
	s_mov_b32 s66, 0x7f800000
	v_cndmask_b32_e32 v53, v52, v39, vcc
	v_add_f32_e32 v40, 1.0, v53
	v_add_f32_e32 v38, -1.0, v40
	v_sub_f32_e32 v39, v38, v40
	v_add_f32_e32 v39, 1.0, v39
	v_sub_f32_e32 v38, v53, v38
	v_add_f32_e32 v41, v38, v39
	v_frexp_mant_f32_e32 v42, v40
	v_cvt_f64_f32_e32 v[38:39], v40
	v_frexp_exp_i32_f64_e32 v38, v[38:39]
	v_cmp_gt_f32_e32 vcc, s33, v42
	s_mov_b32 s33, 0x3f317218
	s_nop 0
	v_subbrev_co_u32_e32 v46, vcc, 0, v38, vcc
	v_sub_u32_e32 v38, 0, v46
	v_ldexp_f32 v39, v40, v38
	v_add_f32_e32 v40, -1.0, v39
	v_add_f32_e32 v42, 1.0, v39
	v_ldexp_f32 v38, v41, v38
	v_add_f32_e32 v41, 1.0, v40
	v_add_f32_e32 v43, -1.0, v42
	v_sub_f32_e32 v41, v39, v41
	v_sub_f32_e32 v39, v39, v43
	v_add_f32_e32 v41, v38, v41
	v_add_f32_e32 v38, v38, v39
	;; [unrolled: 1-line block ×3, first 2 shown]
	v_rcp_f32_e32 v49, v47
	v_sub_f32_e32 v39, v42, v47
	v_add_f32_e32 v48, v38, v39
	v_add_f32_e32 v39, v40, v41
	v_mul_f32_e32 v51, v39, v49
	v_sub_f32_e32 v38, v40, v39
	v_mul_f32_e32 v40, v47, v51
	v_fma_f32 v42, v51, v47, -v40
	v_fmac_f32_e32 v42, v51, v48
	v_add_f32_e32 v50, v41, v38
	v_add_f32_e32 v38, v40, v42
	v_sub_f32_e32 v41, v39, v38
	v_pk_add_f32 v[44:45], v[38:39], v[40:41] neg_lo:[0,1] neg_hi:[0,1]
	v_mov_b32_e32 v43, v38
	v_pk_add_f32 v[38:39], v[44:45], v[42:43] neg_lo:[0,1] neg_hi:[0,1]
	v_cmp_neq_f32_e32 vcc, s66, v53
	v_add_f32_e32 v39, v50, v39
	v_add_f32_e32 v38, v38, v39
	;; [unrolled: 1-line block ×3, first 2 shown]
	v_mul_f32_e32 v50, v49, v39
	v_mul_f32_e32 v40, v47, v50
	v_fma_f32 v42, v50, v47, -v40
	v_fmac_f32_e32 v42, v50, v48
	v_sub_f32_e32 v41, v41, v39
	v_add_f32_e32 v47, v38, v41
	v_add_f32_e32 v38, v40, v42
	v_sub_f32_e32 v41, v39, v38
	v_pk_add_f32 v[44:45], v[38:39], v[40:41] neg_lo:[0,1] neg_hi:[0,1]
	v_mov_b32_e32 v43, v38
	v_pk_add_f32 v[38:39], v[44:45], v[42:43] neg_lo:[0,1] neg_hi:[0,1]
	v_cvt_f32_i32_e32 v40, v46
	v_add_f32_e32 v39, v47, v39
	v_add_f32_e32 v38, v38, v39
	v_add_f32_e32 v38, v41, v38
	v_add_f32_e32 v41, v51, v50
	v_sub_f32_e32 v39, v41, v51
	v_mul_f32_e32 v38, v49, v38
	v_sub_f32_e32 v39, v50, v39
	v_add_f32_e32 v38, v39, v38
	v_add_f32_e32 v42, v41, v38
	v_mul_f32_e32 v44, v42, v42
	v_mov_b32_e32 v39, 0x3ecc95a3
	v_sub_f32_e32 v41, v42, v41
	v_fmac_f32_e32 v39, 0x3e9b6dac, v44
	v_sub_f32_e32 v38, v38, v41
	v_fmaak_f32 v39, v44, v39, 0x3f2aaada
	v_ldexp_f32 v45, v38, 1
	v_mul_f32_e32 v41, v42, v44
	v_mov_b32_e32 v38, 0x3f317218
	v_pk_mul_f32 v[38:39], v[40:41], v[38:39]
	v_ldexp_f32 v43, v42, 1
	v_fma_f32 v41, v40, s33, -v38
	v_fmamk_f32 v42, v40, 0xb102e308, v41
	v_pk_add_f32 v[40:41], v[38:39], v[42:43]
	v_mov_b32_e32 v44, v38
	v_sub_f32_e32 v43, v41, v43
	v_sub_f32_e32 v43, v39, v43
	v_add_f32_e32 v45, v45, v43
	v_pk_add_f32 v[38:39], v[40:41], v[38:39] neg_lo:[0,1] neg_hi:[0,1]
	v_pk_add_f32 v[46:47], v[40:41], v[44:45]
	v_mov_b32_e32 v43, v40
	v_mov_b32_e32 v39, v47
	v_pk_add_f32 v[48:49], v[42:43], v[38:39] neg_lo:[0,1] neg_hi:[0,1]
	v_pk_add_f32 v[38:39], v[42:43], v[38:39]
	v_mov_b32_e32 v44, v45
	v_pk_add_f32 v[42:43], v[38:39], v[40:41] op_sel:[1,0] op_sel_hi:[0,1] neg_lo:[0,1] neg_hi:[0,1]
	v_pk_add_f32 v[50:51], v[46:47], v[42:43] op_sel_hi:[1,0] neg_lo:[0,1] neg_hi:[0,1]
	v_mov_b32_e32 v46, v47
	v_mov_b32_e32 v47, v39
	v_pk_mov_b32 v[42:43], v[40:41], v[42:43] op_sel:[1,0]
	v_mov_b32_e32 v45, v40
	v_pk_add_f32 v[42:43], v[46:47], v[42:43] neg_lo:[0,1] neg_hi:[0,1]
	v_mov_b32_e32 v50, v48
	v_pk_add_f32 v[40:41], v[44:45], v[42:43] neg_lo:[0,1] neg_hi:[0,1]
	v_mov_b32_e32 v49, v39
	v_pk_add_f32 v[42:43], v[50:51], v[40:41]
	s_mov_b32 s33, 0x33800000
	v_pk_add_f32 v[44:45], v[42:43], v[42:43] op_sel:[0,1] op_sel_hi:[1,0]
	s_nop 0
	v_pk_add_f32 v[38:39], v[38:39], v[44:45] op_sel:[1,0] op_sel_hi:[0,1]
	v_mov_b32_e32 v43, v38
	v_pk_add_f32 v[46:47], v[42:43], v[48:49] neg_lo:[0,1] neg_hi:[0,1]
	v_mov_b32_e32 v41, v44
	v_sub_f32_e32 v39, v42, v46
	v_pk_add_f32 v[40:41], v[40:41], v[46:47] neg_lo:[0,1] neg_hi:[0,1]
	v_sub_f32_e32 v39, v48, v39
	v_add_f32_e32 v39, v40, v39
	v_add_f32_e32 v39, v39, v41
	;; [unrolled: 1-line block ×3, first 2 shown]
	v_cndmask_b32_e32 v38, v52, v38, vcc
	v_cmp_lt_f32_e64 vcc, |v53|, s33
	s_nop 1
	v_cndmask_b32_e32 v38, v38, v53, vcc
	v_add_f32_e32 v38, v37, v38
.LBB493_84:
	s_or_b64 exec, exec, s[0:1]
	v_bfe_u32 v37, v38, 16, 1
	s_movk_i32 s0, 0x7fff
	v_add3_u32 v37, v38, v37, s0
	v_cmp_o_f32_e32 vcc, v38, v38
	v_mov_b32_e32 v38, 0x7fc0
	s_nop 0
	v_cndmask_b32_sdwa v37, v38, v37, vcc dst_sel:DWORD dst_unused:UNUSED_PAD src0_sel:DWORD src1_sel:WORD_1
.LBB493_85:
	s_or_b64 exec, exec, s[64:65]
	ds_write_b16 v8, v37
.LBB493_86:
	s_or_b64 exec, exec, s[62:63]
	v_cmp_lt_u32_e32 vcc, 63, v0
	s_waitcnt lgkmcnt(0)
	s_barrier
                                        ; implicit-def: $vgpr37
	s_and_saveexec_b64 s[62:63], vcc
	s_cbranch_execz .LBB493_90
; %bb.87:
	v_lshl_add_u32 v35, v35, 1, -2
	ds_read_u16 v37, v35
	v_lshlrev_b32_e32 v35, 16, v36
	v_max_f32_e32 v39, v35, v35
	v_cmp_u_f32_e64 s[0:1], v35, v35
	s_waitcnt lgkmcnt(0)
	v_lshlrev_b32_e32 v36, 16, v37
	v_max_f32_e32 v40, v36, v36
	v_min_f32_e32 v38, v40, v39
	v_cmp_u_f32_e32 vcc, v36, v36
	v_max_f32_e32 v39, v40, v39
	s_nop 0
	v_cndmask_b32_e32 v38, v38, v36, vcc
	v_cndmask_b32_e32 v39, v39, v36, vcc
	v_cndmask_b32_e64 v38, v38, v35, s[0:1]
	v_cndmask_b32_e64 v35, v39, v35, s[0:1]
	s_movk_i32 s0, 0x1f8
	v_cmp_neq_f32_e32 vcc, v38, v35
	v_cmp_class_f32_e64 s[0:1], v38, s0
	s_or_b64 s[64:65], vcc, s[0:1]
	s_and_saveexec_b64 s[0:1], s[64:65]
	s_cbranch_execz .LBB493_89
; %bb.88:
	v_sub_f32_e32 v36, v38, v35
	s_mov_b32 s33, 0x3fb8aa3b
	v_mul_f32_e32 v38, 0x3fb8aa3b, v36
	v_fma_f32 v39, v36, s33, -v38
	v_rndne_f32_e32 v40, v38
	v_fmamk_f32 v39, v36, 0x32a5705f, v39
	v_sub_f32_e32 v38, v38, v40
	v_add_f32_e32 v38, v38, v39
	v_exp_f32_e32 v38, v38
	v_cvt_i32_f32_e32 v39, v40
	s_mov_b32 s33, 0xc2ce8ed0
	v_cmp_ngt_f32_e32 vcc, s33, v36
	s_mov_b32 s33, 0x42b17218
	v_ldexp_f32 v38, v38, v39
	v_cndmask_b32_e32 v38, 0, v38, vcc
	v_mov_b32_e32 v52, 0x7f800000
	v_cmp_nlt_f32_e32 vcc, s33, v36
	s_mov_b32 s33, 0x3f2aaaab
	s_mov_b32 s64, 0x7f800000
	v_cndmask_b32_e32 v36, v52, v38, vcc
	v_add_f32_e32 v40, 1.0, v36
	v_add_f32_e32 v38, -1.0, v40
	v_sub_f32_e32 v39, v38, v40
	v_add_f32_e32 v39, 1.0, v39
	v_sub_f32_e32 v38, v36, v38
	v_add_f32_e32 v41, v38, v39
	v_frexp_mant_f32_e32 v42, v40
	v_cvt_f64_f32_e32 v[38:39], v40
	v_frexp_exp_i32_f64_e32 v38, v[38:39]
	v_cmp_gt_f32_e32 vcc, s33, v42
	s_mov_b32 s33, 0x3f317218
	s_nop 0
	v_subbrev_co_u32_e32 v46, vcc, 0, v38, vcc
	v_sub_u32_e32 v38, 0, v46
	v_ldexp_f32 v39, v40, v38
	v_add_f32_e32 v40, -1.0, v39
	v_add_f32_e32 v42, 1.0, v39
	v_ldexp_f32 v38, v41, v38
	v_add_f32_e32 v41, 1.0, v40
	v_add_f32_e32 v43, -1.0, v42
	v_sub_f32_e32 v41, v39, v41
	v_sub_f32_e32 v39, v39, v43
	v_add_f32_e32 v41, v38, v41
	v_add_f32_e32 v38, v38, v39
	;; [unrolled: 1-line block ×3, first 2 shown]
	v_rcp_f32_e32 v49, v47
	v_sub_f32_e32 v39, v42, v47
	v_add_f32_e32 v48, v38, v39
	v_add_f32_e32 v39, v40, v41
	v_mul_f32_e32 v51, v39, v49
	v_sub_f32_e32 v38, v40, v39
	v_mul_f32_e32 v40, v47, v51
	v_fma_f32 v42, v51, v47, -v40
	v_fmac_f32_e32 v42, v51, v48
	v_add_f32_e32 v50, v41, v38
	v_add_f32_e32 v38, v40, v42
	v_sub_f32_e32 v41, v39, v38
	v_pk_add_f32 v[44:45], v[38:39], v[40:41] neg_lo:[0,1] neg_hi:[0,1]
	v_mov_b32_e32 v43, v38
	v_pk_add_f32 v[38:39], v[44:45], v[42:43] neg_lo:[0,1] neg_hi:[0,1]
	v_cmp_neq_f32_e32 vcc, s64, v36
	v_add_f32_e32 v39, v50, v39
	v_add_f32_e32 v38, v38, v39
	;; [unrolled: 1-line block ×3, first 2 shown]
	v_mul_f32_e32 v50, v49, v39
	v_mul_f32_e32 v40, v47, v50
	v_fma_f32 v42, v50, v47, -v40
	v_fmac_f32_e32 v42, v50, v48
	v_sub_f32_e32 v41, v41, v39
	v_add_f32_e32 v47, v38, v41
	v_add_f32_e32 v38, v40, v42
	v_sub_f32_e32 v41, v39, v38
	v_pk_add_f32 v[44:45], v[38:39], v[40:41] neg_lo:[0,1] neg_hi:[0,1]
	v_mov_b32_e32 v43, v38
	v_pk_add_f32 v[38:39], v[44:45], v[42:43] neg_lo:[0,1] neg_hi:[0,1]
	v_cvt_f32_i32_e32 v40, v46
	v_add_f32_e32 v39, v47, v39
	v_add_f32_e32 v38, v38, v39
	;; [unrolled: 1-line block ×4, first 2 shown]
	v_sub_f32_e32 v39, v41, v51
	v_mul_f32_e32 v38, v49, v38
	v_sub_f32_e32 v39, v50, v39
	v_add_f32_e32 v38, v39, v38
	v_add_f32_e32 v42, v41, v38
	v_mul_f32_e32 v44, v42, v42
	v_mov_b32_e32 v39, 0x3ecc95a3
	v_sub_f32_e32 v41, v42, v41
	v_fmac_f32_e32 v39, 0x3e9b6dac, v44
	v_sub_f32_e32 v38, v38, v41
	v_fmaak_f32 v39, v44, v39, 0x3f2aaada
	v_ldexp_f32 v45, v38, 1
	v_mul_f32_e32 v41, v42, v44
	v_mov_b32_e32 v38, 0x3f317218
	v_pk_mul_f32 v[38:39], v[40:41], v[38:39]
	v_ldexp_f32 v43, v42, 1
	v_fma_f32 v41, v40, s33, -v38
	v_fmamk_f32 v42, v40, 0xb102e308, v41
	v_pk_add_f32 v[40:41], v[38:39], v[42:43]
	v_mov_b32_e32 v44, v38
	v_sub_f32_e32 v43, v41, v43
	v_sub_f32_e32 v43, v39, v43
	v_add_f32_e32 v45, v45, v43
	v_pk_add_f32 v[38:39], v[40:41], v[38:39] neg_lo:[0,1] neg_hi:[0,1]
	v_pk_add_f32 v[46:47], v[40:41], v[44:45]
	v_mov_b32_e32 v43, v40
	v_mov_b32_e32 v39, v47
	v_pk_add_f32 v[48:49], v[42:43], v[38:39] neg_lo:[0,1] neg_hi:[0,1]
	v_pk_add_f32 v[38:39], v[42:43], v[38:39]
	v_mov_b32_e32 v44, v45
	v_pk_add_f32 v[42:43], v[38:39], v[40:41] op_sel:[1,0] op_sel_hi:[0,1] neg_lo:[0,1] neg_hi:[0,1]
	v_pk_add_f32 v[50:51], v[46:47], v[42:43] op_sel_hi:[1,0] neg_lo:[0,1] neg_hi:[0,1]
	v_mov_b32_e32 v46, v47
	v_mov_b32_e32 v47, v39
	v_pk_mov_b32 v[42:43], v[40:41], v[42:43] op_sel:[1,0]
	v_mov_b32_e32 v45, v40
	v_pk_add_f32 v[42:43], v[46:47], v[42:43] neg_lo:[0,1] neg_hi:[0,1]
	v_mov_b32_e32 v50, v48
	v_pk_add_f32 v[40:41], v[44:45], v[42:43] neg_lo:[0,1] neg_hi:[0,1]
	v_mov_b32_e32 v49, v39
	v_pk_add_f32 v[42:43], v[50:51], v[40:41]
	s_mov_b32 s33, 0x33800000
	v_pk_add_f32 v[44:45], v[42:43], v[42:43] op_sel:[0,1] op_sel_hi:[1,0]
	s_nop 0
	v_pk_add_f32 v[38:39], v[38:39], v[44:45] op_sel:[1,0] op_sel_hi:[0,1]
	v_mov_b32_e32 v43, v38
	v_pk_add_f32 v[46:47], v[42:43], v[48:49] neg_lo:[0,1] neg_hi:[0,1]
	v_mov_b32_e32 v41, v44
	v_sub_f32_e32 v39, v42, v46
	v_pk_add_f32 v[40:41], v[40:41], v[46:47] neg_lo:[0,1] neg_hi:[0,1]
	v_sub_f32_e32 v39, v48, v39
	v_add_f32_e32 v39, v40, v39
	v_add_f32_e32 v39, v39, v41
	v_add_f32_e32 v38, v38, v39
	v_cndmask_b32_e32 v38, v52, v38, vcc
	v_cmp_lt_f32_e64 vcc, |v36|, s33
	s_nop 1
	v_cndmask_b32_e32 v36, v38, v36, vcc
	v_add_f32_e32 v36, v35, v36
.LBB493_89:
	s_or_b64 exec, exec, s[0:1]
	v_bfe_u32 v35, v36, 16, 1
	s_movk_i32 s0, 0x7fff
	v_add3_u32 v35, v36, v35, s0
	v_cmp_o_f32_e32 vcc, v36, v36
	v_mov_b32_e32 v36, 0x7fc0
	s_nop 0
	v_cndmask_b32_sdwa v36, v36, v35, vcc dst_sel:DWORD dst_unused:UNUSED_PAD src0_sel:DWORD src1_sel:WORD_1
.LBB493_90:
	s_or_b64 exec, exec, s[62:63]
	v_add_u32_e32 v35, -1, v34
	v_and_b32_e32 v38, 64, v34
	v_cmp_lt_i32_e32 vcc, v35, v38
	v_and_b32_e32 v36, 0xffff, v36
	s_nop 0
	v_cndmask_b32_e32 v35, v35, v34, vcc
	v_lshlrev_b32_e32 v35, 2, v35
	ds_bpermute_b32 v35, v35, v36
	v_cmp_ne_u32_e32 vcc, 0, v0
	s_and_saveexec_b64 s[0:1], vcc
	s_cbranch_execz .LBB493_94
; %bb.91:
	v_cmp_eq_u32_e32 vcc, 0, v34
	s_movk_i32 s33, 0x1f8
	s_waitcnt lgkmcnt(0)
	v_cndmask_b32_sdwa v30, v35, v37, vcc dst_sel:WORD_1 dst_unused:UNUSED_PAD src0_sel:DWORD src1_sel:DWORD
	s_nop 0
	v_max_f32_e32 v2, v30, v30
	v_min_f32_e32 v32, v2, v31
	v_cmp_u_f32_e32 vcc, v30, v30
	v_max_f32_e32 v2, v2, v31
	s_nop 0
	v_cndmask_b32_e32 v32, v32, v30, vcc
	v_cndmask_b32_e32 v2, v2, v30, vcc
	v_cndmask_b32_e64 v32, v32, v29, s[56:57]
	v_cndmask_b32_e64 v2, v2, v29, s[56:57]
	v_cmp_neq_f32_e32 vcc, v32, v2
	v_cmp_class_f32_e64 s[56:57], v32, s33
	s_or_b64 s[62:63], vcc, s[56:57]
	s_and_saveexec_b64 s[56:57], s[62:63]
	s_cbranch_execz .LBB493_93
; %bb.92:
	v_sub_f32_e32 v29, v32, v2
	s_mov_b32 s33, 0x3fb8aa3b
	v_mul_f32_e32 v30, 0x3fb8aa3b, v29
	v_fma_f32 v31, v29, s33, -v30
	v_rndne_f32_e32 v32, v30
	v_fmamk_f32 v31, v29, 0x32a5705f, v31
	v_sub_f32_e32 v30, v30, v32
	v_add_f32_e32 v30, v30, v31
	v_exp_f32_e32 v30, v30
	v_cvt_i32_f32_e32 v31, v32
	s_mov_b32 s33, 0xc2ce8ed0
	v_cmp_ngt_f32_e32 vcc, s33, v29
	s_mov_b32 s33, 0x42b17218
	v_ldexp_f32 v30, v30, v31
	v_cndmask_b32_e32 v30, 0, v30, vcc
	v_mov_b32_e32 v32, 0x7f800000
	v_cmp_nlt_f32_e32 vcc, s33, v29
	s_mov_b32 s33, 0x3f2aaaab
	s_mov_b32 s62, 0x7f800000
	v_cndmask_b32_e32 v29, v32, v30, vcc
	v_add_f32_e32 v34, 1.0, v29
	v_add_f32_e32 v30, -1.0, v34
	v_sub_f32_e32 v31, v30, v34
	v_add_f32_e32 v31, 1.0, v31
	v_sub_f32_e32 v30, v29, v30
	v_add_f32_e32 v35, v30, v31
	v_frexp_mant_f32_e32 v36, v34
	v_cvt_f64_f32_e32 v[30:31], v34
	v_frexp_exp_i32_f64_e32 v30, v[30:31]
	v_cmp_gt_f32_e32 vcc, s33, v36
	s_mov_b32 s33, 0x3f317218
	s_nop 0
	v_subbrev_co_u32_e32 v40, vcc, 0, v30, vcc
	v_sub_u32_e32 v30, 0, v40
	v_ldexp_f32 v31, v34, v30
	v_add_f32_e32 v34, -1.0, v31
	v_add_f32_e32 v36, 1.0, v31
	v_ldexp_f32 v30, v35, v30
	v_add_f32_e32 v35, 1.0, v34
	v_add_f32_e32 v37, -1.0, v36
	v_sub_f32_e32 v35, v31, v35
	v_sub_f32_e32 v31, v31, v37
	v_add_f32_e32 v35, v30, v35
	v_add_f32_e32 v30, v30, v31
	;; [unrolled: 1-line block ×3, first 2 shown]
	v_rcp_f32_e32 v43, v41
	v_sub_f32_e32 v31, v36, v41
	v_add_f32_e32 v42, v30, v31
	v_add_f32_e32 v31, v34, v35
	v_mul_f32_e32 v45, v31, v43
	v_sub_f32_e32 v30, v34, v31
	v_mul_f32_e32 v34, v41, v45
	v_fma_f32 v36, v45, v41, -v34
	v_fmac_f32_e32 v36, v45, v42
	v_add_f32_e32 v44, v35, v30
	v_add_f32_e32 v30, v34, v36
	v_sub_f32_e32 v35, v31, v30
	v_pk_add_f32 v[38:39], v[30:31], v[34:35] neg_lo:[0,1] neg_hi:[0,1]
	v_mov_b32_e32 v37, v30
	v_pk_add_f32 v[30:31], v[38:39], v[36:37] neg_lo:[0,1] neg_hi:[0,1]
	v_cmp_neq_f32_e32 vcc, s62, v29
	v_add_f32_e32 v31, v44, v31
	v_add_f32_e32 v30, v30, v31
	;; [unrolled: 1-line block ×3, first 2 shown]
	v_mul_f32_e32 v44, v43, v31
	v_mul_f32_e32 v34, v41, v44
	v_fma_f32 v36, v44, v41, -v34
	v_fmac_f32_e32 v36, v44, v42
	v_sub_f32_e32 v35, v35, v31
	v_add_f32_e32 v41, v30, v35
	v_add_f32_e32 v30, v34, v36
	v_sub_f32_e32 v35, v31, v30
	v_pk_add_f32 v[38:39], v[30:31], v[34:35] neg_lo:[0,1] neg_hi:[0,1]
	v_mov_b32_e32 v37, v30
	v_pk_add_f32 v[30:31], v[38:39], v[36:37] neg_lo:[0,1] neg_hi:[0,1]
	v_cvt_f32_i32_e32 v34, v40
	v_add_f32_e32 v31, v41, v31
	v_add_f32_e32 v30, v30, v31
	;; [unrolled: 1-line block ×4, first 2 shown]
	v_sub_f32_e32 v31, v35, v45
	v_mul_f32_e32 v30, v43, v30
	v_sub_f32_e32 v31, v44, v31
	v_add_f32_e32 v30, v31, v30
	v_add_f32_e32 v36, v35, v30
	v_mul_f32_e32 v38, v36, v36
	v_mov_b32_e32 v31, 0x3ecc95a3
	v_sub_f32_e32 v35, v36, v35
	v_fmac_f32_e32 v31, 0x3e9b6dac, v38
	v_sub_f32_e32 v30, v30, v35
	v_fmaak_f32 v31, v38, v31, 0x3f2aaada
	v_ldexp_f32 v39, v30, 1
	v_mul_f32_e32 v35, v36, v38
	v_mov_b32_e32 v30, 0x3f317218
	v_pk_mul_f32 v[30:31], v[34:35], v[30:31]
	v_ldexp_f32 v37, v36, 1
	v_fma_f32 v35, v34, s33, -v30
	v_fmamk_f32 v36, v34, 0xb102e308, v35
	v_pk_add_f32 v[34:35], v[30:31], v[36:37]
	v_mov_b32_e32 v38, v30
	v_sub_f32_e32 v37, v35, v37
	v_sub_f32_e32 v37, v31, v37
	v_add_f32_e32 v39, v39, v37
	v_pk_add_f32 v[30:31], v[34:35], v[30:31] neg_lo:[0,1] neg_hi:[0,1]
	v_pk_add_f32 v[40:41], v[34:35], v[38:39]
	v_mov_b32_e32 v37, v34
	v_mov_b32_e32 v31, v41
	v_pk_add_f32 v[42:43], v[36:37], v[30:31] neg_lo:[0,1] neg_hi:[0,1]
	v_pk_add_f32 v[30:31], v[36:37], v[30:31]
	v_mov_b32_e32 v38, v39
	v_pk_add_f32 v[36:37], v[30:31], v[34:35] op_sel:[1,0] op_sel_hi:[0,1] neg_lo:[0,1] neg_hi:[0,1]
	v_pk_add_f32 v[44:45], v[40:41], v[36:37] op_sel_hi:[1,0] neg_lo:[0,1] neg_hi:[0,1]
	v_mov_b32_e32 v40, v41
	v_mov_b32_e32 v41, v31
	v_pk_mov_b32 v[36:37], v[34:35], v[36:37] op_sel:[1,0]
	v_mov_b32_e32 v39, v34
	v_pk_add_f32 v[36:37], v[40:41], v[36:37] neg_lo:[0,1] neg_hi:[0,1]
	v_mov_b32_e32 v44, v42
	v_pk_add_f32 v[34:35], v[38:39], v[36:37] neg_lo:[0,1] neg_hi:[0,1]
	v_mov_b32_e32 v43, v31
	v_pk_add_f32 v[36:37], v[44:45], v[34:35]
	s_mov_b32 s33, 0x33800000
	v_pk_add_f32 v[38:39], v[36:37], v[36:37] op_sel:[0,1] op_sel_hi:[1,0]
	s_nop 0
	v_pk_add_f32 v[30:31], v[30:31], v[38:39] op_sel:[1,0] op_sel_hi:[0,1]
	v_mov_b32_e32 v37, v30
	v_pk_add_f32 v[40:41], v[36:37], v[42:43] neg_lo:[0,1] neg_hi:[0,1]
	v_mov_b32_e32 v35, v38
	v_sub_f32_e32 v31, v36, v40
	v_pk_add_f32 v[34:35], v[34:35], v[40:41] neg_lo:[0,1] neg_hi:[0,1]
	v_sub_f32_e32 v31, v42, v31
	v_add_f32_e32 v31, v34, v31
	v_add_f32_e32 v31, v31, v35
	;; [unrolled: 1-line block ×3, first 2 shown]
	v_cndmask_b32_e32 v30, v32, v30, vcc
	v_cmp_lt_f32_e64 vcc, |v29|, s33
	s_nop 1
	v_cndmask_b32_e32 v29, v30, v29, vcc
	v_add_f32_e32 v30, v2, v29
.LBB493_93:
	s_or_b64 exec, exec, s[56:57]
	v_bfe_u32 v2, v30, 16, 1
	s_movk_i32 s33, 0x7fff
	v_add3_u32 v2, v30, v2, s33
	v_cmp_o_f32_e32 vcc, v30, v30
	v_mov_b32_e32 v29, 0x7fc0
	;;#ASMSTART
	;;#ASMEND
	s_nop 0
	v_cndmask_b32_sdwa v2, v29, v2, vcc dst_sel:DWORD dst_unused:UNUSED_PAD src0_sel:DWORD src1_sel:WORD_1
	v_lshlrev_b32_e32 v29, 16, v2
	v_max_f32_e32 v31, v29, v29
	v_min_f32_e32 v30, v31, v16
	v_max_f32_e32 v32, v31, v16
.LBB493_94:
	s_or_b64 exec, exec, s[0:1]
	v_cmp_u_f32_e32 vcc, v29, v29
	s_nop 1
	v_cndmask_b32_e32 v16, v30, v29, vcc
	v_cndmask_b32_e32 v30, v32, v29, vcc
	v_cndmask_b32_e64 v16, v16, v1, s[28:29]
	v_cndmask_b32_e64 v1, v30, v1, s[28:29]
	s_movk_i32 s28, 0x1f8
	v_cmp_neq_f32_e32 vcc, v16, v1
	v_cmp_class_f32_e64 s[0:1], v16, s28
	s_or_b64 s[56:57], vcc, s[0:1]
	s_and_saveexec_b64 s[0:1], s[56:57]
	s_cbranch_execz .LBB493_96
; %bb.95:
	v_sub_f32_e32 v16, v16, v1
	s_mov_b32 s29, 0x3fb8aa3b
	v_mul_f32_e32 v29, 0x3fb8aa3b, v16
	v_fma_f32 v30, v16, s29, -v29
	v_rndne_f32_e32 v31, v29
	v_fmamk_f32 v30, v16, 0x32a5705f, v30
	v_sub_f32_e32 v29, v29, v31
	v_add_f32_e32 v29, v29, v30
	v_exp_f32_e32 v29, v29
	v_cvt_i32_f32_e32 v30, v31
	s_mov_b32 s29, 0xc2ce8ed0
	v_cmp_ngt_f32_e32 vcc, s29, v16
	s_mov_b32 s29, 0x42b17218
	v_ldexp_f32 v29, v29, v30
	v_cndmask_b32_e32 v29, 0, v29, vcc
	v_mov_b32_e32 v32, 0x7f800000
	v_cmp_nlt_f32_e32 vcc, s29, v16
	s_mov_b32 s29, 0x3f2aaaab
	s_mov_b32 s33, 0x7f800000
	v_cndmask_b32_e32 v16, v32, v29, vcc
	v_add_f32_e32 v29, 1.0, v16
	v_add_f32_e32 v30, -1.0, v29
	v_sub_f32_e32 v31, v30, v29
	v_add_f32_e32 v31, 1.0, v31
	v_sub_f32_e32 v30, v16, v30
	v_add_f32_e32 v34, v30, v31
	s_waitcnt lgkmcnt(0)
	v_frexp_mant_f32_e32 v35, v29
	v_cvt_f64_f32_e32 v[30:31], v29
	v_frexp_exp_i32_f64_e32 v30, v[30:31]
	v_cmp_gt_f32_e32 vcc, s29, v35
	s_mov_b32 s29, 0x3f317218
	s_nop 0
	v_subbrev_co_u32_e32 v40, vcc, 0, v30, vcc
	v_sub_u32_e32 v30, 0, v40
	v_ldexp_f32 v29, v29, v30
	v_ldexp_f32 v30, v34, v30
	v_add_f32_e32 v34, -1.0, v29
	v_add_f32_e32 v31, 1.0, v34
	v_sub_f32_e32 v31, v29, v31
	v_add_f32_e32 v35, v30, v31
	v_add_f32_e32 v31, 1.0, v29
	v_add_f32_e32 v36, -1.0, v31
	v_sub_f32_e32 v29, v29, v36
	v_add_f32_e32 v29, v30, v29
	v_add_f32_e32 v41, v31, v29
	v_rcp_f32_e32 v42, v41
	v_sub_f32_e32 v30, v31, v41
	v_add_f32_e32 v31, v34, v35
	v_add_f32_e32 v29, v29, v30
	v_mul_f32_e32 v44, v31, v42
	v_sub_f32_e32 v30, v34, v31
	v_mul_f32_e32 v34, v41, v44
	v_fma_f32 v36, v44, v41, -v34
	v_fmac_f32_e32 v36, v44, v29
	v_add_f32_e32 v43, v35, v30
	v_add_f32_e32 v30, v34, v36
	v_sub_f32_e32 v35, v31, v30
	v_pk_add_f32 v[38:39], v[30:31], v[34:35] neg_lo:[0,1] neg_hi:[0,1]
	v_mov_b32_e32 v37, v30
	v_pk_add_f32 v[30:31], v[38:39], v[36:37] neg_lo:[0,1] neg_hi:[0,1]
	v_cmp_neq_f32_e32 vcc, s33, v16
	v_add_f32_e32 v31, v43, v31
	v_add_f32_e32 v30, v30, v31
	;; [unrolled: 1-line block ×3, first 2 shown]
	v_mul_f32_e32 v43, v42, v31
	v_mul_f32_e32 v34, v41, v43
	v_fma_f32 v36, v43, v41, -v34
	v_fmac_f32_e32 v36, v43, v29
	v_sub_f32_e32 v29, v35, v31
	v_add_f32_e32 v29, v30, v29
	v_add_f32_e32 v30, v34, v36
	v_sub_f32_e32 v35, v31, v30
	v_pk_add_f32 v[38:39], v[30:31], v[34:35] neg_lo:[0,1] neg_hi:[0,1]
	v_mov_b32_e32 v37, v30
	v_pk_add_f32 v[30:31], v[38:39], v[36:37] neg_lo:[0,1] neg_hi:[0,1]
	v_cvt_f32_i32_e32 v34, v40
	v_add_f32_e32 v29, v29, v31
	v_add_f32_e32 v29, v30, v29
	;; [unrolled: 1-line block ×4, first 2 shown]
	v_sub_f32_e32 v31, v30, v44
	v_mul_f32_e32 v29, v42, v29
	v_sub_f32_e32 v31, v43, v31
	v_add_f32_e32 v29, v31, v29
	v_add_f32_e32 v35, v30, v29
	v_mul_f32_e32 v36, v35, v35
	v_mov_b32_e32 v31, 0x3ecc95a3
	v_fmac_f32_e32 v31, 0x3e9b6dac, v36
	v_sub_f32_e32 v30, v35, v30
	v_fmaak_f32 v31, v36, v31, 0x3f2aaada
	v_sub_f32_e32 v29, v29, v30
	v_ldexp_f32 v37, v35, 1
	v_mul_f32_e32 v35, v35, v36
	v_mov_b32_e32 v30, 0x3f317218
	v_pk_mul_f32 v[30:31], v[34:35], v[30:31]
	v_ldexp_f32 v29, v29, 1
	v_fma_f32 v35, v34, s29, -v30
	v_fmamk_f32 v36, v34, 0xb102e308, v35
	v_pk_add_f32 v[34:35], v[30:31], v[36:37]
	v_mov_b32_e32 v38, v30
	v_sub_f32_e32 v37, v35, v37
	v_sub_f32_e32 v37, v31, v37
	v_add_f32_e32 v39, v29, v37
	v_pk_add_f32 v[30:31], v[34:35], v[30:31] neg_lo:[0,1] neg_hi:[0,1]
	v_pk_add_f32 v[40:41], v[34:35], v[38:39]
	v_mov_b32_e32 v37, v34
	v_mov_b32_e32 v31, v41
	v_pk_add_f32 v[42:43], v[36:37], v[30:31] neg_lo:[0,1] neg_hi:[0,1]
	v_pk_add_f32 v[30:31], v[36:37], v[30:31]
	v_mov_b32_e32 v38, v39
	v_pk_add_f32 v[36:37], v[30:31], v[34:35] op_sel:[1,0] op_sel_hi:[0,1] neg_lo:[0,1] neg_hi:[0,1]
	v_pk_add_f32 v[44:45], v[40:41], v[36:37] op_sel_hi:[1,0] neg_lo:[0,1] neg_hi:[0,1]
	v_mov_b32_e32 v40, v41
	v_mov_b32_e32 v41, v31
	v_pk_mov_b32 v[36:37], v[34:35], v[36:37] op_sel:[1,0]
	v_mov_b32_e32 v39, v34
	v_pk_add_f32 v[36:37], v[40:41], v[36:37] neg_lo:[0,1] neg_hi:[0,1]
	v_mov_b32_e32 v44, v42
	v_pk_add_f32 v[34:35], v[38:39], v[36:37] neg_lo:[0,1] neg_hi:[0,1]
	v_mov_b32_e32 v43, v31
	v_pk_add_f32 v[36:37], v[44:45], v[34:35]
	s_mov_b32 s29, 0x33800000
	v_pk_add_f32 v[38:39], v[36:37], v[36:37] op_sel:[0,1] op_sel_hi:[1,0]
	s_nop 0
	v_pk_add_f32 v[30:31], v[30:31], v[38:39] op_sel:[1,0] op_sel_hi:[0,1]
	v_mov_b32_e32 v37, v30
	v_pk_add_f32 v[40:41], v[36:37], v[42:43] neg_lo:[0,1] neg_hi:[0,1]
	v_mov_b32_e32 v35, v38
	v_sub_f32_e32 v29, v36, v40
	v_pk_add_f32 v[34:35], v[34:35], v[40:41] neg_lo:[0,1] neg_hi:[0,1]
	v_sub_f32_e32 v29, v42, v29
	v_add_f32_e32 v29, v34, v29
	v_add_f32_e32 v29, v29, v35
	;; [unrolled: 1-line block ×3, first 2 shown]
	v_cndmask_b32_e32 v29, v32, v29, vcc
	v_cmp_lt_f32_e64 vcc, |v16|, s29
	s_nop 1
	v_cndmask_b32_e32 v16, v29, v16, vcc
	v_add_f32_e32 v29, v1, v16
.LBB493_96:
	s_or_b64 exec, exec, s[0:1]
	v_bfe_u32 v1, v29, 16, 1
	s_movk_i32 s29, 0x7fff
	v_add3_u32 v1, v29, v1, s29
	v_cmp_o_f32_e32 vcc, v29, v29
	v_mov_b32_e32 v16, 0x7fc0
	s_nop 0
	v_cndmask_b32_sdwa v1, v16, v1, vcc dst_sel:DWORD dst_unused:UNUSED_PAD src0_sel:DWORD src1_sel:WORD_1
	v_lshlrev_b32_e32 v29, 16, v1
	v_max_f32_e32 v31, v29, v29
	v_min_f32_e32 v30, v31, v10
	v_cmp_u_f32_e32 vcc, v29, v29
	v_max_f32_e32 v10, v31, v10
	s_nop 0
	v_cndmask_b32_e32 v30, v30, v29, vcc
	v_cndmask_b32_e32 v10, v10, v29, vcc
	v_cndmask_b32_e64 v30, v30, v9, s[30:31]
	v_cndmask_b32_e64 v9, v10, v9, s[30:31]
	v_cmp_neq_f32_e32 vcc, v30, v9
	v_cmp_class_f32_e64 s[0:1], v30, s28
	s_or_b64 s[30:31], vcc, s[0:1]
	s_and_saveexec_b64 s[0:1], s[30:31]
	s_cbranch_execz .LBB493_98
; %bb.97:
	v_sub_f32_e32 v10, v30, v9
	s_mov_b32 s28, 0x3fb8aa3b
	v_mul_f32_e32 v29, 0x3fb8aa3b, v10
	v_fma_f32 v30, v10, s28, -v29
	v_rndne_f32_e32 v31, v29
	v_fmamk_f32 v30, v10, 0x32a5705f, v30
	v_sub_f32_e32 v29, v29, v31
	v_add_f32_e32 v29, v29, v30
	v_exp_f32_e32 v29, v29
	v_cvt_i32_f32_e32 v30, v31
	s_mov_b32 s28, 0xc2ce8ed0
	v_cmp_ngt_f32_e32 vcc, s28, v10
	s_mov_b32 s28, 0x42b17218
	v_ldexp_f32 v29, v29, v30
	v_cndmask_b32_e32 v29, 0, v29, vcc
	v_mov_b32_e32 v32, 0x7f800000
	v_cmp_nlt_f32_e32 vcc, s28, v10
	s_mov_b32 s28, 0x3f2aaaab
	s_mov_b32 s30, 0x7f800000
	v_cndmask_b32_e32 v10, v32, v29, vcc
	v_add_f32_e32 v29, 1.0, v10
	v_add_f32_e32 v30, -1.0, v29
	v_sub_f32_e32 v31, v30, v29
	v_add_f32_e32 v31, 1.0, v31
	v_sub_f32_e32 v30, v10, v30
	v_add_f32_e32 v34, v30, v31
	s_waitcnt lgkmcnt(0)
	v_frexp_mant_f32_e32 v35, v29
	v_cvt_f64_f32_e32 v[30:31], v29
	v_frexp_exp_i32_f64_e32 v30, v[30:31]
	v_cmp_gt_f32_e32 vcc, s28, v35
	s_mov_b32 s28, 0x3f317218
	s_nop 0
	v_subbrev_co_u32_e32 v40, vcc, 0, v30, vcc
	v_sub_u32_e32 v30, 0, v40
	v_ldexp_f32 v29, v29, v30
	v_ldexp_f32 v30, v34, v30
	v_add_f32_e32 v34, -1.0, v29
	v_add_f32_e32 v31, 1.0, v34
	v_sub_f32_e32 v31, v29, v31
	v_add_f32_e32 v35, v30, v31
	v_add_f32_e32 v31, 1.0, v29
	v_add_f32_e32 v36, -1.0, v31
	v_sub_f32_e32 v29, v29, v36
	v_add_f32_e32 v29, v30, v29
	v_add_f32_e32 v41, v31, v29
	v_rcp_f32_e32 v42, v41
	v_sub_f32_e32 v30, v31, v41
	v_add_f32_e32 v31, v34, v35
	v_add_f32_e32 v29, v29, v30
	v_mul_f32_e32 v44, v31, v42
	v_sub_f32_e32 v30, v34, v31
	v_mul_f32_e32 v34, v41, v44
	v_fma_f32 v36, v44, v41, -v34
	v_fmac_f32_e32 v36, v44, v29
	v_add_f32_e32 v43, v35, v30
	v_add_f32_e32 v30, v34, v36
	v_sub_f32_e32 v35, v31, v30
	v_pk_add_f32 v[38:39], v[30:31], v[34:35] neg_lo:[0,1] neg_hi:[0,1]
	v_mov_b32_e32 v37, v30
	v_pk_add_f32 v[30:31], v[38:39], v[36:37] neg_lo:[0,1] neg_hi:[0,1]
	v_cmp_neq_f32_e32 vcc, s30, v10
	v_add_f32_e32 v31, v43, v31
	v_add_f32_e32 v30, v30, v31
	v_add_f32_e32 v31, v35, v30
	v_mul_f32_e32 v43, v42, v31
	v_mul_f32_e32 v34, v41, v43
	v_fma_f32 v36, v43, v41, -v34
	v_fmac_f32_e32 v36, v43, v29
	v_sub_f32_e32 v29, v35, v31
	v_add_f32_e32 v29, v30, v29
	v_add_f32_e32 v30, v34, v36
	v_sub_f32_e32 v35, v31, v30
	v_pk_add_f32 v[38:39], v[30:31], v[34:35] neg_lo:[0,1] neg_hi:[0,1]
	v_mov_b32_e32 v37, v30
	v_pk_add_f32 v[30:31], v[38:39], v[36:37] neg_lo:[0,1] neg_hi:[0,1]
	v_cvt_f32_i32_e32 v34, v40
	v_add_f32_e32 v29, v29, v31
	v_add_f32_e32 v29, v30, v29
	;; [unrolled: 1-line block ×4, first 2 shown]
	v_sub_f32_e32 v31, v30, v44
	v_mul_f32_e32 v29, v42, v29
	v_sub_f32_e32 v31, v43, v31
	v_add_f32_e32 v29, v31, v29
	v_add_f32_e32 v35, v30, v29
	v_mul_f32_e32 v36, v35, v35
	v_mov_b32_e32 v31, 0x3ecc95a3
	v_fmac_f32_e32 v31, 0x3e9b6dac, v36
	v_sub_f32_e32 v30, v35, v30
	v_fmaak_f32 v31, v36, v31, 0x3f2aaada
	v_sub_f32_e32 v29, v29, v30
	v_ldexp_f32 v37, v35, 1
	v_mul_f32_e32 v35, v35, v36
	v_mov_b32_e32 v30, 0x3f317218
	v_pk_mul_f32 v[30:31], v[34:35], v[30:31]
	v_ldexp_f32 v29, v29, 1
	v_fma_f32 v35, v34, s28, -v30
	v_fmamk_f32 v36, v34, 0xb102e308, v35
	v_pk_add_f32 v[34:35], v[30:31], v[36:37]
	v_mov_b32_e32 v38, v30
	v_sub_f32_e32 v37, v35, v37
	v_sub_f32_e32 v37, v31, v37
	v_add_f32_e32 v39, v29, v37
	v_pk_add_f32 v[30:31], v[34:35], v[30:31] neg_lo:[0,1] neg_hi:[0,1]
	v_pk_add_f32 v[40:41], v[34:35], v[38:39]
	v_mov_b32_e32 v37, v34
	v_mov_b32_e32 v31, v41
	v_pk_add_f32 v[42:43], v[36:37], v[30:31] neg_lo:[0,1] neg_hi:[0,1]
	v_pk_add_f32 v[30:31], v[36:37], v[30:31]
	v_mov_b32_e32 v38, v39
	v_pk_add_f32 v[36:37], v[30:31], v[34:35] op_sel:[1,0] op_sel_hi:[0,1] neg_lo:[0,1] neg_hi:[0,1]
	v_pk_add_f32 v[44:45], v[40:41], v[36:37] op_sel_hi:[1,0] neg_lo:[0,1] neg_hi:[0,1]
	v_mov_b32_e32 v40, v41
	v_mov_b32_e32 v41, v31
	v_pk_mov_b32 v[36:37], v[34:35], v[36:37] op_sel:[1,0]
	v_mov_b32_e32 v39, v34
	v_pk_add_f32 v[36:37], v[40:41], v[36:37] neg_lo:[0,1] neg_hi:[0,1]
	v_mov_b32_e32 v44, v42
	v_pk_add_f32 v[34:35], v[38:39], v[36:37] neg_lo:[0,1] neg_hi:[0,1]
	v_mov_b32_e32 v43, v31
	v_pk_add_f32 v[36:37], v[44:45], v[34:35]
	s_mov_b32 s28, 0x33800000
	v_pk_add_f32 v[38:39], v[36:37], v[36:37] op_sel:[0,1] op_sel_hi:[1,0]
	s_nop 0
	v_pk_add_f32 v[30:31], v[30:31], v[38:39] op_sel:[1,0] op_sel_hi:[0,1]
	v_mov_b32_e32 v37, v30
	v_pk_add_f32 v[40:41], v[36:37], v[42:43] neg_lo:[0,1] neg_hi:[0,1]
	v_mov_b32_e32 v35, v38
	v_sub_f32_e32 v29, v36, v40
	v_pk_add_f32 v[34:35], v[34:35], v[40:41] neg_lo:[0,1] neg_hi:[0,1]
	v_sub_f32_e32 v29, v42, v29
	v_add_f32_e32 v29, v34, v29
	v_add_f32_e32 v29, v29, v35
	;; [unrolled: 1-line block ×3, first 2 shown]
	v_cndmask_b32_e32 v29, v32, v29, vcc
	v_cmp_lt_f32_e64 vcc, |v10|, s28
	s_nop 1
	v_cndmask_b32_e32 v10, v29, v10, vcc
	v_add_f32_e32 v29, v9, v10
.LBB493_98:
	s_or_b64 exec, exec, s[0:1]
	v_bfe_u32 v9, v29, 16, 1
	v_add3_u32 v9, v29, v9, s29
	v_cmp_o_f32_e32 vcc, v29, v29
	s_movk_i32 s28, 0x1f8
	s_nop 0
	v_cndmask_b32_sdwa v9, v16, v9, vcc dst_sel:DWORD dst_unused:UNUSED_PAD src0_sel:DWORD src1_sel:WORD_1
	v_lshlrev_b32_e32 v10, 16, v9
	v_max_f32_e32 v29, v10, v10
	v_min_f32_e32 v16, v29, v12
	v_cmp_u_f32_e32 vcc, v10, v10
	v_max_f32_e32 v12, v29, v12
	s_nop 0
	v_cndmask_b32_e32 v16, v16, v10, vcc
	v_cndmask_b32_e32 v12, v12, v10, vcc
	v_cndmask_b32_e64 v16, v16, v3, s[34:35]
	v_cndmask_b32_e64 v3, v12, v3, s[34:35]
	v_cmp_neq_f32_e32 vcc, v16, v3
	v_cmp_class_f32_e64 s[0:1], v16, s28
	s_or_b64 s[30:31], vcc, s[0:1]
	s_and_saveexec_b64 s[0:1], s[30:31]
	s_cbranch_execz .LBB493_100
; %bb.99:
	v_sub_f32_e32 v10, v16, v3
	s_mov_b32 s29, 0x3fb8aa3b
	v_mul_f32_e32 v12, 0x3fb8aa3b, v10
	v_fma_f32 v16, v10, s29, -v12
	v_rndne_f32_e32 v29, v12
	v_fmamk_f32 v16, v10, 0x32a5705f, v16
	v_sub_f32_e32 v12, v12, v29
	v_add_f32_e32 v12, v12, v16
	v_exp_f32_e32 v12, v12
	v_cvt_i32_f32_e32 v16, v29
	s_mov_b32 s29, 0xc2ce8ed0
	v_cmp_ngt_f32_e32 vcc, s29, v10
	s_mov_b32 s29, 0x42b17218
	v_ldexp_f32 v12, v12, v16
	v_cndmask_b32_e32 v12, 0, v12, vcc
	v_mov_b32_e32 v16, 0x7f800000
	v_cmp_nlt_f32_e32 vcc, s29, v10
	s_mov_b32 s29, 0x3f2aaaab
	s_mov_b32 s30, 0x7f800000
	v_cndmask_b32_e32 v10, v16, v12, vcc
	v_add_f32_e32 v12, 1.0, v10
	v_add_f32_e32 v29, -1.0, v12
	v_sub_f32_e32 v30, v29, v12
	v_add_f32_e32 v30, 1.0, v30
	v_sub_f32_e32 v29, v10, v29
	v_add_f32_e32 v29, v29, v30
	v_frexp_mant_f32_e32 v32, v12
	v_cvt_f64_f32_e32 v[30:31], v12
	v_frexp_exp_i32_f64_e32 v30, v[30:31]
	v_cmp_gt_f32_e32 vcc, s29, v32
	s_mov_b32 s29, 0x3f317218
	s_nop 0
	v_subbrev_co_u32_e32 v32, vcc, 0, v30, vcc
	v_sub_u32_e32 v30, 0, v32
	v_ldexp_f32 v12, v12, v30
	v_ldexp_f32 v29, v29, v30
	v_add_f32_e32 v30, -1.0, v12
	v_add_f32_e32 v31, 1.0, v30
	v_sub_f32_e32 v31, v12, v31
	v_add_f32_e32 v34, v29, v31
	v_add_f32_e32 v31, 1.0, v12
	s_waitcnt lgkmcnt(0)
	v_add_f32_e32 v35, -1.0, v31
	v_sub_f32_e32 v12, v12, v35
	v_add_f32_e32 v12, v29, v12
	v_add_f32_e32 v29, v31, v12
	v_rcp_f32_e32 v40, v29
	v_sub_f32_e32 v31, v31, v29
	v_add_f32_e32 v12, v12, v31
	v_add_f32_e32 v31, v30, v34
	v_sub_f32_e32 v30, v30, v31
	v_mul_f32_e32 v42, v31, v40
	v_add_f32_e32 v41, v34, v30
	v_mul_f32_e32 v34, v29, v42
	v_fma_f32 v36, v42, v29, -v34
	v_fmac_f32_e32 v36, v42, v12
	v_add_f32_e32 v30, v34, v36
	v_sub_f32_e32 v35, v31, v30
	v_pk_add_f32 v[38:39], v[30:31], v[34:35] neg_lo:[0,1] neg_hi:[0,1]
	v_mov_b32_e32 v37, v30
	v_pk_add_f32 v[30:31], v[38:39], v[36:37] neg_lo:[0,1] neg_hi:[0,1]
	v_cmp_neq_f32_e32 vcc, s30, v10
	v_add_f32_e32 v31, v41, v31
	v_add_f32_e32 v30, v30, v31
	;; [unrolled: 1-line block ×3, first 2 shown]
	v_mul_f32_e32 v41, v40, v31
	v_mul_f32_e32 v34, v29, v41
	v_fma_f32 v36, v41, v29, -v34
	v_fmac_f32_e32 v36, v41, v12
	v_sub_f32_e32 v12, v35, v31
	v_add_f32_e32 v12, v30, v12
	v_add_f32_e32 v30, v34, v36
	v_sub_f32_e32 v35, v31, v30
	v_pk_add_f32 v[38:39], v[30:31], v[34:35] neg_lo:[0,1] neg_hi:[0,1]
	v_mov_b32_e32 v37, v30
	v_pk_add_f32 v[30:31], v[38:39], v[36:37] neg_lo:[0,1] neg_hi:[0,1]
	v_add_f32_e32 v29, v42, v41
	v_add_f32_e32 v12, v12, v31
	;; [unrolled: 1-line block ×4, first 2 shown]
	v_sub_f32_e32 v30, v29, v42
	v_mul_f32_e32 v12, v40, v12
	v_sub_f32_e32 v30, v41, v30
	v_add_f32_e32 v12, v30, v12
	v_add_f32_e32 v30, v29, v12
	v_cvt_f32_i32_e32 v34, v32
	v_mul_f32_e32 v35, v30, v30
	v_mov_b32_e32 v31, 0x3ecc95a3
	v_fmac_f32_e32 v31, 0x3e9b6dac, v35
	v_fmaak_f32 v31, v35, v31, 0x3f2aaada
	v_sub_f32_e32 v29, v30, v29
	v_ldexp_f32 v37, v30, 1
	v_mul_f32_e32 v35, v30, v35
	v_mov_b32_e32 v30, 0x3f317218
	v_pk_mul_f32 v[30:31], v[34:35], v[30:31]
	v_sub_f32_e32 v12, v12, v29
	v_fma_f32 v29, v34, s29, -v30
	v_fmamk_f32 v36, v34, 0xb102e308, v29
	v_pk_add_f32 v[34:35], v[30:31], v[36:37]
	v_ldexp_f32 v12, v12, 1
	v_sub_f32_e32 v29, v35, v37
	v_sub_f32_e32 v29, v31, v29
	v_add_f32_e32 v39, v12, v29
	v_mov_b32_e32 v38, v30
	v_pk_add_f32 v[30:31], v[34:35], v[30:31] neg_lo:[0,1] neg_hi:[0,1]
	v_pk_add_f32 v[40:41], v[34:35], v[38:39]
	v_mov_b32_e32 v37, v34
	v_mov_b32_e32 v31, v41
	v_pk_add_f32 v[42:43], v[36:37], v[30:31] neg_lo:[0,1] neg_hi:[0,1]
	v_pk_add_f32 v[30:31], v[36:37], v[30:31]
	v_mov_b32_e32 v38, v39
	v_pk_add_f32 v[36:37], v[30:31], v[34:35] op_sel:[1,0] op_sel_hi:[0,1] neg_lo:[0,1] neg_hi:[0,1]
	v_pk_add_f32 v[44:45], v[40:41], v[36:37] op_sel_hi:[1,0] neg_lo:[0,1] neg_hi:[0,1]
	v_mov_b32_e32 v40, v41
	v_mov_b32_e32 v41, v31
	v_pk_mov_b32 v[36:37], v[34:35], v[36:37] op_sel:[1,0]
	v_mov_b32_e32 v39, v34
	v_pk_add_f32 v[36:37], v[40:41], v[36:37] neg_lo:[0,1] neg_hi:[0,1]
	v_mov_b32_e32 v44, v42
	v_pk_add_f32 v[34:35], v[38:39], v[36:37] neg_lo:[0,1] neg_hi:[0,1]
	v_mov_b32_e32 v43, v31
	v_pk_add_f32 v[36:37], v[44:45], v[34:35]
	s_mov_b32 s29, 0x33800000
	v_pk_add_f32 v[38:39], v[36:37], v[36:37] op_sel:[0,1] op_sel_hi:[1,0]
	s_nop 0
	v_pk_add_f32 v[30:31], v[30:31], v[38:39] op_sel:[1,0] op_sel_hi:[0,1]
	v_mov_b32_e32 v37, v30
	v_pk_add_f32 v[40:41], v[36:37], v[42:43] neg_lo:[0,1] neg_hi:[0,1]
	v_mov_b32_e32 v35, v38
	v_sub_f32_e32 v12, v36, v40
	v_pk_add_f32 v[34:35], v[34:35], v[40:41] neg_lo:[0,1] neg_hi:[0,1]
	v_sub_f32_e32 v12, v42, v12
	v_add_f32_e32 v12, v34, v12
	v_add_f32_e32 v12, v12, v35
	;; [unrolled: 1-line block ×3, first 2 shown]
	v_cndmask_b32_e32 v12, v16, v12, vcc
	v_cmp_lt_f32_e64 vcc, |v10|, s29
	s_nop 1
	v_cndmask_b32_e32 v10, v12, v10, vcc
	v_add_f32_e32 v10, v3, v10
.LBB493_100:
	s_or_b64 exec, exec, s[0:1]
	v_bfe_u32 v3, v10, 16, 1
	s_movk_i32 s29, 0x7fff
	v_add3_u32 v3, v10, v3, s29
	v_cmp_o_f32_e32 vcc, v10, v10
	v_mov_b32_e32 v10, 0x7fc0
	s_nop 0
	v_cndmask_b32_sdwa v3, v10, v3, vcc dst_sel:DWORD dst_unused:UNUSED_PAD src0_sel:DWORD src1_sel:WORD_1
	v_lshlrev_b32_e32 v12, 16, v3
	v_max_f32_e32 v29, v12, v12
	v_min_f32_e32 v16, v29, v13
	v_cmp_u_f32_e32 vcc, v12, v12
	v_max_f32_e32 v13, v29, v13
	s_nop 0
	v_cndmask_b32_e32 v16, v16, v12, vcc
	v_cndmask_b32_e32 v13, v13, v12, vcc
	v_cndmask_b32_e64 v16, v16, v11, s[36:37]
	v_cndmask_b32_e64 v11, v13, v11, s[36:37]
	v_cmp_neq_f32_e32 vcc, v16, v11
	v_cmp_class_f32_e64 s[0:1], v16, s28
	s_or_b64 s[30:31], vcc, s[0:1]
	s_and_saveexec_b64 s[0:1], s[30:31]
	s_cbranch_execz .LBB493_102
; %bb.101:
	v_sub_f32_e32 v12, v16, v11
	s_mov_b32 s28, 0x3fb8aa3b
	v_mul_f32_e32 v13, 0x3fb8aa3b, v12
	v_fma_f32 v16, v12, s28, -v13
	v_rndne_f32_e32 v29, v13
	v_fmamk_f32 v16, v12, 0x32a5705f, v16
	v_sub_f32_e32 v13, v13, v29
	v_add_f32_e32 v13, v13, v16
	v_exp_f32_e32 v13, v13
	v_cvt_i32_f32_e32 v16, v29
	s_mov_b32 s28, 0xc2ce8ed0
	v_cmp_ngt_f32_e32 vcc, s28, v12
	s_mov_b32 s28, 0x42b17218
	v_ldexp_f32 v13, v13, v16
	v_cndmask_b32_e32 v13, 0, v13, vcc
	v_mov_b32_e32 v16, 0x7f800000
	v_cmp_nlt_f32_e32 vcc, s28, v12
	s_mov_b32 s28, 0x3f2aaaab
	s_mov_b32 s30, 0x7f800000
	v_cndmask_b32_e32 v29, v16, v13, vcc
	v_add_f32_e32 v30, 1.0, v29
	v_add_f32_e32 v12, -1.0, v30
	v_sub_f32_e32 v13, v12, v30
	v_add_f32_e32 v13, 1.0, v13
	v_sub_f32_e32 v12, v29, v12
	v_add_f32_e32 v31, v12, v13
	v_frexp_mant_f32_e32 v32, v30
	v_cvt_f64_f32_e32 v[12:13], v30
	v_frexp_exp_i32_f64_e32 v12, v[12:13]
	v_cmp_gt_f32_e32 vcc, s28, v32
	s_mov_b32 s28, 0x3f317218
	s_nop 0
	v_subbrev_co_u32_e32 v32, vcc, 0, v12, vcc
	v_sub_u32_e32 v12, 0, v32
	v_ldexp_f32 v13, v30, v12
	v_add_f32_e32 v30, -1.0, v13
	v_add_f32_e32 v34, 1.0, v13
	v_ldexp_f32 v12, v31, v12
	v_add_f32_e32 v31, 1.0, v30
	s_waitcnt lgkmcnt(0)
	v_add_f32_e32 v35, -1.0, v34
	v_sub_f32_e32 v31, v13, v31
	v_sub_f32_e32 v13, v13, v35
	v_add_f32_e32 v31, v12, v31
	v_add_f32_e32 v12, v12, v13
	;; [unrolled: 1-line block ×3, first 2 shown]
	v_rcp_f32_e32 v40, v38
	v_sub_f32_e32 v13, v34, v38
	v_add_f32_e32 v39, v12, v13
	v_add_f32_e32 v13, v30, v31
	v_mul_f32_e32 v42, v13, v40
	v_sub_f32_e32 v12, v30, v13
	v_mul_f32_e32 v30, v38, v42
	v_fma_f32 v34, v42, v38, -v30
	v_fmac_f32_e32 v34, v42, v39
	v_add_f32_e32 v41, v31, v12
	v_add_f32_e32 v12, v30, v34
	v_sub_f32_e32 v31, v13, v12
	v_pk_add_f32 v[36:37], v[12:13], v[30:31] neg_lo:[0,1] neg_hi:[0,1]
	v_mov_b32_e32 v35, v12
	v_pk_add_f32 v[12:13], v[36:37], v[34:35] neg_lo:[0,1] neg_hi:[0,1]
	v_cmp_neq_f32_e32 vcc, s30, v29
	v_add_f32_e32 v13, v41, v13
	v_add_f32_e32 v12, v12, v13
	v_add_f32_e32 v13, v31, v12
	v_mul_f32_e32 v41, v40, v13
	v_mul_f32_e32 v30, v38, v41
	v_fma_f32 v34, v41, v38, -v30
	v_fmac_f32_e32 v34, v41, v39
	v_sub_f32_e32 v31, v31, v13
	v_add_f32_e32 v38, v12, v31
	v_add_f32_e32 v12, v30, v34
	v_sub_f32_e32 v31, v13, v12
	v_pk_add_f32 v[36:37], v[12:13], v[30:31] neg_lo:[0,1] neg_hi:[0,1]
	v_mov_b32_e32 v35, v12
	v_pk_add_f32 v[12:13], v[36:37], v[34:35] neg_lo:[0,1] neg_hi:[0,1]
	v_cvt_f32_i32_e32 v30, v32
	v_add_f32_e32 v13, v38, v13
	v_add_f32_e32 v12, v12, v13
	;; [unrolled: 1-line block ×4, first 2 shown]
	v_sub_f32_e32 v13, v31, v42
	v_mul_f32_e32 v12, v40, v12
	v_sub_f32_e32 v13, v41, v13
	v_add_f32_e32 v12, v13, v12
	v_add_f32_e32 v34, v31, v12
	v_mul_f32_e32 v36, v34, v34
	v_mov_b32_e32 v13, 0x3ecc95a3
	v_sub_f32_e32 v31, v34, v31
	v_fmac_f32_e32 v13, 0x3e9b6dac, v36
	v_sub_f32_e32 v12, v12, v31
	v_fmaak_f32 v13, v36, v13, 0x3f2aaada
	v_ldexp_f32 v32, v12, 1
	v_mul_f32_e32 v31, v34, v36
	v_mov_b32_e32 v12, 0x3f317218
	v_pk_mul_f32 v[12:13], v[30:31], v[12:13]
	v_ldexp_f32 v35, v34, 1
	v_fma_f32 v31, v30, s28, -v12
	v_fmamk_f32 v34, v30, 0xb102e308, v31
	v_pk_add_f32 v[30:31], v[12:13], v[34:35]
	v_mov_b32_e32 v36, v12
	v_sub_f32_e32 v35, v31, v35
	v_sub_f32_e32 v35, v13, v35
	v_add_f32_e32 v37, v32, v35
	v_pk_add_f32 v[12:13], v[30:31], v[12:13] neg_lo:[0,1] neg_hi:[0,1]
	v_pk_add_f32 v[38:39], v[30:31], v[36:37]
	v_mov_b32_e32 v35, v30
	v_mov_b32_e32 v13, v39
	v_pk_add_f32 v[40:41], v[34:35], v[12:13] neg_lo:[0,1] neg_hi:[0,1]
	v_pk_add_f32 v[12:13], v[34:35], v[12:13]
	v_mov_b32_e32 v36, v37
	v_pk_add_f32 v[34:35], v[12:13], v[30:31] op_sel:[1,0] op_sel_hi:[0,1] neg_lo:[0,1] neg_hi:[0,1]
	v_pk_add_f32 v[42:43], v[38:39], v[34:35] op_sel_hi:[1,0] neg_lo:[0,1] neg_hi:[0,1]
	v_mov_b32_e32 v38, v39
	v_mov_b32_e32 v39, v13
	v_pk_mov_b32 v[34:35], v[30:31], v[34:35] op_sel:[1,0]
	v_mov_b32_e32 v37, v30
	v_pk_add_f32 v[34:35], v[38:39], v[34:35] neg_lo:[0,1] neg_hi:[0,1]
	v_mov_b32_e32 v42, v40
	v_pk_add_f32 v[30:31], v[36:37], v[34:35] neg_lo:[0,1] neg_hi:[0,1]
	v_mov_b32_e32 v41, v13
	v_pk_add_f32 v[34:35], v[42:43], v[30:31]
	s_mov_b32 s28, 0x33800000
	v_pk_add_f32 v[36:37], v[34:35], v[34:35] op_sel:[0,1] op_sel_hi:[1,0]
	s_nop 0
	v_pk_add_f32 v[12:13], v[12:13], v[36:37] op_sel:[1,0] op_sel_hi:[0,1]
	v_mov_b32_e32 v35, v12
	v_pk_add_f32 v[38:39], v[34:35], v[40:41] neg_lo:[0,1] neg_hi:[0,1]
	v_mov_b32_e32 v31, v36
	v_sub_f32_e32 v13, v34, v38
	v_pk_add_f32 v[30:31], v[30:31], v[38:39] neg_lo:[0,1] neg_hi:[0,1]
	v_sub_f32_e32 v13, v40, v13
	v_add_f32_e32 v13, v30, v13
	v_add_f32_e32 v13, v13, v31
	;; [unrolled: 1-line block ×3, first 2 shown]
	v_cndmask_b32_e32 v12, v16, v12, vcc
	v_cmp_lt_f32_e64 vcc, |v29|, s28
	s_nop 1
	v_cndmask_b32_e32 v12, v12, v29, vcc
	v_add_f32_e32 v12, v11, v12
.LBB493_102:
	s_or_b64 exec, exec, s[0:1]
	v_bfe_u32 v11, v12, 16, 1
	v_add3_u32 v11, v12, v11, s29
	v_cmp_o_f32_e32 vcc, v12, v12
	s_movk_i32 s28, 0x1f8
	s_nop 0
	v_cndmask_b32_sdwa v10, v10, v11, vcc dst_sel:DWORD dst_unused:UNUSED_PAD src0_sel:DWORD src1_sel:WORD_1
	v_lshlrev_b32_e32 v11, 16, v10
	v_max_f32_e32 v13, v11, v11
	v_min_f32_e32 v12, v13, v15
	v_cmp_u_f32_e32 vcc, v11, v11
	v_max_f32_e32 v13, v13, v15
	s_nop 0
	v_cndmask_b32_e32 v12, v12, v11, vcc
	v_cndmask_b32_e32 v13, v13, v11, vcc
	v_cndmask_b32_e64 v12, v12, v6, s[38:39]
	v_cndmask_b32_e64 v6, v13, v6, s[38:39]
	v_cmp_neq_f32_e32 vcc, v12, v6
	v_cmp_class_f32_e64 s[0:1], v12, s28
	s_or_b64 s[30:31], vcc, s[0:1]
	s_and_saveexec_b64 s[0:1], s[30:31]
	s_cbranch_execz .LBB493_104
; %bb.103:
	v_sub_f32_e32 v11, v12, v6
	s_mov_b32 s29, 0x3fb8aa3b
	v_mul_f32_e32 v12, 0x3fb8aa3b, v11
	v_fma_f32 v13, v11, s29, -v12
	v_rndne_f32_e32 v15, v12
	v_fmamk_f32 v13, v11, 0x32a5705f, v13
	v_sub_f32_e32 v12, v12, v15
	v_add_f32_e32 v12, v12, v13
	v_exp_f32_e32 v12, v12
	v_cvt_i32_f32_e32 v13, v15
	s_mov_b32 s29, 0xc2ce8ed0
	v_cmp_ngt_f32_e32 vcc, s29, v11
	s_mov_b32 s29, 0x42b17218
	v_ldexp_f32 v12, v12, v13
	v_cndmask_b32_e32 v12, 0, v12, vcc
	v_mov_b32_e32 v15, 0x7f800000
	v_cmp_nlt_f32_e32 vcc, s29, v11
	s_mov_b32 s29, 0x3f2aaaab
	s_mov_b32 s30, 0x7f800000
	v_cndmask_b32_e32 v11, v15, v12, vcc
	v_add_f32_e32 v16, 1.0, v11
	v_add_f32_e32 v12, -1.0, v16
	v_sub_f32_e32 v13, v12, v16
	v_add_f32_e32 v13, 1.0, v13
	v_sub_f32_e32 v12, v11, v12
	v_add_f32_e32 v29, v12, v13
	v_frexp_mant_f32_e32 v30, v16
	v_cvt_f64_f32_e32 v[12:13], v16
	v_frexp_exp_i32_f64_e32 v12, v[12:13]
	v_cmp_gt_f32_e32 vcc, s29, v30
	s_mov_b32 s29, 0x3f317218
	s_nop 0
	v_subbrev_co_u32_e32 v32, vcc, 0, v12, vcc
	v_sub_u32_e32 v12, 0, v32
	v_ldexp_f32 v13, v16, v12
	v_add_f32_e32 v16, -1.0, v13
	v_add_f32_e32 v30, 1.0, v13
	v_ldexp_f32 v12, v29, v12
	v_add_f32_e32 v29, 1.0, v16
	v_add_f32_e32 v31, -1.0, v30
	v_sub_f32_e32 v29, v13, v29
	v_sub_f32_e32 v13, v13, v31
	v_add_f32_e32 v29, v12, v29
	v_add_f32_e32 v12, v12, v13
	;; [unrolled: 1-line block ×3, first 2 shown]
	v_rcp_f32_e32 v40, v38
	v_sub_f32_e32 v13, v30, v38
	v_add_f32_e32 v39, v12, v13
	v_add_f32_e32 v13, v16, v29
	v_sub_f32_e32 v12, v16, v13
	v_add_f32_e32 v16, v29, v12
	v_mul_f32_e32 v29, v13, v40
	v_mul_f32_e32 v30, v38, v29
	v_fma_f32 v34, v29, v38, -v30
	v_fmac_f32_e32 v34, v29, v39
	v_add_f32_e32 v12, v30, v34
	v_sub_f32_e32 v31, v13, v12
	v_pk_add_f32 v[36:37], v[12:13], v[30:31] neg_lo:[0,1] neg_hi:[0,1]
	s_waitcnt lgkmcnt(0)
	v_mov_b32_e32 v35, v12
	v_pk_add_f32 v[12:13], v[36:37], v[34:35] neg_lo:[0,1] neg_hi:[0,1]
	v_cmp_neq_f32_e32 vcc, s30, v11
	v_add_f32_e32 v13, v16, v13
	v_add_f32_e32 v12, v12, v13
	;; [unrolled: 1-line block ×3, first 2 shown]
	v_mul_f32_e32 v16, v40, v13
	v_mul_f32_e32 v30, v38, v16
	v_fma_f32 v34, v16, v38, -v30
	v_fmac_f32_e32 v34, v16, v39
	v_sub_f32_e32 v31, v31, v13
	v_add_f32_e32 v38, v12, v31
	v_add_f32_e32 v12, v30, v34
	v_sub_f32_e32 v31, v13, v12
	v_pk_add_f32 v[36:37], v[12:13], v[30:31] neg_lo:[0,1] neg_hi:[0,1]
	v_mov_b32_e32 v35, v12
	v_pk_add_f32 v[12:13], v[36:37], v[34:35] neg_lo:[0,1] neg_hi:[0,1]
	v_cvt_f32_i32_e32 v30, v32
	v_add_f32_e32 v13, v38, v13
	v_add_f32_e32 v12, v12, v13
	;; [unrolled: 1-line block ×4, first 2 shown]
	v_sub_f32_e32 v13, v31, v29
	v_mul_f32_e32 v12, v40, v12
	v_sub_f32_e32 v13, v16, v13
	v_add_f32_e32 v12, v13, v12
	v_add_f32_e32 v16, v31, v12
	v_mul_f32_e32 v29, v16, v16
	v_mov_b32_e32 v13, 0x3ecc95a3
	v_sub_f32_e32 v31, v16, v31
	v_fmac_f32_e32 v13, 0x3e9b6dac, v29
	v_sub_f32_e32 v12, v12, v31
	v_fmaak_f32 v13, v29, v13, 0x3f2aaada
	v_ldexp_f32 v32, v12, 1
	v_mul_f32_e32 v31, v16, v29
	v_mov_b32_e32 v12, 0x3f317218
	v_pk_mul_f32 v[12:13], v[30:31], v[12:13]
	v_ldexp_f32 v35, v16, 1
	v_fma_f32 v16, v30, s29, -v12
	v_fmamk_f32 v34, v30, 0xb102e308, v16
	v_pk_add_f32 v[30:31], v[12:13], v[34:35]
	v_mov_b32_e32 v36, v12
	v_sub_f32_e32 v16, v31, v35
	v_sub_f32_e32 v16, v13, v16
	v_add_f32_e32 v37, v32, v16
	v_pk_add_f32 v[12:13], v[30:31], v[12:13] neg_lo:[0,1] neg_hi:[0,1]
	v_pk_add_f32 v[38:39], v[30:31], v[36:37]
	v_mov_b32_e32 v35, v30
	v_mov_b32_e32 v13, v39
	v_pk_add_f32 v[40:41], v[34:35], v[12:13] neg_lo:[0,1] neg_hi:[0,1]
	v_pk_add_f32 v[12:13], v[34:35], v[12:13]
	v_mov_b32_e32 v36, v37
	v_pk_add_f32 v[34:35], v[12:13], v[30:31] op_sel:[1,0] op_sel_hi:[0,1] neg_lo:[0,1] neg_hi:[0,1]
	v_pk_add_f32 v[42:43], v[38:39], v[34:35] op_sel_hi:[1,0] neg_lo:[0,1] neg_hi:[0,1]
	v_mov_b32_e32 v38, v39
	v_mov_b32_e32 v39, v13
	v_pk_mov_b32 v[34:35], v[30:31], v[34:35] op_sel:[1,0]
	v_mov_b32_e32 v37, v30
	v_pk_add_f32 v[34:35], v[38:39], v[34:35] neg_lo:[0,1] neg_hi:[0,1]
	v_mov_b32_e32 v42, v40
	v_pk_add_f32 v[30:31], v[36:37], v[34:35] neg_lo:[0,1] neg_hi:[0,1]
	v_mov_b32_e32 v41, v13
	v_pk_add_f32 v[34:35], v[42:43], v[30:31]
	s_mov_b32 s29, 0x33800000
	v_pk_add_f32 v[36:37], v[34:35], v[34:35] op_sel:[0,1] op_sel_hi:[1,0]
	s_nop 0
	v_pk_add_f32 v[12:13], v[12:13], v[36:37] op_sel:[1,0] op_sel_hi:[0,1]
	v_mov_b32_e32 v35, v12
	v_pk_add_f32 v[38:39], v[34:35], v[40:41] neg_lo:[0,1] neg_hi:[0,1]
	v_mov_b32_e32 v31, v36
	v_sub_f32_e32 v13, v34, v38
	v_pk_add_f32 v[30:31], v[30:31], v[38:39] neg_lo:[0,1] neg_hi:[0,1]
	v_sub_f32_e32 v13, v40, v13
	v_add_f32_e32 v13, v30, v13
	v_add_f32_e32 v13, v13, v31
	v_add_f32_e32 v12, v12, v13
	v_cndmask_b32_e32 v12, v15, v12, vcc
	v_cmp_lt_f32_e64 vcc, |v11|, s29
	s_nop 1
	v_cndmask_b32_e32 v11, v12, v11, vcc
	v_add_f32_e32 v11, v6, v11
.LBB493_104:
	s_or_b64 exec, exec, s[0:1]
	v_bfe_u32 v6, v11, 16, 1
	s_movk_i32 s29, 0x7fff
	v_add3_u32 v6, v11, v6, s29
	v_cmp_o_f32_e32 vcc, v11, v11
	v_mov_b32_e32 v11, 0x7fc0
	s_nop 0
	v_cndmask_b32_sdwa v6, v11, v6, vcc dst_sel:DWORD dst_unused:UNUSED_PAD src0_sel:DWORD src1_sel:WORD_1
	v_lshlrev_b32_e32 v13, 16, v6
	v_max_f32_e32 v12, v13, v13
	v_min_f32_e32 v15, v12, v17
	v_cmp_u_f32_e32 vcc, v13, v13
	v_max_f32_e32 v12, v12, v17
	s_nop 0
	v_cndmask_b32_e32 v15, v15, v13, vcc
	v_cndmask_b32_e32 v12, v12, v13, vcc
	v_cndmask_b32_e64 v15, v15, v14, s[40:41]
	v_cndmask_b32_e64 v12, v12, v14, s[40:41]
	v_cmp_neq_f32_e32 vcc, v15, v12
	v_cmp_class_f32_e64 s[0:1], v15, s28
	s_or_b64 s[30:31], vcc, s[0:1]
	s_and_saveexec_b64 s[0:1], s[30:31]
	s_cbranch_execz .LBB493_106
; %bb.105:
	v_sub_f32_e32 v13, v15, v12
	s_mov_b32 s28, 0x3fb8aa3b
	v_mul_f32_e32 v14, 0x3fb8aa3b, v13
	v_fma_f32 v15, v13, s28, -v14
	v_rndne_f32_e32 v16, v14
	v_fmamk_f32 v15, v13, 0x32a5705f, v15
	v_sub_f32_e32 v14, v14, v16
	v_add_f32_e32 v14, v14, v15
	v_exp_f32_e32 v14, v14
	v_cvt_i32_f32_e32 v15, v16
	s_mov_b32 s28, 0xc2ce8ed0
	v_cmp_ngt_f32_e32 vcc, s28, v13
	s_mov_b32 s28, 0x42b17218
	v_ldexp_f32 v14, v14, v15
	v_cndmask_b32_e32 v14, 0, v14, vcc
	v_mov_b32_e32 v29, 0x7f800000
	v_cmp_nlt_f32_e32 vcc, s28, v13
	s_mov_b32 s28, 0x3f2aaaab
	s_mov_b32 s30, 0x7f800000
	v_cndmask_b32_e32 v13, v29, v14, vcc
	v_add_f32_e32 v16, 1.0, v13
	v_add_f32_e32 v14, -1.0, v16
	v_sub_f32_e32 v15, v14, v16
	v_add_f32_e32 v15, 1.0, v15
	v_sub_f32_e32 v14, v13, v14
	v_add_f32_e32 v17, v14, v15
	v_frexp_mant_f32_e32 v30, v16
	v_cvt_f64_f32_e32 v[14:15], v16
	v_frexp_exp_i32_f64_e32 v14, v[14:15]
	v_cmp_gt_f32_e32 vcc, s28, v30
	s_mov_b32 s28, 0x3f317218
	s_nop 0
	v_subbrev_co_u32_e32 v32, vcc, 0, v14, vcc
	v_sub_u32_e32 v14, 0, v32
	v_ldexp_f32 v15, v16, v14
	v_add_f32_e32 v16, -1.0, v15
	v_add_f32_e32 v30, 1.0, v15
	v_ldexp_f32 v14, v17, v14
	v_add_f32_e32 v17, 1.0, v16
	v_add_f32_e32 v31, -1.0, v30
	v_sub_f32_e32 v17, v15, v17
	v_sub_f32_e32 v15, v15, v31
	v_add_f32_e32 v17, v14, v17
	v_add_f32_e32 v14, v14, v15
	;; [unrolled: 1-line block ×3, first 2 shown]
	v_rcp_f32_e32 v38, v36
	v_sub_f32_e32 v15, v30, v36
	v_add_f32_e32 v37, v14, v15
	v_add_f32_e32 v15, v16, v17
	v_mul_f32_e32 v40, v15, v38
	v_sub_f32_e32 v14, v16, v15
	v_mul_f32_e32 v16, v36, v40
	v_fma_f32 v30, v40, v36, -v16
	v_fmac_f32_e32 v30, v40, v37
	v_add_f32_e32 v39, v17, v14
	v_add_f32_e32 v14, v16, v30
	v_sub_f32_e32 v17, v15, v14
	s_waitcnt lgkmcnt(0)
	v_pk_add_f32 v[34:35], v[14:15], v[16:17] neg_lo:[0,1] neg_hi:[0,1]
	v_mov_b32_e32 v31, v14
	v_pk_add_f32 v[14:15], v[34:35], v[30:31] neg_lo:[0,1] neg_hi:[0,1]
	v_cmp_neq_f32_e32 vcc, s30, v13
	v_add_f32_e32 v15, v39, v15
	v_add_f32_e32 v14, v14, v15
	;; [unrolled: 1-line block ×3, first 2 shown]
	v_mul_f32_e32 v39, v38, v15
	v_mul_f32_e32 v16, v36, v39
	v_fma_f32 v30, v39, v36, -v16
	v_fmac_f32_e32 v30, v39, v37
	v_sub_f32_e32 v17, v17, v15
	v_add_f32_e32 v36, v14, v17
	v_add_f32_e32 v14, v16, v30
	v_sub_f32_e32 v17, v15, v14
	v_pk_add_f32 v[34:35], v[14:15], v[16:17] neg_lo:[0,1] neg_hi:[0,1]
	v_mov_b32_e32 v31, v14
	v_pk_add_f32 v[14:15], v[34:35], v[30:31] neg_lo:[0,1] neg_hi:[0,1]
	v_cvt_f32_i32_e32 v16, v32
	v_add_f32_e32 v15, v36, v15
	v_add_f32_e32 v14, v14, v15
	;; [unrolled: 1-line block ×4, first 2 shown]
	v_sub_f32_e32 v15, v17, v40
	v_mul_f32_e32 v14, v38, v14
	v_sub_f32_e32 v15, v39, v15
	v_add_f32_e32 v14, v15, v14
	v_add_f32_e32 v30, v17, v14
	v_mul_f32_e32 v34, v30, v30
	v_mov_b32_e32 v15, 0x3ecc95a3
	v_sub_f32_e32 v17, v30, v17
	v_fmac_f32_e32 v15, 0x3e9b6dac, v34
	v_sub_f32_e32 v14, v14, v17
	v_fmaak_f32 v15, v34, v15, 0x3f2aaada
	v_ldexp_f32 v32, v14, 1
	v_mul_f32_e32 v17, v30, v34
	v_mov_b32_e32 v14, 0x3f317218
	v_pk_mul_f32 v[14:15], v[16:17], v[14:15]
	v_ldexp_f32 v31, v30, 1
	v_fma_f32 v17, v16, s28, -v14
	v_fmamk_f32 v30, v16, 0xb102e308, v17
	v_pk_add_f32 v[16:17], v[14:15], v[30:31]
	v_mov_b32_e32 v34, v14
	v_sub_f32_e32 v31, v17, v31
	v_sub_f32_e32 v31, v15, v31
	v_add_f32_e32 v35, v32, v31
	v_pk_add_f32 v[14:15], v[16:17], v[14:15] neg_lo:[0,1] neg_hi:[0,1]
	v_pk_add_f32 v[36:37], v[16:17], v[34:35]
	v_mov_b32_e32 v31, v16
	v_mov_b32_e32 v15, v37
	v_pk_add_f32 v[38:39], v[30:31], v[14:15] neg_lo:[0,1] neg_hi:[0,1]
	v_pk_add_f32 v[14:15], v[30:31], v[14:15]
	v_mov_b32_e32 v34, v35
	v_pk_add_f32 v[30:31], v[14:15], v[16:17] op_sel:[1,0] op_sel_hi:[0,1] neg_lo:[0,1] neg_hi:[0,1]
	v_pk_add_f32 v[40:41], v[36:37], v[30:31] op_sel_hi:[1,0] neg_lo:[0,1] neg_hi:[0,1]
	v_mov_b32_e32 v36, v37
	v_mov_b32_e32 v37, v15
	v_pk_mov_b32 v[30:31], v[16:17], v[30:31] op_sel:[1,0]
	v_mov_b32_e32 v35, v16
	v_pk_add_f32 v[30:31], v[36:37], v[30:31] neg_lo:[0,1] neg_hi:[0,1]
	v_mov_b32_e32 v40, v38
	v_pk_add_f32 v[16:17], v[34:35], v[30:31] neg_lo:[0,1] neg_hi:[0,1]
	v_mov_b32_e32 v39, v15
	v_pk_add_f32 v[30:31], v[40:41], v[16:17]
	s_mov_b32 s28, 0x33800000
	v_pk_add_f32 v[34:35], v[30:31], v[30:31] op_sel:[0,1] op_sel_hi:[1,0]
	s_nop 0
	v_pk_add_f32 v[14:15], v[14:15], v[34:35] op_sel:[1,0] op_sel_hi:[0,1]
	v_mov_b32_e32 v31, v14
	v_pk_add_f32 v[36:37], v[30:31], v[38:39] neg_lo:[0,1] neg_hi:[0,1]
	v_mov_b32_e32 v17, v34
	v_sub_f32_e32 v15, v30, v36
	v_pk_add_f32 v[16:17], v[16:17], v[36:37] neg_lo:[0,1] neg_hi:[0,1]
	v_sub_f32_e32 v15, v38, v15
	v_add_f32_e32 v15, v16, v15
	v_add_f32_e32 v15, v15, v17
	;; [unrolled: 1-line block ×3, first 2 shown]
	v_cndmask_b32_e32 v14, v29, v14, vcc
	v_cmp_lt_f32_e64 vcc, |v13|, s28
	s_nop 1
	v_cndmask_b32_e32 v13, v14, v13, vcc
	v_add_f32_e32 v13, v12, v13
.LBB493_106:
	s_or_b64 exec, exec, s[0:1]
	v_bfe_u32 v12, v13, 16, 1
	v_add3_u32 v12, v13, v12, s29
	v_cmp_o_f32_e32 vcc, v13, v13
	s_movk_i32 s28, 0x1f8
	s_nop 0
	v_cndmask_b32_sdwa v11, v11, v12, vcc dst_sel:DWORD dst_unused:UNUSED_PAD src0_sel:DWORD src1_sel:WORD_1
	v_lshlrev_b32_e32 v12, 16, v11
	v_max_f32_e32 v14, v12, v12
	v_min_f32_e32 v13, v14, v19
	v_cmp_u_f32_e32 vcc, v12, v12
	v_max_f32_e32 v14, v14, v19
	s_nop 0
	v_cndmask_b32_e32 v13, v13, v12, vcc
	v_cndmask_b32_e32 v14, v14, v12, vcc
	v_cndmask_b32_e64 v13, v13, v7, s[42:43]
	v_cndmask_b32_e64 v7, v14, v7, s[42:43]
	v_cmp_neq_f32_e32 vcc, v13, v7
	v_cmp_class_f32_e64 s[0:1], v13, s28
	s_or_b64 s[30:31], vcc, s[0:1]
	s_and_saveexec_b64 s[0:1], s[30:31]
	s_cbranch_execz .LBB493_108
; %bb.107:
	v_sub_f32_e32 v12, v13, v7
	s_mov_b32 s29, 0x3fb8aa3b
	v_mul_f32_e32 v13, 0x3fb8aa3b, v12
	v_fma_f32 v14, v12, s29, -v13
	v_rndne_f32_e32 v15, v13
	v_fmamk_f32 v14, v12, 0x32a5705f, v14
	v_sub_f32_e32 v13, v13, v15
	v_add_f32_e32 v13, v13, v14
	v_exp_f32_e32 v13, v13
	v_cvt_i32_f32_e32 v14, v15
	s_mov_b32 s29, 0xc2ce8ed0
	v_cmp_ngt_f32_e32 vcc, s29, v12
	s_mov_b32 s29, 0x42b17218
	v_ldexp_f32 v13, v13, v14
	v_cndmask_b32_e32 v13, 0, v13, vcc
	v_mov_b32_e32 v19, 0x7f800000
	v_cmp_nlt_f32_e32 vcc, s29, v12
	s_mov_b32 s29, 0x3f2aaaab
	s_mov_b32 s30, 0x7f800000
	v_cndmask_b32_e32 v29, v19, v13, vcc
	v_add_f32_e32 v14, 1.0, v29
	v_add_f32_e32 v12, -1.0, v14
	v_sub_f32_e32 v13, v12, v14
	v_add_f32_e32 v13, 1.0, v13
	v_sub_f32_e32 v12, v29, v12
	v_add_f32_e32 v15, v12, v13
	v_frexp_mant_f32_e32 v16, v14
	v_cvt_f64_f32_e32 v[12:13], v14
	v_frexp_exp_i32_f64_e32 v12, v[12:13]
	v_cmp_gt_f32_e32 vcc, s29, v16
	s_mov_b32 s29, 0x3f317218
	s_nop 0
	v_subbrev_co_u32_e32 v32, vcc, 0, v12, vcc
	v_sub_u32_e32 v12, 0, v32
	v_ldexp_f32 v13, v14, v12
	v_add_f32_e32 v14, -1.0, v13
	v_add_f32_e32 v16, 1.0, v13
	v_ldexp_f32 v12, v15, v12
	v_add_f32_e32 v15, 1.0, v14
	v_add_f32_e32 v17, -1.0, v16
	v_sub_f32_e32 v15, v13, v15
	v_sub_f32_e32 v13, v13, v17
	v_add_f32_e32 v15, v12, v15
	v_add_f32_e32 v12, v12, v13
	;; [unrolled: 1-line block ×3, first 2 shown]
	v_rcp_f32_e32 v36, v34
	v_sub_f32_e32 v13, v16, v34
	s_waitcnt lgkmcnt(0)
	v_add_f32_e32 v35, v12, v13
	v_add_f32_e32 v13, v14, v15
	v_mul_f32_e32 v38, v13, v36
	v_sub_f32_e32 v12, v14, v13
	v_mul_f32_e32 v14, v34, v38
	v_fma_f32 v16, v38, v34, -v14
	v_fmac_f32_e32 v16, v38, v35
	v_add_f32_e32 v37, v15, v12
	v_add_f32_e32 v12, v14, v16
	v_sub_f32_e32 v15, v13, v12
	v_pk_add_f32 v[30:31], v[12:13], v[14:15] neg_lo:[0,1] neg_hi:[0,1]
	v_mov_b32_e32 v17, v12
	v_pk_add_f32 v[12:13], v[30:31], v[16:17] neg_lo:[0,1] neg_hi:[0,1]
	v_cmp_neq_f32_e32 vcc, s30, v29
	v_add_f32_e32 v13, v37, v13
	v_add_f32_e32 v12, v12, v13
	;; [unrolled: 1-line block ×3, first 2 shown]
	v_mul_f32_e32 v37, v36, v13
	v_mul_f32_e32 v14, v34, v37
	v_fma_f32 v16, v37, v34, -v14
	v_fmac_f32_e32 v16, v37, v35
	v_sub_f32_e32 v15, v15, v13
	v_add_f32_e32 v34, v12, v15
	v_add_f32_e32 v12, v14, v16
	v_sub_f32_e32 v15, v13, v12
	v_pk_add_f32 v[30:31], v[12:13], v[14:15] neg_lo:[0,1] neg_hi:[0,1]
	v_mov_b32_e32 v17, v12
	v_pk_add_f32 v[12:13], v[30:31], v[16:17] neg_lo:[0,1] neg_hi:[0,1]
	v_cvt_f32_i32_e32 v14, v32
	v_add_f32_e32 v13, v34, v13
	v_add_f32_e32 v12, v12, v13
	;; [unrolled: 1-line block ×4, first 2 shown]
	v_sub_f32_e32 v13, v15, v38
	v_mul_f32_e32 v12, v36, v12
	v_sub_f32_e32 v13, v37, v13
	v_add_f32_e32 v12, v13, v12
	v_add_f32_e32 v16, v15, v12
	v_mul_f32_e32 v30, v16, v16
	v_mov_b32_e32 v13, 0x3ecc95a3
	v_sub_f32_e32 v15, v16, v15
	v_fmac_f32_e32 v13, 0x3e9b6dac, v30
	v_sub_f32_e32 v12, v12, v15
	v_fmaak_f32 v13, v30, v13, 0x3f2aaada
	v_ldexp_f32 v31, v12, 1
	v_mul_f32_e32 v15, v16, v30
	v_mov_b32_e32 v12, 0x3f317218
	v_pk_mul_f32 v[12:13], v[14:15], v[12:13]
	v_ldexp_f32 v17, v16, 1
	v_fma_f32 v15, v14, s29, -v12
	v_fmamk_f32 v16, v14, 0xb102e308, v15
	v_pk_add_f32 v[14:15], v[12:13], v[16:17]
	v_mov_b32_e32 v30, v12
	v_sub_f32_e32 v17, v15, v17
	v_sub_f32_e32 v17, v13, v17
	v_add_f32_e32 v31, v31, v17
	v_pk_add_f32 v[12:13], v[14:15], v[12:13] neg_lo:[0,1] neg_hi:[0,1]
	v_pk_add_f32 v[34:35], v[14:15], v[30:31]
	v_mov_b32_e32 v17, v14
	v_mov_b32_e32 v13, v35
	v_pk_add_f32 v[36:37], v[16:17], v[12:13] neg_lo:[0,1] neg_hi:[0,1]
	v_pk_add_f32 v[12:13], v[16:17], v[12:13]
	v_mov_b32_e32 v30, v31
	v_pk_add_f32 v[16:17], v[12:13], v[14:15] op_sel:[1,0] op_sel_hi:[0,1] neg_lo:[0,1] neg_hi:[0,1]
	v_pk_add_f32 v[38:39], v[34:35], v[16:17] op_sel_hi:[1,0] neg_lo:[0,1] neg_hi:[0,1]
	v_mov_b32_e32 v34, v35
	v_mov_b32_e32 v35, v13
	v_pk_mov_b32 v[16:17], v[14:15], v[16:17] op_sel:[1,0]
	v_mov_b32_e32 v31, v14
	v_pk_add_f32 v[16:17], v[34:35], v[16:17] neg_lo:[0,1] neg_hi:[0,1]
	v_mov_b32_e32 v38, v36
	v_pk_add_f32 v[14:15], v[30:31], v[16:17] neg_lo:[0,1] neg_hi:[0,1]
	v_mov_b32_e32 v37, v13
	v_pk_add_f32 v[16:17], v[38:39], v[14:15]
	s_mov_b32 s29, 0x33800000
	v_pk_add_f32 v[30:31], v[16:17], v[16:17] op_sel:[0,1] op_sel_hi:[1,0]
	s_nop 0
	v_pk_add_f32 v[12:13], v[12:13], v[30:31] op_sel:[1,0] op_sel_hi:[0,1]
	v_mov_b32_e32 v17, v12
	v_pk_add_f32 v[34:35], v[16:17], v[36:37] neg_lo:[0,1] neg_hi:[0,1]
	v_mov_b32_e32 v15, v30
	v_sub_f32_e32 v13, v16, v34
	v_pk_add_f32 v[14:15], v[14:15], v[34:35] neg_lo:[0,1] neg_hi:[0,1]
	v_sub_f32_e32 v13, v36, v13
	v_add_f32_e32 v13, v14, v13
	v_add_f32_e32 v13, v13, v15
	;; [unrolled: 1-line block ×3, first 2 shown]
	v_cndmask_b32_e32 v12, v19, v12, vcc
	v_cmp_lt_f32_e64 vcc, |v29|, s29
	s_nop 1
	v_cndmask_b32_e32 v12, v12, v29, vcc
	v_add_f32_e32 v12, v7, v12
.LBB493_108:
	s_or_b64 exec, exec, s[0:1]
	v_bfe_u32 v7, v12, 16, 1
	s_movk_i32 s29, 0x7fff
	v_add3_u32 v7, v12, v7, s29
	v_cmp_o_f32_e32 vcc, v12, v12
	v_mov_b32_e32 v12, 0x7fc0
	s_nop 0
	v_cndmask_b32_sdwa v7, v12, v7, vcc dst_sel:DWORD dst_unused:UNUSED_PAD src0_sel:DWORD src1_sel:WORD_1
	v_lshlrev_b32_e32 v14, 16, v7
	v_max_f32_e32 v13, v14, v14
	v_min_f32_e32 v15, v13, v20
	v_cmp_u_f32_e32 vcc, v14, v14
	v_max_f32_e32 v13, v13, v20
	s_nop 0
	v_cndmask_b32_e32 v15, v15, v14, vcc
	v_cndmask_b32_e32 v13, v13, v14, vcc
	v_cndmask_b32_e64 v15, v15, v18, s[44:45]
	v_cndmask_b32_e64 v13, v13, v18, s[44:45]
	v_cmp_neq_f32_e32 vcc, v15, v13
	v_cmp_class_f32_e64 s[0:1], v15, s28
	s_or_b64 s[30:31], vcc, s[0:1]
	s_and_saveexec_b64 s[0:1], s[30:31]
	s_cbranch_execz .LBB493_110
; %bb.109:
	v_sub_f32_e32 v14, v15, v13
	s_mov_b32 s28, 0x3fb8aa3b
	v_mul_f32_e32 v15, 0x3fb8aa3b, v14
	v_fma_f32 v16, v14, s28, -v15
	v_rndne_f32_e32 v17, v15
	v_fmamk_f32 v16, v14, 0x32a5705f, v16
	v_sub_f32_e32 v15, v15, v17
	v_add_f32_e32 v15, v15, v16
	v_exp_f32_e32 v15, v15
	v_cvt_i32_f32_e32 v16, v17
	s_mov_b32 s28, 0xc2ce8ed0
	v_cmp_ngt_f32_e32 vcc, s28, v14
	s_mov_b32 s28, 0x42b17218
	v_ldexp_f32 v15, v15, v16
	v_cndmask_b32_e32 v15, 0, v15, vcc
	v_mov_b32_e32 v20, 0x7f800000
	v_cmp_nlt_f32_e32 vcc, s28, v14
	s_mov_b32 s28, 0x3f2aaaab
	s_mov_b32 s30, 0x7f800000
	v_cndmask_b32_e32 v29, v20, v15, vcc
	v_add_f32_e32 v16, 1.0, v29
	v_add_f32_e32 v14, -1.0, v16
	v_sub_f32_e32 v15, v14, v16
	v_add_f32_e32 v15, 1.0, v15
	v_sub_f32_e32 v14, v29, v14
	v_add_f32_e32 v17, v14, v15
	v_frexp_mant_f32_e32 v18, v16
	v_cvt_f64_f32_e32 v[14:15], v16
	v_frexp_exp_i32_f64_e32 v14, v[14:15]
	v_cmp_gt_f32_e32 vcc, s28, v18
	s_mov_b32 s28, 0x3f317218
	s_nop 0
	v_subbrev_co_u32_e32 v32, vcc, 0, v14, vcc
	v_sub_u32_e32 v14, 0, v32
	v_ldexp_f32 v15, v16, v14
	v_add_f32_e32 v16, -1.0, v15
	v_add_f32_e32 v18, 1.0, v15
	v_ldexp_f32 v14, v17, v14
	v_add_f32_e32 v17, 1.0, v16
	v_add_f32_e32 v19, -1.0, v18
	v_sub_f32_e32 v17, v15, v17
	v_sub_f32_e32 v15, v15, v19
	v_add_f32_e32 v17, v14, v17
	v_add_f32_e32 v14, v14, v15
	;; [unrolled: 1-line block ×3, first 2 shown]
	v_rcp_f32_e32 v36, v34
	v_sub_f32_e32 v15, v18, v34
	s_waitcnt lgkmcnt(0)
	v_add_f32_e32 v35, v14, v15
	v_add_f32_e32 v15, v16, v17
	v_mul_f32_e32 v38, v15, v36
	v_sub_f32_e32 v14, v16, v15
	v_mul_f32_e32 v16, v34, v38
	v_fma_f32 v18, v38, v34, -v16
	v_fmac_f32_e32 v18, v38, v35
	v_add_f32_e32 v37, v17, v14
	v_add_f32_e32 v14, v16, v18
	v_sub_f32_e32 v17, v15, v14
	v_pk_add_f32 v[30:31], v[14:15], v[16:17] neg_lo:[0,1] neg_hi:[0,1]
	v_mov_b32_e32 v19, v14
	v_pk_add_f32 v[14:15], v[30:31], v[18:19] neg_lo:[0,1] neg_hi:[0,1]
	v_cmp_neq_f32_e32 vcc, s30, v29
	v_add_f32_e32 v15, v37, v15
	v_add_f32_e32 v14, v14, v15
	v_add_f32_e32 v15, v17, v14
	v_mul_f32_e32 v37, v36, v15
	v_mul_f32_e32 v16, v34, v37
	v_fma_f32 v18, v37, v34, -v16
	v_fmac_f32_e32 v18, v37, v35
	v_sub_f32_e32 v17, v17, v15
	v_add_f32_e32 v34, v14, v17
	v_add_f32_e32 v14, v16, v18
	v_sub_f32_e32 v17, v15, v14
	v_pk_add_f32 v[30:31], v[14:15], v[16:17] neg_lo:[0,1] neg_hi:[0,1]
	v_mov_b32_e32 v19, v14
	v_pk_add_f32 v[14:15], v[30:31], v[18:19] neg_lo:[0,1] neg_hi:[0,1]
	v_cvt_f32_i32_e32 v16, v32
	v_add_f32_e32 v15, v34, v15
	v_add_f32_e32 v14, v14, v15
	v_add_f32_e32 v14, v17, v14
	v_add_f32_e32 v17, v38, v37
	v_sub_f32_e32 v15, v17, v38
	v_mul_f32_e32 v14, v36, v14
	v_sub_f32_e32 v15, v37, v15
	v_add_f32_e32 v14, v15, v14
	v_add_f32_e32 v18, v17, v14
	v_mul_f32_e32 v30, v18, v18
	v_mov_b32_e32 v15, 0x3ecc95a3
	v_sub_f32_e32 v17, v18, v17
	v_fmac_f32_e32 v15, 0x3e9b6dac, v30
	v_sub_f32_e32 v14, v14, v17
	v_fmaak_f32 v15, v30, v15, 0x3f2aaada
	v_ldexp_f32 v31, v14, 1
	v_mul_f32_e32 v17, v18, v30
	v_mov_b32_e32 v14, 0x3f317218
	v_pk_mul_f32 v[14:15], v[16:17], v[14:15]
	v_ldexp_f32 v19, v18, 1
	v_fma_f32 v17, v16, s28, -v14
	v_fmamk_f32 v18, v16, 0xb102e308, v17
	v_pk_add_f32 v[16:17], v[14:15], v[18:19]
	v_mov_b32_e32 v30, v14
	v_sub_f32_e32 v19, v17, v19
	v_sub_f32_e32 v19, v15, v19
	v_add_f32_e32 v31, v31, v19
	v_pk_add_f32 v[14:15], v[16:17], v[14:15] neg_lo:[0,1] neg_hi:[0,1]
	v_pk_add_f32 v[34:35], v[16:17], v[30:31]
	v_mov_b32_e32 v19, v16
	v_mov_b32_e32 v15, v35
	v_pk_add_f32 v[36:37], v[18:19], v[14:15] neg_lo:[0,1] neg_hi:[0,1]
	v_pk_add_f32 v[14:15], v[18:19], v[14:15]
	v_mov_b32_e32 v30, v31
	v_pk_add_f32 v[18:19], v[14:15], v[16:17] op_sel:[1,0] op_sel_hi:[0,1] neg_lo:[0,1] neg_hi:[0,1]
	v_pk_add_f32 v[38:39], v[34:35], v[18:19] op_sel_hi:[1,0] neg_lo:[0,1] neg_hi:[0,1]
	v_mov_b32_e32 v34, v35
	v_mov_b32_e32 v35, v15
	v_pk_mov_b32 v[18:19], v[16:17], v[18:19] op_sel:[1,0]
	v_mov_b32_e32 v31, v16
	v_pk_add_f32 v[18:19], v[34:35], v[18:19] neg_lo:[0,1] neg_hi:[0,1]
	v_mov_b32_e32 v38, v36
	v_pk_add_f32 v[16:17], v[30:31], v[18:19] neg_lo:[0,1] neg_hi:[0,1]
	v_mov_b32_e32 v37, v15
	v_pk_add_f32 v[18:19], v[38:39], v[16:17]
	s_mov_b32 s28, 0x33800000
	v_pk_add_f32 v[30:31], v[18:19], v[18:19] op_sel:[0,1] op_sel_hi:[1,0]
	s_nop 0
	v_pk_add_f32 v[14:15], v[14:15], v[30:31] op_sel:[1,0] op_sel_hi:[0,1]
	v_mov_b32_e32 v19, v14
	v_pk_add_f32 v[34:35], v[18:19], v[36:37] neg_lo:[0,1] neg_hi:[0,1]
	v_mov_b32_e32 v17, v30
	v_sub_f32_e32 v15, v18, v34
	v_pk_add_f32 v[16:17], v[16:17], v[34:35] neg_lo:[0,1] neg_hi:[0,1]
	v_sub_f32_e32 v15, v36, v15
	v_add_f32_e32 v15, v16, v15
	v_add_f32_e32 v15, v15, v17
	;; [unrolled: 1-line block ×3, first 2 shown]
	v_cndmask_b32_e32 v14, v20, v14, vcc
	v_cmp_lt_f32_e64 vcc, |v29|, s28
	s_nop 1
	v_cndmask_b32_e32 v14, v14, v29, vcc
	v_add_f32_e32 v14, v13, v14
.LBB493_110:
	s_or_b64 exec, exec, s[0:1]
	v_bfe_u32 v13, v14, 16, 1
	v_add3_u32 v13, v14, v13, s29
	v_cmp_o_f32_e32 vcc, v14, v14
	s_movk_i32 s28, 0x1f8
	s_nop 0
	v_cndmask_b32_sdwa v12, v12, v13, vcc dst_sel:DWORD dst_unused:UNUSED_PAD src0_sel:DWORD src1_sel:WORD_1
	v_lshlrev_b32_e32 v13, 16, v12
	v_max_f32_e32 v15, v13, v13
	v_min_f32_e32 v14, v15, v22
	v_cmp_u_f32_e32 vcc, v13, v13
	v_max_f32_e32 v15, v15, v22
	s_nop 0
	v_cndmask_b32_e32 v14, v14, v13, vcc
	v_cndmask_b32_e32 v15, v15, v13, vcc
	v_cndmask_b32_e64 v14, v14, v4, s[46:47]
	v_cndmask_b32_e64 v4, v15, v4, s[46:47]
	v_cmp_neq_f32_e32 vcc, v14, v4
	v_cmp_class_f32_e64 s[0:1], v14, s28
	s_or_b64 s[30:31], vcc, s[0:1]
	s_and_saveexec_b64 s[0:1], s[30:31]
	s_cbranch_execz .LBB493_112
; %bb.111:
	v_sub_f32_e32 v13, v14, v4
	s_mov_b32 s29, 0x3fb8aa3b
	v_mul_f32_e32 v14, 0x3fb8aa3b, v13
	v_fma_f32 v15, v13, s29, -v14
	v_rndne_f32_e32 v16, v14
	v_fmamk_f32 v15, v13, 0x32a5705f, v15
	v_sub_f32_e32 v14, v14, v16
	v_add_f32_e32 v14, v14, v15
	v_exp_f32_e32 v14, v14
	v_cvt_i32_f32_e32 v15, v16
	s_mov_b32 s29, 0xc2ce8ed0
	v_cmp_ngt_f32_e32 vcc, s29, v13
	s_mov_b32 s29, 0x42b17218
	v_ldexp_f32 v14, v14, v15
	v_cndmask_b32_e32 v14, 0, v14, vcc
	v_mov_b32_e32 v20, 0x7f800000
	v_cmp_nlt_f32_e32 vcc, s29, v13
	s_mov_b32 s29, 0x3f2aaaab
	s_mov_b32 s30, 0x7f800000
	v_cndmask_b32_e32 v13, v20, v14, vcc
	v_add_f32_e32 v16, 1.0, v13
	v_add_f32_e32 v14, -1.0, v16
	v_sub_f32_e32 v15, v14, v16
	v_add_f32_e32 v15, 1.0, v15
	v_sub_f32_e32 v14, v13, v14
	v_add_f32_e32 v17, v14, v15
	v_frexp_mant_f32_e32 v18, v16
	v_cvt_f64_f32_e32 v[14:15], v16
	v_frexp_exp_i32_f64_e32 v14, v[14:15]
	v_cmp_gt_f32_e32 vcc, s29, v18
	s_mov_b32 s29, 0x3f317218
	s_nop 0
	v_subbrev_co_u32_e32 v22, vcc, 0, v14, vcc
	v_sub_u32_e32 v14, 0, v22
	v_ldexp_f32 v15, v16, v14
	v_add_f32_e32 v16, -1.0, v15
	v_add_f32_e32 v18, 1.0, v15
	v_ldexp_f32 v14, v17, v14
	v_add_f32_e32 v17, 1.0, v16
	v_add_f32_e32 v19, -1.0, v18
	v_sub_f32_e32 v17, v15, v17
	v_sub_f32_e32 v15, v15, v19
	v_add_f32_e32 v17, v14, v17
	v_add_f32_e32 v14, v14, v15
	;; [unrolled: 1-line block ×3, first 2 shown]
	v_rcp_f32_e32 v34, v29
	v_sub_f32_e32 v15, v18, v29
	v_add_f32_e32 v32, v14, v15
	v_add_f32_e32 v15, v16, v17
	v_mul_f32_e32 v36, v15, v34
	v_sub_f32_e32 v14, v16, v15
	v_mul_f32_e32 v16, v29, v36
	v_fma_f32 v18, v36, v29, -v16
	v_fmac_f32_e32 v18, v36, v32
	s_waitcnt lgkmcnt(0)
	v_add_f32_e32 v35, v17, v14
	v_add_f32_e32 v14, v16, v18
	v_sub_f32_e32 v17, v15, v14
	v_pk_add_f32 v[30:31], v[14:15], v[16:17] neg_lo:[0,1] neg_hi:[0,1]
	v_mov_b32_e32 v19, v14
	v_pk_add_f32 v[14:15], v[30:31], v[18:19] neg_lo:[0,1] neg_hi:[0,1]
	v_cmp_neq_f32_e32 vcc, s30, v13
	v_add_f32_e32 v15, v35, v15
	v_add_f32_e32 v14, v14, v15
	;; [unrolled: 1-line block ×3, first 2 shown]
	v_mul_f32_e32 v35, v34, v15
	v_mul_f32_e32 v16, v29, v35
	v_fma_f32 v18, v35, v29, -v16
	v_fmac_f32_e32 v18, v35, v32
	v_sub_f32_e32 v17, v17, v15
	v_add_f32_e32 v29, v14, v17
	v_add_f32_e32 v14, v16, v18
	v_sub_f32_e32 v17, v15, v14
	v_pk_add_f32 v[30:31], v[14:15], v[16:17] neg_lo:[0,1] neg_hi:[0,1]
	v_mov_b32_e32 v19, v14
	v_pk_add_f32 v[14:15], v[30:31], v[18:19] neg_lo:[0,1] neg_hi:[0,1]
	v_cvt_f32_i32_e32 v16, v22
	v_add_f32_e32 v15, v29, v15
	v_add_f32_e32 v14, v14, v15
	;; [unrolled: 1-line block ×4, first 2 shown]
	v_sub_f32_e32 v15, v17, v36
	v_mul_f32_e32 v14, v34, v14
	v_sub_f32_e32 v15, v35, v15
	v_add_f32_e32 v14, v15, v14
	v_add_f32_e32 v18, v17, v14
	v_mul_f32_e32 v29, v18, v18
	v_mov_b32_e32 v15, 0x3ecc95a3
	v_sub_f32_e32 v17, v18, v17
	v_fmac_f32_e32 v15, 0x3e9b6dac, v29
	v_sub_f32_e32 v14, v14, v17
	v_fmaak_f32 v15, v29, v15, 0x3f2aaada
	v_ldexp_f32 v22, v14, 1
	v_mul_f32_e32 v17, v18, v29
	v_mov_b32_e32 v14, 0x3f317218
	v_pk_mul_f32 v[14:15], v[16:17], v[14:15]
	v_ldexp_f32 v19, v18, 1
	v_fma_f32 v17, v16, s29, -v14
	v_fmamk_f32 v18, v16, 0xb102e308, v17
	v_pk_add_f32 v[16:17], v[14:15], v[18:19]
	v_mov_b32_e32 v30, v14
	v_sub_f32_e32 v19, v17, v19
	v_sub_f32_e32 v19, v15, v19
	v_add_f32_e32 v31, v22, v19
	v_pk_add_f32 v[14:15], v[16:17], v[14:15] neg_lo:[0,1] neg_hi:[0,1]
	v_pk_add_f32 v[34:35], v[16:17], v[30:31]
	v_mov_b32_e32 v19, v16
	v_mov_b32_e32 v15, v35
	v_pk_add_f32 v[36:37], v[18:19], v[14:15] neg_lo:[0,1] neg_hi:[0,1]
	v_pk_add_f32 v[14:15], v[18:19], v[14:15]
	v_mov_b32_e32 v30, v31
	v_pk_add_f32 v[18:19], v[14:15], v[16:17] op_sel:[1,0] op_sel_hi:[0,1] neg_lo:[0,1] neg_hi:[0,1]
	v_pk_add_f32 v[38:39], v[34:35], v[18:19] op_sel_hi:[1,0] neg_lo:[0,1] neg_hi:[0,1]
	v_mov_b32_e32 v34, v35
	v_mov_b32_e32 v35, v15
	v_pk_mov_b32 v[18:19], v[16:17], v[18:19] op_sel:[1,0]
	v_mov_b32_e32 v31, v16
	v_pk_add_f32 v[18:19], v[34:35], v[18:19] neg_lo:[0,1] neg_hi:[0,1]
	v_mov_b32_e32 v38, v36
	v_pk_add_f32 v[16:17], v[30:31], v[18:19] neg_lo:[0,1] neg_hi:[0,1]
	v_mov_b32_e32 v37, v15
	v_pk_add_f32 v[18:19], v[38:39], v[16:17]
	s_mov_b32 s29, 0x33800000
	v_pk_add_f32 v[30:31], v[18:19], v[18:19] op_sel:[0,1] op_sel_hi:[1,0]
	s_nop 0
	v_pk_add_f32 v[14:15], v[14:15], v[30:31] op_sel:[1,0] op_sel_hi:[0,1]
	v_mov_b32_e32 v19, v14
	v_pk_add_f32 v[34:35], v[18:19], v[36:37] neg_lo:[0,1] neg_hi:[0,1]
	v_mov_b32_e32 v17, v30
	v_sub_f32_e32 v15, v18, v34
	v_pk_add_f32 v[16:17], v[16:17], v[34:35] neg_lo:[0,1] neg_hi:[0,1]
	v_sub_f32_e32 v15, v36, v15
	v_add_f32_e32 v15, v16, v15
	v_add_f32_e32 v15, v15, v17
	;; [unrolled: 1-line block ×3, first 2 shown]
	v_cndmask_b32_e32 v14, v20, v14, vcc
	v_cmp_lt_f32_e64 vcc, |v13|, s29
	s_nop 1
	v_cndmask_b32_e32 v13, v14, v13, vcc
	v_add_f32_e32 v13, v4, v13
.LBB493_112:
	s_or_b64 exec, exec, s[0:1]
	v_bfe_u32 v4, v13, 16, 1
	s_movk_i32 s29, 0x7fff
	v_add3_u32 v4, v13, v4, s29
	v_cmp_o_f32_e32 vcc, v13, v13
	v_mov_b32_e32 v13, 0x7fc0
	s_nop 0
	v_cndmask_b32_sdwa v4, v13, v4, vcc dst_sel:DWORD dst_unused:UNUSED_PAD src0_sel:DWORD src1_sel:WORD_1
	v_lshlrev_b32_e32 v15, 16, v4
	v_max_f32_e32 v14, v15, v15
	v_min_f32_e32 v16, v14, v23
	v_cmp_u_f32_e32 vcc, v15, v15
	v_max_f32_e32 v14, v14, v23
	s_nop 0
	v_cndmask_b32_e32 v16, v16, v15, vcc
	v_cndmask_b32_e32 v14, v14, v15, vcc
	v_cndmask_b32_e64 v16, v16, v21, s[48:49]
	v_cndmask_b32_e64 v14, v14, v21, s[48:49]
	v_cmp_neq_f32_e32 vcc, v16, v14
	v_cmp_class_f32_e64 s[0:1], v16, s28
	s_or_b64 s[30:31], vcc, s[0:1]
	s_and_saveexec_b64 s[0:1], s[30:31]
	s_cbranch_execz .LBB493_114
; %bb.113:
	v_sub_f32_e32 v15, v16, v14
	s_mov_b32 s28, 0x3fb8aa3b
	v_mul_f32_e32 v16, 0x3fb8aa3b, v15
	v_fma_f32 v17, v15, s28, -v16
	v_rndne_f32_e32 v18, v16
	v_fmamk_f32 v17, v15, 0x32a5705f, v17
	v_sub_f32_e32 v16, v16, v18
	v_add_f32_e32 v16, v16, v17
	v_exp_f32_e32 v16, v16
	v_cvt_i32_f32_e32 v17, v18
	s_mov_b32 s28, 0xc2ce8ed0
	v_cmp_ngt_f32_e32 vcc, s28, v15
	s_mov_b32 s28, 0x42b17218
	v_ldexp_f32 v16, v16, v17
	v_cndmask_b32_e32 v16, 0, v16, vcc
	v_mov_b32_e32 v29, 0x7f800000
	v_cmp_nlt_f32_e32 vcc, s28, v15
	s_mov_b32 s28, 0x3f2aaaab
	s_mov_b32 s30, 0x7f800000
	v_cndmask_b32_e32 v15, v29, v16, vcc
	v_add_f32_e32 v18, 1.0, v15
	v_add_f32_e32 v16, -1.0, v18
	v_sub_f32_e32 v17, v16, v18
	v_add_f32_e32 v17, 1.0, v17
	v_sub_f32_e32 v16, v15, v16
	v_add_f32_e32 v19, v16, v17
	v_frexp_mant_f32_e32 v20, v18
	v_cvt_f64_f32_e32 v[16:17], v18
	v_frexp_exp_i32_f64_e32 v16, v[16:17]
	v_cmp_gt_f32_e32 vcc, s28, v20
	s_mov_b32 s28, 0x3f317218
	s_nop 0
	v_subbrev_co_u32_e32 v30, vcc, 0, v16, vcc
	v_sub_u32_e32 v16, 0, v30
	v_ldexp_f32 v17, v18, v16
	v_add_f32_e32 v18, -1.0, v17
	v_add_f32_e32 v20, 1.0, v17
	v_ldexp_f32 v16, v19, v16
	v_add_f32_e32 v19, 1.0, v18
	v_add_f32_e32 v21, -1.0, v20
	v_sub_f32_e32 v19, v17, v19
	v_sub_f32_e32 v17, v17, v21
	v_add_f32_e32 v19, v16, v19
	v_add_f32_e32 v16, v16, v17
	;; [unrolled: 1-line block ×3, first 2 shown]
	v_rcp_f32_e32 v34, v31
	v_sub_f32_e32 v17, v20, v31
	v_add_f32_e32 v32, v16, v17
	v_add_f32_e32 v17, v18, v19
	v_mul_f32_e32 v36, v17, v34
	v_sub_f32_e32 v16, v18, v17
	v_mul_f32_e32 v18, v31, v36
	v_fma_f32 v20, v36, v31, -v18
	v_fmac_f32_e32 v20, v36, v32
	s_waitcnt lgkmcnt(0)
	v_add_f32_e32 v35, v19, v16
	v_add_f32_e32 v16, v18, v20
	v_sub_f32_e32 v19, v17, v16
	v_pk_add_f32 v[22:23], v[16:17], v[18:19] neg_lo:[0,1] neg_hi:[0,1]
	v_mov_b32_e32 v21, v16
	v_pk_add_f32 v[16:17], v[22:23], v[20:21] neg_lo:[0,1] neg_hi:[0,1]
	v_cmp_neq_f32_e32 vcc, s30, v15
	v_add_f32_e32 v17, v35, v17
	v_add_f32_e32 v16, v16, v17
	;; [unrolled: 1-line block ×3, first 2 shown]
	v_mul_f32_e32 v35, v34, v17
	v_mul_f32_e32 v18, v31, v35
	v_fma_f32 v20, v35, v31, -v18
	v_fmac_f32_e32 v20, v35, v32
	v_sub_f32_e32 v19, v19, v17
	v_add_f32_e32 v31, v16, v19
	v_add_f32_e32 v16, v18, v20
	v_sub_f32_e32 v19, v17, v16
	v_pk_add_f32 v[22:23], v[16:17], v[18:19] neg_lo:[0,1] neg_hi:[0,1]
	v_mov_b32_e32 v21, v16
	v_pk_add_f32 v[16:17], v[22:23], v[20:21] neg_lo:[0,1] neg_hi:[0,1]
	v_cvt_f32_i32_e32 v18, v30
	v_add_f32_e32 v17, v31, v17
	v_add_f32_e32 v16, v16, v17
	;; [unrolled: 1-line block ×4, first 2 shown]
	v_sub_f32_e32 v17, v19, v36
	v_mul_f32_e32 v16, v34, v16
	v_sub_f32_e32 v17, v35, v17
	v_add_f32_e32 v16, v17, v16
	v_add_f32_e32 v20, v19, v16
	v_mul_f32_e32 v22, v20, v20
	v_mov_b32_e32 v17, 0x3ecc95a3
	v_sub_f32_e32 v19, v20, v19
	v_fmac_f32_e32 v17, 0x3e9b6dac, v22
	v_sub_f32_e32 v16, v16, v19
	v_fmaak_f32 v17, v22, v17, 0x3f2aaada
	v_ldexp_f32 v23, v16, 1
	v_mul_f32_e32 v19, v20, v22
	v_mov_b32_e32 v16, 0x3f317218
	v_pk_mul_f32 v[16:17], v[18:19], v[16:17]
	v_ldexp_f32 v21, v20, 1
	v_fma_f32 v19, v18, s28, -v16
	v_fmamk_f32 v20, v18, 0xb102e308, v19
	v_pk_add_f32 v[18:19], v[16:17], v[20:21]
	v_mov_b32_e32 v22, v16
	v_sub_f32_e32 v21, v19, v21
	v_sub_f32_e32 v21, v17, v21
	v_add_f32_e32 v23, v23, v21
	v_pk_add_f32 v[16:17], v[18:19], v[16:17] neg_lo:[0,1] neg_hi:[0,1]
	v_pk_add_f32 v[30:31], v[18:19], v[22:23]
	v_mov_b32_e32 v21, v18
	v_mov_b32_e32 v17, v31
	v_pk_add_f32 v[34:35], v[20:21], v[16:17] neg_lo:[0,1] neg_hi:[0,1]
	v_pk_add_f32 v[16:17], v[20:21], v[16:17]
	v_mov_b32_e32 v22, v23
	v_pk_add_f32 v[20:21], v[16:17], v[18:19] op_sel:[1,0] op_sel_hi:[0,1] neg_lo:[0,1] neg_hi:[0,1]
	v_pk_add_f32 v[36:37], v[30:31], v[20:21] op_sel_hi:[1,0] neg_lo:[0,1] neg_hi:[0,1]
	v_mov_b32_e32 v30, v31
	v_mov_b32_e32 v31, v17
	v_pk_mov_b32 v[20:21], v[18:19], v[20:21] op_sel:[1,0]
	v_mov_b32_e32 v23, v18
	v_pk_add_f32 v[20:21], v[30:31], v[20:21] neg_lo:[0,1] neg_hi:[0,1]
	v_mov_b32_e32 v36, v34
	v_pk_add_f32 v[18:19], v[22:23], v[20:21] neg_lo:[0,1] neg_hi:[0,1]
	v_mov_b32_e32 v35, v17
	v_pk_add_f32 v[20:21], v[36:37], v[18:19]
	s_mov_b32 s28, 0x33800000
	v_pk_add_f32 v[22:23], v[20:21], v[20:21] op_sel:[0,1] op_sel_hi:[1,0]
	s_nop 0
	v_pk_add_f32 v[16:17], v[16:17], v[22:23] op_sel:[1,0] op_sel_hi:[0,1]
	v_mov_b32_e32 v21, v16
	v_pk_add_f32 v[30:31], v[20:21], v[34:35] neg_lo:[0,1] neg_hi:[0,1]
	v_mov_b32_e32 v19, v22
	v_sub_f32_e32 v17, v20, v30
	v_pk_add_f32 v[18:19], v[18:19], v[30:31] neg_lo:[0,1] neg_hi:[0,1]
	v_sub_f32_e32 v17, v34, v17
	v_add_f32_e32 v17, v18, v17
	v_add_f32_e32 v17, v17, v19
	v_add_f32_e32 v16, v16, v17
	v_cndmask_b32_e32 v16, v29, v16, vcc
	v_cmp_lt_f32_e64 vcc, |v15|, s28
	s_nop 1
	v_cndmask_b32_e32 v15, v16, v15, vcc
	v_add_f32_e32 v15, v14, v15
.LBB493_114:
	s_or_b64 exec, exec, s[0:1]
	v_bfe_u32 v14, v15, 16, 1
	v_add3_u32 v14, v15, v14, s29
	v_cmp_o_f32_e32 vcc, v15, v15
	s_movk_i32 s28, 0x1f8
	s_nop 0
	v_cndmask_b32_sdwa v13, v13, v14, vcc dst_sel:DWORD dst_unused:UNUSED_PAD src0_sel:DWORD src1_sel:WORD_1
	v_lshlrev_b32_e32 v14, 16, v13
	v_max_f32_e32 v16, v14, v14
	v_min_f32_e32 v15, v16, v25
	v_cmp_u_f32_e32 vcc, v14, v14
	v_max_f32_e32 v16, v16, v25
	s_nop 0
	v_cndmask_b32_e32 v15, v15, v14, vcc
	v_cndmask_b32_e32 v16, v16, v14, vcc
	v_cndmask_b32_e64 v15, v15, v5, s[50:51]
	v_cndmask_b32_e64 v5, v16, v5, s[50:51]
	v_cmp_neq_f32_e32 vcc, v15, v5
	v_cmp_class_f32_e64 s[0:1], v15, s28
	s_or_b64 s[30:31], vcc, s[0:1]
	s_and_saveexec_b64 s[0:1], s[30:31]
	s_cbranch_execz .LBB493_116
; %bb.115:
	v_sub_f32_e32 v14, v15, v5
	s_mov_b32 s29, 0x3fb8aa3b
	v_mul_f32_e32 v15, 0x3fb8aa3b, v14
	v_fma_f32 v16, v14, s29, -v15
	v_rndne_f32_e32 v17, v15
	v_fmamk_f32 v16, v14, 0x32a5705f, v16
	v_sub_f32_e32 v15, v15, v17
	v_add_f32_e32 v15, v15, v16
	v_exp_f32_e32 v15, v15
	v_cvt_i32_f32_e32 v16, v17
	s_mov_b32 s29, 0xc2ce8ed0
	v_cmp_ngt_f32_e32 vcc, s29, v14
	s_mov_b32 s29, 0x42b17218
	v_ldexp_f32 v15, v15, v16
	v_cndmask_b32_e32 v15, 0, v15, vcc
	v_mov_b32_e32 v25, 0x7f800000
	v_cmp_nlt_f32_e32 vcc, s29, v14
	s_mov_b32 s29, 0x3f2aaaab
	s_mov_b32 s30, 0x7f800000
	v_cndmask_b32_e32 v29, v25, v15, vcc
	v_add_f32_e32 v16, 1.0, v29
	v_add_f32_e32 v14, -1.0, v16
	v_sub_f32_e32 v15, v14, v16
	v_add_f32_e32 v15, 1.0, v15
	v_sub_f32_e32 v14, v29, v14
	v_add_f32_e32 v17, v14, v15
	v_frexp_mant_f32_e32 v18, v16
	v_cvt_f64_f32_e32 v[14:15], v16
	v_frexp_exp_i32_f64_e32 v14, v[14:15]
	v_cmp_gt_f32_e32 vcc, s29, v18
	s_mov_b32 s29, 0x3f317218
	s_nop 0
	v_subbrev_co_u32_e32 v22, vcc, 0, v14, vcc
	v_sub_u32_e32 v14, 0, v22
	v_ldexp_f32 v15, v16, v14
	v_add_f32_e32 v16, -1.0, v15
	v_add_f32_e32 v18, 1.0, v15
	v_ldexp_f32 v14, v17, v14
	v_add_f32_e32 v17, 1.0, v16
	v_add_f32_e32 v19, -1.0, v18
	v_sub_f32_e32 v17, v15, v17
	v_sub_f32_e32 v15, v15, v19
	v_add_f32_e32 v17, v14, v17
	v_add_f32_e32 v14, v14, v15
	v_add_f32_e32 v23, v18, v14
	v_rcp_f32_e32 v31, v23
	v_sub_f32_e32 v15, v18, v23
	v_add_f32_e32 v30, v14, v15
	v_add_f32_e32 v15, v16, v17
	v_mul_f32_e32 v34, v15, v31
	v_sub_f32_e32 v14, v16, v15
	v_mul_f32_e32 v16, v23, v34
	v_fma_f32 v18, v34, v23, -v16
	v_fmac_f32_e32 v18, v34, v30
	v_add_f32_e32 v32, v17, v14
	v_add_f32_e32 v14, v16, v18
	v_sub_f32_e32 v17, v15, v14
	v_pk_add_f32 v[20:21], v[14:15], v[16:17] neg_lo:[0,1] neg_hi:[0,1]
	v_mov_b32_e32 v19, v14
	v_pk_add_f32 v[14:15], v[20:21], v[18:19] neg_lo:[0,1] neg_hi:[0,1]
	v_cmp_neq_f32_e32 vcc, s30, v29
	v_add_f32_e32 v15, v32, v15
	v_add_f32_e32 v14, v14, v15
	;; [unrolled: 1-line block ×3, first 2 shown]
	v_mul_f32_e32 v32, v31, v15
	v_mul_f32_e32 v16, v23, v32
	v_fma_f32 v18, v32, v23, -v16
	v_fmac_f32_e32 v18, v32, v30
	v_sub_f32_e32 v17, v17, v15
	v_add_f32_e32 v23, v14, v17
	v_add_f32_e32 v14, v16, v18
	v_sub_f32_e32 v17, v15, v14
	v_pk_add_f32 v[20:21], v[14:15], v[16:17] neg_lo:[0,1] neg_hi:[0,1]
	v_mov_b32_e32 v19, v14
	v_pk_add_f32 v[14:15], v[20:21], v[18:19] neg_lo:[0,1] neg_hi:[0,1]
	v_cvt_f32_i32_e32 v16, v22
	v_add_f32_e32 v15, v23, v15
	v_add_f32_e32 v14, v14, v15
	;; [unrolled: 1-line block ×4, first 2 shown]
	v_sub_f32_e32 v15, v17, v34
	v_mul_f32_e32 v14, v31, v14
	v_sub_f32_e32 v15, v32, v15
	v_add_f32_e32 v14, v15, v14
	v_add_f32_e32 v18, v17, v14
	v_mul_f32_e32 v20, v18, v18
	v_mov_b32_e32 v15, 0x3ecc95a3
	v_sub_f32_e32 v17, v18, v17
	v_fmac_f32_e32 v15, 0x3e9b6dac, v20
	v_sub_f32_e32 v14, v14, v17
	v_fmaak_f32 v15, v20, v15, 0x3f2aaada
	v_ldexp_f32 v21, v14, 1
	v_mul_f32_e32 v17, v18, v20
	v_mov_b32_e32 v14, 0x3f317218
	v_pk_mul_f32 v[14:15], v[16:17], v[14:15]
	v_ldexp_f32 v19, v18, 1
	v_fma_f32 v17, v16, s29, -v14
	v_fmamk_f32 v18, v16, 0xb102e308, v17
	v_pk_add_f32 v[16:17], v[14:15], v[18:19]
	v_mov_b32_e32 v20, v14
	v_sub_f32_e32 v19, v17, v19
	v_sub_f32_e32 v19, v15, v19
	v_add_f32_e32 v21, v21, v19
	v_pk_add_f32 v[14:15], v[16:17], v[14:15] neg_lo:[0,1] neg_hi:[0,1]
	v_pk_add_f32 v[22:23], v[16:17], v[20:21]
	v_mov_b32_e32 v19, v16
	v_mov_b32_e32 v15, v23
	v_pk_add_f32 v[30:31], v[18:19], v[14:15] neg_lo:[0,1] neg_hi:[0,1]
	v_pk_add_f32 v[14:15], v[18:19], v[14:15]
	v_mov_b32_e32 v20, v21
	v_pk_add_f32 v[18:19], v[14:15], v[16:17] op_sel:[1,0] op_sel_hi:[0,1] neg_lo:[0,1] neg_hi:[0,1]
	s_waitcnt lgkmcnt(0)
	v_pk_add_f32 v[34:35], v[22:23], v[18:19] op_sel_hi:[1,0] neg_lo:[0,1] neg_hi:[0,1]
	v_mov_b32_e32 v22, v23
	v_mov_b32_e32 v23, v15
	v_pk_mov_b32 v[18:19], v[16:17], v[18:19] op_sel:[1,0]
	v_mov_b32_e32 v21, v16
	v_pk_add_f32 v[18:19], v[22:23], v[18:19] neg_lo:[0,1] neg_hi:[0,1]
	v_mov_b32_e32 v34, v30
	v_pk_add_f32 v[16:17], v[20:21], v[18:19] neg_lo:[0,1] neg_hi:[0,1]
	v_mov_b32_e32 v31, v15
	v_pk_add_f32 v[18:19], v[34:35], v[16:17]
	s_mov_b32 s29, 0x33800000
	v_pk_add_f32 v[20:21], v[18:19], v[18:19] op_sel:[0,1] op_sel_hi:[1,0]
	s_nop 0
	v_pk_add_f32 v[14:15], v[14:15], v[20:21] op_sel:[1,0] op_sel_hi:[0,1]
	v_mov_b32_e32 v19, v14
	v_pk_add_f32 v[22:23], v[18:19], v[30:31] neg_lo:[0,1] neg_hi:[0,1]
	v_mov_b32_e32 v17, v20
	v_sub_f32_e32 v15, v18, v22
	v_pk_add_f32 v[16:17], v[16:17], v[22:23] neg_lo:[0,1] neg_hi:[0,1]
	v_sub_f32_e32 v15, v30, v15
	v_add_f32_e32 v15, v16, v15
	v_add_f32_e32 v15, v15, v17
	;; [unrolled: 1-line block ×3, first 2 shown]
	v_cndmask_b32_e32 v14, v25, v14, vcc
	v_cmp_lt_f32_e64 vcc, |v29|, s29
	s_nop 1
	v_cndmask_b32_e32 v14, v14, v29, vcc
	v_add_f32_e32 v14, v5, v14
.LBB493_116:
	s_or_b64 exec, exec, s[0:1]
	v_bfe_u32 v5, v14, 16, 1
	s_movk_i32 s29, 0x7fff
	v_add3_u32 v5, v14, v5, s29
	v_cmp_o_f32_e32 vcc, v14, v14
	v_mov_b32_e32 v14, 0x7fc0
	s_nop 0
	v_cndmask_b32_sdwa v5, v14, v5, vcc dst_sel:DWORD dst_unused:UNUSED_PAD src0_sel:DWORD src1_sel:WORD_1
	v_lshlrev_b32_e32 v16, 16, v5
	v_max_f32_e32 v15, v16, v16
	v_min_f32_e32 v17, v15, v27
	v_cmp_u_f32_e32 vcc, v16, v16
	v_max_f32_e32 v15, v15, v27
	s_nop 0
	v_cndmask_b32_e32 v17, v17, v16, vcc
	v_cndmask_b32_e32 v15, v15, v16, vcc
	v_cndmask_b32_e64 v17, v17, v24, s[52:53]
	v_cndmask_b32_e64 v15, v15, v24, s[52:53]
	v_cmp_neq_f32_e32 vcc, v17, v15
	v_cmp_class_f32_e64 s[0:1], v17, s28
	s_or_b64 s[30:31], vcc, s[0:1]
	s_and_saveexec_b64 s[0:1], s[30:31]
	s_cbranch_execz .LBB493_118
; %bb.117:
	v_sub_f32_e32 v16, v17, v15
	s_mov_b32 s28, 0x3fb8aa3b
	v_mul_f32_e32 v17, 0x3fb8aa3b, v16
	v_fma_f32 v18, v16, s28, -v17
	v_rndne_f32_e32 v19, v17
	v_fmamk_f32 v18, v16, 0x32a5705f, v18
	v_sub_f32_e32 v17, v17, v19
	v_add_f32_e32 v17, v17, v18
	v_exp_f32_e32 v17, v17
	v_cvt_i32_f32_e32 v18, v19
	s_mov_b32 s28, 0xc2ce8ed0
	v_cmp_ngt_f32_e32 vcc, s28, v16
	s_mov_b32 s28, 0x42b17218
	v_ldexp_f32 v17, v17, v18
	v_cndmask_b32_e32 v17, 0, v17, vcc
	v_mov_b32_e32 v27, 0x7f800000
	v_cmp_nlt_f32_e32 vcc, s28, v16
	s_mov_b32 s28, 0x3f2aaaab
	s_mov_b32 s30, 0x7f800000
	v_cndmask_b32_e32 v29, v27, v17, vcc
	v_add_f32_e32 v18, 1.0, v29
	v_add_f32_e32 v16, -1.0, v18
	v_sub_f32_e32 v17, v16, v18
	v_add_f32_e32 v17, 1.0, v17
	v_sub_f32_e32 v16, v29, v16
	v_add_f32_e32 v19, v16, v17
	v_frexp_mant_f32_e32 v20, v18
	v_cvt_f64_f32_e32 v[16:17], v18
	v_frexp_exp_i32_f64_e32 v16, v[16:17]
	v_cmp_gt_f32_e32 vcc, s28, v20
	s_mov_b32 s28, 0x3f317218
	s_nop 0
	v_subbrev_co_u32_e32 v24, vcc, 0, v16, vcc
	v_sub_u32_e32 v16, 0, v24
	v_ldexp_f32 v17, v18, v16
	v_add_f32_e32 v18, -1.0, v17
	v_add_f32_e32 v20, 1.0, v17
	v_ldexp_f32 v16, v19, v16
	v_add_f32_e32 v19, 1.0, v18
	v_add_f32_e32 v21, -1.0, v20
	v_sub_f32_e32 v19, v17, v19
	v_sub_f32_e32 v17, v17, v21
	v_add_f32_e32 v19, v16, v19
	v_add_f32_e32 v16, v16, v17
	;; [unrolled: 1-line block ×3, first 2 shown]
	v_rcp_f32_e32 v31, v25
	v_sub_f32_e32 v17, v20, v25
	v_add_f32_e32 v30, v16, v17
	v_add_f32_e32 v17, v18, v19
	v_mul_f32_e32 v34, v17, v31
	v_sub_f32_e32 v16, v18, v17
	v_mul_f32_e32 v18, v25, v34
	v_fma_f32 v20, v34, v25, -v18
	v_fmac_f32_e32 v20, v34, v30
	v_add_f32_e32 v32, v19, v16
	v_add_f32_e32 v16, v18, v20
	v_sub_f32_e32 v19, v17, v16
	v_pk_add_f32 v[22:23], v[16:17], v[18:19] neg_lo:[0,1] neg_hi:[0,1]
	v_mov_b32_e32 v21, v16
	v_pk_add_f32 v[16:17], v[22:23], v[20:21] neg_lo:[0,1] neg_hi:[0,1]
	v_cmp_neq_f32_e32 vcc, s30, v29
	v_add_f32_e32 v17, v32, v17
	v_add_f32_e32 v16, v16, v17
	;; [unrolled: 1-line block ×3, first 2 shown]
	v_mul_f32_e32 v32, v31, v17
	v_mul_f32_e32 v18, v25, v32
	v_fma_f32 v20, v32, v25, -v18
	v_fmac_f32_e32 v20, v32, v30
	v_sub_f32_e32 v19, v19, v17
	v_add_f32_e32 v25, v16, v19
	v_add_f32_e32 v16, v18, v20
	v_sub_f32_e32 v19, v17, v16
	v_pk_add_f32 v[22:23], v[16:17], v[18:19] neg_lo:[0,1] neg_hi:[0,1]
	v_mov_b32_e32 v21, v16
	v_pk_add_f32 v[16:17], v[22:23], v[20:21] neg_lo:[0,1] neg_hi:[0,1]
	v_cvt_f32_i32_e32 v18, v24
	v_add_f32_e32 v17, v25, v17
	v_add_f32_e32 v16, v16, v17
	v_add_f32_e32 v16, v19, v16
	v_add_f32_e32 v19, v34, v32
	v_sub_f32_e32 v17, v19, v34
	v_mul_f32_e32 v16, v31, v16
	v_sub_f32_e32 v17, v32, v17
	v_add_f32_e32 v16, v17, v16
	v_add_f32_e32 v20, v19, v16
	v_mul_f32_e32 v22, v20, v20
	v_mov_b32_e32 v17, 0x3ecc95a3
	v_sub_f32_e32 v19, v20, v19
	v_fmac_f32_e32 v17, 0x3e9b6dac, v22
	v_sub_f32_e32 v16, v16, v19
	v_fmaak_f32 v17, v22, v17, 0x3f2aaada
	v_ldexp_f32 v23, v16, 1
	v_mul_f32_e32 v19, v20, v22
	v_mov_b32_e32 v16, 0x3f317218
	v_pk_mul_f32 v[16:17], v[18:19], v[16:17]
	v_ldexp_f32 v21, v20, 1
	v_fma_f32 v19, v18, s28, -v16
	v_fmamk_f32 v20, v18, 0xb102e308, v19
	v_pk_add_f32 v[18:19], v[16:17], v[20:21]
	v_mov_b32_e32 v22, v16
	v_sub_f32_e32 v21, v19, v21
	v_sub_f32_e32 v21, v17, v21
	v_add_f32_e32 v23, v23, v21
	v_pk_add_f32 v[16:17], v[18:19], v[16:17] neg_lo:[0,1] neg_hi:[0,1]
	v_pk_add_f32 v[24:25], v[18:19], v[22:23]
	v_mov_b32_e32 v21, v18
	v_mov_b32_e32 v17, v25
	v_pk_add_f32 v[30:31], v[20:21], v[16:17] neg_lo:[0,1] neg_hi:[0,1]
	v_pk_add_f32 v[16:17], v[20:21], v[16:17]
	v_mov_b32_e32 v22, v23
	v_pk_add_f32 v[20:21], v[16:17], v[18:19] op_sel:[1,0] op_sel_hi:[0,1] neg_lo:[0,1] neg_hi:[0,1]
	s_waitcnt lgkmcnt(0)
	v_pk_add_f32 v[34:35], v[24:25], v[20:21] op_sel_hi:[1,0] neg_lo:[0,1] neg_hi:[0,1]
	v_mov_b32_e32 v24, v25
	v_mov_b32_e32 v25, v17
	v_pk_mov_b32 v[20:21], v[18:19], v[20:21] op_sel:[1,0]
	v_mov_b32_e32 v23, v18
	v_pk_add_f32 v[20:21], v[24:25], v[20:21] neg_lo:[0,1] neg_hi:[0,1]
	v_mov_b32_e32 v34, v30
	v_pk_add_f32 v[18:19], v[22:23], v[20:21] neg_lo:[0,1] neg_hi:[0,1]
	v_mov_b32_e32 v31, v17
	v_pk_add_f32 v[20:21], v[34:35], v[18:19]
	s_mov_b32 s28, 0x33800000
	v_pk_add_f32 v[22:23], v[20:21], v[20:21] op_sel:[0,1] op_sel_hi:[1,0]
	s_nop 0
	v_pk_add_f32 v[16:17], v[16:17], v[22:23] op_sel:[1,0] op_sel_hi:[0,1]
	v_mov_b32_e32 v21, v16
	v_pk_add_f32 v[24:25], v[20:21], v[30:31] neg_lo:[0,1] neg_hi:[0,1]
	v_mov_b32_e32 v19, v22
	v_sub_f32_e32 v17, v20, v24
	v_pk_add_f32 v[18:19], v[18:19], v[24:25] neg_lo:[0,1] neg_hi:[0,1]
	v_sub_f32_e32 v17, v30, v17
	v_add_f32_e32 v17, v18, v17
	v_add_f32_e32 v17, v17, v19
	v_add_f32_e32 v16, v16, v17
	v_cndmask_b32_e32 v16, v27, v16, vcc
	v_cmp_lt_f32_e64 vcc, |v29|, s28
	s_nop 1
	v_cndmask_b32_e32 v16, v16, v29, vcc
	v_add_f32_e32 v16, v15, v16
.LBB493_118:
	s_or_b64 exec, exec, s[0:1]
	v_bfe_u32 v15, v16, 16, 1
	v_add3_u32 v15, v16, v15, s29
	v_cmp_o_f32_e32 vcc, v16, v16
	s_movk_i32 s0, 0x1f8
	s_nop 0
	v_cndmask_b32_sdwa v14, v14, v15, vcc dst_sel:DWORD dst_unused:UNUSED_PAD src0_sel:DWORD src1_sel:WORD_1
	v_lshlrev_b32_e32 v16, 16, v14
	v_max_f32_e32 v15, v16, v16
	v_min_f32_e32 v17, v15, v28
	v_cmp_u_f32_e32 vcc, v16, v16
	v_max_f32_e32 v15, v15, v28
	s_nop 0
	v_cndmask_b32_e32 v17, v17, v16, vcc
	v_cndmask_b32_e32 v15, v15, v16, vcc
	v_cndmask_b32_e64 v17, v17, v26, s[54:55]
	v_cndmask_b32_e64 v15, v15, v26, s[54:55]
	v_cmp_neq_f32_e32 vcc, v17, v15
	v_cmp_class_f32_e64 s[0:1], v17, s0
	s_or_b64 s[28:29], vcc, s[0:1]
	s_and_saveexec_b64 s[0:1], s[28:29]
	s_cbranch_execz .LBB493_120
; %bb.119:
	v_sub_f32_e32 v16, v17, v15
	s_mov_b32 s28, 0x3fb8aa3b
	v_mul_f32_e32 v17, 0x3fb8aa3b, v16
	v_fma_f32 v18, v16, s28, -v17
	v_rndne_f32_e32 v19, v17
	v_fmamk_f32 v18, v16, 0x32a5705f, v18
	v_sub_f32_e32 v17, v17, v19
	v_add_f32_e32 v17, v17, v18
	v_exp_f32_e32 v17, v17
	v_cvt_i32_f32_e32 v18, v19
	s_mov_b32 s28, 0xc2ce8ed0
	v_cmp_ngt_f32_e32 vcc, s28, v16
	s_mov_b32 s28, 0x42b17218
	v_ldexp_f32 v17, v17, v18
	v_cndmask_b32_e32 v17, 0, v17, vcc
	v_mov_b32_e32 v30, 0x7f800000
	v_cmp_nlt_f32_e32 vcc, s28, v16
	s_mov_b32 s28, 0x3f2aaaab
	s_mov_b32 s29, 0x7f800000
	v_cndmask_b32_e32 v31, v30, v17, vcc
	v_add_f32_e32 v18, 1.0, v31
	v_add_f32_e32 v16, -1.0, v18
	v_sub_f32_e32 v17, v16, v18
	v_add_f32_e32 v17, 1.0, v17
	v_sub_f32_e32 v16, v31, v16
	v_add_f32_e32 v19, v16, v17
	v_frexp_mant_f32_e32 v20, v18
	v_cvt_f64_f32_e32 v[16:17], v18
	v_frexp_exp_i32_f64_e32 v16, v[16:17]
	v_cmp_gt_f32_e32 vcc, s28, v20
	s_mov_b32 s28, 0x3f317218
	s_nop 0
	v_subbrev_co_u32_e32 v24, vcc, 0, v16, vcc
	v_sub_u32_e32 v16, 0, v24
	v_ldexp_f32 v17, v18, v16
	v_add_f32_e32 v18, -1.0, v17
	v_add_f32_e32 v20, 1.0, v17
	v_ldexp_f32 v16, v19, v16
	v_add_f32_e32 v19, 1.0, v18
	v_add_f32_e32 v21, -1.0, v20
	v_sub_f32_e32 v19, v17, v19
	v_sub_f32_e32 v17, v17, v21
	v_add_f32_e32 v19, v16, v19
	v_add_f32_e32 v16, v16, v17
	;; [unrolled: 1-line block ×3, first 2 shown]
	v_rcp_f32_e32 v27, v25
	v_sub_f32_e32 v17, v20, v25
	v_add_f32_e32 v26, v16, v17
	v_add_f32_e32 v17, v18, v19
	v_mul_f32_e32 v29, v17, v27
	v_sub_f32_e32 v16, v18, v17
	v_mul_f32_e32 v18, v25, v29
	v_fma_f32 v20, v29, v25, -v18
	v_fmac_f32_e32 v20, v29, v26
	v_add_f32_e32 v28, v19, v16
	v_add_f32_e32 v16, v18, v20
	v_sub_f32_e32 v19, v17, v16
	v_pk_add_f32 v[22:23], v[16:17], v[18:19] neg_lo:[0,1] neg_hi:[0,1]
	v_mov_b32_e32 v21, v16
	v_pk_add_f32 v[16:17], v[22:23], v[20:21] neg_lo:[0,1] neg_hi:[0,1]
	v_cmp_neq_f32_e32 vcc, s29, v31
	v_add_f32_e32 v17, v28, v17
	v_add_f32_e32 v16, v16, v17
	;; [unrolled: 1-line block ×3, first 2 shown]
	v_mul_f32_e32 v28, v27, v17
	v_mul_f32_e32 v18, v25, v28
	v_fma_f32 v20, v28, v25, -v18
	v_fmac_f32_e32 v20, v28, v26
	v_sub_f32_e32 v19, v19, v17
	v_add_f32_e32 v25, v16, v19
	v_add_f32_e32 v16, v18, v20
	v_sub_f32_e32 v19, v17, v16
	v_pk_add_f32 v[22:23], v[16:17], v[18:19] neg_lo:[0,1] neg_hi:[0,1]
	v_mov_b32_e32 v21, v16
	v_pk_add_f32 v[16:17], v[22:23], v[20:21] neg_lo:[0,1] neg_hi:[0,1]
	v_cvt_f32_i32_e32 v18, v24
	v_add_f32_e32 v17, v25, v17
	v_add_f32_e32 v16, v16, v17
	;; [unrolled: 1-line block ×4, first 2 shown]
	v_sub_f32_e32 v17, v19, v29
	v_mul_f32_e32 v16, v27, v16
	v_sub_f32_e32 v17, v28, v17
	v_add_f32_e32 v16, v17, v16
	v_add_f32_e32 v20, v19, v16
	v_mul_f32_e32 v22, v20, v20
	v_mov_b32_e32 v17, 0x3ecc95a3
	v_sub_f32_e32 v19, v20, v19
	v_fmac_f32_e32 v17, 0x3e9b6dac, v22
	v_sub_f32_e32 v16, v16, v19
	v_fmaak_f32 v17, v22, v17, 0x3f2aaada
	v_ldexp_f32 v23, v16, 1
	v_mul_f32_e32 v19, v20, v22
	v_mov_b32_e32 v16, 0x3f317218
	v_pk_mul_f32 v[16:17], v[18:19], v[16:17]
	v_ldexp_f32 v21, v20, 1
	v_fma_f32 v19, v18, s28, -v16
	v_fmamk_f32 v20, v18, 0xb102e308, v19
	v_pk_add_f32 v[18:19], v[16:17], v[20:21]
	v_mov_b32_e32 v22, v16
	v_sub_f32_e32 v21, v19, v21
	v_sub_f32_e32 v21, v17, v21
	v_add_f32_e32 v23, v23, v21
	v_pk_add_f32 v[16:17], v[18:19], v[16:17] neg_lo:[0,1] neg_hi:[0,1]
	v_pk_add_f32 v[24:25], v[18:19], v[22:23]
	v_mov_b32_e32 v21, v18
	v_mov_b32_e32 v17, v25
	v_pk_add_f32 v[26:27], v[20:21], v[16:17] neg_lo:[0,1] neg_hi:[0,1]
	v_pk_add_f32 v[16:17], v[20:21], v[16:17]
	v_mov_b32_e32 v22, v23
	v_pk_add_f32 v[20:21], v[16:17], v[18:19] op_sel:[1,0] op_sel_hi:[0,1] neg_lo:[0,1] neg_hi:[0,1]
	v_pk_add_f32 v[28:29], v[24:25], v[20:21] op_sel_hi:[1,0] neg_lo:[0,1] neg_hi:[0,1]
	v_mov_b32_e32 v24, v25
	v_mov_b32_e32 v25, v17
	v_pk_mov_b32 v[20:21], v[18:19], v[20:21] op_sel:[1,0]
	v_mov_b32_e32 v23, v18
	v_pk_add_f32 v[20:21], v[24:25], v[20:21] neg_lo:[0,1] neg_hi:[0,1]
	v_mov_b32_e32 v28, v26
	v_pk_add_f32 v[18:19], v[22:23], v[20:21] neg_lo:[0,1] neg_hi:[0,1]
	v_mov_b32_e32 v27, v17
	v_pk_add_f32 v[20:21], v[28:29], v[18:19]
	s_mov_b32 s28, 0x33800000
	v_pk_add_f32 v[22:23], v[20:21], v[20:21] op_sel:[0,1] op_sel_hi:[1,0]
	s_nop 0
	v_pk_add_f32 v[16:17], v[16:17], v[22:23] op_sel:[1,0] op_sel_hi:[0,1]
	v_mov_b32_e32 v21, v16
	v_pk_add_f32 v[24:25], v[20:21], v[26:27] neg_lo:[0,1] neg_hi:[0,1]
	v_mov_b32_e32 v19, v22
	v_sub_f32_e32 v17, v20, v24
	v_pk_add_f32 v[18:19], v[18:19], v[24:25] neg_lo:[0,1] neg_hi:[0,1]
	v_sub_f32_e32 v17, v26, v17
	v_add_f32_e32 v17, v18, v17
	v_add_f32_e32 v17, v17, v19
	v_add_f32_e32 v16, v16, v17
	v_cndmask_b32_e32 v16, v30, v16, vcc
	v_cmp_lt_f32_e64 vcc, |v31|, s28
	s_nop 1
	v_cndmask_b32_e32 v16, v16, v31, vcc
	v_add_f32_e32 v16, v15, v16
.LBB493_120:
	s_or_b64 exec, exec, s[0:1]
	v_bfe_u32 v15, v16, 16, 1
	s_movk_i32 s0, 0x7fff
	v_add3_u32 v15, v16, v15, s0
	v_cmp_o_f32_e32 vcc, v16, v16
	v_mov_b32_e32 v16, 0x7fc0
	s_mov_b32 s0, 0x5040100
	v_cndmask_b32_sdwa v15, v16, v15, vcc dst_sel:DWORD dst_unused:UNUSED_PAD src0_sel:DWORD src1_sel:WORD_1
	v_add_u32_e32 v16, v8, v33
	v_perm_b32 v3, v3, v9, s0
	v_perm_b32 v1, v1, v2, s0
	s_waitcnt lgkmcnt(0)
	s_barrier
	ds_write2_b32 v16, v1, v3 offset1:1
	v_perm_b32 v1, v7, v11, s0
	v_perm_b32 v2, v6, v10, s0
	ds_write2_b32 v16, v2, v1 offset0:2 offset1:3
	v_perm_b32 v1, v5, v13, s0
	v_perm_b32 v2, v4, v12, s0
	ds_write2_b32 v16, v2, v1 offset0:4 offset1:5
	v_perm_b32 v1, v15, v14, s0
	ds_write_b32 v16, v1 offset:24
	s_waitcnt lgkmcnt(0)
	s_barrier
	ds_read_u16 v15, v8 offset:256
	ds_read_u16 v14, v8 offset:512
	;; [unrolled: 1-line block ×13, first 2 shown]
	v_lshlrev_b32_e32 v0, 1, v0
	v_mov_b32_e32 v1, 0
	v_lshl_add_u64 v[0:1], s[60:61], 0, v[0:1]
	s_and_saveexec_b64 s[0:1], s[58:59]
	s_cbranch_execnz .LBB493_135
; %bb.121:
	s_or_b64 exec, exec, s[0:1]
	s_and_saveexec_b64 s[0:1], s[2:3]
	s_cbranch_execnz .LBB493_136
.LBB493_122:
	s_or_b64 exec, exec, s[0:1]
	s_and_saveexec_b64 s[0:1], s[4:5]
	s_cbranch_execnz .LBB493_137
.LBB493_123:
	s_or_b64 exec, exec, s[0:1]
	s_and_saveexec_b64 s[0:1], s[6:7]
	s_cbranch_execnz .LBB493_138
.LBB493_124:
	s_or_b64 exec, exec, s[0:1]
	s_and_saveexec_b64 s[0:1], s[8:9]
	s_cbranch_execnz .LBB493_139
.LBB493_125:
	s_or_b64 exec, exec, s[0:1]
	s_and_saveexec_b64 s[0:1], s[10:11]
	s_cbranch_execnz .LBB493_140
.LBB493_126:
	s_or_b64 exec, exec, s[0:1]
	s_and_saveexec_b64 s[0:1], s[12:13]
	s_cbranch_execnz .LBB493_141
.LBB493_127:
	s_or_b64 exec, exec, s[0:1]
	s_and_saveexec_b64 s[0:1], s[14:15]
	s_cbranch_execnz .LBB493_142
.LBB493_128:
	s_or_b64 exec, exec, s[0:1]
	s_and_saveexec_b64 s[0:1], s[16:17]
	s_cbranch_execnz .LBB493_143
.LBB493_129:
	s_or_b64 exec, exec, s[0:1]
	s_and_saveexec_b64 s[0:1], s[18:19]
	s_cbranch_execnz .LBB493_144
.LBB493_130:
	s_or_b64 exec, exec, s[0:1]
	s_and_saveexec_b64 s[0:1], s[20:21]
	s_cbranch_execnz .LBB493_145
.LBB493_131:
	s_or_b64 exec, exec, s[0:1]
	s_and_saveexec_b64 s[0:1], s[22:23]
	s_cbranch_execnz .LBB493_146
.LBB493_132:
	s_or_b64 exec, exec, s[0:1]
	s_and_saveexec_b64 s[0:1], s[24:25]
	s_cbranch_execnz .LBB493_147
.LBB493_133:
	s_or_b64 exec, exec, s[0:1]
	s_and_saveexec_b64 s[0:1], s[26:27]
	s_cbranch_execnz .LBB493_148
.LBB493_134:
	s_endpgm
.LBB493_135:
	ds_read_u16 v8, v8
	s_waitcnt lgkmcnt(0)
	global_store_short v[0:1], v8, off
	s_or_b64 exec, exec, s[0:1]
	s_and_saveexec_b64 s[0:1], s[2:3]
	s_cbranch_execz .LBB493_122
.LBB493_136:
	s_waitcnt lgkmcnt(12)
	global_store_short v[0:1], v15, off offset:256
	s_or_b64 exec, exec, s[0:1]
	s_and_saveexec_b64 s[0:1], s[4:5]
	s_cbranch_execz .LBB493_123
.LBB493_137:
	s_waitcnt lgkmcnt(11)
	global_store_short v[0:1], v14, off offset:512
	s_or_b64 exec, exec, s[0:1]
	s_and_saveexec_b64 s[0:1], s[6:7]
	s_cbranch_execz .LBB493_124
.LBB493_138:
	s_waitcnt lgkmcnt(10)
	global_store_short v[0:1], v13, off offset:768
	s_or_b64 exec, exec, s[0:1]
	s_and_saveexec_b64 s[0:1], s[8:9]
	s_cbranch_execz .LBB493_125
.LBB493_139:
	s_waitcnt lgkmcnt(9)
	global_store_short v[0:1], v12, off offset:1024
	s_or_b64 exec, exec, s[0:1]
	s_and_saveexec_b64 s[0:1], s[10:11]
	s_cbranch_execz .LBB493_126
.LBB493_140:
	s_waitcnt lgkmcnt(8)
	global_store_short v[0:1], v11, off offset:1280
	s_or_b64 exec, exec, s[0:1]
	s_and_saveexec_b64 s[0:1], s[12:13]
	s_cbranch_execz .LBB493_127
.LBB493_141:
	s_waitcnt lgkmcnt(7)
	global_store_short v[0:1], v10, off offset:1536
	s_or_b64 exec, exec, s[0:1]
	s_and_saveexec_b64 s[0:1], s[14:15]
	s_cbranch_execz .LBB493_128
.LBB493_142:
	s_waitcnt lgkmcnt(6)
	global_store_short v[0:1], v9, off offset:1792
	s_or_b64 exec, exec, s[0:1]
	s_and_saveexec_b64 s[0:1], s[16:17]
	s_cbranch_execz .LBB493_129
.LBB493_143:
	s_waitcnt lgkmcnt(5)
	global_store_short v[0:1], v7, off offset:2048
	s_or_b64 exec, exec, s[0:1]
	s_and_saveexec_b64 s[0:1], s[18:19]
	s_cbranch_execz .LBB493_130
.LBB493_144:
	s_waitcnt lgkmcnt(4)
	global_store_short v[0:1], v6, off offset:2304
	s_or_b64 exec, exec, s[0:1]
	s_and_saveexec_b64 s[0:1], s[20:21]
	s_cbranch_execz .LBB493_131
.LBB493_145:
	s_waitcnt lgkmcnt(3)
	global_store_short v[0:1], v5, off offset:2560
	s_or_b64 exec, exec, s[0:1]
	s_and_saveexec_b64 s[0:1], s[22:23]
	s_cbranch_execz .LBB493_132
.LBB493_146:
	s_waitcnt lgkmcnt(2)
	global_store_short v[0:1], v4, off offset:2816
	s_or_b64 exec, exec, s[0:1]
	s_and_saveexec_b64 s[0:1], s[24:25]
	s_cbranch_execz .LBB493_133
.LBB493_147:
	s_waitcnt lgkmcnt(1)
	global_store_short v[0:1], v3, off offset:3072
	s_or_b64 exec, exec, s[0:1]
	s_and_saveexec_b64 s[0:1], s[26:27]
	s_cbranch_execz .LBB493_134
.LBB493_148:
	s_waitcnt lgkmcnt(0)
	global_store_short v[0:1], v2, off offset:3328
	s_endpgm
	.section	.rodata,"a",@progbits
	.p2align	6, 0x0
	.amdhsa_kernel _ZN7rocprim17ROCPRIM_400000_NS6detail17trampoline_kernelINS0_14default_configENS1_20scan_config_selectorIN3c108BFloat16EEEZZNS1_9scan_implILNS1_25lookback_scan_determinismE0ELb0ELb0ES3_PKS6_PS6_S6_ZZZN2at6native31launch_logcumsumexp_cuda_kernelERKNSD_10TensorBaseESH_lENKUlvE_clEvENKUlvE4_clEvEUlS6_S6_E_S6_EEDaPvRmT3_T4_T5_mT6_P12ihipStream_tbENKUlT_T0_E_clISt17integral_constantIbLb1EESX_IbLb0EEEEDaST_SU_EUlST_E0_NS1_11comp_targetILNS1_3genE0ELNS1_11target_archE4294967295ELNS1_3gpuE0ELNS1_3repE0EEENS1_30default_config_static_selectorELNS0_4arch9wavefront6targetE1EEEvT1_
		.amdhsa_group_segment_fixed_size 3584
		.amdhsa_private_segment_fixed_size 0
		.amdhsa_kernarg_size 32
		.amdhsa_user_sgpr_count 2
		.amdhsa_user_sgpr_dispatch_ptr 0
		.amdhsa_user_sgpr_queue_ptr 0
		.amdhsa_user_sgpr_kernarg_segment_ptr 1
		.amdhsa_user_sgpr_dispatch_id 0
		.amdhsa_user_sgpr_kernarg_preload_length 0
		.amdhsa_user_sgpr_kernarg_preload_offset 0
		.amdhsa_user_sgpr_private_segment_size 0
		.amdhsa_uses_dynamic_stack 0
		.amdhsa_enable_private_segment 0
		.amdhsa_system_sgpr_workgroup_id_x 1
		.amdhsa_system_sgpr_workgroup_id_y 0
		.amdhsa_system_sgpr_workgroup_id_z 0
		.amdhsa_system_sgpr_workgroup_info 0
		.amdhsa_system_vgpr_workitem_id 0
		.amdhsa_next_free_vgpr 54
		.amdhsa_next_free_sgpr 68
		.amdhsa_accum_offset 56
		.amdhsa_reserve_vcc 1
		.amdhsa_float_round_mode_32 0
		.amdhsa_float_round_mode_16_64 0
		.amdhsa_float_denorm_mode_32 3
		.amdhsa_float_denorm_mode_16_64 3
		.amdhsa_dx10_clamp 1
		.amdhsa_ieee_mode 1
		.amdhsa_fp16_overflow 0
		.amdhsa_tg_split 0
		.amdhsa_exception_fp_ieee_invalid_op 0
		.amdhsa_exception_fp_denorm_src 0
		.amdhsa_exception_fp_ieee_div_zero 0
		.amdhsa_exception_fp_ieee_overflow 0
		.amdhsa_exception_fp_ieee_underflow 0
		.amdhsa_exception_fp_ieee_inexact 0
		.amdhsa_exception_int_div_zero 0
	.end_amdhsa_kernel
	.section	.text._ZN7rocprim17ROCPRIM_400000_NS6detail17trampoline_kernelINS0_14default_configENS1_20scan_config_selectorIN3c108BFloat16EEEZZNS1_9scan_implILNS1_25lookback_scan_determinismE0ELb0ELb0ES3_PKS6_PS6_S6_ZZZN2at6native31launch_logcumsumexp_cuda_kernelERKNSD_10TensorBaseESH_lENKUlvE_clEvENKUlvE4_clEvEUlS6_S6_E_S6_EEDaPvRmT3_T4_T5_mT6_P12ihipStream_tbENKUlT_T0_E_clISt17integral_constantIbLb1EESX_IbLb0EEEEDaST_SU_EUlST_E0_NS1_11comp_targetILNS1_3genE0ELNS1_11target_archE4294967295ELNS1_3gpuE0ELNS1_3repE0EEENS1_30default_config_static_selectorELNS0_4arch9wavefront6targetE1EEEvT1_,"axG",@progbits,_ZN7rocprim17ROCPRIM_400000_NS6detail17trampoline_kernelINS0_14default_configENS1_20scan_config_selectorIN3c108BFloat16EEEZZNS1_9scan_implILNS1_25lookback_scan_determinismE0ELb0ELb0ES3_PKS6_PS6_S6_ZZZN2at6native31launch_logcumsumexp_cuda_kernelERKNSD_10TensorBaseESH_lENKUlvE_clEvENKUlvE4_clEvEUlS6_S6_E_S6_EEDaPvRmT3_T4_T5_mT6_P12ihipStream_tbENKUlT_T0_E_clISt17integral_constantIbLb1EESX_IbLb0EEEEDaST_SU_EUlST_E0_NS1_11comp_targetILNS1_3genE0ELNS1_11target_archE4294967295ELNS1_3gpuE0ELNS1_3repE0EEENS1_30default_config_static_selectorELNS0_4arch9wavefront6targetE1EEEvT1_,comdat
.Lfunc_end493:
	.size	_ZN7rocprim17ROCPRIM_400000_NS6detail17trampoline_kernelINS0_14default_configENS1_20scan_config_selectorIN3c108BFloat16EEEZZNS1_9scan_implILNS1_25lookback_scan_determinismE0ELb0ELb0ES3_PKS6_PS6_S6_ZZZN2at6native31launch_logcumsumexp_cuda_kernelERKNSD_10TensorBaseESH_lENKUlvE_clEvENKUlvE4_clEvEUlS6_S6_E_S6_EEDaPvRmT3_T4_T5_mT6_P12ihipStream_tbENKUlT_T0_E_clISt17integral_constantIbLb1EESX_IbLb0EEEEDaST_SU_EUlST_E0_NS1_11comp_targetILNS1_3genE0ELNS1_11target_archE4294967295ELNS1_3gpuE0ELNS1_3repE0EEENS1_30default_config_static_selectorELNS0_4arch9wavefront6targetE1EEEvT1_, .Lfunc_end493-_ZN7rocprim17ROCPRIM_400000_NS6detail17trampoline_kernelINS0_14default_configENS1_20scan_config_selectorIN3c108BFloat16EEEZZNS1_9scan_implILNS1_25lookback_scan_determinismE0ELb0ELb0ES3_PKS6_PS6_S6_ZZZN2at6native31launch_logcumsumexp_cuda_kernelERKNSD_10TensorBaseESH_lENKUlvE_clEvENKUlvE4_clEvEUlS6_S6_E_S6_EEDaPvRmT3_T4_T5_mT6_P12ihipStream_tbENKUlT_T0_E_clISt17integral_constantIbLb1EESX_IbLb0EEEEDaST_SU_EUlST_E0_NS1_11comp_targetILNS1_3genE0ELNS1_11target_archE4294967295ELNS1_3gpuE0ELNS1_3repE0EEENS1_30default_config_static_selectorELNS0_4arch9wavefront6targetE1EEEvT1_
                                        ; -- End function
	.set _ZN7rocprim17ROCPRIM_400000_NS6detail17trampoline_kernelINS0_14default_configENS1_20scan_config_selectorIN3c108BFloat16EEEZZNS1_9scan_implILNS1_25lookback_scan_determinismE0ELb0ELb0ES3_PKS6_PS6_S6_ZZZN2at6native31launch_logcumsumexp_cuda_kernelERKNSD_10TensorBaseESH_lENKUlvE_clEvENKUlvE4_clEvEUlS6_S6_E_S6_EEDaPvRmT3_T4_T5_mT6_P12ihipStream_tbENKUlT_T0_E_clISt17integral_constantIbLb1EESX_IbLb0EEEEDaST_SU_EUlST_E0_NS1_11comp_targetILNS1_3genE0ELNS1_11target_archE4294967295ELNS1_3gpuE0ELNS1_3repE0EEENS1_30default_config_static_selectorELNS0_4arch9wavefront6targetE1EEEvT1_.num_vgpr, 54
	.set _ZN7rocprim17ROCPRIM_400000_NS6detail17trampoline_kernelINS0_14default_configENS1_20scan_config_selectorIN3c108BFloat16EEEZZNS1_9scan_implILNS1_25lookback_scan_determinismE0ELb0ELb0ES3_PKS6_PS6_S6_ZZZN2at6native31launch_logcumsumexp_cuda_kernelERKNSD_10TensorBaseESH_lENKUlvE_clEvENKUlvE4_clEvEUlS6_S6_E_S6_EEDaPvRmT3_T4_T5_mT6_P12ihipStream_tbENKUlT_T0_E_clISt17integral_constantIbLb1EESX_IbLb0EEEEDaST_SU_EUlST_E0_NS1_11comp_targetILNS1_3genE0ELNS1_11target_archE4294967295ELNS1_3gpuE0ELNS1_3repE0EEENS1_30default_config_static_selectorELNS0_4arch9wavefront6targetE1EEEvT1_.num_agpr, 0
	.set _ZN7rocprim17ROCPRIM_400000_NS6detail17trampoline_kernelINS0_14default_configENS1_20scan_config_selectorIN3c108BFloat16EEEZZNS1_9scan_implILNS1_25lookback_scan_determinismE0ELb0ELb0ES3_PKS6_PS6_S6_ZZZN2at6native31launch_logcumsumexp_cuda_kernelERKNSD_10TensorBaseESH_lENKUlvE_clEvENKUlvE4_clEvEUlS6_S6_E_S6_EEDaPvRmT3_T4_T5_mT6_P12ihipStream_tbENKUlT_T0_E_clISt17integral_constantIbLb1EESX_IbLb0EEEEDaST_SU_EUlST_E0_NS1_11comp_targetILNS1_3genE0ELNS1_11target_archE4294967295ELNS1_3gpuE0ELNS1_3repE0EEENS1_30default_config_static_selectorELNS0_4arch9wavefront6targetE1EEEvT1_.numbered_sgpr, 68
	.set _ZN7rocprim17ROCPRIM_400000_NS6detail17trampoline_kernelINS0_14default_configENS1_20scan_config_selectorIN3c108BFloat16EEEZZNS1_9scan_implILNS1_25lookback_scan_determinismE0ELb0ELb0ES3_PKS6_PS6_S6_ZZZN2at6native31launch_logcumsumexp_cuda_kernelERKNSD_10TensorBaseESH_lENKUlvE_clEvENKUlvE4_clEvEUlS6_S6_E_S6_EEDaPvRmT3_T4_T5_mT6_P12ihipStream_tbENKUlT_T0_E_clISt17integral_constantIbLb1EESX_IbLb0EEEEDaST_SU_EUlST_E0_NS1_11comp_targetILNS1_3genE0ELNS1_11target_archE4294967295ELNS1_3gpuE0ELNS1_3repE0EEENS1_30default_config_static_selectorELNS0_4arch9wavefront6targetE1EEEvT1_.num_named_barrier, 0
	.set _ZN7rocprim17ROCPRIM_400000_NS6detail17trampoline_kernelINS0_14default_configENS1_20scan_config_selectorIN3c108BFloat16EEEZZNS1_9scan_implILNS1_25lookback_scan_determinismE0ELb0ELb0ES3_PKS6_PS6_S6_ZZZN2at6native31launch_logcumsumexp_cuda_kernelERKNSD_10TensorBaseESH_lENKUlvE_clEvENKUlvE4_clEvEUlS6_S6_E_S6_EEDaPvRmT3_T4_T5_mT6_P12ihipStream_tbENKUlT_T0_E_clISt17integral_constantIbLb1EESX_IbLb0EEEEDaST_SU_EUlST_E0_NS1_11comp_targetILNS1_3genE0ELNS1_11target_archE4294967295ELNS1_3gpuE0ELNS1_3repE0EEENS1_30default_config_static_selectorELNS0_4arch9wavefront6targetE1EEEvT1_.private_seg_size, 0
	.set _ZN7rocprim17ROCPRIM_400000_NS6detail17trampoline_kernelINS0_14default_configENS1_20scan_config_selectorIN3c108BFloat16EEEZZNS1_9scan_implILNS1_25lookback_scan_determinismE0ELb0ELb0ES3_PKS6_PS6_S6_ZZZN2at6native31launch_logcumsumexp_cuda_kernelERKNSD_10TensorBaseESH_lENKUlvE_clEvENKUlvE4_clEvEUlS6_S6_E_S6_EEDaPvRmT3_T4_T5_mT6_P12ihipStream_tbENKUlT_T0_E_clISt17integral_constantIbLb1EESX_IbLb0EEEEDaST_SU_EUlST_E0_NS1_11comp_targetILNS1_3genE0ELNS1_11target_archE4294967295ELNS1_3gpuE0ELNS1_3repE0EEENS1_30default_config_static_selectorELNS0_4arch9wavefront6targetE1EEEvT1_.uses_vcc, 1
	.set _ZN7rocprim17ROCPRIM_400000_NS6detail17trampoline_kernelINS0_14default_configENS1_20scan_config_selectorIN3c108BFloat16EEEZZNS1_9scan_implILNS1_25lookback_scan_determinismE0ELb0ELb0ES3_PKS6_PS6_S6_ZZZN2at6native31launch_logcumsumexp_cuda_kernelERKNSD_10TensorBaseESH_lENKUlvE_clEvENKUlvE4_clEvEUlS6_S6_E_S6_EEDaPvRmT3_T4_T5_mT6_P12ihipStream_tbENKUlT_T0_E_clISt17integral_constantIbLb1EESX_IbLb0EEEEDaST_SU_EUlST_E0_NS1_11comp_targetILNS1_3genE0ELNS1_11target_archE4294967295ELNS1_3gpuE0ELNS1_3repE0EEENS1_30default_config_static_selectorELNS0_4arch9wavefront6targetE1EEEvT1_.uses_flat_scratch, 0
	.set _ZN7rocprim17ROCPRIM_400000_NS6detail17trampoline_kernelINS0_14default_configENS1_20scan_config_selectorIN3c108BFloat16EEEZZNS1_9scan_implILNS1_25lookback_scan_determinismE0ELb0ELb0ES3_PKS6_PS6_S6_ZZZN2at6native31launch_logcumsumexp_cuda_kernelERKNSD_10TensorBaseESH_lENKUlvE_clEvENKUlvE4_clEvEUlS6_S6_E_S6_EEDaPvRmT3_T4_T5_mT6_P12ihipStream_tbENKUlT_T0_E_clISt17integral_constantIbLb1EESX_IbLb0EEEEDaST_SU_EUlST_E0_NS1_11comp_targetILNS1_3genE0ELNS1_11target_archE4294967295ELNS1_3gpuE0ELNS1_3repE0EEENS1_30default_config_static_selectorELNS0_4arch9wavefront6targetE1EEEvT1_.has_dyn_sized_stack, 0
	.set _ZN7rocprim17ROCPRIM_400000_NS6detail17trampoline_kernelINS0_14default_configENS1_20scan_config_selectorIN3c108BFloat16EEEZZNS1_9scan_implILNS1_25lookback_scan_determinismE0ELb0ELb0ES3_PKS6_PS6_S6_ZZZN2at6native31launch_logcumsumexp_cuda_kernelERKNSD_10TensorBaseESH_lENKUlvE_clEvENKUlvE4_clEvEUlS6_S6_E_S6_EEDaPvRmT3_T4_T5_mT6_P12ihipStream_tbENKUlT_T0_E_clISt17integral_constantIbLb1EESX_IbLb0EEEEDaST_SU_EUlST_E0_NS1_11comp_targetILNS1_3genE0ELNS1_11target_archE4294967295ELNS1_3gpuE0ELNS1_3repE0EEENS1_30default_config_static_selectorELNS0_4arch9wavefront6targetE1EEEvT1_.has_recursion, 0
	.set _ZN7rocprim17ROCPRIM_400000_NS6detail17trampoline_kernelINS0_14default_configENS1_20scan_config_selectorIN3c108BFloat16EEEZZNS1_9scan_implILNS1_25lookback_scan_determinismE0ELb0ELb0ES3_PKS6_PS6_S6_ZZZN2at6native31launch_logcumsumexp_cuda_kernelERKNSD_10TensorBaseESH_lENKUlvE_clEvENKUlvE4_clEvEUlS6_S6_E_S6_EEDaPvRmT3_T4_T5_mT6_P12ihipStream_tbENKUlT_T0_E_clISt17integral_constantIbLb1EESX_IbLb0EEEEDaST_SU_EUlST_E0_NS1_11comp_targetILNS1_3genE0ELNS1_11target_archE4294967295ELNS1_3gpuE0ELNS1_3repE0EEENS1_30default_config_static_selectorELNS0_4arch9wavefront6targetE1EEEvT1_.has_indirect_call, 0
	.section	.AMDGPU.csdata,"",@progbits
; Kernel info:
; codeLenInByte = 32224
; TotalNumSgprs: 74
; NumVgprs: 54
; NumAgprs: 0
; TotalNumVgprs: 54
; ScratchSize: 0
; MemoryBound: 0
; FloatMode: 240
; IeeeMode: 1
; LDSByteSize: 3584 bytes/workgroup (compile time only)
; SGPRBlocks: 9
; VGPRBlocks: 6
; NumSGPRsForWavesPerEU: 74
; NumVGPRsForWavesPerEU: 54
; AccumOffset: 56
; Occupancy: 8
; WaveLimiterHint : 0
; COMPUTE_PGM_RSRC2:SCRATCH_EN: 0
; COMPUTE_PGM_RSRC2:USER_SGPR: 2
; COMPUTE_PGM_RSRC2:TRAP_HANDLER: 0
; COMPUTE_PGM_RSRC2:TGID_X_EN: 1
; COMPUTE_PGM_RSRC2:TGID_Y_EN: 0
; COMPUTE_PGM_RSRC2:TGID_Z_EN: 0
; COMPUTE_PGM_RSRC2:TIDIG_COMP_CNT: 0
; COMPUTE_PGM_RSRC3_GFX90A:ACCUM_OFFSET: 13
; COMPUTE_PGM_RSRC3_GFX90A:TG_SPLIT: 0
	.section	.text._ZN7rocprim17ROCPRIM_400000_NS6detail17trampoline_kernelINS0_14default_configENS1_20scan_config_selectorIN3c108BFloat16EEEZZNS1_9scan_implILNS1_25lookback_scan_determinismE0ELb0ELb0ES3_PKS6_PS6_S6_ZZZN2at6native31launch_logcumsumexp_cuda_kernelERKNSD_10TensorBaseESH_lENKUlvE_clEvENKUlvE4_clEvEUlS6_S6_E_S6_EEDaPvRmT3_T4_T5_mT6_P12ihipStream_tbENKUlT_T0_E_clISt17integral_constantIbLb1EESX_IbLb0EEEEDaST_SU_EUlST_E0_NS1_11comp_targetILNS1_3genE5ELNS1_11target_archE942ELNS1_3gpuE9ELNS1_3repE0EEENS1_30default_config_static_selectorELNS0_4arch9wavefront6targetE1EEEvT1_,"axG",@progbits,_ZN7rocprim17ROCPRIM_400000_NS6detail17trampoline_kernelINS0_14default_configENS1_20scan_config_selectorIN3c108BFloat16EEEZZNS1_9scan_implILNS1_25lookback_scan_determinismE0ELb0ELb0ES3_PKS6_PS6_S6_ZZZN2at6native31launch_logcumsumexp_cuda_kernelERKNSD_10TensorBaseESH_lENKUlvE_clEvENKUlvE4_clEvEUlS6_S6_E_S6_EEDaPvRmT3_T4_T5_mT6_P12ihipStream_tbENKUlT_T0_E_clISt17integral_constantIbLb1EESX_IbLb0EEEEDaST_SU_EUlST_E0_NS1_11comp_targetILNS1_3genE5ELNS1_11target_archE942ELNS1_3gpuE9ELNS1_3repE0EEENS1_30default_config_static_selectorELNS0_4arch9wavefront6targetE1EEEvT1_,comdat
	.globl	_ZN7rocprim17ROCPRIM_400000_NS6detail17trampoline_kernelINS0_14default_configENS1_20scan_config_selectorIN3c108BFloat16EEEZZNS1_9scan_implILNS1_25lookback_scan_determinismE0ELb0ELb0ES3_PKS6_PS6_S6_ZZZN2at6native31launch_logcumsumexp_cuda_kernelERKNSD_10TensorBaseESH_lENKUlvE_clEvENKUlvE4_clEvEUlS6_S6_E_S6_EEDaPvRmT3_T4_T5_mT6_P12ihipStream_tbENKUlT_T0_E_clISt17integral_constantIbLb1EESX_IbLb0EEEEDaST_SU_EUlST_E0_NS1_11comp_targetILNS1_3genE5ELNS1_11target_archE942ELNS1_3gpuE9ELNS1_3repE0EEENS1_30default_config_static_selectorELNS0_4arch9wavefront6targetE1EEEvT1_ ; -- Begin function _ZN7rocprim17ROCPRIM_400000_NS6detail17trampoline_kernelINS0_14default_configENS1_20scan_config_selectorIN3c108BFloat16EEEZZNS1_9scan_implILNS1_25lookback_scan_determinismE0ELb0ELb0ES3_PKS6_PS6_S6_ZZZN2at6native31launch_logcumsumexp_cuda_kernelERKNSD_10TensorBaseESH_lENKUlvE_clEvENKUlvE4_clEvEUlS6_S6_E_S6_EEDaPvRmT3_T4_T5_mT6_P12ihipStream_tbENKUlT_T0_E_clISt17integral_constantIbLb1EESX_IbLb0EEEEDaST_SU_EUlST_E0_NS1_11comp_targetILNS1_3genE5ELNS1_11target_archE942ELNS1_3gpuE9ELNS1_3repE0EEENS1_30default_config_static_selectorELNS0_4arch9wavefront6targetE1EEEvT1_
	.p2align	8
	.type	_ZN7rocprim17ROCPRIM_400000_NS6detail17trampoline_kernelINS0_14default_configENS1_20scan_config_selectorIN3c108BFloat16EEEZZNS1_9scan_implILNS1_25lookback_scan_determinismE0ELb0ELb0ES3_PKS6_PS6_S6_ZZZN2at6native31launch_logcumsumexp_cuda_kernelERKNSD_10TensorBaseESH_lENKUlvE_clEvENKUlvE4_clEvEUlS6_S6_E_S6_EEDaPvRmT3_T4_T5_mT6_P12ihipStream_tbENKUlT_T0_E_clISt17integral_constantIbLb1EESX_IbLb0EEEEDaST_SU_EUlST_E0_NS1_11comp_targetILNS1_3genE5ELNS1_11target_archE942ELNS1_3gpuE9ELNS1_3repE0EEENS1_30default_config_static_selectorELNS0_4arch9wavefront6targetE1EEEvT1_,@function
_ZN7rocprim17ROCPRIM_400000_NS6detail17trampoline_kernelINS0_14default_configENS1_20scan_config_selectorIN3c108BFloat16EEEZZNS1_9scan_implILNS1_25lookback_scan_determinismE0ELb0ELb0ES3_PKS6_PS6_S6_ZZZN2at6native31launch_logcumsumexp_cuda_kernelERKNSD_10TensorBaseESH_lENKUlvE_clEvENKUlvE4_clEvEUlS6_S6_E_S6_EEDaPvRmT3_T4_T5_mT6_P12ihipStream_tbENKUlT_T0_E_clISt17integral_constantIbLb1EESX_IbLb0EEEEDaST_SU_EUlST_E0_NS1_11comp_targetILNS1_3genE5ELNS1_11target_archE942ELNS1_3gpuE9ELNS1_3repE0EEENS1_30default_config_static_selectorELNS0_4arch9wavefront6targetE1EEEvT1_: ; @_ZN7rocprim17ROCPRIM_400000_NS6detail17trampoline_kernelINS0_14default_configENS1_20scan_config_selectorIN3c108BFloat16EEEZZNS1_9scan_implILNS1_25lookback_scan_determinismE0ELb0ELb0ES3_PKS6_PS6_S6_ZZZN2at6native31launch_logcumsumexp_cuda_kernelERKNSD_10TensorBaseESH_lENKUlvE_clEvENKUlvE4_clEvEUlS6_S6_E_S6_EEDaPvRmT3_T4_T5_mT6_P12ihipStream_tbENKUlT_T0_E_clISt17integral_constantIbLb1EESX_IbLb0EEEEDaST_SU_EUlST_E0_NS1_11comp_targetILNS1_3genE5ELNS1_11target_archE942ELNS1_3gpuE9ELNS1_3repE0EEENS1_30default_config_static_selectorELNS0_4arch9wavefront6targetE1EEEvT1_
; %bb.0:
	.section	.rodata,"a",@progbits
	.p2align	6, 0x0
	.amdhsa_kernel _ZN7rocprim17ROCPRIM_400000_NS6detail17trampoline_kernelINS0_14default_configENS1_20scan_config_selectorIN3c108BFloat16EEEZZNS1_9scan_implILNS1_25lookback_scan_determinismE0ELb0ELb0ES3_PKS6_PS6_S6_ZZZN2at6native31launch_logcumsumexp_cuda_kernelERKNSD_10TensorBaseESH_lENKUlvE_clEvENKUlvE4_clEvEUlS6_S6_E_S6_EEDaPvRmT3_T4_T5_mT6_P12ihipStream_tbENKUlT_T0_E_clISt17integral_constantIbLb1EESX_IbLb0EEEEDaST_SU_EUlST_E0_NS1_11comp_targetILNS1_3genE5ELNS1_11target_archE942ELNS1_3gpuE9ELNS1_3repE0EEENS1_30default_config_static_selectorELNS0_4arch9wavefront6targetE1EEEvT1_
		.amdhsa_group_segment_fixed_size 0
		.amdhsa_private_segment_fixed_size 0
		.amdhsa_kernarg_size 32
		.amdhsa_user_sgpr_count 2
		.amdhsa_user_sgpr_dispatch_ptr 0
		.amdhsa_user_sgpr_queue_ptr 0
		.amdhsa_user_sgpr_kernarg_segment_ptr 1
		.amdhsa_user_sgpr_dispatch_id 0
		.amdhsa_user_sgpr_kernarg_preload_length 0
		.amdhsa_user_sgpr_kernarg_preload_offset 0
		.amdhsa_user_sgpr_private_segment_size 0
		.amdhsa_uses_dynamic_stack 0
		.amdhsa_enable_private_segment 0
		.amdhsa_system_sgpr_workgroup_id_x 1
		.amdhsa_system_sgpr_workgroup_id_y 0
		.amdhsa_system_sgpr_workgroup_id_z 0
		.amdhsa_system_sgpr_workgroup_info 0
		.amdhsa_system_vgpr_workitem_id 0
		.amdhsa_next_free_vgpr 1
		.amdhsa_next_free_sgpr 0
		.amdhsa_accum_offset 4
		.amdhsa_reserve_vcc 0
		.amdhsa_float_round_mode_32 0
		.amdhsa_float_round_mode_16_64 0
		.amdhsa_float_denorm_mode_32 3
		.amdhsa_float_denorm_mode_16_64 3
		.amdhsa_dx10_clamp 1
		.amdhsa_ieee_mode 1
		.amdhsa_fp16_overflow 0
		.amdhsa_tg_split 0
		.amdhsa_exception_fp_ieee_invalid_op 0
		.amdhsa_exception_fp_denorm_src 0
		.amdhsa_exception_fp_ieee_div_zero 0
		.amdhsa_exception_fp_ieee_overflow 0
		.amdhsa_exception_fp_ieee_underflow 0
		.amdhsa_exception_fp_ieee_inexact 0
		.amdhsa_exception_int_div_zero 0
	.end_amdhsa_kernel
	.section	.text._ZN7rocprim17ROCPRIM_400000_NS6detail17trampoline_kernelINS0_14default_configENS1_20scan_config_selectorIN3c108BFloat16EEEZZNS1_9scan_implILNS1_25lookback_scan_determinismE0ELb0ELb0ES3_PKS6_PS6_S6_ZZZN2at6native31launch_logcumsumexp_cuda_kernelERKNSD_10TensorBaseESH_lENKUlvE_clEvENKUlvE4_clEvEUlS6_S6_E_S6_EEDaPvRmT3_T4_T5_mT6_P12ihipStream_tbENKUlT_T0_E_clISt17integral_constantIbLb1EESX_IbLb0EEEEDaST_SU_EUlST_E0_NS1_11comp_targetILNS1_3genE5ELNS1_11target_archE942ELNS1_3gpuE9ELNS1_3repE0EEENS1_30default_config_static_selectorELNS0_4arch9wavefront6targetE1EEEvT1_,"axG",@progbits,_ZN7rocprim17ROCPRIM_400000_NS6detail17trampoline_kernelINS0_14default_configENS1_20scan_config_selectorIN3c108BFloat16EEEZZNS1_9scan_implILNS1_25lookback_scan_determinismE0ELb0ELb0ES3_PKS6_PS6_S6_ZZZN2at6native31launch_logcumsumexp_cuda_kernelERKNSD_10TensorBaseESH_lENKUlvE_clEvENKUlvE4_clEvEUlS6_S6_E_S6_EEDaPvRmT3_T4_T5_mT6_P12ihipStream_tbENKUlT_T0_E_clISt17integral_constantIbLb1EESX_IbLb0EEEEDaST_SU_EUlST_E0_NS1_11comp_targetILNS1_3genE5ELNS1_11target_archE942ELNS1_3gpuE9ELNS1_3repE0EEENS1_30default_config_static_selectorELNS0_4arch9wavefront6targetE1EEEvT1_,comdat
.Lfunc_end494:
	.size	_ZN7rocprim17ROCPRIM_400000_NS6detail17trampoline_kernelINS0_14default_configENS1_20scan_config_selectorIN3c108BFloat16EEEZZNS1_9scan_implILNS1_25lookback_scan_determinismE0ELb0ELb0ES3_PKS6_PS6_S6_ZZZN2at6native31launch_logcumsumexp_cuda_kernelERKNSD_10TensorBaseESH_lENKUlvE_clEvENKUlvE4_clEvEUlS6_S6_E_S6_EEDaPvRmT3_T4_T5_mT6_P12ihipStream_tbENKUlT_T0_E_clISt17integral_constantIbLb1EESX_IbLb0EEEEDaST_SU_EUlST_E0_NS1_11comp_targetILNS1_3genE5ELNS1_11target_archE942ELNS1_3gpuE9ELNS1_3repE0EEENS1_30default_config_static_selectorELNS0_4arch9wavefront6targetE1EEEvT1_, .Lfunc_end494-_ZN7rocprim17ROCPRIM_400000_NS6detail17trampoline_kernelINS0_14default_configENS1_20scan_config_selectorIN3c108BFloat16EEEZZNS1_9scan_implILNS1_25lookback_scan_determinismE0ELb0ELb0ES3_PKS6_PS6_S6_ZZZN2at6native31launch_logcumsumexp_cuda_kernelERKNSD_10TensorBaseESH_lENKUlvE_clEvENKUlvE4_clEvEUlS6_S6_E_S6_EEDaPvRmT3_T4_T5_mT6_P12ihipStream_tbENKUlT_T0_E_clISt17integral_constantIbLb1EESX_IbLb0EEEEDaST_SU_EUlST_E0_NS1_11comp_targetILNS1_3genE5ELNS1_11target_archE942ELNS1_3gpuE9ELNS1_3repE0EEENS1_30default_config_static_selectorELNS0_4arch9wavefront6targetE1EEEvT1_
                                        ; -- End function
	.set _ZN7rocprim17ROCPRIM_400000_NS6detail17trampoline_kernelINS0_14default_configENS1_20scan_config_selectorIN3c108BFloat16EEEZZNS1_9scan_implILNS1_25lookback_scan_determinismE0ELb0ELb0ES3_PKS6_PS6_S6_ZZZN2at6native31launch_logcumsumexp_cuda_kernelERKNSD_10TensorBaseESH_lENKUlvE_clEvENKUlvE4_clEvEUlS6_S6_E_S6_EEDaPvRmT3_T4_T5_mT6_P12ihipStream_tbENKUlT_T0_E_clISt17integral_constantIbLb1EESX_IbLb0EEEEDaST_SU_EUlST_E0_NS1_11comp_targetILNS1_3genE5ELNS1_11target_archE942ELNS1_3gpuE9ELNS1_3repE0EEENS1_30default_config_static_selectorELNS0_4arch9wavefront6targetE1EEEvT1_.num_vgpr, 0
	.set _ZN7rocprim17ROCPRIM_400000_NS6detail17trampoline_kernelINS0_14default_configENS1_20scan_config_selectorIN3c108BFloat16EEEZZNS1_9scan_implILNS1_25lookback_scan_determinismE0ELb0ELb0ES3_PKS6_PS6_S6_ZZZN2at6native31launch_logcumsumexp_cuda_kernelERKNSD_10TensorBaseESH_lENKUlvE_clEvENKUlvE4_clEvEUlS6_S6_E_S6_EEDaPvRmT3_T4_T5_mT6_P12ihipStream_tbENKUlT_T0_E_clISt17integral_constantIbLb1EESX_IbLb0EEEEDaST_SU_EUlST_E0_NS1_11comp_targetILNS1_3genE5ELNS1_11target_archE942ELNS1_3gpuE9ELNS1_3repE0EEENS1_30default_config_static_selectorELNS0_4arch9wavefront6targetE1EEEvT1_.num_agpr, 0
	.set _ZN7rocprim17ROCPRIM_400000_NS6detail17trampoline_kernelINS0_14default_configENS1_20scan_config_selectorIN3c108BFloat16EEEZZNS1_9scan_implILNS1_25lookback_scan_determinismE0ELb0ELb0ES3_PKS6_PS6_S6_ZZZN2at6native31launch_logcumsumexp_cuda_kernelERKNSD_10TensorBaseESH_lENKUlvE_clEvENKUlvE4_clEvEUlS6_S6_E_S6_EEDaPvRmT3_T4_T5_mT6_P12ihipStream_tbENKUlT_T0_E_clISt17integral_constantIbLb1EESX_IbLb0EEEEDaST_SU_EUlST_E0_NS1_11comp_targetILNS1_3genE5ELNS1_11target_archE942ELNS1_3gpuE9ELNS1_3repE0EEENS1_30default_config_static_selectorELNS0_4arch9wavefront6targetE1EEEvT1_.numbered_sgpr, 0
	.set _ZN7rocprim17ROCPRIM_400000_NS6detail17trampoline_kernelINS0_14default_configENS1_20scan_config_selectorIN3c108BFloat16EEEZZNS1_9scan_implILNS1_25lookback_scan_determinismE0ELb0ELb0ES3_PKS6_PS6_S6_ZZZN2at6native31launch_logcumsumexp_cuda_kernelERKNSD_10TensorBaseESH_lENKUlvE_clEvENKUlvE4_clEvEUlS6_S6_E_S6_EEDaPvRmT3_T4_T5_mT6_P12ihipStream_tbENKUlT_T0_E_clISt17integral_constantIbLb1EESX_IbLb0EEEEDaST_SU_EUlST_E0_NS1_11comp_targetILNS1_3genE5ELNS1_11target_archE942ELNS1_3gpuE9ELNS1_3repE0EEENS1_30default_config_static_selectorELNS0_4arch9wavefront6targetE1EEEvT1_.num_named_barrier, 0
	.set _ZN7rocprim17ROCPRIM_400000_NS6detail17trampoline_kernelINS0_14default_configENS1_20scan_config_selectorIN3c108BFloat16EEEZZNS1_9scan_implILNS1_25lookback_scan_determinismE0ELb0ELb0ES3_PKS6_PS6_S6_ZZZN2at6native31launch_logcumsumexp_cuda_kernelERKNSD_10TensorBaseESH_lENKUlvE_clEvENKUlvE4_clEvEUlS6_S6_E_S6_EEDaPvRmT3_T4_T5_mT6_P12ihipStream_tbENKUlT_T0_E_clISt17integral_constantIbLb1EESX_IbLb0EEEEDaST_SU_EUlST_E0_NS1_11comp_targetILNS1_3genE5ELNS1_11target_archE942ELNS1_3gpuE9ELNS1_3repE0EEENS1_30default_config_static_selectorELNS0_4arch9wavefront6targetE1EEEvT1_.private_seg_size, 0
	.set _ZN7rocprim17ROCPRIM_400000_NS6detail17trampoline_kernelINS0_14default_configENS1_20scan_config_selectorIN3c108BFloat16EEEZZNS1_9scan_implILNS1_25lookback_scan_determinismE0ELb0ELb0ES3_PKS6_PS6_S6_ZZZN2at6native31launch_logcumsumexp_cuda_kernelERKNSD_10TensorBaseESH_lENKUlvE_clEvENKUlvE4_clEvEUlS6_S6_E_S6_EEDaPvRmT3_T4_T5_mT6_P12ihipStream_tbENKUlT_T0_E_clISt17integral_constantIbLb1EESX_IbLb0EEEEDaST_SU_EUlST_E0_NS1_11comp_targetILNS1_3genE5ELNS1_11target_archE942ELNS1_3gpuE9ELNS1_3repE0EEENS1_30default_config_static_selectorELNS0_4arch9wavefront6targetE1EEEvT1_.uses_vcc, 0
	.set _ZN7rocprim17ROCPRIM_400000_NS6detail17trampoline_kernelINS0_14default_configENS1_20scan_config_selectorIN3c108BFloat16EEEZZNS1_9scan_implILNS1_25lookback_scan_determinismE0ELb0ELb0ES3_PKS6_PS6_S6_ZZZN2at6native31launch_logcumsumexp_cuda_kernelERKNSD_10TensorBaseESH_lENKUlvE_clEvENKUlvE4_clEvEUlS6_S6_E_S6_EEDaPvRmT3_T4_T5_mT6_P12ihipStream_tbENKUlT_T0_E_clISt17integral_constantIbLb1EESX_IbLb0EEEEDaST_SU_EUlST_E0_NS1_11comp_targetILNS1_3genE5ELNS1_11target_archE942ELNS1_3gpuE9ELNS1_3repE0EEENS1_30default_config_static_selectorELNS0_4arch9wavefront6targetE1EEEvT1_.uses_flat_scratch, 0
	.set _ZN7rocprim17ROCPRIM_400000_NS6detail17trampoline_kernelINS0_14default_configENS1_20scan_config_selectorIN3c108BFloat16EEEZZNS1_9scan_implILNS1_25lookback_scan_determinismE0ELb0ELb0ES3_PKS6_PS6_S6_ZZZN2at6native31launch_logcumsumexp_cuda_kernelERKNSD_10TensorBaseESH_lENKUlvE_clEvENKUlvE4_clEvEUlS6_S6_E_S6_EEDaPvRmT3_T4_T5_mT6_P12ihipStream_tbENKUlT_T0_E_clISt17integral_constantIbLb1EESX_IbLb0EEEEDaST_SU_EUlST_E0_NS1_11comp_targetILNS1_3genE5ELNS1_11target_archE942ELNS1_3gpuE9ELNS1_3repE0EEENS1_30default_config_static_selectorELNS0_4arch9wavefront6targetE1EEEvT1_.has_dyn_sized_stack, 0
	.set _ZN7rocprim17ROCPRIM_400000_NS6detail17trampoline_kernelINS0_14default_configENS1_20scan_config_selectorIN3c108BFloat16EEEZZNS1_9scan_implILNS1_25lookback_scan_determinismE0ELb0ELb0ES3_PKS6_PS6_S6_ZZZN2at6native31launch_logcumsumexp_cuda_kernelERKNSD_10TensorBaseESH_lENKUlvE_clEvENKUlvE4_clEvEUlS6_S6_E_S6_EEDaPvRmT3_T4_T5_mT6_P12ihipStream_tbENKUlT_T0_E_clISt17integral_constantIbLb1EESX_IbLb0EEEEDaST_SU_EUlST_E0_NS1_11comp_targetILNS1_3genE5ELNS1_11target_archE942ELNS1_3gpuE9ELNS1_3repE0EEENS1_30default_config_static_selectorELNS0_4arch9wavefront6targetE1EEEvT1_.has_recursion, 0
	.set _ZN7rocprim17ROCPRIM_400000_NS6detail17trampoline_kernelINS0_14default_configENS1_20scan_config_selectorIN3c108BFloat16EEEZZNS1_9scan_implILNS1_25lookback_scan_determinismE0ELb0ELb0ES3_PKS6_PS6_S6_ZZZN2at6native31launch_logcumsumexp_cuda_kernelERKNSD_10TensorBaseESH_lENKUlvE_clEvENKUlvE4_clEvEUlS6_S6_E_S6_EEDaPvRmT3_T4_T5_mT6_P12ihipStream_tbENKUlT_T0_E_clISt17integral_constantIbLb1EESX_IbLb0EEEEDaST_SU_EUlST_E0_NS1_11comp_targetILNS1_3genE5ELNS1_11target_archE942ELNS1_3gpuE9ELNS1_3repE0EEENS1_30default_config_static_selectorELNS0_4arch9wavefront6targetE1EEEvT1_.has_indirect_call, 0
	.section	.AMDGPU.csdata,"",@progbits
; Kernel info:
; codeLenInByte = 0
; TotalNumSgprs: 6
; NumVgprs: 0
; NumAgprs: 0
; TotalNumVgprs: 0
; ScratchSize: 0
; MemoryBound: 0
; FloatMode: 240
; IeeeMode: 1
; LDSByteSize: 0 bytes/workgroup (compile time only)
; SGPRBlocks: 0
; VGPRBlocks: 0
; NumSGPRsForWavesPerEU: 6
; NumVGPRsForWavesPerEU: 1
; AccumOffset: 4
; Occupancy: 8
; WaveLimiterHint : 0
; COMPUTE_PGM_RSRC2:SCRATCH_EN: 0
; COMPUTE_PGM_RSRC2:USER_SGPR: 2
; COMPUTE_PGM_RSRC2:TRAP_HANDLER: 0
; COMPUTE_PGM_RSRC2:TGID_X_EN: 1
; COMPUTE_PGM_RSRC2:TGID_Y_EN: 0
; COMPUTE_PGM_RSRC2:TGID_Z_EN: 0
; COMPUTE_PGM_RSRC2:TIDIG_COMP_CNT: 0
; COMPUTE_PGM_RSRC3_GFX90A:ACCUM_OFFSET: 0
; COMPUTE_PGM_RSRC3_GFX90A:TG_SPLIT: 0
	.section	.text._ZN7rocprim17ROCPRIM_400000_NS6detail17trampoline_kernelINS0_14default_configENS1_20scan_config_selectorIN3c108BFloat16EEEZZNS1_9scan_implILNS1_25lookback_scan_determinismE0ELb0ELb0ES3_PKS6_PS6_S6_ZZZN2at6native31launch_logcumsumexp_cuda_kernelERKNSD_10TensorBaseESH_lENKUlvE_clEvENKUlvE4_clEvEUlS6_S6_E_S6_EEDaPvRmT3_T4_T5_mT6_P12ihipStream_tbENKUlT_T0_E_clISt17integral_constantIbLb1EESX_IbLb0EEEEDaST_SU_EUlST_E0_NS1_11comp_targetILNS1_3genE4ELNS1_11target_archE910ELNS1_3gpuE8ELNS1_3repE0EEENS1_30default_config_static_selectorELNS0_4arch9wavefront6targetE1EEEvT1_,"axG",@progbits,_ZN7rocprim17ROCPRIM_400000_NS6detail17trampoline_kernelINS0_14default_configENS1_20scan_config_selectorIN3c108BFloat16EEEZZNS1_9scan_implILNS1_25lookback_scan_determinismE0ELb0ELb0ES3_PKS6_PS6_S6_ZZZN2at6native31launch_logcumsumexp_cuda_kernelERKNSD_10TensorBaseESH_lENKUlvE_clEvENKUlvE4_clEvEUlS6_S6_E_S6_EEDaPvRmT3_T4_T5_mT6_P12ihipStream_tbENKUlT_T0_E_clISt17integral_constantIbLb1EESX_IbLb0EEEEDaST_SU_EUlST_E0_NS1_11comp_targetILNS1_3genE4ELNS1_11target_archE910ELNS1_3gpuE8ELNS1_3repE0EEENS1_30default_config_static_selectorELNS0_4arch9wavefront6targetE1EEEvT1_,comdat
	.globl	_ZN7rocprim17ROCPRIM_400000_NS6detail17trampoline_kernelINS0_14default_configENS1_20scan_config_selectorIN3c108BFloat16EEEZZNS1_9scan_implILNS1_25lookback_scan_determinismE0ELb0ELb0ES3_PKS6_PS6_S6_ZZZN2at6native31launch_logcumsumexp_cuda_kernelERKNSD_10TensorBaseESH_lENKUlvE_clEvENKUlvE4_clEvEUlS6_S6_E_S6_EEDaPvRmT3_T4_T5_mT6_P12ihipStream_tbENKUlT_T0_E_clISt17integral_constantIbLb1EESX_IbLb0EEEEDaST_SU_EUlST_E0_NS1_11comp_targetILNS1_3genE4ELNS1_11target_archE910ELNS1_3gpuE8ELNS1_3repE0EEENS1_30default_config_static_selectorELNS0_4arch9wavefront6targetE1EEEvT1_ ; -- Begin function _ZN7rocprim17ROCPRIM_400000_NS6detail17trampoline_kernelINS0_14default_configENS1_20scan_config_selectorIN3c108BFloat16EEEZZNS1_9scan_implILNS1_25lookback_scan_determinismE0ELb0ELb0ES3_PKS6_PS6_S6_ZZZN2at6native31launch_logcumsumexp_cuda_kernelERKNSD_10TensorBaseESH_lENKUlvE_clEvENKUlvE4_clEvEUlS6_S6_E_S6_EEDaPvRmT3_T4_T5_mT6_P12ihipStream_tbENKUlT_T0_E_clISt17integral_constantIbLb1EESX_IbLb0EEEEDaST_SU_EUlST_E0_NS1_11comp_targetILNS1_3genE4ELNS1_11target_archE910ELNS1_3gpuE8ELNS1_3repE0EEENS1_30default_config_static_selectorELNS0_4arch9wavefront6targetE1EEEvT1_
	.p2align	8
	.type	_ZN7rocprim17ROCPRIM_400000_NS6detail17trampoline_kernelINS0_14default_configENS1_20scan_config_selectorIN3c108BFloat16EEEZZNS1_9scan_implILNS1_25lookback_scan_determinismE0ELb0ELb0ES3_PKS6_PS6_S6_ZZZN2at6native31launch_logcumsumexp_cuda_kernelERKNSD_10TensorBaseESH_lENKUlvE_clEvENKUlvE4_clEvEUlS6_S6_E_S6_EEDaPvRmT3_T4_T5_mT6_P12ihipStream_tbENKUlT_T0_E_clISt17integral_constantIbLb1EESX_IbLb0EEEEDaST_SU_EUlST_E0_NS1_11comp_targetILNS1_3genE4ELNS1_11target_archE910ELNS1_3gpuE8ELNS1_3repE0EEENS1_30default_config_static_selectorELNS0_4arch9wavefront6targetE1EEEvT1_,@function
_ZN7rocprim17ROCPRIM_400000_NS6detail17trampoline_kernelINS0_14default_configENS1_20scan_config_selectorIN3c108BFloat16EEEZZNS1_9scan_implILNS1_25lookback_scan_determinismE0ELb0ELb0ES3_PKS6_PS6_S6_ZZZN2at6native31launch_logcumsumexp_cuda_kernelERKNSD_10TensorBaseESH_lENKUlvE_clEvENKUlvE4_clEvEUlS6_S6_E_S6_EEDaPvRmT3_T4_T5_mT6_P12ihipStream_tbENKUlT_T0_E_clISt17integral_constantIbLb1EESX_IbLb0EEEEDaST_SU_EUlST_E0_NS1_11comp_targetILNS1_3genE4ELNS1_11target_archE910ELNS1_3gpuE8ELNS1_3repE0EEENS1_30default_config_static_selectorELNS0_4arch9wavefront6targetE1EEEvT1_: ; @_ZN7rocprim17ROCPRIM_400000_NS6detail17trampoline_kernelINS0_14default_configENS1_20scan_config_selectorIN3c108BFloat16EEEZZNS1_9scan_implILNS1_25lookback_scan_determinismE0ELb0ELb0ES3_PKS6_PS6_S6_ZZZN2at6native31launch_logcumsumexp_cuda_kernelERKNSD_10TensorBaseESH_lENKUlvE_clEvENKUlvE4_clEvEUlS6_S6_E_S6_EEDaPvRmT3_T4_T5_mT6_P12ihipStream_tbENKUlT_T0_E_clISt17integral_constantIbLb1EESX_IbLb0EEEEDaST_SU_EUlST_E0_NS1_11comp_targetILNS1_3genE4ELNS1_11target_archE910ELNS1_3gpuE8ELNS1_3repE0EEENS1_30default_config_static_selectorELNS0_4arch9wavefront6targetE1EEEvT1_
; %bb.0:
	.section	.rodata,"a",@progbits
	.p2align	6, 0x0
	.amdhsa_kernel _ZN7rocprim17ROCPRIM_400000_NS6detail17trampoline_kernelINS0_14default_configENS1_20scan_config_selectorIN3c108BFloat16EEEZZNS1_9scan_implILNS1_25lookback_scan_determinismE0ELb0ELb0ES3_PKS6_PS6_S6_ZZZN2at6native31launch_logcumsumexp_cuda_kernelERKNSD_10TensorBaseESH_lENKUlvE_clEvENKUlvE4_clEvEUlS6_S6_E_S6_EEDaPvRmT3_T4_T5_mT6_P12ihipStream_tbENKUlT_T0_E_clISt17integral_constantIbLb1EESX_IbLb0EEEEDaST_SU_EUlST_E0_NS1_11comp_targetILNS1_3genE4ELNS1_11target_archE910ELNS1_3gpuE8ELNS1_3repE0EEENS1_30default_config_static_selectorELNS0_4arch9wavefront6targetE1EEEvT1_
		.amdhsa_group_segment_fixed_size 0
		.amdhsa_private_segment_fixed_size 0
		.amdhsa_kernarg_size 32
		.amdhsa_user_sgpr_count 2
		.amdhsa_user_sgpr_dispatch_ptr 0
		.amdhsa_user_sgpr_queue_ptr 0
		.amdhsa_user_sgpr_kernarg_segment_ptr 1
		.amdhsa_user_sgpr_dispatch_id 0
		.amdhsa_user_sgpr_kernarg_preload_length 0
		.amdhsa_user_sgpr_kernarg_preload_offset 0
		.amdhsa_user_sgpr_private_segment_size 0
		.amdhsa_uses_dynamic_stack 0
		.amdhsa_enable_private_segment 0
		.amdhsa_system_sgpr_workgroup_id_x 1
		.amdhsa_system_sgpr_workgroup_id_y 0
		.amdhsa_system_sgpr_workgroup_id_z 0
		.amdhsa_system_sgpr_workgroup_info 0
		.amdhsa_system_vgpr_workitem_id 0
		.amdhsa_next_free_vgpr 1
		.amdhsa_next_free_sgpr 0
		.amdhsa_accum_offset 4
		.amdhsa_reserve_vcc 0
		.amdhsa_float_round_mode_32 0
		.amdhsa_float_round_mode_16_64 0
		.amdhsa_float_denorm_mode_32 3
		.amdhsa_float_denorm_mode_16_64 3
		.amdhsa_dx10_clamp 1
		.amdhsa_ieee_mode 1
		.amdhsa_fp16_overflow 0
		.amdhsa_tg_split 0
		.amdhsa_exception_fp_ieee_invalid_op 0
		.amdhsa_exception_fp_denorm_src 0
		.amdhsa_exception_fp_ieee_div_zero 0
		.amdhsa_exception_fp_ieee_overflow 0
		.amdhsa_exception_fp_ieee_underflow 0
		.amdhsa_exception_fp_ieee_inexact 0
		.amdhsa_exception_int_div_zero 0
	.end_amdhsa_kernel
	.section	.text._ZN7rocprim17ROCPRIM_400000_NS6detail17trampoline_kernelINS0_14default_configENS1_20scan_config_selectorIN3c108BFloat16EEEZZNS1_9scan_implILNS1_25lookback_scan_determinismE0ELb0ELb0ES3_PKS6_PS6_S6_ZZZN2at6native31launch_logcumsumexp_cuda_kernelERKNSD_10TensorBaseESH_lENKUlvE_clEvENKUlvE4_clEvEUlS6_S6_E_S6_EEDaPvRmT3_T4_T5_mT6_P12ihipStream_tbENKUlT_T0_E_clISt17integral_constantIbLb1EESX_IbLb0EEEEDaST_SU_EUlST_E0_NS1_11comp_targetILNS1_3genE4ELNS1_11target_archE910ELNS1_3gpuE8ELNS1_3repE0EEENS1_30default_config_static_selectorELNS0_4arch9wavefront6targetE1EEEvT1_,"axG",@progbits,_ZN7rocprim17ROCPRIM_400000_NS6detail17trampoline_kernelINS0_14default_configENS1_20scan_config_selectorIN3c108BFloat16EEEZZNS1_9scan_implILNS1_25lookback_scan_determinismE0ELb0ELb0ES3_PKS6_PS6_S6_ZZZN2at6native31launch_logcumsumexp_cuda_kernelERKNSD_10TensorBaseESH_lENKUlvE_clEvENKUlvE4_clEvEUlS6_S6_E_S6_EEDaPvRmT3_T4_T5_mT6_P12ihipStream_tbENKUlT_T0_E_clISt17integral_constantIbLb1EESX_IbLb0EEEEDaST_SU_EUlST_E0_NS1_11comp_targetILNS1_3genE4ELNS1_11target_archE910ELNS1_3gpuE8ELNS1_3repE0EEENS1_30default_config_static_selectorELNS0_4arch9wavefront6targetE1EEEvT1_,comdat
.Lfunc_end495:
	.size	_ZN7rocprim17ROCPRIM_400000_NS6detail17trampoline_kernelINS0_14default_configENS1_20scan_config_selectorIN3c108BFloat16EEEZZNS1_9scan_implILNS1_25lookback_scan_determinismE0ELb0ELb0ES3_PKS6_PS6_S6_ZZZN2at6native31launch_logcumsumexp_cuda_kernelERKNSD_10TensorBaseESH_lENKUlvE_clEvENKUlvE4_clEvEUlS6_S6_E_S6_EEDaPvRmT3_T4_T5_mT6_P12ihipStream_tbENKUlT_T0_E_clISt17integral_constantIbLb1EESX_IbLb0EEEEDaST_SU_EUlST_E0_NS1_11comp_targetILNS1_3genE4ELNS1_11target_archE910ELNS1_3gpuE8ELNS1_3repE0EEENS1_30default_config_static_selectorELNS0_4arch9wavefront6targetE1EEEvT1_, .Lfunc_end495-_ZN7rocprim17ROCPRIM_400000_NS6detail17trampoline_kernelINS0_14default_configENS1_20scan_config_selectorIN3c108BFloat16EEEZZNS1_9scan_implILNS1_25lookback_scan_determinismE0ELb0ELb0ES3_PKS6_PS6_S6_ZZZN2at6native31launch_logcumsumexp_cuda_kernelERKNSD_10TensorBaseESH_lENKUlvE_clEvENKUlvE4_clEvEUlS6_S6_E_S6_EEDaPvRmT3_T4_T5_mT6_P12ihipStream_tbENKUlT_T0_E_clISt17integral_constantIbLb1EESX_IbLb0EEEEDaST_SU_EUlST_E0_NS1_11comp_targetILNS1_3genE4ELNS1_11target_archE910ELNS1_3gpuE8ELNS1_3repE0EEENS1_30default_config_static_selectorELNS0_4arch9wavefront6targetE1EEEvT1_
                                        ; -- End function
	.set _ZN7rocprim17ROCPRIM_400000_NS6detail17trampoline_kernelINS0_14default_configENS1_20scan_config_selectorIN3c108BFloat16EEEZZNS1_9scan_implILNS1_25lookback_scan_determinismE0ELb0ELb0ES3_PKS6_PS6_S6_ZZZN2at6native31launch_logcumsumexp_cuda_kernelERKNSD_10TensorBaseESH_lENKUlvE_clEvENKUlvE4_clEvEUlS6_S6_E_S6_EEDaPvRmT3_T4_T5_mT6_P12ihipStream_tbENKUlT_T0_E_clISt17integral_constantIbLb1EESX_IbLb0EEEEDaST_SU_EUlST_E0_NS1_11comp_targetILNS1_3genE4ELNS1_11target_archE910ELNS1_3gpuE8ELNS1_3repE0EEENS1_30default_config_static_selectorELNS0_4arch9wavefront6targetE1EEEvT1_.num_vgpr, 0
	.set _ZN7rocprim17ROCPRIM_400000_NS6detail17trampoline_kernelINS0_14default_configENS1_20scan_config_selectorIN3c108BFloat16EEEZZNS1_9scan_implILNS1_25lookback_scan_determinismE0ELb0ELb0ES3_PKS6_PS6_S6_ZZZN2at6native31launch_logcumsumexp_cuda_kernelERKNSD_10TensorBaseESH_lENKUlvE_clEvENKUlvE4_clEvEUlS6_S6_E_S6_EEDaPvRmT3_T4_T5_mT6_P12ihipStream_tbENKUlT_T0_E_clISt17integral_constantIbLb1EESX_IbLb0EEEEDaST_SU_EUlST_E0_NS1_11comp_targetILNS1_3genE4ELNS1_11target_archE910ELNS1_3gpuE8ELNS1_3repE0EEENS1_30default_config_static_selectorELNS0_4arch9wavefront6targetE1EEEvT1_.num_agpr, 0
	.set _ZN7rocprim17ROCPRIM_400000_NS6detail17trampoline_kernelINS0_14default_configENS1_20scan_config_selectorIN3c108BFloat16EEEZZNS1_9scan_implILNS1_25lookback_scan_determinismE0ELb0ELb0ES3_PKS6_PS6_S6_ZZZN2at6native31launch_logcumsumexp_cuda_kernelERKNSD_10TensorBaseESH_lENKUlvE_clEvENKUlvE4_clEvEUlS6_S6_E_S6_EEDaPvRmT3_T4_T5_mT6_P12ihipStream_tbENKUlT_T0_E_clISt17integral_constantIbLb1EESX_IbLb0EEEEDaST_SU_EUlST_E0_NS1_11comp_targetILNS1_3genE4ELNS1_11target_archE910ELNS1_3gpuE8ELNS1_3repE0EEENS1_30default_config_static_selectorELNS0_4arch9wavefront6targetE1EEEvT1_.numbered_sgpr, 0
	.set _ZN7rocprim17ROCPRIM_400000_NS6detail17trampoline_kernelINS0_14default_configENS1_20scan_config_selectorIN3c108BFloat16EEEZZNS1_9scan_implILNS1_25lookback_scan_determinismE0ELb0ELb0ES3_PKS6_PS6_S6_ZZZN2at6native31launch_logcumsumexp_cuda_kernelERKNSD_10TensorBaseESH_lENKUlvE_clEvENKUlvE4_clEvEUlS6_S6_E_S6_EEDaPvRmT3_T4_T5_mT6_P12ihipStream_tbENKUlT_T0_E_clISt17integral_constantIbLb1EESX_IbLb0EEEEDaST_SU_EUlST_E0_NS1_11comp_targetILNS1_3genE4ELNS1_11target_archE910ELNS1_3gpuE8ELNS1_3repE0EEENS1_30default_config_static_selectorELNS0_4arch9wavefront6targetE1EEEvT1_.num_named_barrier, 0
	.set _ZN7rocprim17ROCPRIM_400000_NS6detail17trampoline_kernelINS0_14default_configENS1_20scan_config_selectorIN3c108BFloat16EEEZZNS1_9scan_implILNS1_25lookback_scan_determinismE0ELb0ELb0ES3_PKS6_PS6_S6_ZZZN2at6native31launch_logcumsumexp_cuda_kernelERKNSD_10TensorBaseESH_lENKUlvE_clEvENKUlvE4_clEvEUlS6_S6_E_S6_EEDaPvRmT3_T4_T5_mT6_P12ihipStream_tbENKUlT_T0_E_clISt17integral_constantIbLb1EESX_IbLb0EEEEDaST_SU_EUlST_E0_NS1_11comp_targetILNS1_3genE4ELNS1_11target_archE910ELNS1_3gpuE8ELNS1_3repE0EEENS1_30default_config_static_selectorELNS0_4arch9wavefront6targetE1EEEvT1_.private_seg_size, 0
	.set _ZN7rocprim17ROCPRIM_400000_NS6detail17trampoline_kernelINS0_14default_configENS1_20scan_config_selectorIN3c108BFloat16EEEZZNS1_9scan_implILNS1_25lookback_scan_determinismE0ELb0ELb0ES3_PKS6_PS6_S6_ZZZN2at6native31launch_logcumsumexp_cuda_kernelERKNSD_10TensorBaseESH_lENKUlvE_clEvENKUlvE4_clEvEUlS6_S6_E_S6_EEDaPvRmT3_T4_T5_mT6_P12ihipStream_tbENKUlT_T0_E_clISt17integral_constantIbLb1EESX_IbLb0EEEEDaST_SU_EUlST_E0_NS1_11comp_targetILNS1_3genE4ELNS1_11target_archE910ELNS1_3gpuE8ELNS1_3repE0EEENS1_30default_config_static_selectorELNS0_4arch9wavefront6targetE1EEEvT1_.uses_vcc, 0
	.set _ZN7rocprim17ROCPRIM_400000_NS6detail17trampoline_kernelINS0_14default_configENS1_20scan_config_selectorIN3c108BFloat16EEEZZNS1_9scan_implILNS1_25lookback_scan_determinismE0ELb0ELb0ES3_PKS6_PS6_S6_ZZZN2at6native31launch_logcumsumexp_cuda_kernelERKNSD_10TensorBaseESH_lENKUlvE_clEvENKUlvE4_clEvEUlS6_S6_E_S6_EEDaPvRmT3_T4_T5_mT6_P12ihipStream_tbENKUlT_T0_E_clISt17integral_constantIbLb1EESX_IbLb0EEEEDaST_SU_EUlST_E0_NS1_11comp_targetILNS1_3genE4ELNS1_11target_archE910ELNS1_3gpuE8ELNS1_3repE0EEENS1_30default_config_static_selectorELNS0_4arch9wavefront6targetE1EEEvT1_.uses_flat_scratch, 0
	.set _ZN7rocprim17ROCPRIM_400000_NS6detail17trampoline_kernelINS0_14default_configENS1_20scan_config_selectorIN3c108BFloat16EEEZZNS1_9scan_implILNS1_25lookback_scan_determinismE0ELb0ELb0ES3_PKS6_PS6_S6_ZZZN2at6native31launch_logcumsumexp_cuda_kernelERKNSD_10TensorBaseESH_lENKUlvE_clEvENKUlvE4_clEvEUlS6_S6_E_S6_EEDaPvRmT3_T4_T5_mT6_P12ihipStream_tbENKUlT_T0_E_clISt17integral_constantIbLb1EESX_IbLb0EEEEDaST_SU_EUlST_E0_NS1_11comp_targetILNS1_3genE4ELNS1_11target_archE910ELNS1_3gpuE8ELNS1_3repE0EEENS1_30default_config_static_selectorELNS0_4arch9wavefront6targetE1EEEvT1_.has_dyn_sized_stack, 0
	.set _ZN7rocprim17ROCPRIM_400000_NS6detail17trampoline_kernelINS0_14default_configENS1_20scan_config_selectorIN3c108BFloat16EEEZZNS1_9scan_implILNS1_25lookback_scan_determinismE0ELb0ELb0ES3_PKS6_PS6_S6_ZZZN2at6native31launch_logcumsumexp_cuda_kernelERKNSD_10TensorBaseESH_lENKUlvE_clEvENKUlvE4_clEvEUlS6_S6_E_S6_EEDaPvRmT3_T4_T5_mT6_P12ihipStream_tbENKUlT_T0_E_clISt17integral_constantIbLb1EESX_IbLb0EEEEDaST_SU_EUlST_E0_NS1_11comp_targetILNS1_3genE4ELNS1_11target_archE910ELNS1_3gpuE8ELNS1_3repE0EEENS1_30default_config_static_selectorELNS0_4arch9wavefront6targetE1EEEvT1_.has_recursion, 0
	.set _ZN7rocprim17ROCPRIM_400000_NS6detail17trampoline_kernelINS0_14default_configENS1_20scan_config_selectorIN3c108BFloat16EEEZZNS1_9scan_implILNS1_25lookback_scan_determinismE0ELb0ELb0ES3_PKS6_PS6_S6_ZZZN2at6native31launch_logcumsumexp_cuda_kernelERKNSD_10TensorBaseESH_lENKUlvE_clEvENKUlvE4_clEvEUlS6_S6_E_S6_EEDaPvRmT3_T4_T5_mT6_P12ihipStream_tbENKUlT_T0_E_clISt17integral_constantIbLb1EESX_IbLb0EEEEDaST_SU_EUlST_E0_NS1_11comp_targetILNS1_3genE4ELNS1_11target_archE910ELNS1_3gpuE8ELNS1_3repE0EEENS1_30default_config_static_selectorELNS0_4arch9wavefront6targetE1EEEvT1_.has_indirect_call, 0
	.section	.AMDGPU.csdata,"",@progbits
; Kernel info:
; codeLenInByte = 0
; TotalNumSgprs: 6
; NumVgprs: 0
; NumAgprs: 0
; TotalNumVgprs: 0
; ScratchSize: 0
; MemoryBound: 0
; FloatMode: 240
; IeeeMode: 1
; LDSByteSize: 0 bytes/workgroup (compile time only)
; SGPRBlocks: 0
; VGPRBlocks: 0
; NumSGPRsForWavesPerEU: 6
; NumVGPRsForWavesPerEU: 1
; AccumOffset: 4
; Occupancy: 8
; WaveLimiterHint : 0
; COMPUTE_PGM_RSRC2:SCRATCH_EN: 0
; COMPUTE_PGM_RSRC2:USER_SGPR: 2
; COMPUTE_PGM_RSRC2:TRAP_HANDLER: 0
; COMPUTE_PGM_RSRC2:TGID_X_EN: 1
; COMPUTE_PGM_RSRC2:TGID_Y_EN: 0
; COMPUTE_PGM_RSRC2:TGID_Z_EN: 0
; COMPUTE_PGM_RSRC2:TIDIG_COMP_CNT: 0
; COMPUTE_PGM_RSRC3_GFX90A:ACCUM_OFFSET: 0
; COMPUTE_PGM_RSRC3_GFX90A:TG_SPLIT: 0
	.section	.text._ZN7rocprim17ROCPRIM_400000_NS6detail17trampoline_kernelINS0_14default_configENS1_20scan_config_selectorIN3c108BFloat16EEEZZNS1_9scan_implILNS1_25lookback_scan_determinismE0ELb0ELb0ES3_PKS6_PS6_S6_ZZZN2at6native31launch_logcumsumexp_cuda_kernelERKNSD_10TensorBaseESH_lENKUlvE_clEvENKUlvE4_clEvEUlS6_S6_E_S6_EEDaPvRmT3_T4_T5_mT6_P12ihipStream_tbENKUlT_T0_E_clISt17integral_constantIbLb1EESX_IbLb0EEEEDaST_SU_EUlST_E0_NS1_11comp_targetILNS1_3genE3ELNS1_11target_archE908ELNS1_3gpuE7ELNS1_3repE0EEENS1_30default_config_static_selectorELNS0_4arch9wavefront6targetE1EEEvT1_,"axG",@progbits,_ZN7rocprim17ROCPRIM_400000_NS6detail17trampoline_kernelINS0_14default_configENS1_20scan_config_selectorIN3c108BFloat16EEEZZNS1_9scan_implILNS1_25lookback_scan_determinismE0ELb0ELb0ES3_PKS6_PS6_S6_ZZZN2at6native31launch_logcumsumexp_cuda_kernelERKNSD_10TensorBaseESH_lENKUlvE_clEvENKUlvE4_clEvEUlS6_S6_E_S6_EEDaPvRmT3_T4_T5_mT6_P12ihipStream_tbENKUlT_T0_E_clISt17integral_constantIbLb1EESX_IbLb0EEEEDaST_SU_EUlST_E0_NS1_11comp_targetILNS1_3genE3ELNS1_11target_archE908ELNS1_3gpuE7ELNS1_3repE0EEENS1_30default_config_static_selectorELNS0_4arch9wavefront6targetE1EEEvT1_,comdat
	.globl	_ZN7rocprim17ROCPRIM_400000_NS6detail17trampoline_kernelINS0_14default_configENS1_20scan_config_selectorIN3c108BFloat16EEEZZNS1_9scan_implILNS1_25lookback_scan_determinismE0ELb0ELb0ES3_PKS6_PS6_S6_ZZZN2at6native31launch_logcumsumexp_cuda_kernelERKNSD_10TensorBaseESH_lENKUlvE_clEvENKUlvE4_clEvEUlS6_S6_E_S6_EEDaPvRmT3_T4_T5_mT6_P12ihipStream_tbENKUlT_T0_E_clISt17integral_constantIbLb1EESX_IbLb0EEEEDaST_SU_EUlST_E0_NS1_11comp_targetILNS1_3genE3ELNS1_11target_archE908ELNS1_3gpuE7ELNS1_3repE0EEENS1_30default_config_static_selectorELNS0_4arch9wavefront6targetE1EEEvT1_ ; -- Begin function _ZN7rocprim17ROCPRIM_400000_NS6detail17trampoline_kernelINS0_14default_configENS1_20scan_config_selectorIN3c108BFloat16EEEZZNS1_9scan_implILNS1_25lookback_scan_determinismE0ELb0ELb0ES3_PKS6_PS6_S6_ZZZN2at6native31launch_logcumsumexp_cuda_kernelERKNSD_10TensorBaseESH_lENKUlvE_clEvENKUlvE4_clEvEUlS6_S6_E_S6_EEDaPvRmT3_T4_T5_mT6_P12ihipStream_tbENKUlT_T0_E_clISt17integral_constantIbLb1EESX_IbLb0EEEEDaST_SU_EUlST_E0_NS1_11comp_targetILNS1_3genE3ELNS1_11target_archE908ELNS1_3gpuE7ELNS1_3repE0EEENS1_30default_config_static_selectorELNS0_4arch9wavefront6targetE1EEEvT1_
	.p2align	8
	.type	_ZN7rocprim17ROCPRIM_400000_NS6detail17trampoline_kernelINS0_14default_configENS1_20scan_config_selectorIN3c108BFloat16EEEZZNS1_9scan_implILNS1_25lookback_scan_determinismE0ELb0ELb0ES3_PKS6_PS6_S6_ZZZN2at6native31launch_logcumsumexp_cuda_kernelERKNSD_10TensorBaseESH_lENKUlvE_clEvENKUlvE4_clEvEUlS6_S6_E_S6_EEDaPvRmT3_T4_T5_mT6_P12ihipStream_tbENKUlT_T0_E_clISt17integral_constantIbLb1EESX_IbLb0EEEEDaST_SU_EUlST_E0_NS1_11comp_targetILNS1_3genE3ELNS1_11target_archE908ELNS1_3gpuE7ELNS1_3repE0EEENS1_30default_config_static_selectorELNS0_4arch9wavefront6targetE1EEEvT1_,@function
_ZN7rocprim17ROCPRIM_400000_NS6detail17trampoline_kernelINS0_14default_configENS1_20scan_config_selectorIN3c108BFloat16EEEZZNS1_9scan_implILNS1_25lookback_scan_determinismE0ELb0ELb0ES3_PKS6_PS6_S6_ZZZN2at6native31launch_logcumsumexp_cuda_kernelERKNSD_10TensorBaseESH_lENKUlvE_clEvENKUlvE4_clEvEUlS6_S6_E_S6_EEDaPvRmT3_T4_T5_mT6_P12ihipStream_tbENKUlT_T0_E_clISt17integral_constantIbLb1EESX_IbLb0EEEEDaST_SU_EUlST_E0_NS1_11comp_targetILNS1_3genE3ELNS1_11target_archE908ELNS1_3gpuE7ELNS1_3repE0EEENS1_30default_config_static_selectorELNS0_4arch9wavefront6targetE1EEEvT1_: ; @_ZN7rocprim17ROCPRIM_400000_NS6detail17trampoline_kernelINS0_14default_configENS1_20scan_config_selectorIN3c108BFloat16EEEZZNS1_9scan_implILNS1_25lookback_scan_determinismE0ELb0ELb0ES3_PKS6_PS6_S6_ZZZN2at6native31launch_logcumsumexp_cuda_kernelERKNSD_10TensorBaseESH_lENKUlvE_clEvENKUlvE4_clEvEUlS6_S6_E_S6_EEDaPvRmT3_T4_T5_mT6_P12ihipStream_tbENKUlT_T0_E_clISt17integral_constantIbLb1EESX_IbLb0EEEEDaST_SU_EUlST_E0_NS1_11comp_targetILNS1_3genE3ELNS1_11target_archE908ELNS1_3gpuE7ELNS1_3repE0EEENS1_30default_config_static_selectorELNS0_4arch9wavefront6targetE1EEEvT1_
; %bb.0:
	.section	.rodata,"a",@progbits
	.p2align	6, 0x0
	.amdhsa_kernel _ZN7rocprim17ROCPRIM_400000_NS6detail17trampoline_kernelINS0_14default_configENS1_20scan_config_selectorIN3c108BFloat16EEEZZNS1_9scan_implILNS1_25lookback_scan_determinismE0ELb0ELb0ES3_PKS6_PS6_S6_ZZZN2at6native31launch_logcumsumexp_cuda_kernelERKNSD_10TensorBaseESH_lENKUlvE_clEvENKUlvE4_clEvEUlS6_S6_E_S6_EEDaPvRmT3_T4_T5_mT6_P12ihipStream_tbENKUlT_T0_E_clISt17integral_constantIbLb1EESX_IbLb0EEEEDaST_SU_EUlST_E0_NS1_11comp_targetILNS1_3genE3ELNS1_11target_archE908ELNS1_3gpuE7ELNS1_3repE0EEENS1_30default_config_static_selectorELNS0_4arch9wavefront6targetE1EEEvT1_
		.amdhsa_group_segment_fixed_size 0
		.amdhsa_private_segment_fixed_size 0
		.amdhsa_kernarg_size 32
		.amdhsa_user_sgpr_count 2
		.amdhsa_user_sgpr_dispatch_ptr 0
		.amdhsa_user_sgpr_queue_ptr 0
		.amdhsa_user_sgpr_kernarg_segment_ptr 1
		.amdhsa_user_sgpr_dispatch_id 0
		.amdhsa_user_sgpr_kernarg_preload_length 0
		.amdhsa_user_sgpr_kernarg_preload_offset 0
		.amdhsa_user_sgpr_private_segment_size 0
		.amdhsa_uses_dynamic_stack 0
		.amdhsa_enable_private_segment 0
		.amdhsa_system_sgpr_workgroup_id_x 1
		.amdhsa_system_sgpr_workgroup_id_y 0
		.amdhsa_system_sgpr_workgroup_id_z 0
		.amdhsa_system_sgpr_workgroup_info 0
		.amdhsa_system_vgpr_workitem_id 0
		.amdhsa_next_free_vgpr 1
		.amdhsa_next_free_sgpr 0
		.amdhsa_accum_offset 4
		.amdhsa_reserve_vcc 0
		.amdhsa_float_round_mode_32 0
		.amdhsa_float_round_mode_16_64 0
		.amdhsa_float_denorm_mode_32 3
		.amdhsa_float_denorm_mode_16_64 3
		.amdhsa_dx10_clamp 1
		.amdhsa_ieee_mode 1
		.amdhsa_fp16_overflow 0
		.amdhsa_tg_split 0
		.amdhsa_exception_fp_ieee_invalid_op 0
		.amdhsa_exception_fp_denorm_src 0
		.amdhsa_exception_fp_ieee_div_zero 0
		.amdhsa_exception_fp_ieee_overflow 0
		.amdhsa_exception_fp_ieee_underflow 0
		.amdhsa_exception_fp_ieee_inexact 0
		.amdhsa_exception_int_div_zero 0
	.end_amdhsa_kernel
	.section	.text._ZN7rocprim17ROCPRIM_400000_NS6detail17trampoline_kernelINS0_14default_configENS1_20scan_config_selectorIN3c108BFloat16EEEZZNS1_9scan_implILNS1_25lookback_scan_determinismE0ELb0ELb0ES3_PKS6_PS6_S6_ZZZN2at6native31launch_logcumsumexp_cuda_kernelERKNSD_10TensorBaseESH_lENKUlvE_clEvENKUlvE4_clEvEUlS6_S6_E_S6_EEDaPvRmT3_T4_T5_mT6_P12ihipStream_tbENKUlT_T0_E_clISt17integral_constantIbLb1EESX_IbLb0EEEEDaST_SU_EUlST_E0_NS1_11comp_targetILNS1_3genE3ELNS1_11target_archE908ELNS1_3gpuE7ELNS1_3repE0EEENS1_30default_config_static_selectorELNS0_4arch9wavefront6targetE1EEEvT1_,"axG",@progbits,_ZN7rocprim17ROCPRIM_400000_NS6detail17trampoline_kernelINS0_14default_configENS1_20scan_config_selectorIN3c108BFloat16EEEZZNS1_9scan_implILNS1_25lookback_scan_determinismE0ELb0ELb0ES3_PKS6_PS6_S6_ZZZN2at6native31launch_logcumsumexp_cuda_kernelERKNSD_10TensorBaseESH_lENKUlvE_clEvENKUlvE4_clEvEUlS6_S6_E_S6_EEDaPvRmT3_T4_T5_mT6_P12ihipStream_tbENKUlT_T0_E_clISt17integral_constantIbLb1EESX_IbLb0EEEEDaST_SU_EUlST_E0_NS1_11comp_targetILNS1_3genE3ELNS1_11target_archE908ELNS1_3gpuE7ELNS1_3repE0EEENS1_30default_config_static_selectorELNS0_4arch9wavefront6targetE1EEEvT1_,comdat
.Lfunc_end496:
	.size	_ZN7rocprim17ROCPRIM_400000_NS6detail17trampoline_kernelINS0_14default_configENS1_20scan_config_selectorIN3c108BFloat16EEEZZNS1_9scan_implILNS1_25lookback_scan_determinismE0ELb0ELb0ES3_PKS6_PS6_S6_ZZZN2at6native31launch_logcumsumexp_cuda_kernelERKNSD_10TensorBaseESH_lENKUlvE_clEvENKUlvE4_clEvEUlS6_S6_E_S6_EEDaPvRmT3_T4_T5_mT6_P12ihipStream_tbENKUlT_T0_E_clISt17integral_constantIbLb1EESX_IbLb0EEEEDaST_SU_EUlST_E0_NS1_11comp_targetILNS1_3genE3ELNS1_11target_archE908ELNS1_3gpuE7ELNS1_3repE0EEENS1_30default_config_static_selectorELNS0_4arch9wavefront6targetE1EEEvT1_, .Lfunc_end496-_ZN7rocprim17ROCPRIM_400000_NS6detail17trampoline_kernelINS0_14default_configENS1_20scan_config_selectorIN3c108BFloat16EEEZZNS1_9scan_implILNS1_25lookback_scan_determinismE0ELb0ELb0ES3_PKS6_PS6_S6_ZZZN2at6native31launch_logcumsumexp_cuda_kernelERKNSD_10TensorBaseESH_lENKUlvE_clEvENKUlvE4_clEvEUlS6_S6_E_S6_EEDaPvRmT3_T4_T5_mT6_P12ihipStream_tbENKUlT_T0_E_clISt17integral_constantIbLb1EESX_IbLb0EEEEDaST_SU_EUlST_E0_NS1_11comp_targetILNS1_3genE3ELNS1_11target_archE908ELNS1_3gpuE7ELNS1_3repE0EEENS1_30default_config_static_selectorELNS0_4arch9wavefront6targetE1EEEvT1_
                                        ; -- End function
	.set _ZN7rocprim17ROCPRIM_400000_NS6detail17trampoline_kernelINS0_14default_configENS1_20scan_config_selectorIN3c108BFloat16EEEZZNS1_9scan_implILNS1_25lookback_scan_determinismE0ELb0ELb0ES3_PKS6_PS6_S6_ZZZN2at6native31launch_logcumsumexp_cuda_kernelERKNSD_10TensorBaseESH_lENKUlvE_clEvENKUlvE4_clEvEUlS6_S6_E_S6_EEDaPvRmT3_T4_T5_mT6_P12ihipStream_tbENKUlT_T0_E_clISt17integral_constantIbLb1EESX_IbLb0EEEEDaST_SU_EUlST_E0_NS1_11comp_targetILNS1_3genE3ELNS1_11target_archE908ELNS1_3gpuE7ELNS1_3repE0EEENS1_30default_config_static_selectorELNS0_4arch9wavefront6targetE1EEEvT1_.num_vgpr, 0
	.set _ZN7rocprim17ROCPRIM_400000_NS6detail17trampoline_kernelINS0_14default_configENS1_20scan_config_selectorIN3c108BFloat16EEEZZNS1_9scan_implILNS1_25lookback_scan_determinismE0ELb0ELb0ES3_PKS6_PS6_S6_ZZZN2at6native31launch_logcumsumexp_cuda_kernelERKNSD_10TensorBaseESH_lENKUlvE_clEvENKUlvE4_clEvEUlS6_S6_E_S6_EEDaPvRmT3_T4_T5_mT6_P12ihipStream_tbENKUlT_T0_E_clISt17integral_constantIbLb1EESX_IbLb0EEEEDaST_SU_EUlST_E0_NS1_11comp_targetILNS1_3genE3ELNS1_11target_archE908ELNS1_3gpuE7ELNS1_3repE0EEENS1_30default_config_static_selectorELNS0_4arch9wavefront6targetE1EEEvT1_.num_agpr, 0
	.set _ZN7rocprim17ROCPRIM_400000_NS6detail17trampoline_kernelINS0_14default_configENS1_20scan_config_selectorIN3c108BFloat16EEEZZNS1_9scan_implILNS1_25lookback_scan_determinismE0ELb0ELb0ES3_PKS6_PS6_S6_ZZZN2at6native31launch_logcumsumexp_cuda_kernelERKNSD_10TensorBaseESH_lENKUlvE_clEvENKUlvE4_clEvEUlS6_S6_E_S6_EEDaPvRmT3_T4_T5_mT6_P12ihipStream_tbENKUlT_T0_E_clISt17integral_constantIbLb1EESX_IbLb0EEEEDaST_SU_EUlST_E0_NS1_11comp_targetILNS1_3genE3ELNS1_11target_archE908ELNS1_3gpuE7ELNS1_3repE0EEENS1_30default_config_static_selectorELNS0_4arch9wavefront6targetE1EEEvT1_.numbered_sgpr, 0
	.set _ZN7rocprim17ROCPRIM_400000_NS6detail17trampoline_kernelINS0_14default_configENS1_20scan_config_selectorIN3c108BFloat16EEEZZNS1_9scan_implILNS1_25lookback_scan_determinismE0ELb0ELb0ES3_PKS6_PS6_S6_ZZZN2at6native31launch_logcumsumexp_cuda_kernelERKNSD_10TensorBaseESH_lENKUlvE_clEvENKUlvE4_clEvEUlS6_S6_E_S6_EEDaPvRmT3_T4_T5_mT6_P12ihipStream_tbENKUlT_T0_E_clISt17integral_constantIbLb1EESX_IbLb0EEEEDaST_SU_EUlST_E0_NS1_11comp_targetILNS1_3genE3ELNS1_11target_archE908ELNS1_3gpuE7ELNS1_3repE0EEENS1_30default_config_static_selectorELNS0_4arch9wavefront6targetE1EEEvT1_.num_named_barrier, 0
	.set _ZN7rocprim17ROCPRIM_400000_NS6detail17trampoline_kernelINS0_14default_configENS1_20scan_config_selectorIN3c108BFloat16EEEZZNS1_9scan_implILNS1_25lookback_scan_determinismE0ELb0ELb0ES3_PKS6_PS6_S6_ZZZN2at6native31launch_logcumsumexp_cuda_kernelERKNSD_10TensorBaseESH_lENKUlvE_clEvENKUlvE4_clEvEUlS6_S6_E_S6_EEDaPvRmT3_T4_T5_mT6_P12ihipStream_tbENKUlT_T0_E_clISt17integral_constantIbLb1EESX_IbLb0EEEEDaST_SU_EUlST_E0_NS1_11comp_targetILNS1_3genE3ELNS1_11target_archE908ELNS1_3gpuE7ELNS1_3repE0EEENS1_30default_config_static_selectorELNS0_4arch9wavefront6targetE1EEEvT1_.private_seg_size, 0
	.set _ZN7rocprim17ROCPRIM_400000_NS6detail17trampoline_kernelINS0_14default_configENS1_20scan_config_selectorIN3c108BFloat16EEEZZNS1_9scan_implILNS1_25lookback_scan_determinismE0ELb0ELb0ES3_PKS6_PS6_S6_ZZZN2at6native31launch_logcumsumexp_cuda_kernelERKNSD_10TensorBaseESH_lENKUlvE_clEvENKUlvE4_clEvEUlS6_S6_E_S6_EEDaPvRmT3_T4_T5_mT6_P12ihipStream_tbENKUlT_T0_E_clISt17integral_constantIbLb1EESX_IbLb0EEEEDaST_SU_EUlST_E0_NS1_11comp_targetILNS1_3genE3ELNS1_11target_archE908ELNS1_3gpuE7ELNS1_3repE0EEENS1_30default_config_static_selectorELNS0_4arch9wavefront6targetE1EEEvT1_.uses_vcc, 0
	.set _ZN7rocprim17ROCPRIM_400000_NS6detail17trampoline_kernelINS0_14default_configENS1_20scan_config_selectorIN3c108BFloat16EEEZZNS1_9scan_implILNS1_25lookback_scan_determinismE0ELb0ELb0ES3_PKS6_PS6_S6_ZZZN2at6native31launch_logcumsumexp_cuda_kernelERKNSD_10TensorBaseESH_lENKUlvE_clEvENKUlvE4_clEvEUlS6_S6_E_S6_EEDaPvRmT3_T4_T5_mT6_P12ihipStream_tbENKUlT_T0_E_clISt17integral_constantIbLb1EESX_IbLb0EEEEDaST_SU_EUlST_E0_NS1_11comp_targetILNS1_3genE3ELNS1_11target_archE908ELNS1_3gpuE7ELNS1_3repE0EEENS1_30default_config_static_selectorELNS0_4arch9wavefront6targetE1EEEvT1_.uses_flat_scratch, 0
	.set _ZN7rocprim17ROCPRIM_400000_NS6detail17trampoline_kernelINS0_14default_configENS1_20scan_config_selectorIN3c108BFloat16EEEZZNS1_9scan_implILNS1_25lookback_scan_determinismE0ELb0ELb0ES3_PKS6_PS6_S6_ZZZN2at6native31launch_logcumsumexp_cuda_kernelERKNSD_10TensorBaseESH_lENKUlvE_clEvENKUlvE4_clEvEUlS6_S6_E_S6_EEDaPvRmT3_T4_T5_mT6_P12ihipStream_tbENKUlT_T0_E_clISt17integral_constantIbLb1EESX_IbLb0EEEEDaST_SU_EUlST_E0_NS1_11comp_targetILNS1_3genE3ELNS1_11target_archE908ELNS1_3gpuE7ELNS1_3repE0EEENS1_30default_config_static_selectorELNS0_4arch9wavefront6targetE1EEEvT1_.has_dyn_sized_stack, 0
	.set _ZN7rocprim17ROCPRIM_400000_NS6detail17trampoline_kernelINS0_14default_configENS1_20scan_config_selectorIN3c108BFloat16EEEZZNS1_9scan_implILNS1_25lookback_scan_determinismE0ELb0ELb0ES3_PKS6_PS6_S6_ZZZN2at6native31launch_logcumsumexp_cuda_kernelERKNSD_10TensorBaseESH_lENKUlvE_clEvENKUlvE4_clEvEUlS6_S6_E_S6_EEDaPvRmT3_T4_T5_mT6_P12ihipStream_tbENKUlT_T0_E_clISt17integral_constantIbLb1EESX_IbLb0EEEEDaST_SU_EUlST_E0_NS1_11comp_targetILNS1_3genE3ELNS1_11target_archE908ELNS1_3gpuE7ELNS1_3repE0EEENS1_30default_config_static_selectorELNS0_4arch9wavefront6targetE1EEEvT1_.has_recursion, 0
	.set _ZN7rocprim17ROCPRIM_400000_NS6detail17trampoline_kernelINS0_14default_configENS1_20scan_config_selectorIN3c108BFloat16EEEZZNS1_9scan_implILNS1_25lookback_scan_determinismE0ELb0ELb0ES3_PKS6_PS6_S6_ZZZN2at6native31launch_logcumsumexp_cuda_kernelERKNSD_10TensorBaseESH_lENKUlvE_clEvENKUlvE4_clEvEUlS6_S6_E_S6_EEDaPvRmT3_T4_T5_mT6_P12ihipStream_tbENKUlT_T0_E_clISt17integral_constantIbLb1EESX_IbLb0EEEEDaST_SU_EUlST_E0_NS1_11comp_targetILNS1_3genE3ELNS1_11target_archE908ELNS1_3gpuE7ELNS1_3repE0EEENS1_30default_config_static_selectorELNS0_4arch9wavefront6targetE1EEEvT1_.has_indirect_call, 0
	.section	.AMDGPU.csdata,"",@progbits
; Kernel info:
; codeLenInByte = 0
; TotalNumSgprs: 6
; NumVgprs: 0
; NumAgprs: 0
; TotalNumVgprs: 0
; ScratchSize: 0
; MemoryBound: 0
; FloatMode: 240
; IeeeMode: 1
; LDSByteSize: 0 bytes/workgroup (compile time only)
; SGPRBlocks: 0
; VGPRBlocks: 0
; NumSGPRsForWavesPerEU: 6
; NumVGPRsForWavesPerEU: 1
; AccumOffset: 4
; Occupancy: 8
; WaveLimiterHint : 0
; COMPUTE_PGM_RSRC2:SCRATCH_EN: 0
; COMPUTE_PGM_RSRC2:USER_SGPR: 2
; COMPUTE_PGM_RSRC2:TRAP_HANDLER: 0
; COMPUTE_PGM_RSRC2:TGID_X_EN: 1
; COMPUTE_PGM_RSRC2:TGID_Y_EN: 0
; COMPUTE_PGM_RSRC2:TGID_Z_EN: 0
; COMPUTE_PGM_RSRC2:TIDIG_COMP_CNT: 0
; COMPUTE_PGM_RSRC3_GFX90A:ACCUM_OFFSET: 0
; COMPUTE_PGM_RSRC3_GFX90A:TG_SPLIT: 0
	.section	.text._ZN7rocprim17ROCPRIM_400000_NS6detail17trampoline_kernelINS0_14default_configENS1_20scan_config_selectorIN3c108BFloat16EEEZZNS1_9scan_implILNS1_25lookback_scan_determinismE0ELb0ELb0ES3_PKS6_PS6_S6_ZZZN2at6native31launch_logcumsumexp_cuda_kernelERKNSD_10TensorBaseESH_lENKUlvE_clEvENKUlvE4_clEvEUlS6_S6_E_S6_EEDaPvRmT3_T4_T5_mT6_P12ihipStream_tbENKUlT_T0_E_clISt17integral_constantIbLb1EESX_IbLb0EEEEDaST_SU_EUlST_E0_NS1_11comp_targetILNS1_3genE2ELNS1_11target_archE906ELNS1_3gpuE6ELNS1_3repE0EEENS1_30default_config_static_selectorELNS0_4arch9wavefront6targetE1EEEvT1_,"axG",@progbits,_ZN7rocprim17ROCPRIM_400000_NS6detail17trampoline_kernelINS0_14default_configENS1_20scan_config_selectorIN3c108BFloat16EEEZZNS1_9scan_implILNS1_25lookback_scan_determinismE0ELb0ELb0ES3_PKS6_PS6_S6_ZZZN2at6native31launch_logcumsumexp_cuda_kernelERKNSD_10TensorBaseESH_lENKUlvE_clEvENKUlvE4_clEvEUlS6_S6_E_S6_EEDaPvRmT3_T4_T5_mT6_P12ihipStream_tbENKUlT_T0_E_clISt17integral_constantIbLb1EESX_IbLb0EEEEDaST_SU_EUlST_E0_NS1_11comp_targetILNS1_3genE2ELNS1_11target_archE906ELNS1_3gpuE6ELNS1_3repE0EEENS1_30default_config_static_selectorELNS0_4arch9wavefront6targetE1EEEvT1_,comdat
	.globl	_ZN7rocprim17ROCPRIM_400000_NS6detail17trampoline_kernelINS0_14default_configENS1_20scan_config_selectorIN3c108BFloat16EEEZZNS1_9scan_implILNS1_25lookback_scan_determinismE0ELb0ELb0ES3_PKS6_PS6_S6_ZZZN2at6native31launch_logcumsumexp_cuda_kernelERKNSD_10TensorBaseESH_lENKUlvE_clEvENKUlvE4_clEvEUlS6_S6_E_S6_EEDaPvRmT3_T4_T5_mT6_P12ihipStream_tbENKUlT_T0_E_clISt17integral_constantIbLb1EESX_IbLb0EEEEDaST_SU_EUlST_E0_NS1_11comp_targetILNS1_3genE2ELNS1_11target_archE906ELNS1_3gpuE6ELNS1_3repE0EEENS1_30default_config_static_selectorELNS0_4arch9wavefront6targetE1EEEvT1_ ; -- Begin function _ZN7rocprim17ROCPRIM_400000_NS6detail17trampoline_kernelINS0_14default_configENS1_20scan_config_selectorIN3c108BFloat16EEEZZNS1_9scan_implILNS1_25lookback_scan_determinismE0ELb0ELb0ES3_PKS6_PS6_S6_ZZZN2at6native31launch_logcumsumexp_cuda_kernelERKNSD_10TensorBaseESH_lENKUlvE_clEvENKUlvE4_clEvEUlS6_S6_E_S6_EEDaPvRmT3_T4_T5_mT6_P12ihipStream_tbENKUlT_T0_E_clISt17integral_constantIbLb1EESX_IbLb0EEEEDaST_SU_EUlST_E0_NS1_11comp_targetILNS1_3genE2ELNS1_11target_archE906ELNS1_3gpuE6ELNS1_3repE0EEENS1_30default_config_static_selectorELNS0_4arch9wavefront6targetE1EEEvT1_
	.p2align	8
	.type	_ZN7rocprim17ROCPRIM_400000_NS6detail17trampoline_kernelINS0_14default_configENS1_20scan_config_selectorIN3c108BFloat16EEEZZNS1_9scan_implILNS1_25lookback_scan_determinismE0ELb0ELb0ES3_PKS6_PS6_S6_ZZZN2at6native31launch_logcumsumexp_cuda_kernelERKNSD_10TensorBaseESH_lENKUlvE_clEvENKUlvE4_clEvEUlS6_S6_E_S6_EEDaPvRmT3_T4_T5_mT6_P12ihipStream_tbENKUlT_T0_E_clISt17integral_constantIbLb1EESX_IbLb0EEEEDaST_SU_EUlST_E0_NS1_11comp_targetILNS1_3genE2ELNS1_11target_archE906ELNS1_3gpuE6ELNS1_3repE0EEENS1_30default_config_static_selectorELNS0_4arch9wavefront6targetE1EEEvT1_,@function
_ZN7rocprim17ROCPRIM_400000_NS6detail17trampoline_kernelINS0_14default_configENS1_20scan_config_selectorIN3c108BFloat16EEEZZNS1_9scan_implILNS1_25lookback_scan_determinismE0ELb0ELb0ES3_PKS6_PS6_S6_ZZZN2at6native31launch_logcumsumexp_cuda_kernelERKNSD_10TensorBaseESH_lENKUlvE_clEvENKUlvE4_clEvEUlS6_S6_E_S6_EEDaPvRmT3_T4_T5_mT6_P12ihipStream_tbENKUlT_T0_E_clISt17integral_constantIbLb1EESX_IbLb0EEEEDaST_SU_EUlST_E0_NS1_11comp_targetILNS1_3genE2ELNS1_11target_archE906ELNS1_3gpuE6ELNS1_3repE0EEENS1_30default_config_static_selectorELNS0_4arch9wavefront6targetE1EEEvT1_: ; @_ZN7rocprim17ROCPRIM_400000_NS6detail17trampoline_kernelINS0_14default_configENS1_20scan_config_selectorIN3c108BFloat16EEEZZNS1_9scan_implILNS1_25lookback_scan_determinismE0ELb0ELb0ES3_PKS6_PS6_S6_ZZZN2at6native31launch_logcumsumexp_cuda_kernelERKNSD_10TensorBaseESH_lENKUlvE_clEvENKUlvE4_clEvEUlS6_S6_E_S6_EEDaPvRmT3_T4_T5_mT6_P12ihipStream_tbENKUlT_T0_E_clISt17integral_constantIbLb1EESX_IbLb0EEEEDaST_SU_EUlST_E0_NS1_11comp_targetILNS1_3genE2ELNS1_11target_archE906ELNS1_3gpuE6ELNS1_3repE0EEENS1_30default_config_static_selectorELNS0_4arch9wavefront6targetE1EEEvT1_
; %bb.0:
	.section	.rodata,"a",@progbits
	.p2align	6, 0x0
	.amdhsa_kernel _ZN7rocprim17ROCPRIM_400000_NS6detail17trampoline_kernelINS0_14default_configENS1_20scan_config_selectorIN3c108BFloat16EEEZZNS1_9scan_implILNS1_25lookback_scan_determinismE0ELb0ELb0ES3_PKS6_PS6_S6_ZZZN2at6native31launch_logcumsumexp_cuda_kernelERKNSD_10TensorBaseESH_lENKUlvE_clEvENKUlvE4_clEvEUlS6_S6_E_S6_EEDaPvRmT3_T4_T5_mT6_P12ihipStream_tbENKUlT_T0_E_clISt17integral_constantIbLb1EESX_IbLb0EEEEDaST_SU_EUlST_E0_NS1_11comp_targetILNS1_3genE2ELNS1_11target_archE906ELNS1_3gpuE6ELNS1_3repE0EEENS1_30default_config_static_selectorELNS0_4arch9wavefront6targetE1EEEvT1_
		.amdhsa_group_segment_fixed_size 0
		.amdhsa_private_segment_fixed_size 0
		.amdhsa_kernarg_size 32
		.amdhsa_user_sgpr_count 2
		.amdhsa_user_sgpr_dispatch_ptr 0
		.amdhsa_user_sgpr_queue_ptr 0
		.amdhsa_user_sgpr_kernarg_segment_ptr 1
		.amdhsa_user_sgpr_dispatch_id 0
		.amdhsa_user_sgpr_kernarg_preload_length 0
		.amdhsa_user_sgpr_kernarg_preload_offset 0
		.amdhsa_user_sgpr_private_segment_size 0
		.amdhsa_uses_dynamic_stack 0
		.amdhsa_enable_private_segment 0
		.amdhsa_system_sgpr_workgroup_id_x 1
		.amdhsa_system_sgpr_workgroup_id_y 0
		.amdhsa_system_sgpr_workgroup_id_z 0
		.amdhsa_system_sgpr_workgroup_info 0
		.amdhsa_system_vgpr_workitem_id 0
		.amdhsa_next_free_vgpr 1
		.amdhsa_next_free_sgpr 0
		.amdhsa_accum_offset 4
		.amdhsa_reserve_vcc 0
		.amdhsa_float_round_mode_32 0
		.amdhsa_float_round_mode_16_64 0
		.amdhsa_float_denorm_mode_32 3
		.amdhsa_float_denorm_mode_16_64 3
		.amdhsa_dx10_clamp 1
		.amdhsa_ieee_mode 1
		.amdhsa_fp16_overflow 0
		.amdhsa_tg_split 0
		.amdhsa_exception_fp_ieee_invalid_op 0
		.amdhsa_exception_fp_denorm_src 0
		.amdhsa_exception_fp_ieee_div_zero 0
		.amdhsa_exception_fp_ieee_overflow 0
		.amdhsa_exception_fp_ieee_underflow 0
		.amdhsa_exception_fp_ieee_inexact 0
		.amdhsa_exception_int_div_zero 0
	.end_amdhsa_kernel
	.section	.text._ZN7rocprim17ROCPRIM_400000_NS6detail17trampoline_kernelINS0_14default_configENS1_20scan_config_selectorIN3c108BFloat16EEEZZNS1_9scan_implILNS1_25lookback_scan_determinismE0ELb0ELb0ES3_PKS6_PS6_S6_ZZZN2at6native31launch_logcumsumexp_cuda_kernelERKNSD_10TensorBaseESH_lENKUlvE_clEvENKUlvE4_clEvEUlS6_S6_E_S6_EEDaPvRmT3_T4_T5_mT6_P12ihipStream_tbENKUlT_T0_E_clISt17integral_constantIbLb1EESX_IbLb0EEEEDaST_SU_EUlST_E0_NS1_11comp_targetILNS1_3genE2ELNS1_11target_archE906ELNS1_3gpuE6ELNS1_3repE0EEENS1_30default_config_static_selectorELNS0_4arch9wavefront6targetE1EEEvT1_,"axG",@progbits,_ZN7rocprim17ROCPRIM_400000_NS6detail17trampoline_kernelINS0_14default_configENS1_20scan_config_selectorIN3c108BFloat16EEEZZNS1_9scan_implILNS1_25lookback_scan_determinismE0ELb0ELb0ES3_PKS6_PS6_S6_ZZZN2at6native31launch_logcumsumexp_cuda_kernelERKNSD_10TensorBaseESH_lENKUlvE_clEvENKUlvE4_clEvEUlS6_S6_E_S6_EEDaPvRmT3_T4_T5_mT6_P12ihipStream_tbENKUlT_T0_E_clISt17integral_constantIbLb1EESX_IbLb0EEEEDaST_SU_EUlST_E0_NS1_11comp_targetILNS1_3genE2ELNS1_11target_archE906ELNS1_3gpuE6ELNS1_3repE0EEENS1_30default_config_static_selectorELNS0_4arch9wavefront6targetE1EEEvT1_,comdat
.Lfunc_end497:
	.size	_ZN7rocprim17ROCPRIM_400000_NS6detail17trampoline_kernelINS0_14default_configENS1_20scan_config_selectorIN3c108BFloat16EEEZZNS1_9scan_implILNS1_25lookback_scan_determinismE0ELb0ELb0ES3_PKS6_PS6_S6_ZZZN2at6native31launch_logcumsumexp_cuda_kernelERKNSD_10TensorBaseESH_lENKUlvE_clEvENKUlvE4_clEvEUlS6_S6_E_S6_EEDaPvRmT3_T4_T5_mT6_P12ihipStream_tbENKUlT_T0_E_clISt17integral_constantIbLb1EESX_IbLb0EEEEDaST_SU_EUlST_E0_NS1_11comp_targetILNS1_3genE2ELNS1_11target_archE906ELNS1_3gpuE6ELNS1_3repE0EEENS1_30default_config_static_selectorELNS0_4arch9wavefront6targetE1EEEvT1_, .Lfunc_end497-_ZN7rocprim17ROCPRIM_400000_NS6detail17trampoline_kernelINS0_14default_configENS1_20scan_config_selectorIN3c108BFloat16EEEZZNS1_9scan_implILNS1_25lookback_scan_determinismE0ELb0ELb0ES3_PKS6_PS6_S6_ZZZN2at6native31launch_logcumsumexp_cuda_kernelERKNSD_10TensorBaseESH_lENKUlvE_clEvENKUlvE4_clEvEUlS6_S6_E_S6_EEDaPvRmT3_T4_T5_mT6_P12ihipStream_tbENKUlT_T0_E_clISt17integral_constantIbLb1EESX_IbLb0EEEEDaST_SU_EUlST_E0_NS1_11comp_targetILNS1_3genE2ELNS1_11target_archE906ELNS1_3gpuE6ELNS1_3repE0EEENS1_30default_config_static_selectorELNS0_4arch9wavefront6targetE1EEEvT1_
                                        ; -- End function
	.set _ZN7rocprim17ROCPRIM_400000_NS6detail17trampoline_kernelINS0_14default_configENS1_20scan_config_selectorIN3c108BFloat16EEEZZNS1_9scan_implILNS1_25lookback_scan_determinismE0ELb0ELb0ES3_PKS6_PS6_S6_ZZZN2at6native31launch_logcumsumexp_cuda_kernelERKNSD_10TensorBaseESH_lENKUlvE_clEvENKUlvE4_clEvEUlS6_S6_E_S6_EEDaPvRmT3_T4_T5_mT6_P12ihipStream_tbENKUlT_T0_E_clISt17integral_constantIbLb1EESX_IbLb0EEEEDaST_SU_EUlST_E0_NS1_11comp_targetILNS1_3genE2ELNS1_11target_archE906ELNS1_3gpuE6ELNS1_3repE0EEENS1_30default_config_static_selectorELNS0_4arch9wavefront6targetE1EEEvT1_.num_vgpr, 0
	.set _ZN7rocprim17ROCPRIM_400000_NS6detail17trampoline_kernelINS0_14default_configENS1_20scan_config_selectorIN3c108BFloat16EEEZZNS1_9scan_implILNS1_25lookback_scan_determinismE0ELb0ELb0ES3_PKS6_PS6_S6_ZZZN2at6native31launch_logcumsumexp_cuda_kernelERKNSD_10TensorBaseESH_lENKUlvE_clEvENKUlvE4_clEvEUlS6_S6_E_S6_EEDaPvRmT3_T4_T5_mT6_P12ihipStream_tbENKUlT_T0_E_clISt17integral_constantIbLb1EESX_IbLb0EEEEDaST_SU_EUlST_E0_NS1_11comp_targetILNS1_3genE2ELNS1_11target_archE906ELNS1_3gpuE6ELNS1_3repE0EEENS1_30default_config_static_selectorELNS0_4arch9wavefront6targetE1EEEvT1_.num_agpr, 0
	.set _ZN7rocprim17ROCPRIM_400000_NS6detail17trampoline_kernelINS0_14default_configENS1_20scan_config_selectorIN3c108BFloat16EEEZZNS1_9scan_implILNS1_25lookback_scan_determinismE0ELb0ELb0ES3_PKS6_PS6_S6_ZZZN2at6native31launch_logcumsumexp_cuda_kernelERKNSD_10TensorBaseESH_lENKUlvE_clEvENKUlvE4_clEvEUlS6_S6_E_S6_EEDaPvRmT3_T4_T5_mT6_P12ihipStream_tbENKUlT_T0_E_clISt17integral_constantIbLb1EESX_IbLb0EEEEDaST_SU_EUlST_E0_NS1_11comp_targetILNS1_3genE2ELNS1_11target_archE906ELNS1_3gpuE6ELNS1_3repE0EEENS1_30default_config_static_selectorELNS0_4arch9wavefront6targetE1EEEvT1_.numbered_sgpr, 0
	.set _ZN7rocprim17ROCPRIM_400000_NS6detail17trampoline_kernelINS0_14default_configENS1_20scan_config_selectorIN3c108BFloat16EEEZZNS1_9scan_implILNS1_25lookback_scan_determinismE0ELb0ELb0ES3_PKS6_PS6_S6_ZZZN2at6native31launch_logcumsumexp_cuda_kernelERKNSD_10TensorBaseESH_lENKUlvE_clEvENKUlvE4_clEvEUlS6_S6_E_S6_EEDaPvRmT3_T4_T5_mT6_P12ihipStream_tbENKUlT_T0_E_clISt17integral_constantIbLb1EESX_IbLb0EEEEDaST_SU_EUlST_E0_NS1_11comp_targetILNS1_3genE2ELNS1_11target_archE906ELNS1_3gpuE6ELNS1_3repE0EEENS1_30default_config_static_selectorELNS0_4arch9wavefront6targetE1EEEvT1_.num_named_barrier, 0
	.set _ZN7rocprim17ROCPRIM_400000_NS6detail17trampoline_kernelINS0_14default_configENS1_20scan_config_selectorIN3c108BFloat16EEEZZNS1_9scan_implILNS1_25lookback_scan_determinismE0ELb0ELb0ES3_PKS6_PS6_S6_ZZZN2at6native31launch_logcumsumexp_cuda_kernelERKNSD_10TensorBaseESH_lENKUlvE_clEvENKUlvE4_clEvEUlS6_S6_E_S6_EEDaPvRmT3_T4_T5_mT6_P12ihipStream_tbENKUlT_T0_E_clISt17integral_constantIbLb1EESX_IbLb0EEEEDaST_SU_EUlST_E0_NS1_11comp_targetILNS1_3genE2ELNS1_11target_archE906ELNS1_3gpuE6ELNS1_3repE0EEENS1_30default_config_static_selectorELNS0_4arch9wavefront6targetE1EEEvT1_.private_seg_size, 0
	.set _ZN7rocprim17ROCPRIM_400000_NS6detail17trampoline_kernelINS0_14default_configENS1_20scan_config_selectorIN3c108BFloat16EEEZZNS1_9scan_implILNS1_25lookback_scan_determinismE0ELb0ELb0ES3_PKS6_PS6_S6_ZZZN2at6native31launch_logcumsumexp_cuda_kernelERKNSD_10TensorBaseESH_lENKUlvE_clEvENKUlvE4_clEvEUlS6_S6_E_S6_EEDaPvRmT3_T4_T5_mT6_P12ihipStream_tbENKUlT_T0_E_clISt17integral_constantIbLb1EESX_IbLb0EEEEDaST_SU_EUlST_E0_NS1_11comp_targetILNS1_3genE2ELNS1_11target_archE906ELNS1_3gpuE6ELNS1_3repE0EEENS1_30default_config_static_selectorELNS0_4arch9wavefront6targetE1EEEvT1_.uses_vcc, 0
	.set _ZN7rocprim17ROCPRIM_400000_NS6detail17trampoline_kernelINS0_14default_configENS1_20scan_config_selectorIN3c108BFloat16EEEZZNS1_9scan_implILNS1_25lookback_scan_determinismE0ELb0ELb0ES3_PKS6_PS6_S6_ZZZN2at6native31launch_logcumsumexp_cuda_kernelERKNSD_10TensorBaseESH_lENKUlvE_clEvENKUlvE4_clEvEUlS6_S6_E_S6_EEDaPvRmT3_T4_T5_mT6_P12ihipStream_tbENKUlT_T0_E_clISt17integral_constantIbLb1EESX_IbLb0EEEEDaST_SU_EUlST_E0_NS1_11comp_targetILNS1_3genE2ELNS1_11target_archE906ELNS1_3gpuE6ELNS1_3repE0EEENS1_30default_config_static_selectorELNS0_4arch9wavefront6targetE1EEEvT1_.uses_flat_scratch, 0
	.set _ZN7rocprim17ROCPRIM_400000_NS6detail17trampoline_kernelINS0_14default_configENS1_20scan_config_selectorIN3c108BFloat16EEEZZNS1_9scan_implILNS1_25lookback_scan_determinismE0ELb0ELb0ES3_PKS6_PS6_S6_ZZZN2at6native31launch_logcumsumexp_cuda_kernelERKNSD_10TensorBaseESH_lENKUlvE_clEvENKUlvE4_clEvEUlS6_S6_E_S6_EEDaPvRmT3_T4_T5_mT6_P12ihipStream_tbENKUlT_T0_E_clISt17integral_constantIbLb1EESX_IbLb0EEEEDaST_SU_EUlST_E0_NS1_11comp_targetILNS1_3genE2ELNS1_11target_archE906ELNS1_3gpuE6ELNS1_3repE0EEENS1_30default_config_static_selectorELNS0_4arch9wavefront6targetE1EEEvT1_.has_dyn_sized_stack, 0
	.set _ZN7rocprim17ROCPRIM_400000_NS6detail17trampoline_kernelINS0_14default_configENS1_20scan_config_selectorIN3c108BFloat16EEEZZNS1_9scan_implILNS1_25lookback_scan_determinismE0ELb0ELb0ES3_PKS6_PS6_S6_ZZZN2at6native31launch_logcumsumexp_cuda_kernelERKNSD_10TensorBaseESH_lENKUlvE_clEvENKUlvE4_clEvEUlS6_S6_E_S6_EEDaPvRmT3_T4_T5_mT6_P12ihipStream_tbENKUlT_T0_E_clISt17integral_constantIbLb1EESX_IbLb0EEEEDaST_SU_EUlST_E0_NS1_11comp_targetILNS1_3genE2ELNS1_11target_archE906ELNS1_3gpuE6ELNS1_3repE0EEENS1_30default_config_static_selectorELNS0_4arch9wavefront6targetE1EEEvT1_.has_recursion, 0
	.set _ZN7rocprim17ROCPRIM_400000_NS6detail17trampoline_kernelINS0_14default_configENS1_20scan_config_selectorIN3c108BFloat16EEEZZNS1_9scan_implILNS1_25lookback_scan_determinismE0ELb0ELb0ES3_PKS6_PS6_S6_ZZZN2at6native31launch_logcumsumexp_cuda_kernelERKNSD_10TensorBaseESH_lENKUlvE_clEvENKUlvE4_clEvEUlS6_S6_E_S6_EEDaPvRmT3_T4_T5_mT6_P12ihipStream_tbENKUlT_T0_E_clISt17integral_constantIbLb1EESX_IbLb0EEEEDaST_SU_EUlST_E0_NS1_11comp_targetILNS1_3genE2ELNS1_11target_archE906ELNS1_3gpuE6ELNS1_3repE0EEENS1_30default_config_static_selectorELNS0_4arch9wavefront6targetE1EEEvT1_.has_indirect_call, 0
	.section	.AMDGPU.csdata,"",@progbits
; Kernel info:
; codeLenInByte = 0
; TotalNumSgprs: 6
; NumVgprs: 0
; NumAgprs: 0
; TotalNumVgprs: 0
; ScratchSize: 0
; MemoryBound: 0
; FloatMode: 240
; IeeeMode: 1
; LDSByteSize: 0 bytes/workgroup (compile time only)
; SGPRBlocks: 0
; VGPRBlocks: 0
; NumSGPRsForWavesPerEU: 6
; NumVGPRsForWavesPerEU: 1
; AccumOffset: 4
; Occupancy: 8
; WaveLimiterHint : 0
; COMPUTE_PGM_RSRC2:SCRATCH_EN: 0
; COMPUTE_PGM_RSRC2:USER_SGPR: 2
; COMPUTE_PGM_RSRC2:TRAP_HANDLER: 0
; COMPUTE_PGM_RSRC2:TGID_X_EN: 1
; COMPUTE_PGM_RSRC2:TGID_Y_EN: 0
; COMPUTE_PGM_RSRC2:TGID_Z_EN: 0
; COMPUTE_PGM_RSRC2:TIDIG_COMP_CNT: 0
; COMPUTE_PGM_RSRC3_GFX90A:ACCUM_OFFSET: 0
; COMPUTE_PGM_RSRC3_GFX90A:TG_SPLIT: 0
	.section	.text._ZN7rocprim17ROCPRIM_400000_NS6detail17trampoline_kernelINS0_14default_configENS1_20scan_config_selectorIN3c108BFloat16EEEZZNS1_9scan_implILNS1_25lookback_scan_determinismE0ELb0ELb0ES3_PKS6_PS6_S6_ZZZN2at6native31launch_logcumsumexp_cuda_kernelERKNSD_10TensorBaseESH_lENKUlvE_clEvENKUlvE4_clEvEUlS6_S6_E_S6_EEDaPvRmT3_T4_T5_mT6_P12ihipStream_tbENKUlT_T0_E_clISt17integral_constantIbLb1EESX_IbLb0EEEEDaST_SU_EUlST_E0_NS1_11comp_targetILNS1_3genE10ELNS1_11target_archE1201ELNS1_3gpuE5ELNS1_3repE0EEENS1_30default_config_static_selectorELNS0_4arch9wavefront6targetE1EEEvT1_,"axG",@progbits,_ZN7rocprim17ROCPRIM_400000_NS6detail17trampoline_kernelINS0_14default_configENS1_20scan_config_selectorIN3c108BFloat16EEEZZNS1_9scan_implILNS1_25lookback_scan_determinismE0ELb0ELb0ES3_PKS6_PS6_S6_ZZZN2at6native31launch_logcumsumexp_cuda_kernelERKNSD_10TensorBaseESH_lENKUlvE_clEvENKUlvE4_clEvEUlS6_S6_E_S6_EEDaPvRmT3_T4_T5_mT6_P12ihipStream_tbENKUlT_T0_E_clISt17integral_constantIbLb1EESX_IbLb0EEEEDaST_SU_EUlST_E0_NS1_11comp_targetILNS1_3genE10ELNS1_11target_archE1201ELNS1_3gpuE5ELNS1_3repE0EEENS1_30default_config_static_selectorELNS0_4arch9wavefront6targetE1EEEvT1_,comdat
	.globl	_ZN7rocprim17ROCPRIM_400000_NS6detail17trampoline_kernelINS0_14default_configENS1_20scan_config_selectorIN3c108BFloat16EEEZZNS1_9scan_implILNS1_25lookback_scan_determinismE0ELb0ELb0ES3_PKS6_PS6_S6_ZZZN2at6native31launch_logcumsumexp_cuda_kernelERKNSD_10TensorBaseESH_lENKUlvE_clEvENKUlvE4_clEvEUlS6_S6_E_S6_EEDaPvRmT3_T4_T5_mT6_P12ihipStream_tbENKUlT_T0_E_clISt17integral_constantIbLb1EESX_IbLb0EEEEDaST_SU_EUlST_E0_NS1_11comp_targetILNS1_3genE10ELNS1_11target_archE1201ELNS1_3gpuE5ELNS1_3repE0EEENS1_30default_config_static_selectorELNS0_4arch9wavefront6targetE1EEEvT1_ ; -- Begin function _ZN7rocprim17ROCPRIM_400000_NS6detail17trampoline_kernelINS0_14default_configENS1_20scan_config_selectorIN3c108BFloat16EEEZZNS1_9scan_implILNS1_25lookback_scan_determinismE0ELb0ELb0ES3_PKS6_PS6_S6_ZZZN2at6native31launch_logcumsumexp_cuda_kernelERKNSD_10TensorBaseESH_lENKUlvE_clEvENKUlvE4_clEvEUlS6_S6_E_S6_EEDaPvRmT3_T4_T5_mT6_P12ihipStream_tbENKUlT_T0_E_clISt17integral_constantIbLb1EESX_IbLb0EEEEDaST_SU_EUlST_E0_NS1_11comp_targetILNS1_3genE10ELNS1_11target_archE1201ELNS1_3gpuE5ELNS1_3repE0EEENS1_30default_config_static_selectorELNS0_4arch9wavefront6targetE1EEEvT1_
	.p2align	8
	.type	_ZN7rocprim17ROCPRIM_400000_NS6detail17trampoline_kernelINS0_14default_configENS1_20scan_config_selectorIN3c108BFloat16EEEZZNS1_9scan_implILNS1_25lookback_scan_determinismE0ELb0ELb0ES3_PKS6_PS6_S6_ZZZN2at6native31launch_logcumsumexp_cuda_kernelERKNSD_10TensorBaseESH_lENKUlvE_clEvENKUlvE4_clEvEUlS6_S6_E_S6_EEDaPvRmT3_T4_T5_mT6_P12ihipStream_tbENKUlT_T0_E_clISt17integral_constantIbLb1EESX_IbLb0EEEEDaST_SU_EUlST_E0_NS1_11comp_targetILNS1_3genE10ELNS1_11target_archE1201ELNS1_3gpuE5ELNS1_3repE0EEENS1_30default_config_static_selectorELNS0_4arch9wavefront6targetE1EEEvT1_,@function
_ZN7rocprim17ROCPRIM_400000_NS6detail17trampoline_kernelINS0_14default_configENS1_20scan_config_selectorIN3c108BFloat16EEEZZNS1_9scan_implILNS1_25lookback_scan_determinismE0ELb0ELb0ES3_PKS6_PS6_S6_ZZZN2at6native31launch_logcumsumexp_cuda_kernelERKNSD_10TensorBaseESH_lENKUlvE_clEvENKUlvE4_clEvEUlS6_S6_E_S6_EEDaPvRmT3_T4_T5_mT6_P12ihipStream_tbENKUlT_T0_E_clISt17integral_constantIbLb1EESX_IbLb0EEEEDaST_SU_EUlST_E0_NS1_11comp_targetILNS1_3genE10ELNS1_11target_archE1201ELNS1_3gpuE5ELNS1_3repE0EEENS1_30default_config_static_selectorELNS0_4arch9wavefront6targetE1EEEvT1_: ; @_ZN7rocprim17ROCPRIM_400000_NS6detail17trampoline_kernelINS0_14default_configENS1_20scan_config_selectorIN3c108BFloat16EEEZZNS1_9scan_implILNS1_25lookback_scan_determinismE0ELb0ELb0ES3_PKS6_PS6_S6_ZZZN2at6native31launch_logcumsumexp_cuda_kernelERKNSD_10TensorBaseESH_lENKUlvE_clEvENKUlvE4_clEvEUlS6_S6_E_S6_EEDaPvRmT3_T4_T5_mT6_P12ihipStream_tbENKUlT_T0_E_clISt17integral_constantIbLb1EESX_IbLb0EEEEDaST_SU_EUlST_E0_NS1_11comp_targetILNS1_3genE10ELNS1_11target_archE1201ELNS1_3gpuE5ELNS1_3repE0EEENS1_30default_config_static_selectorELNS0_4arch9wavefront6targetE1EEEvT1_
; %bb.0:
	.section	.rodata,"a",@progbits
	.p2align	6, 0x0
	.amdhsa_kernel _ZN7rocprim17ROCPRIM_400000_NS6detail17trampoline_kernelINS0_14default_configENS1_20scan_config_selectorIN3c108BFloat16EEEZZNS1_9scan_implILNS1_25lookback_scan_determinismE0ELb0ELb0ES3_PKS6_PS6_S6_ZZZN2at6native31launch_logcumsumexp_cuda_kernelERKNSD_10TensorBaseESH_lENKUlvE_clEvENKUlvE4_clEvEUlS6_S6_E_S6_EEDaPvRmT3_T4_T5_mT6_P12ihipStream_tbENKUlT_T0_E_clISt17integral_constantIbLb1EESX_IbLb0EEEEDaST_SU_EUlST_E0_NS1_11comp_targetILNS1_3genE10ELNS1_11target_archE1201ELNS1_3gpuE5ELNS1_3repE0EEENS1_30default_config_static_selectorELNS0_4arch9wavefront6targetE1EEEvT1_
		.amdhsa_group_segment_fixed_size 0
		.amdhsa_private_segment_fixed_size 0
		.amdhsa_kernarg_size 32
		.amdhsa_user_sgpr_count 2
		.amdhsa_user_sgpr_dispatch_ptr 0
		.amdhsa_user_sgpr_queue_ptr 0
		.amdhsa_user_sgpr_kernarg_segment_ptr 1
		.amdhsa_user_sgpr_dispatch_id 0
		.amdhsa_user_sgpr_kernarg_preload_length 0
		.amdhsa_user_sgpr_kernarg_preload_offset 0
		.amdhsa_user_sgpr_private_segment_size 0
		.amdhsa_uses_dynamic_stack 0
		.amdhsa_enable_private_segment 0
		.amdhsa_system_sgpr_workgroup_id_x 1
		.amdhsa_system_sgpr_workgroup_id_y 0
		.amdhsa_system_sgpr_workgroup_id_z 0
		.amdhsa_system_sgpr_workgroup_info 0
		.amdhsa_system_vgpr_workitem_id 0
		.amdhsa_next_free_vgpr 1
		.amdhsa_next_free_sgpr 0
		.amdhsa_accum_offset 4
		.amdhsa_reserve_vcc 0
		.amdhsa_float_round_mode_32 0
		.amdhsa_float_round_mode_16_64 0
		.amdhsa_float_denorm_mode_32 3
		.amdhsa_float_denorm_mode_16_64 3
		.amdhsa_dx10_clamp 1
		.amdhsa_ieee_mode 1
		.amdhsa_fp16_overflow 0
		.amdhsa_tg_split 0
		.amdhsa_exception_fp_ieee_invalid_op 0
		.amdhsa_exception_fp_denorm_src 0
		.amdhsa_exception_fp_ieee_div_zero 0
		.amdhsa_exception_fp_ieee_overflow 0
		.amdhsa_exception_fp_ieee_underflow 0
		.amdhsa_exception_fp_ieee_inexact 0
		.amdhsa_exception_int_div_zero 0
	.end_amdhsa_kernel
	.section	.text._ZN7rocprim17ROCPRIM_400000_NS6detail17trampoline_kernelINS0_14default_configENS1_20scan_config_selectorIN3c108BFloat16EEEZZNS1_9scan_implILNS1_25lookback_scan_determinismE0ELb0ELb0ES3_PKS6_PS6_S6_ZZZN2at6native31launch_logcumsumexp_cuda_kernelERKNSD_10TensorBaseESH_lENKUlvE_clEvENKUlvE4_clEvEUlS6_S6_E_S6_EEDaPvRmT3_T4_T5_mT6_P12ihipStream_tbENKUlT_T0_E_clISt17integral_constantIbLb1EESX_IbLb0EEEEDaST_SU_EUlST_E0_NS1_11comp_targetILNS1_3genE10ELNS1_11target_archE1201ELNS1_3gpuE5ELNS1_3repE0EEENS1_30default_config_static_selectorELNS0_4arch9wavefront6targetE1EEEvT1_,"axG",@progbits,_ZN7rocprim17ROCPRIM_400000_NS6detail17trampoline_kernelINS0_14default_configENS1_20scan_config_selectorIN3c108BFloat16EEEZZNS1_9scan_implILNS1_25lookback_scan_determinismE0ELb0ELb0ES3_PKS6_PS6_S6_ZZZN2at6native31launch_logcumsumexp_cuda_kernelERKNSD_10TensorBaseESH_lENKUlvE_clEvENKUlvE4_clEvEUlS6_S6_E_S6_EEDaPvRmT3_T4_T5_mT6_P12ihipStream_tbENKUlT_T0_E_clISt17integral_constantIbLb1EESX_IbLb0EEEEDaST_SU_EUlST_E0_NS1_11comp_targetILNS1_3genE10ELNS1_11target_archE1201ELNS1_3gpuE5ELNS1_3repE0EEENS1_30default_config_static_selectorELNS0_4arch9wavefront6targetE1EEEvT1_,comdat
.Lfunc_end498:
	.size	_ZN7rocprim17ROCPRIM_400000_NS6detail17trampoline_kernelINS0_14default_configENS1_20scan_config_selectorIN3c108BFloat16EEEZZNS1_9scan_implILNS1_25lookback_scan_determinismE0ELb0ELb0ES3_PKS6_PS6_S6_ZZZN2at6native31launch_logcumsumexp_cuda_kernelERKNSD_10TensorBaseESH_lENKUlvE_clEvENKUlvE4_clEvEUlS6_S6_E_S6_EEDaPvRmT3_T4_T5_mT6_P12ihipStream_tbENKUlT_T0_E_clISt17integral_constantIbLb1EESX_IbLb0EEEEDaST_SU_EUlST_E0_NS1_11comp_targetILNS1_3genE10ELNS1_11target_archE1201ELNS1_3gpuE5ELNS1_3repE0EEENS1_30default_config_static_selectorELNS0_4arch9wavefront6targetE1EEEvT1_, .Lfunc_end498-_ZN7rocprim17ROCPRIM_400000_NS6detail17trampoline_kernelINS0_14default_configENS1_20scan_config_selectorIN3c108BFloat16EEEZZNS1_9scan_implILNS1_25lookback_scan_determinismE0ELb0ELb0ES3_PKS6_PS6_S6_ZZZN2at6native31launch_logcumsumexp_cuda_kernelERKNSD_10TensorBaseESH_lENKUlvE_clEvENKUlvE4_clEvEUlS6_S6_E_S6_EEDaPvRmT3_T4_T5_mT6_P12ihipStream_tbENKUlT_T0_E_clISt17integral_constantIbLb1EESX_IbLb0EEEEDaST_SU_EUlST_E0_NS1_11comp_targetILNS1_3genE10ELNS1_11target_archE1201ELNS1_3gpuE5ELNS1_3repE0EEENS1_30default_config_static_selectorELNS0_4arch9wavefront6targetE1EEEvT1_
                                        ; -- End function
	.set _ZN7rocprim17ROCPRIM_400000_NS6detail17trampoline_kernelINS0_14default_configENS1_20scan_config_selectorIN3c108BFloat16EEEZZNS1_9scan_implILNS1_25lookback_scan_determinismE0ELb0ELb0ES3_PKS6_PS6_S6_ZZZN2at6native31launch_logcumsumexp_cuda_kernelERKNSD_10TensorBaseESH_lENKUlvE_clEvENKUlvE4_clEvEUlS6_S6_E_S6_EEDaPvRmT3_T4_T5_mT6_P12ihipStream_tbENKUlT_T0_E_clISt17integral_constantIbLb1EESX_IbLb0EEEEDaST_SU_EUlST_E0_NS1_11comp_targetILNS1_3genE10ELNS1_11target_archE1201ELNS1_3gpuE5ELNS1_3repE0EEENS1_30default_config_static_selectorELNS0_4arch9wavefront6targetE1EEEvT1_.num_vgpr, 0
	.set _ZN7rocprim17ROCPRIM_400000_NS6detail17trampoline_kernelINS0_14default_configENS1_20scan_config_selectorIN3c108BFloat16EEEZZNS1_9scan_implILNS1_25lookback_scan_determinismE0ELb0ELb0ES3_PKS6_PS6_S6_ZZZN2at6native31launch_logcumsumexp_cuda_kernelERKNSD_10TensorBaseESH_lENKUlvE_clEvENKUlvE4_clEvEUlS6_S6_E_S6_EEDaPvRmT3_T4_T5_mT6_P12ihipStream_tbENKUlT_T0_E_clISt17integral_constantIbLb1EESX_IbLb0EEEEDaST_SU_EUlST_E0_NS1_11comp_targetILNS1_3genE10ELNS1_11target_archE1201ELNS1_3gpuE5ELNS1_3repE0EEENS1_30default_config_static_selectorELNS0_4arch9wavefront6targetE1EEEvT1_.num_agpr, 0
	.set _ZN7rocprim17ROCPRIM_400000_NS6detail17trampoline_kernelINS0_14default_configENS1_20scan_config_selectorIN3c108BFloat16EEEZZNS1_9scan_implILNS1_25lookback_scan_determinismE0ELb0ELb0ES3_PKS6_PS6_S6_ZZZN2at6native31launch_logcumsumexp_cuda_kernelERKNSD_10TensorBaseESH_lENKUlvE_clEvENKUlvE4_clEvEUlS6_S6_E_S6_EEDaPvRmT3_T4_T5_mT6_P12ihipStream_tbENKUlT_T0_E_clISt17integral_constantIbLb1EESX_IbLb0EEEEDaST_SU_EUlST_E0_NS1_11comp_targetILNS1_3genE10ELNS1_11target_archE1201ELNS1_3gpuE5ELNS1_3repE0EEENS1_30default_config_static_selectorELNS0_4arch9wavefront6targetE1EEEvT1_.numbered_sgpr, 0
	.set _ZN7rocprim17ROCPRIM_400000_NS6detail17trampoline_kernelINS0_14default_configENS1_20scan_config_selectorIN3c108BFloat16EEEZZNS1_9scan_implILNS1_25lookback_scan_determinismE0ELb0ELb0ES3_PKS6_PS6_S6_ZZZN2at6native31launch_logcumsumexp_cuda_kernelERKNSD_10TensorBaseESH_lENKUlvE_clEvENKUlvE4_clEvEUlS6_S6_E_S6_EEDaPvRmT3_T4_T5_mT6_P12ihipStream_tbENKUlT_T0_E_clISt17integral_constantIbLb1EESX_IbLb0EEEEDaST_SU_EUlST_E0_NS1_11comp_targetILNS1_3genE10ELNS1_11target_archE1201ELNS1_3gpuE5ELNS1_3repE0EEENS1_30default_config_static_selectorELNS0_4arch9wavefront6targetE1EEEvT1_.num_named_barrier, 0
	.set _ZN7rocprim17ROCPRIM_400000_NS6detail17trampoline_kernelINS0_14default_configENS1_20scan_config_selectorIN3c108BFloat16EEEZZNS1_9scan_implILNS1_25lookback_scan_determinismE0ELb0ELb0ES3_PKS6_PS6_S6_ZZZN2at6native31launch_logcumsumexp_cuda_kernelERKNSD_10TensorBaseESH_lENKUlvE_clEvENKUlvE4_clEvEUlS6_S6_E_S6_EEDaPvRmT3_T4_T5_mT6_P12ihipStream_tbENKUlT_T0_E_clISt17integral_constantIbLb1EESX_IbLb0EEEEDaST_SU_EUlST_E0_NS1_11comp_targetILNS1_3genE10ELNS1_11target_archE1201ELNS1_3gpuE5ELNS1_3repE0EEENS1_30default_config_static_selectorELNS0_4arch9wavefront6targetE1EEEvT1_.private_seg_size, 0
	.set _ZN7rocprim17ROCPRIM_400000_NS6detail17trampoline_kernelINS0_14default_configENS1_20scan_config_selectorIN3c108BFloat16EEEZZNS1_9scan_implILNS1_25lookback_scan_determinismE0ELb0ELb0ES3_PKS6_PS6_S6_ZZZN2at6native31launch_logcumsumexp_cuda_kernelERKNSD_10TensorBaseESH_lENKUlvE_clEvENKUlvE4_clEvEUlS6_S6_E_S6_EEDaPvRmT3_T4_T5_mT6_P12ihipStream_tbENKUlT_T0_E_clISt17integral_constantIbLb1EESX_IbLb0EEEEDaST_SU_EUlST_E0_NS1_11comp_targetILNS1_3genE10ELNS1_11target_archE1201ELNS1_3gpuE5ELNS1_3repE0EEENS1_30default_config_static_selectorELNS0_4arch9wavefront6targetE1EEEvT1_.uses_vcc, 0
	.set _ZN7rocprim17ROCPRIM_400000_NS6detail17trampoline_kernelINS0_14default_configENS1_20scan_config_selectorIN3c108BFloat16EEEZZNS1_9scan_implILNS1_25lookback_scan_determinismE0ELb0ELb0ES3_PKS6_PS6_S6_ZZZN2at6native31launch_logcumsumexp_cuda_kernelERKNSD_10TensorBaseESH_lENKUlvE_clEvENKUlvE4_clEvEUlS6_S6_E_S6_EEDaPvRmT3_T4_T5_mT6_P12ihipStream_tbENKUlT_T0_E_clISt17integral_constantIbLb1EESX_IbLb0EEEEDaST_SU_EUlST_E0_NS1_11comp_targetILNS1_3genE10ELNS1_11target_archE1201ELNS1_3gpuE5ELNS1_3repE0EEENS1_30default_config_static_selectorELNS0_4arch9wavefront6targetE1EEEvT1_.uses_flat_scratch, 0
	.set _ZN7rocprim17ROCPRIM_400000_NS6detail17trampoline_kernelINS0_14default_configENS1_20scan_config_selectorIN3c108BFloat16EEEZZNS1_9scan_implILNS1_25lookback_scan_determinismE0ELb0ELb0ES3_PKS6_PS6_S6_ZZZN2at6native31launch_logcumsumexp_cuda_kernelERKNSD_10TensorBaseESH_lENKUlvE_clEvENKUlvE4_clEvEUlS6_S6_E_S6_EEDaPvRmT3_T4_T5_mT6_P12ihipStream_tbENKUlT_T0_E_clISt17integral_constantIbLb1EESX_IbLb0EEEEDaST_SU_EUlST_E0_NS1_11comp_targetILNS1_3genE10ELNS1_11target_archE1201ELNS1_3gpuE5ELNS1_3repE0EEENS1_30default_config_static_selectorELNS0_4arch9wavefront6targetE1EEEvT1_.has_dyn_sized_stack, 0
	.set _ZN7rocprim17ROCPRIM_400000_NS6detail17trampoline_kernelINS0_14default_configENS1_20scan_config_selectorIN3c108BFloat16EEEZZNS1_9scan_implILNS1_25lookback_scan_determinismE0ELb0ELb0ES3_PKS6_PS6_S6_ZZZN2at6native31launch_logcumsumexp_cuda_kernelERKNSD_10TensorBaseESH_lENKUlvE_clEvENKUlvE4_clEvEUlS6_S6_E_S6_EEDaPvRmT3_T4_T5_mT6_P12ihipStream_tbENKUlT_T0_E_clISt17integral_constantIbLb1EESX_IbLb0EEEEDaST_SU_EUlST_E0_NS1_11comp_targetILNS1_3genE10ELNS1_11target_archE1201ELNS1_3gpuE5ELNS1_3repE0EEENS1_30default_config_static_selectorELNS0_4arch9wavefront6targetE1EEEvT1_.has_recursion, 0
	.set _ZN7rocprim17ROCPRIM_400000_NS6detail17trampoline_kernelINS0_14default_configENS1_20scan_config_selectorIN3c108BFloat16EEEZZNS1_9scan_implILNS1_25lookback_scan_determinismE0ELb0ELb0ES3_PKS6_PS6_S6_ZZZN2at6native31launch_logcumsumexp_cuda_kernelERKNSD_10TensorBaseESH_lENKUlvE_clEvENKUlvE4_clEvEUlS6_S6_E_S6_EEDaPvRmT3_T4_T5_mT6_P12ihipStream_tbENKUlT_T0_E_clISt17integral_constantIbLb1EESX_IbLb0EEEEDaST_SU_EUlST_E0_NS1_11comp_targetILNS1_3genE10ELNS1_11target_archE1201ELNS1_3gpuE5ELNS1_3repE0EEENS1_30default_config_static_selectorELNS0_4arch9wavefront6targetE1EEEvT1_.has_indirect_call, 0
	.section	.AMDGPU.csdata,"",@progbits
; Kernel info:
; codeLenInByte = 0
; TotalNumSgprs: 6
; NumVgprs: 0
; NumAgprs: 0
; TotalNumVgprs: 0
; ScratchSize: 0
; MemoryBound: 0
; FloatMode: 240
; IeeeMode: 1
; LDSByteSize: 0 bytes/workgroup (compile time only)
; SGPRBlocks: 0
; VGPRBlocks: 0
; NumSGPRsForWavesPerEU: 6
; NumVGPRsForWavesPerEU: 1
; AccumOffset: 4
; Occupancy: 8
; WaveLimiterHint : 0
; COMPUTE_PGM_RSRC2:SCRATCH_EN: 0
; COMPUTE_PGM_RSRC2:USER_SGPR: 2
; COMPUTE_PGM_RSRC2:TRAP_HANDLER: 0
; COMPUTE_PGM_RSRC2:TGID_X_EN: 1
; COMPUTE_PGM_RSRC2:TGID_Y_EN: 0
; COMPUTE_PGM_RSRC2:TGID_Z_EN: 0
; COMPUTE_PGM_RSRC2:TIDIG_COMP_CNT: 0
; COMPUTE_PGM_RSRC3_GFX90A:ACCUM_OFFSET: 0
; COMPUTE_PGM_RSRC3_GFX90A:TG_SPLIT: 0
	.section	.text._ZN7rocprim17ROCPRIM_400000_NS6detail17trampoline_kernelINS0_14default_configENS1_20scan_config_selectorIN3c108BFloat16EEEZZNS1_9scan_implILNS1_25lookback_scan_determinismE0ELb0ELb0ES3_PKS6_PS6_S6_ZZZN2at6native31launch_logcumsumexp_cuda_kernelERKNSD_10TensorBaseESH_lENKUlvE_clEvENKUlvE4_clEvEUlS6_S6_E_S6_EEDaPvRmT3_T4_T5_mT6_P12ihipStream_tbENKUlT_T0_E_clISt17integral_constantIbLb1EESX_IbLb0EEEEDaST_SU_EUlST_E0_NS1_11comp_targetILNS1_3genE10ELNS1_11target_archE1200ELNS1_3gpuE4ELNS1_3repE0EEENS1_30default_config_static_selectorELNS0_4arch9wavefront6targetE1EEEvT1_,"axG",@progbits,_ZN7rocprim17ROCPRIM_400000_NS6detail17trampoline_kernelINS0_14default_configENS1_20scan_config_selectorIN3c108BFloat16EEEZZNS1_9scan_implILNS1_25lookback_scan_determinismE0ELb0ELb0ES3_PKS6_PS6_S6_ZZZN2at6native31launch_logcumsumexp_cuda_kernelERKNSD_10TensorBaseESH_lENKUlvE_clEvENKUlvE4_clEvEUlS6_S6_E_S6_EEDaPvRmT3_T4_T5_mT6_P12ihipStream_tbENKUlT_T0_E_clISt17integral_constantIbLb1EESX_IbLb0EEEEDaST_SU_EUlST_E0_NS1_11comp_targetILNS1_3genE10ELNS1_11target_archE1200ELNS1_3gpuE4ELNS1_3repE0EEENS1_30default_config_static_selectorELNS0_4arch9wavefront6targetE1EEEvT1_,comdat
	.globl	_ZN7rocprim17ROCPRIM_400000_NS6detail17trampoline_kernelINS0_14default_configENS1_20scan_config_selectorIN3c108BFloat16EEEZZNS1_9scan_implILNS1_25lookback_scan_determinismE0ELb0ELb0ES3_PKS6_PS6_S6_ZZZN2at6native31launch_logcumsumexp_cuda_kernelERKNSD_10TensorBaseESH_lENKUlvE_clEvENKUlvE4_clEvEUlS6_S6_E_S6_EEDaPvRmT3_T4_T5_mT6_P12ihipStream_tbENKUlT_T0_E_clISt17integral_constantIbLb1EESX_IbLb0EEEEDaST_SU_EUlST_E0_NS1_11comp_targetILNS1_3genE10ELNS1_11target_archE1200ELNS1_3gpuE4ELNS1_3repE0EEENS1_30default_config_static_selectorELNS0_4arch9wavefront6targetE1EEEvT1_ ; -- Begin function _ZN7rocprim17ROCPRIM_400000_NS6detail17trampoline_kernelINS0_14default_configENS1_20scan_config_selectorIN3c108BFloat16EEEZZNS1_9scan_implILNS1_25lookback_scan_determinismE0ELb0ELb0ES3_PKS6_PS6_S6_ZZZN2at6native31launch_logcumsumexp_cuda_kernelERKNSD_10TensorBaseESH_lENKUlvE_clEvENKUlvE4_clEvEUlS6_S6_E_S6_EEDaPvRmT3_T4_T5_mT6_P12ihipStream_tbENKUlT_T0_E_clISt17integral_constantIbLb1EESX_IbLb0EEEEDaST_SU_EUlST_E0_NS1_11comp_targetILNS1_3genE10ELNS1_11target_archE1200ELNS1_3gpuE4ELNS1_3repE0EEENS1_30default_config_static_selectorELNS0_4arch9wavefront6targetE1EEEvT1_
	.p2align	8
	.type	_ZN7rocprim17ROCPRIM_400000_NS6detail17trampoline_kernelINS0_14default_configENS1_20scan_config_selectorIN3c108BFloat16EEEZZNS1_9scan_implILNS1_25lookback_scan_determinismE0ELb0ELb0ES3_PKS6_PS6_S6_ZZZN2at6native31launch_logcumsumexp_cuda_kernelERKNSD_10TensorBaseESH_lENKUlvE_clEvENKUlvE4_clEvEUlS6_S6_E_S6_EEDaPvRmT3_T4_T5_mT6_P12ihipStream_tbENKUlT_T0_E_clISt17integral_constantIbLb1EESX_IbLb0EEEEDaST_SU_EUlST_E0_NS1_11comp_targetILNS1_3genE10ELNS1_11target_archE1200ELNS1_3gpuE4ELNS1_3repE0EEENS1_30default_config_static_selectorELNS0_4arch9wavefront6targetE1EEEvT1_,@function
_ZN7rocprim17ROCPRIM_400000_NS6detail17trampoline_kernelINS0_14default_configENS1_20scan_config_selectorIN3c108BFloat16EEEZZNS1_9scan_implILNS1_25lookback_scan_determinismE0ELb0ELb0ES3_PKS6_PS6_S6_ZZZN2at6native31launch_logcumsumexp_cuda_kernelERKNSD_10TensorBaseESH_lENKUlvE_clEvENKUlvE4_clEvEUlS6_S6_E_S6_EEDaPvRmT3_T4_T5_mT6_P12ihipStream_tbENKUlT_T0_E_clISt17integral_constantIbLb1EESX_IbLb0EEEEDaST_SU_EUlST_E0_NS1_11comp_targetILNS1_3genE10ELNS1_11target_archE1200ELNS1_3gpuE4ELNS1_3repE0EEENS1_30default_config_static_selectorELNS0_4arch9wavefront6targetE1EEEvT1_: ; @_ZN7rocprim17ROCPRIM_400000_NS6detail17trampoline_kernelINS0_14default_configENS1_20scan_config_selectorIN3c108BFloat16EEEZZNS1_9scan_implILNS1_25lookback_scan_determinismE0ELb0ELb0ES3_PKS6_PS6_S6_ZZZN2at6native31launch_logcumsumexp_cuda_kernelERKNSD_10TensorBaseESH_lENKUlvE_clEvENKUlvE4_clEvEUlS6_S6_E_S6_EEDaPvRmT3_T4_T5_mT6_P12ihipStream_tbENKUlT_T0_E_clISt17integral_constantIbLb1EESX_IbLb0EEEEDaST_SU_EUlST_E0_NS1_11comp_targetILNS1_3genE10ELNS1_11target_archE1200ELNS1_3gpuE4ELNS1_3repE0EEENS1_30default_config_static_selectorELNS0_4arch9wavefront6targetE1EEEvT1_
; %bb.0:
	.section	.rodata,"a",@progbits
	.p2align	6, 0x0
	.amdhsa_kernel _ZN7rocprim17ROCPRIM_400000_NS6detail17trampoline_kernelINS0_14default_configENS1_20scan_config_selectorIN3c108BFloat16EEEZZNS1_9scan_implILNS1_25lookback_scan_determinismE0ELb0ELb0ES3_PKS6_PS6_S6_ZZZN2at6native31launch_logcumsumexp_cuda_kernelERKNSD_10TensorBaseESH_lENKUlvE_clEvENKUlvE4_clEvEUlS6_S6_E_S6_EEDaPvRmT3_T4_T5_mT6_P12ihipStream_tbENKUlT_T0_E_clISt17integral_constantIbLb1EESX_IbLb0EEEEDaST_SU_EUlST_E0_NS1_11comp_targetILNS1_3genE10ELNS1_11target_archE1200ELNS1_3gpuE4ELNS1_3repE0EEENS1_30default_config_static_selectorELNS0_4arch9wavefront6targetE1EEEvT1_
		.amdhsa_group_segment_fixed_size 0
		.amdhsa_private_segment_fixed_size 0
		.amdhsa_kernarg_size 32
		.amdhsa_user_sgpr_count 2
		.amdhsa_user_sgpr_dispatch_ptr 0
		.amdhsa_user_sgpr_queue_ptr 0
		.amdhsa_user_sgpr_kernarg_segment_ptr 1
		.amdhsa_user_sgpr_dispatch_id 0
		.amdhsa_user_sgpr_kernarg_preload_length 0
		.amdhsa_user_sgpr_kernarg_preload_offset 0
		.amdhsa_user_sgpr_private_segment_size 0
		.amdhsa_uses_dynamic_stack 0
		.amdhsa_enable_private_segment 0
		.amdhsa_system_sgpr_workgroup_id_x 1
		.amdhsa_system_sgpr_workgroup_id_y 0
		.amdhsa_system_sgpr_workgroup_id_z 0
		.amdhsa_system_sgpr_workgroup_info 0
		.amdhsa_system_vgpr_workitem_id 0
		.amdhsa_next_free_vgpr 1
		.amdhsa_next_free_sgpr 0
		.amdhsa_accum_offset 4
		.amdhsa_reserve_vcc 0
		.amdhsa_float_round_mode_32 0
		.amdhsa_float_round_mode_16_64 0
		.amdhsa_float_denorm_mode_32 3
		.amdhsa_float_denorm_mode_16_64 3
		.amdhsa_dx10_clamp 1
		.amdhsa_ieee_mode 1
		.amdhsa_fp16_overflow 0
		.amdhsa_tg_split 0
		.amdhsa_exception_fp_ieee_invalid_op 0
		.amdhsa_exception_fp_denorm_src 0
		.amdhsa_exception_fp_ieee_div_zero 0
		.amdhsa_exception_fp_ieee_overflow 0
		.amdhsa_exception_fp_ieee_underflow 0
		.amdhsa_exception_fp_ieee_inexact 0
		.amdhsa_exception_int_div_zero 0
	.end_amdhsa_kernel
	.section	.text._ZN7rocprim17ROCPRIM_400000_NS6detail17trampoline_kernelINS0_14default_configENS1_20scan_config_selectorIN3c108BFloat16EEEZZNS1_9scan_implILNS1_25lookback_scan_determinismE0ELb0ELb0ES3_PKS6_PS6_S6_ZZZN2at6native31launch_logcumsumexp_cuda_kernelERKNSD_10TensorBaseESH_lENKUlvE_clEvENKUlvE4_clEvEUlS6_S6_E_S6_EEDaPvRmT3_T4_T5_mT6_P12ihipStream_tbENKUlT_T0_E_clISt17integral_constantIbLb1EESX_IbLb0EEEEDaST_SU_EUlST_E0_NS1_11comp_targetILNS1_3genE10ELNS1_11target_archE1200ELNS1_3gpuE4ELNS1_3repE0EEENS1_30default_config_static_selectorELNS0_4arch9wavefront6targetE1EEEvT1_,"axG",@progbits,_ZN7rocprim17ROCPRIM_400000_NS6detail17trampoline_kernelINS0_14default_configENS1_20scan_config_selectorIN3c108BFloat16EEEZZNS1_9scan_implILNS1_25lookback_scan_determinismE0ELb0ELb0ES3_PKS6_PS6_S6_ZZZN2at6native31launch_logcumsumexp_cuda_kernelERKNSD_10TensorBaseESH_lENKUlvE_clEvENKUlvE4_clEvEUlS6_S6_E_S6_EEDaPvRmT3_T4_T5_mT6_P12ihipStream_tbENKUlT_T0_E_clISt17integral_constantIbLb1EESX_IbLb0EEEEDaST_SU_EUlST_E0_NS1_11comp_targetILNS1_3genE10ELNS1_11target_archE1200ELNS1_3gpuE4ELNS1_3repE0EEENS1_30default_config_static_selectorELNS0_4arch9wavefront6targetE1EEEvT1_,comdat
.Lfunc_end499:
	.size	_ZN7rocprim17ROCPRIM_400000_NS6detail17trampoline_kernelINS0_14default_configENS1_20scan_config_selectorIN3c108BFloat16EEEZZNS1_9scan_implILNS1_25lookback_scan_determinismE0ELb0ELb0ES3_PKS6_PS6_S6_ZZZN2at6native31launch_logcumsumexp_cuda_kernelERKNSD_10TensorBaseESH_lENKUlvE_clEvENKUlvE4_clEvEUlS6_S6_E_S6_EEDaPvRmT3_T4_T5_mT6_P12ihipStream_tbENKUlT_T0_E_clISt17integral_constantIbLb1EESX_IbLb0EEEEDaST_SU_EUlST_E0_NS1_11comp_targetILNS1_3genE10ELNS1_11target_archE1200ELNS1_3gpuE4ELNS1_3repE0EEENS1_30default_config_static_selectorELNS0_4arch9wavefront6targetE1EEEvT1_, .Lfunc_end499-_ZN7rocprim17ROCPRIM_400000_NS6detail17trampoline_kernelINS0_14default_configENS1_20scan_config_selectorIN3c108BFloat16EEEZZNS1_9scan_implILNS1_25lookback_scan_determinismE0ELb0ELb0ES3_PKS6_PS6_S6_ZZZN2at6native31launch_logcumsumexp_cuda_kernelERKNSD_10TensorBaseESH_lENKUlvE_clEvENKUlvE4_clEvEUlS6_S6_E_S6_EEDaPvRmT3_T4_T5_mT6_P12ihipStream_tbENKUlT_T0_E_clISt17integral_constantIbLb1EESX_IbLb0EEEEDaST_SU_EUlST_E0_NS1_11comp_targetILNS1_3genE10ELNS1_11target_archE1200ELNS1_3gpuE4ELNS1_3repE0EEENS1_30default_config_static_selectorELNS0_4arch9wavefront6targetE1EEEvT1_
                                        ; -- End function
	.set _ZN7rocprim17ROCPRIM_400000_NS6detail17trampoline_kernelINS0_14default_configENS1_20scan_config_selectorIN3c108BFloat16EEEZZNS1_9scan_implILNS1_25lookback_scan_determinismE0ELb0ELb0ES3_PKS6_PS6_S6_ZZZN2at6native31launch_logcumsumexp_cuda_kernelERKNSD_10TensorBaseESH_lENKUlvE_clEvENKUlvE4_clEvEUlS6_S6_E_S6_EEDaPvRmT3_T4_T5_mT6_P12ihipStream_tbENKUlT_T0_E_clISt17integral_constantIbLb1EESX_IbLb0EEEEDaST_SU_EUlST_E0_NS1_11comp_targetILNS1_3genE10ELNS1_11target_archE1200ELNS1_3gpuE4ELNS1_3repE0EEENS1_30default_config_static_selectorELNS0_4arch9wavefront6targetE1EEEvT1_.num_vgpr, 0
	.set _ZN7rocprim17ROCPRIM_400000_NS6detail17trampoline_kernelINS0_14default_configENS1_20scan_config_selectorIN3c108BFloat16EEEZZNS1_9scan_implILNS1_25lookback_scan_determinismE0ELb0ELb0ES3_PKS6_PS6_S6_ZZZN2at6native31launch_logcumsumexp_cuda_kernelERKNSD_10TensorBaseESH_lENKUlvE_clEvENKUlvE4_clEvEUlS6_S6_E_S6_EEDaPvRmT3_T4_T5_mT6_P12ihipStream_tbENKUlT_T0_E_clISt17integral_constantIbLb1EESX_IbLb0EEEEDaST_SU_EUlST_E0_NS1_11comp_targetILNS1_3genE10ELNS1_11target_archE1200ELNS1_3gpuE4ELNS1_3repE0EEENS1_30default_config_static_selectorELNS0_4arch9wavefront6targetE1EEEvT1_.num_agpr, 0
	.set _ZN7rocprim17ROCPRIM_400000_NS6detail17trampoline_kernelINS0_14default_configENS1_20scan_config_selectorIN3c108BFloat16EEEZZNS1_9scan_implILNS1_25lookback_scan_determinismE0ELb0ELb0ES3_PKS6_PS6_S6_ZZZN2at6native31launch_logcumsumexp_cuda_kernelERKNSD_10TensorBaseESH_lENKUlvE_clEvENKUlvE4_clEvEUlS6_S6_E_S6_EEDaPvRmT3_T4_T5_mT6_P12ihipStream_tbENKUlT_T0_E_clISt17integral_constantIbLb1EESX_IbLb0EEEEDaST_SU_EUlST_E0_NS1_11comp_targetILNS1_3genE10ELNS1_11target_archE1200ELNS1_3gpuE4ELNS1_3repE0EEENS1_30default_config_static_selectorELNS0_4arch9wavefront6targetE1EEEvT1_.numbered_sgpr, 0
	.set _ZN7rocprim17ROCPRIM_400000_NS6detail17trampoline_kernelINS0_14default_configENS1_20scan_config_selectorIN3c108BFloat16EEEZZNS1_9scan_implILNS1_25lookback_scan_determinismE0ELb0ELb0ES3_PKS6_PS6_S6_ZZZN2at6native31launch_logcumsumexp_cuda_kernelERKNSD_10TensorBaseESH_lENKUlvE_clEvENKUlvE4_clEvEUlS6_S6_E_S6_EEDaPvRmT3_T4_T5_mT6_P12ihipStream_tbENKUlT_T0_E_clISt17integral_constantIbLb1EESX_IbLb0EEEEDaST_SU_EUlST_E0_NS1_11comp_targetILNS1_3genE10ELNS1_11target_archE1200ELNS1_3gpuE4ELNS1_3repE0EEENS1_30default_config_static_selectorELNS0_4arch9wavefront6targetE1EEEvT1_.num_named_barrier, 0
	.set _ZN7rocprim17ROCPRIM_400000_NS6detail17trampoline_kernelINS0_14default_configENS1_20scan_config_selectorIN3c108BFloat16EEEZZNS1_9scan_implILNS1_25lookback_scan_determinismE0ELb0ELb0ES3_PKS6_PS6_S6_ZZZN2at6native31launch_logcumsumexp_cuda_kernelERKNSD_10TensorBaseESH_lENKUlvE_clEvENKUlvE4_clEvEUlS6_S6_E_S6_EEDaPvRmT3_T4_T5_mT6_P12ihipStream_tbENKUlT_T0_E_clISt17integral_constantIbLb1EESX_IbLb0EEEEDaST_SU_EUlST_E0_NS1_11comp_targetILNS1_3genE10ELNS1_11target_archE1200ELNS1_3gpuE4ELNS1_3repE0EEENS1_30default_config_static_selectorELNS0_4arch9wavefront6targetE1EEEvT1_.private_seg_size, 0
	.set _ZN7rocprim17ROCPRIM_400000_NS6detail17trampoline_kernelINS0_14default_configENS1_20scan_config_selectorIN3c108BFloat16EEEZZNS1_9scan_implILNS1_25lookback_scan_determinismE0ELb0ELb0ES3_PKS6_PS6_S6_ZZZN2at6native31launch_logcumsumexp_cuda_kernelERKNSD_10TensorBaseESH_lENKUlvE_clEvENKUlvE4_clEvEUlS6_S6_E_S6_EEDaPvRmT3_T4_T5_mT6_P12ihipStream_tbENKUlT_T0_E_clISt17integral_constantIbLb1EESX_IbLb0EEEEDaST_SU_EUlST_E0_NS1_11comp_targetILNS1_3genE10ELNS1_11target_archE1200ELNS1_3gpuE4ELNS1_3repE0EEENS1_30default_config_static_selectorELNS0_4arch9wavefront6targetE1EEEvT1_.uses_vcc, 0
	.set _ZN7rocprim17ROCPRIM_400000_NS6detail17trampoline_kernelINS0_14default_configENS1_20scan_config_selectorIN3c108BFloat16EEEZZNS1_9scan_implILNS1_25lookback_scan_determinismE0ELb0ELb0ES3_PKS6_PS6_S6_ZZZN2at6native31launch_logcumsumexp_cuda_kernelERKNSD_10TensorBaseESH_lENKUlvE_clEvENKUlvE4_clEvEUlS6_S6_E_S6_EEDaPvRmT3_T4_T5_mT6_P12ihipStream_tbENKUlT_T0_E_clISt17integral_constantIbLb1EESX_IbLb0EEEEDaST_SU_EUlST_E0_NS1_11comp_targetILNS1_3genE10ELNS1_11target_archE1200ELNS1_3gpuE4ELNS1_3repE0EEENS1_30default_config_static_selectorELNS0_4arch9wavefront6targetE1EEEvT1_.uses_flat_scratch, 0
	.set _ZN7rocprim17ROCPRIM_400000_NS6detail17trampoline_kernelINS0_14default_configENS1_20scan_config_selectorIN3c108BFloat16EEEZZNS1_9scan_implILNS1_25lookback_scan_determinismE0ELb0ELb0ES3_PKS6_PS6_S6_ZZZN2at6native31launch_logcumsumexp_cuda_kernelERKNSD_10TensorBaseESH_lENKUlvE_clEvENKUlvE4_clEvEUlS6_S6_E_S6_EEDaPvRmT3_T4_T5_mT6_P12ihipStream_tbENKUlT_T0_E_clISt17integral_constantIbLb1EESX_IbLb0EEEEDaST_SU_EUlST_E0_NS1_11comp_targetILNS1_3genE10ELNS1_11target_archE1200ELNS1_3gpuE4ELNS1_3repE0EEENS1_30default_config_static_selectorELNS0_4arch9wavefront6targetE1EEEvT1_.has_dyn_sized_stack, 0
	.set _ZN7rocprim17ROCPRIM_400000_NS6detail17trampoline_kernelINS0_14default_configENS1_20scan_config_selectorIN3c108BFloat16EEEZZNS1_9scan_implILNS1_25lookback_scan_determinismE0ELb0ELb0ES3_PKS6_PS6_S6_ZZZN2at6native31launch_logcumsumexp_cuda_kernelERKNSD_10TensorBaseESH_lENKUlvE_clEvENKUlvE4_clEvEUlS6_S6_E_S6_EEDaPvRmT3_T4_T5_mT6_P12ihipStream_tbENKUlT_T0_E_clISt17integral_constantIbLb1EESX_IbLb0EEEEDaST_SU_EUlST_E0_NS1_11comp_targetILNS1_3genE10ELNS1_11target_archE1200ELNS1_3gpuE4ELNS1_3repE0EEENS1_30default_config_static_selectorELNS0_4arch9wavefront6targetE1EEEvT1_.has_recursion, 0
	.set _ZN7rocprim17ROCPRIM_400000_NS6detail17trampoline_kernelINS0_14default_configENS1_20scan_config_selectorIN3c108BFloat16EEEZZNS1_9scan_implILNS1_25lookback_scan_determinismE0ELb0ELb0ES3_PKS6_PS6_S6_ZZZN2at6native31launch_logcumsumexp_cuda_kernelERKNSD_10TensorBaseESH_lENKUlvE_clEvENKUlvE4_clEvEUlS6_S6_E_S6_EEDaPvRmT3_T4_T5_mT6_P12ihipStream_tbENKUlT_T0_E_clISt17integral_constantIbLb1EESX_IbLb0EEEEDaST_SU_EUlST_E0_NS1_11comp_targetILNS1_3genE10ELNS1_11target_archE1200ELNS1_3gpuE4ELNS1_3repE0EEENS1_30default_config_static_selectorELNS0_4arch9wavefront6targetE1EEEvT1_.has_indirect_call, 0
	.section	.AMDGPU.csdata,"",@progbits
; Kernel info:
; codeLenInByte = 0
; TotalNumSgprs: 6
; NumVgprs: 0
; NumAgprs: 0
; TotalNumVgprs: 0
; ScratchSize: 0
; MemoryBound: 0
; FloatMode: 240
; IeeeMode: 1
; LDSByteSize: 0 bytes/workgroup (compile time only)
; SGPRBlocks: 0
; VGPRBlocks: 0
; NumSGPRsForWavesPerEU: 6
; NumVGPRsForWavesPerEU: 1
; AccumOffset: 4
; Occupancy: 8
; WaveLimiterHint : 0
; COMPUTE_PGM_RSRC2:SCRATCH_EN: 0
; COMPUTE_PGM_RSRC2:USER_SGPR: 2
; COMPUTE_PGM_RSRC2:TRAP_HANDLER: 0
; COMPUTE_PGM_RSRC2:TGID_X_EN: 1
; COMPUTE_PGM_RSRC2:TGID_Y_EN: 0
; COMPUTE_PGM_RSRC2:TGID_Z_EN: 0
; COMPUTE_PGM_RSRC2:TIDIG_COMP_CNT: 0
; COMPUTE_PGM_RSRC3_GFX90A:ACCUM_OFFSET: 0
; COMPUTE_PGM_RSRC3_GFX90A:TG_SPLIT: 0
	.section	.text._ZN7rocprim17ROCPRIM_400000_NS6detail17trampoline_kernelINS0_14default_configENS1_20scan_config_selectorIN3c108BFloat16EEEZZNS1_9scan_implILNS1_25lookback_scan_determinismE0ELb0ELb0ES3_PKS6_PS6_S6_ZZZN2at6native31launch_logcumsumexp_cuda_kernelERKNSD_10TensorBaseESH_lENKUlvE_clEvENKUlvE4_clEvEUlS6_S6_E_S6_EEDaPvRmT3_T4_T5_mT6_P12ihipStream_tbENKUlT_T0_E_clISt17integral_constantIbLb1EESX_IbLb0EEEEDaST_SU_EUlST_E0_NS1_11comp_targetILNS1_3genE9ELNS1_11target_archE1100ELNS1_3gpuE3ELNS1_3repE0EEENS1_30default_config_static_selectorELNS0_4arch9wavefront6targetE1EEEvT1_,"axG",@progbits,_ZN7rocprim17ROCPRIM_400000_NS6detail17trampoline_kernelINS0_14default_configENS1_20scan_config_selectorIN3c108BFloat16EEEZZNS1_9scan_implILNS1_25lookback_scan_determinismE0ELb0ELb0ES3_PKS6_PS6_S6_ZZZN2at6native31launch_logcumsumexp_cuda_kernelERKNSD_10TensorBaseESH_lENKUlvE_clEvENKUlvE4_clEvEUlS6_S6_E_S6_EEDaPvRmT3_T4_T5_mT6_P12ihipStream_tbENKUlT_T0_E_clISt17integral_constantIbLb1EESX_IbLb0EEEEDaST_SU_EUlST_E0_NS1_11comp_targetILNS1_3genE9ELNS1_11target_archE1100ELNS1_3gpuE3ELNS1_3repE0EEENS1_30default_config_static_selectorELNS0_4arch9wavefront6targetE1EEEvT1_,comdat
	.globl	_ZN7rocprim17ROCPRIM_400000_NS6detail17trampoline_kernelINS0_14default_configENS1_20scan_config_selectorIN3c108BFloat16EEEZZNS1_9scan_implILNS1_25lookback_scan_determinismE0ELb0ELb0ES3_PKS6_PS6_S6_ZZZN2at6native31launch_logcumsumexp_cuda_kernelERKNSD_10TensorBaseESH_lENKUlvE_clEvENKUlvE4_clEvEUlS6_S6_E_S6_EEDaPvRmT3_T4_T5_mT6_P12ihipStream_tbENKUlT_T0_E_clISt17integral_constantIbLb1EESX_IbLb0EEEEDaST_SU_EUlST_E0_NS1_11comp_targetILNS1_3genE9ELNS1_11target_archE1100ELNS1_3gpuE3ELNS1_3repE0EEENS1_30default_config_static_selectorELNS0_4arch9wavefront6targetE1EEEvT1_ ; -- Begin function _ZN7rocprim17ROCPRIM_400000_NS6detail17trampoline_kernelINS0_14default_configENS1_20scan_config_selectorIN3c108BFloat16EEEZZNS1_9scan_implILNS1_25lookback_scan_determinismE0ELb0ELb0ES3_PKS6_PS6_S6_ZZZN2at6native31launch_logcumsumexp_cuda_kernelERKNSD_10TensorBaseESH_lENKUlvE_clEvENKUlvE4_clEvEUlS6_S6_E_S6_EEDaPvRmT3_T4_T5_mT6_P12ihipStream_tbENKUlT_T0_E_clISt17integral_constantIbLb1EESX_IbLb0EEEEDaST_SU_EUlST_E0_NS1_11comp_targetILNS1_3genE9ELNS1_11target_archE1100ELNS1_3gpuE3ELNS1_3repE0EEENS1_30default_config_static_selectorELNS0_4arch9wavefront6targetE1EEEvT1_
	.p2align	8
	.type	_ZN7rocprim17ROCPRIM_400000_NS6detail17trampoline_kernelINS0_14default_configENS1_20scan_config_selectorIN3c108BFloat16EEEZZNS1_9scan_implILNS1_25lookback_scan_determinismE0ELb0ELb0ES3_PKS6_PS6_S6_ZZZN2at6native31launch_logcumsumexp_cuda_kernelERKNSD_10TensorBaseESH_lENKUlvE_clEvENKUlvE4_clEvEUlS6_S6_E_S6_EEDaPvRmT3_T4_T5_mT6_P12ihipStream_tbENKUlT_T0_E_clISt17integral_constantIbLb1EESX_IbLb0EEEEDaST_SU_EUlST_E0_NS1_11comp_targetILNS1_3genE9ELNS1_11target_archE1100ELNS1_3gpuE3ELNS1_3repE0EEENS1_30default_config_static_selectorELNS0_4arch9wavefront6targetE1EEEvT1_,@function
_ZN7rocprim17ROCPRIM_400000_NS6detail17trampoline_kernelINS0_14default_configENS1_20scan_config_selectorIN3c108BFloat16EEEZZNS1_9scan_implILNS1_25lookback_scan_determinismE0ELb0ELb0ES3_PKS6_PS6_S6_ZZZN2at6native31launch_logcumsumexp_cuda_kernelERKNSD_10TensorBaseESH_lENKUlvE_clEvENKUlvE4_clEvEUlS6_S6_E_S6_EEDaPvRmT3_T4_T5_mT6_P12ihipStream_tbENKUlT_T0_E_clISt17integral_constantIbLb1EESX_IbLb0EEEEDaST_SU_EUlST_E0_NS1_11comp_targetILNS1_3genE9ELNS1_11target_archE1100ELNS1_3gpuE3ELNS1_3repE0EEENS1_30default_config_static_selectorELNS0_4arch9wavefront6targetE1EEEvT1_: ; @_ZN7rocprim17ROCPRIM_400000_NS6detail17trampoline_kernelINS0_14default_configENS1_20scan_config_selectorIN3c108BFloat16EEEZZNS1_9scan_implILNS1_25lookback_scan_determinismE0ELb0ELb0ES3_PKS6_PS6_S6_ZZZN2at6native31launch_logcumsumexp_cuda_kernelERKNSD_10TensorBaseESH_lENKUlvE_clEvENKUlvE4_clEvEUlS6_S6_E_S6_EEDaPvRmT3_T4_T5_mT6_P12ihipStream_tbENKUlT_T0_E_clISt17integral_constantIbLb1EESX_IbLb0EEEEDaST_SU_EUlST_E0_NS1_11comp_targetILNS1_3genE9ELNS1_11target_archE1100ELNS1_3gpuE3ELNS1_3repE0EEENS1_30default_config_static_selectorELNS0_4arch9wavefront6targetE1EEEvT1_
; %bb.0:
	.section	.rodata,"a",@progbits
	.p2align	6, 0x0
	.amdhsa_kernel _ZN7rocprim17ROCPRIM_400000_NS6detail17trampoline_kernelINS0_14default_configENS1_20scan_config_selectorIN3c108BFloat16EEEZZNS1_9scan_implILNS1_25lookback_scan_determinismE0ELb0ELb0ES3_PKS6_PS6_S6_ZZZN2at6native31launch_logcumsumexp_cuda_kernelERKNSD_10TensorBaseESH_lENKUlvE_clEvENKUlvE4_clEvEUlS6_S6_E_S6_EEDaPvRmT3_T4_T5_mT6_P12ihipStream_tbENKUlT_T0_E_clISt17integral_constantIbLb1EESX_IbLb0EEEEDaST_SU_EUlST_E0_NS1_11comp_targetILNS1_3genE9ELNS1_11target_archE1100ELNS1_3gpuE3ELNS1_3repE0EEENS1_30default_config_static_selectorELNS0_4arch9wavefront6targetE1EEEvT1_
		.amdhsa_group_segment_fixed_size 0
		.amdhsa_private_segment_fixed_size 0
		.amdhsa_kernarg_size 32
		.amdhsa_user_sgpr_count 2
		.amdhsa_user_sgpr_dispatch_ptr 0
		.amdhsa_user_sgpr_queue_ptr 0
		.amdhsa_user_sgpr_kernarg_segment_ptr 1
		.amdhsa_user_sgpr_dispatch_id 0
		.amdhsa_user_sgpr_kernarg_preload_length 0
		.amdhsa_user_sgpr_kernarg_preload_offset 0
		.amdhsa_user_sgpr_private_segment_size 0
		.amdhsa_uses_dynamic_stack 0
		.amdhsa_enable_private_segment 0
		.amdhsa_system_sgpr_workgroup_id_x 1
		.amdhsa_system_sgpr_workgroup_id_y 0
		.amdhsa_system_sgpr_workgroup_id_z 0
		.amdhsa_system_sgpr_workgroup_info 0
		.amdhsa_system_vgpr_workitem_id 0
		.amdhsa_next_free_vgpr 1
		.amdhsa_next_free_sgpr 0
		.amdhsa_accum_offset 4
		.amdhsa_reserve_vcc 0
		.amdhsa_float_round_mode_32 0
		.amdhsa_float_round_mode_16_64 0
		.amdhsa_float_denorm_mode_32 3
		.amdhsa_float_denorm_mode_16_64 3
		.amdhsa_dx10_clamp 1
		.amdhsa_ieee_mode 1
		.amdhsa_fp16_overflow 0
		.amdhsa_tg_split 0
		.amdhsa_exception_fp_ieee_invalid_op 0
		.amdhsa_exception_fp_denorm_src 0
		.amdhsa_exception_fp_ieee_div_zero 0
		.amdhsa_exception_fp_ieee_overflow 0
		.amdhsa_exception_fp_ieee_underflow 0
		.amdhsa_exception_fp_ieee_inexact 0
		.amdhsa_exception_int_div_zero 0
	.end_amdhsa_kernel
	.section	.text._ZN7rocprim17ROCPRIM_400000_NS6detail17trampoline_kernelINS0_14default_configENS1_20scan_config_selectorIN3c108BFloat16EEEZZNS1_9scan_implILNS1_25lookback_scan_determinismE0ELb0ELb0ES3_PKS6_PS6_S6_ZZZN2at6native31launch_logcumsumexp_cuda_kernelERKNSD_10TensorBaseESH_lENKUlvE_clEvENKUlvE4_clEvEUlS6_S6_E_S6_EEDaPvRmT3_T4_T5_mT6_P12ihipStream_tbENKUlT_T0_E_clISt17integral_constantIbLb1EESX_IbLb0EEEEDaST_SU_EUlST_E0_NS1_11comp_targetILNS1_3genE9ELNS1_11target_archE1100ELNS1_3gpuE3ELNS1_3repE0EEENS1_30default_config_static_selectorELNS0_4arch9wavefront6targetE1EEEvT1_,"axG",@progbits,_ZN7rocprim17ROCPRIM_400000_NS6detail17trampoline_kernelINS0_14default_configENS1_20scan_config_selectorIN3c108BFloat16EEEZZNS1_9scan_implILNS1_25lookback_scan_determinismE0ELb0ELb0ES3_PKS6_PS6_S6_ZZZN2at6native31launch_logcumsumexp_cuda_kernelERKNSD_10TensorBaseESH_lENKUlvE_clEvENKUlvE4_clEvEUlS6_S6_E_S6_EEDaPvRmT3_T4_T5_mT6_P12ihipStream_tbENKUlT_T0_E_clISt17integral_constantIbLb1EESX_IbLb0EEEEDaST_SU_EUlST_E0_NS1_11comp_targetILNS1_3genE9ELNS1_11target_archE1100ELNS1_3gpuE3ELNS1_3repE0EEENS1_30default_config_static_selectorELNS0_4arch9wavefront6targetE1EEEvT1_,comdat
.Lfunc_end500:
	.size	_ZN7rocprim17ROCPRIM_400000_NS6detail17trampoline_kernelINS0_14default_configENS1_20scan_config_selectorIN3c108BFloat16EEEZZNS1_9scan_implILNS1_25lookback_scan_determinismE0ELb0ELb0ES3_PKS6_PS6_S6_ZZZN2at6native31launch_logcumsumexp_cuda_kernelERKNSD_10TensorBaseESH_lENKUlvE_clEvENKUlvE4_clEvEUlS6_S6_E_S6_EEDaPvRmT3_T4_T5_mT6_P12ihipStream_tbENKUlT_T0_E_clISt17integral_constantIbLb1EESX_IbLb0EEEEDaST_SU_EUlST_E0_NS1_11comp_targetILNS1_3genE9ELNS1_11target_archE1100ELNS1_3gpuE3ELNS1_3repE0EEENS1_30default_config_static_selectorELNS0_4arch9wavefront6targetE1EEEvT1_, .Lfunc_end500-_ZN7rocprim17ROCPRIM_400000_NS6detail17trampoline_kernelINS0_14default_configENS1_20scan_config_selectorIN3c108BFloat16EEEZZNS1_9scan_implILNS1_25lookback_scan_determinismE0ELb0ELb0ES3_PKS6_PS6_S6_ZZZN2at6native31launch_logcumsumexp_cuda_kernelERKNSD_10TensorBaseESH_lENKUlvE_clEvENKUlvE4_clEvEUlS6_S6_E_S6_EEDaPvRmT3_T4_T5_mT6_P12ihipStream_tbENKUlT_T0_E_clISt17integral_constantIbLb1EESX_IbLb0EEEEDaST_SU_EUlST_E0_NS1_11comp_targetILNS1_3genE9ELNS1_11target_archE1100ELNS1_3gpuE3ELNS1_3repE0EEENS1_30default_config_static_selectorELNS0_4arch9wavefront6targetE1EEEvT1_
                                        ; -- End function
	.set _ZN7rocprim17ROCPRIM_400000_NS6detail17trampoline_kernelINS0_14default_configENS1_20scan_config_selectorIN3c108BFloat16EEEZZNS1_9scan_implILNS1_25lookback_scan_determinismE0ELb0ELb0ES3_PKS6_PS6_S6_ZZZN2at6native31launch_logcumsumexp_cuda_kernelERKNSD_10TensorBaseESH_lENKUlvE_clEvENKUlvE4_clEvEUlS6_S6_E_S6_EEDaPvRmT3_T4_T5_mT6_P12ihipStream_tbENKUlT_T0_E_clISt17integral_constantIbLb1EESX_IbLb0EEEEDaST_SU_EUlST_E0_NS1_11comp_targetILNS1_3genE9ELNS1_11target_archE1100ELNS1_3gpuE3ELNS1_3repE0EEENS1_30default_config_static_selectorELNS0_4arch9wavefront6targetE1EEEvT1_.num_vgpr, 0
	.set _ZN7rocprim17ROCPRIM_400000_NS6detail17trampoline_kernelINS0_14default_configENS1_20scan_config_selectorIN3c108BFloat16EEEZZNS1_9scan_implILNS1_25lookback_scan_determinismE0ELb0ELb0ES3_PKS6_PS6_S6_ZZZN2at6native31launch_logcumsumexp_cuda_kernelERKNSD_10TensorBaseESH_lENKUlvE_clEvENKUlvE4_clEvEUlS6_S6_E_S6_EEDaPvRmT3_T4_T5_mT6_P12ihipStream_tbENKUlT_T0_E_clISt17integral_constantIbLb1EESX_IbLb0EEEEDaST_SU_EUlST_E0_NS1_11comp_targetILNS1_3genE9ELNS1_11target_archE1100ELNS1_3gpuE3ELNS1_3repE0EEENS1_30default_config_static_selectorELNS0_4arch9wavefront6targetE1EEEvT1_.num_agpr, 0
	.set _ZN7rocprim17ROCPRIM_400000_NS6detail17trampoline_kernelINS0_14default_configENS1_20scan_config_selectorIN3c108BFloat16EEEZZNS1_9scan_implILNS1_25lookback_scan_determinismE0ELb0ELb0ES3_PKS6_PS6_S6_ZZZN2at6native31launch_logcumsumexp_cuda_kernelERKNSD_10TensorBaseESH_lENKUlvE_clEvENKUlvE4_clEvEUlS6_S6_E_S6_EEDaPvRmT3_T4_T5_mT6_P12ihipStream_tbENKUlT_T0_E_clISt17integral_constantIbLb1EESX_IbLb0EEEEDaST_SU_EUlST_E0_NS1_11comp_targetILNS1_3genE9ELNS1_11target_archE1100ELNS1_3gpuE3ELNS1_3repE0EEENS1_30default_config_static_selectorELNS0_4arch9wavefront6targetE1EEEvT1_.numbered_sgpr, 0
	.set _ZN7rocprim17ROCPRIM_400000_NS6detail17trampoline_kernelINS0_14default_configENS1_20scan_config_selectorIN3c108BFloat16EEEZZNS1_9scan_implILNS1_25lookback_scan_determinismE0ELb0ELb0ES3_PKS6_PS6_S6_ZZZN2at6native31launch_logcumsumexp_cuda_kernelERKNSD_10TensorBaseESH_lENKUlvE_clEvENKUlvE4_clEvEUlS6_S6_E_S6_EEDaPvRmT3_T4_T5_mT6_P12ihipStream_tbENKUlT_T0_E_clISt17integral_constantIbLb1EESX_IbLb0EEEEDaST_SU_EUlST_E0_NS1_11comp_targetILNS1_3genE9ELNS1_11target_archE1100ELNS1_3gpuE3ELNS1_3repE0EEENS1_30default_config_static_selectorELNS0_4arch9wavefront6targetE1EEEvT1_.num_named_barrier, 0
	.set _ZN7rocprim17ROCPRIM_400000_NS6detail17trampoline_kernelINS0_14default_configENS1_20scan_config_selectorIN3c108BFloat16EEEZZNS1_9scan_implILNS1_25lookback_scan_determinismE0ELb0ELb0ES3_PKS6_PS6_S6_ZZZN2at6native31launch_logcumsumexp_cuda_kernelERKNSD_10TensorBaseESH_lENKUlvE_clEvENKUlvE4_clEvEUlS6_S6_E_S6_EEDaPvRmT3_T4_T5_mT6_P12ihipStream_tbENKUlT_T0_E_clISt17integral_constantIbLb1EESX_IbLb0EEEEDaST_SU_EUlST_E0_NS1_11comp_targetILNS1_3genE9ELNS1_11target_archE1100ELNS1_3gpuE3ELNS1_3repE0EEENS1_30default_config_static_selectorELNS0_4arch9wavefront6targetE1EEEvT1_.private_seg_size, 0
	.set _ZN7rocprim17ROCPRIM_400000_NS6detail17trampoline_kernelINS0_14default_configENS1_20scan_config_selectorIN3c108BFloat16EEEZZNS1_9scan_implILNS1_25lookback_scan_determinismE0ELb0ELb0ES3_PKS6_PS6_S6_ZZZN2at6native31launch_logcumsumexp_cuda_kernelERKNSD_10TensorBaseESH_lENKUlvE_clEvENKUlvE4_clEvEUlS6_S6_E_S6_EEDaPvRmT3_T4_T5_mT6_P12ihipStream_tbENKUlT_T0_E_clISt17integral_constantIbLb1EESX_IbLb0EEEEDaST_SU_EUlST_E0_NS1_11comp_targetILNS1_3genE9ELNS1_11target_archE1100ELNS1_3gpuE3ELNS1_3repE0EEENS1_30default_config_static_selectorELNS0_4arch9wavefront6targetE1EEEvT1_.uses_vcc, 0
	.set _ZN7rocprim17ROCPRIM_400000_NS6detail17trampoline_kernelINS0_14default_configENS1_20scan_config_selectorIN3c108BFloat16EEEZZNS1_9scan_implILNS1_25lookback_scan_determinismE0ELb0ELb0ES3_PKS6_PS6_S6_ZZZN2at6native31launch_logcumsumexp_cuda_kernelERKNSD_10TensorBaseESH_lENKUlvE_clEvENKUlvE4_clEvEUlS6_S6_E_S6_EEDaPvRmT3_T4_T5_mT6_P12ihipStream_tbENKUlT_T0_E_clISt17integral_constantIbLb1EESX_IbLb0EEEEDaST_SU_EUlST_E0_NS1_11comp_targetILNS1_3genE9ELNS1_11target_archE1100ELNS1_3gpuE3ELNS1_3repE0EEENS1_30default_config_static_selectorELNS0_4arch9wavefront6targetE1EEEvT1_.uses_flat_scratch, 0
	.set _ZN7rocprim17ROCPRIM_400000_NS6detail17trampoline_kernelINS0_14default_configENS1_20scan_config_selectorIN3c108BFloat16EEEZZNS1_9scan_implILNS1_25lookback_scan_determinismE0ELb0ELb0ES3_PKS6_PS6_S6_ZZZN2at6native31launch_logcumsumexp_cuda_kernelERKNSD_10TensorBaseESH_lENKUlvE_clEvENKUlvE4_clEvEUlS6_S6_E_S6_EEDaPvRmT3_T4_T5_mT6_P12ihipStream_tbENKUlT_T0_E_clISt17integral_constantIbLb1EESX_IbLb0EEEEDaST_SU_EUlST_E0_NS1_11comp_targetILNS1_3genE9ELNS1_11target_archE1100ELNS1_3gpuE3ELNS1_3repE0EEENS1_30default_config_static_selectorELNS0_4arch9wavefront6targetE1EEEvT1_.has_dyn_sized_stack, 0
	.set _ZN7rocprim17ROCPRIM_400000_NS6detail17trampoline_kernelINS0_14default_configENS1_20scan_config_selectorIN3c108BFloat16EEEZZNS1_9scan_implILNS1_25lookback_scan_determinismE0ELb0ELb0ES3_PKS6_PS6_S6_ZZZN2at6native31launch_logcumsumexp_cuda_kernelERKNSD_10TensorBaseESH_lENKUlvE_clEvENKUlvE4_clEvEUlS6_S6_E_S6_EEDaPvRmT3_T4_T5_mT6_P12ihipStream_tbENKUlT_T0_E_clISt17integral_constantIbLb1EESX_IbLb0EEEEDaST_SU_EUlST_E0_NS1_11comp_targetILNS1_3genE9ELNS1_11target_archE1100ELNS1_3gpuE3ELNS1_3repE0EEENS1_30default_config_static_selectorELNS0_4arch9wavefront6targetE1EEEvT1_.has_recursion, 0
	.set _ZN7rocprim17ROCPRIM_400000_NS6detail17trampoline_kernelINS0_14default_configENS1_20scan_config_selectorIN3c108BFloat16EEEZZNS1_9scan_implILNS1_25lookback_scan_determinismE0ELb0ELb0ES3_PKS6_PS6_S6_ZZZN2at6native31launch_logcumsumexp_cuda_kernelERKNSD_10TensorBaseESH_lENKUlvE_clEvENKUlvE4_clEvEUlS6_S6_E_S6_EEDaPvRmT3_T4_T5_mT6_P12ihipStream_tbENKUlT_T0_E_clISt17integral_constantIbLb1EESX_IbLb0EEEEDaST_SU_EUlST_E0_NS1_11comp_targetILNS1_3genE9ELNS1_11target_archE1100ELNS1_3gpuE3ELNS1_3repE0EEENS1_30default_config_static_selectorELNS0_4arch9wavefront6targetE1EEEvT1_.has_indirect_call, 0
	.section	.AMDGPU.csdata,"",@progbits
; Kernel info:
; codeLenInByte = 0
; TotalNumSgprs: 6
; NumVgprs: 0
; NumAgprs: 0
; TotalNumVgprs: 0
; ScratchSize: 0
; MemoryBound: 0
; FloatMode: 240
; IeeeMode: 1
; LDSByteSize: 0 bytes/workgroup (compile time only)
; SGPRBlocks: 0
; VGPRBlocks: 0
; NumSGPRsForWavesPerEU: 6
; NumVGPRsForWavesPerEU: 1
; AccumOffset: 4
; Occupancy: 8
; WaveLimiterHint : 0
; COMPUTE_PGM_RSRC2:SCRATCH_EN: 0
; COMPUTE_PGM_RSRC2:USER_SGPR: 2
; COMPUTE_PGM_RSRC2:TRAP_HANDLER: 0
; COMPUTE_PGM_RSRC2:TGID_X_EN: 1
; COMPUTE_PGM_RSRC2:TGID_Y_EN: 0
; COMPUTE_PGM_RSRC2:TGID_Z_EN: 0
; COMPUTE_PGM_RSRC2:TIDIG_COMP_CNT: 0
; COMPUTE_PGM_RSRC3_GFX90A:ACCUM_OFFSET: 0
; COMPUTE_PGM_RSRC3_GFX90A:TG_SPLIT: 0
	.section	.text._ZN7rocprim17ROCPRIM_400000_NS6detail17trampoline_kernelINS0_14default_configENS1_20scan_config_selectorIN3c108BFloat16EEEZZNS1_9scan_implILNS1_25lookback_scan_determinismE0ELb0ELb0ES3_PKS6_PS6_S6_ZZZN2at6native31launch_logcumsumexp_cuda_kernelERKNSD_10TensorBaseESH_lENKUlvE_clEvENKUlvE4_clEvEUlS6_S6_E_S6_EEDaPvRmT3_T4_T5_mT6_P12ihipStream_tbENKUlT_T0_E_clISt17integral_constantIbLb1EESX_IbLb0EEEEDaST_SU_EUlST_E0_NS1_11comp_targetILNS1_3genE8ELNS1_11target_archE1030ELNS1_3gpuE2ELNS1_3repE0EEENS1_30default_config_static_selectorELNS0_4arch9wavefront6targetE1EEEvT1_,"axG",@progbits,_ZN7rocprim17ROCPRIM_400000_NS6detail17trampoline_kernelINS0_14default_configENS1_20scan_config_selectorIN3c108BFloat16EEEZZNS1_9scan_implILNS1_25lookback_scan_determinismE0ELb0ELb0ES3_PKS6_PS6_S6_ZZZN2at6native31launch_logcumsumexp_cuda_kernelERKNSD_10TensorBaseESH_lENKUlvE_clEvENKUlvE4_clEvEUlS6_S6_E_S6_EEDaPvRmT3_T4_T5_mT6_P12ihipStream_tbENKUlT_T0_E_clISt17integral_constantIbLb1EESX_IbLb0EEEEDaST_SU_EUlST_E0_NS1_11comp_targetILNS1_3genE8ELNS1_11target_archE1030ELNS1_3gpuE2ELNS1_3repE0EEENS1_30default_config_static_selectorELNS0_4arch9wavefront6targetE1EEEvT1_,comdat
	.globl	_ZN7rocprim17ROCPRIM_400000_NS6detail17trampoline_kernelINS0_14default_configENS1_20scan_config_selectorIN3c108BFloat16EEEZZNS1_9scan_implILNS1_25lookback_scan_determinismE0ELb0ELb0ES3_PKS6_PS6_S6_ZZZN2at6native31launch_logcumsumexp_cuda_kernelERKNSD_10TensorBaseESH_lENKUlvE_clEvENKUlvE4_clEvEUlS6_S6_E_S6_EEDaPvRmT3_T4_T5_mT6_P12ihipStream_tbENKUlT_T0_E_clISt17integral_constantIbLb1EESX_IbLb0EEEEDaST_SU_EUlST_E0_NS1_11comp_targetILNS1_3genE8ELNS1_11target_archE1030ELNS1_3gpuE2ELNS1_3repE0EEENS1_30default_config_static_selectorELNS0_4arch9wavefront6targetE1EEEvT1_ ; -- Begin function _ZN7rocprim17ROCPRIM_400000_NS6detail17trampoline_kernelINS0_14default_configENS1_20scan_config_selectorIN3c108BFloat16EEEZZNS1_9scan_implILNS1_25lookback_scan_determinismE0ELb0ELb0ES3_PKS6_PS6_S6_ZZZN2at6native31launch_logcumsumexp_cuda_kernelERKNSD_10TensorBaseESH_lENKUlvE_clEvENKUlvE4_clEvEUlS6_S6_E_S6_EEDaPvRmT3_T4_T5_mT6_P12ihipStream_tbENKUlT_T0_E_clISt17integral_constantIbLb1EESX_IbLb0EEEEDaST_SU_EUlST_E0_NS1_11comp_targetILNS1_3genE8ELNS1_11target_archE1030ELNS1_3gpuE2ELNS1_3repE0EEENS1_30default_config_static_selectorELNS0_4arch9wavefront6targetE1EEEvT1_
	.p2align	8
	.type	_ZN7rocprim17ROCPRIM_400000_NS6detail17trampoline_kernelINS0_14default_configENS1_20scan_config_selectorIN3c108BFloat16EEEZZNS1_9scan_implILNS1_25lookback_scan_determinismE0ELb0ELb0ES3_PKS6_PS6_S6_ZZZN2at6native31launch_logcumsumexp_cuda_kernelERKNSD_10TensorBaseESH_lENKUlvE_clEvENKUlvE4_clEvEUlS6_S6_E_S6_EEDaPvRmT3_T4_T5_mT6_P12ihipStream_tbENKUlT_T0_E_clISt17integral_constantIbLb1EESX_IbLb0EEEEDaST_SU_EUlST_E0_NS1_11comp_targetILNS1_3genE8ELNS1_11target_archE1030ELNS1_3gpuE2ELNS1_3repE0EEENS1_30default_config_static_selectorELNS0_4arch9wavefront6targetE1EEEvT1_,@function
_ZN7rocprim17ROCPRIM_400000_NS6detail17trampoline_kernelINS0_14default_configENS1_20scan_config_selectorIN3c108BFloat16EEEZZNS1_9scan_implILNS1_25lookback_scan_determinismE0ELb0ELb0ES3_PKS6_PS6_S6_ZZZN2at6native31launch_logcumsumexp_cuda_kernelERKNSD_10TensorBaseESH_lENKUlvE_clEvENKUlvE4_clEvEUlS6_S6_E_S6_EEDaPvRmT3_T4_T5_mT6_P12ihipStream_tbENKUlT_T0_E_clISt17integral_constantIbLb1EESX_IbLb0EEEEDaST_SU_EUlST_E0_NS1_11comp_targetILNS1_3genE8ELNS1_11target_archE1030ELNS1_3gpuE2ELNS1_3repE0EEENS1_30default_config_static_selectorELNS0_4arch9wavefront6targetE1EEEvT1_: ; @_ZN7rocprim17ROCPRIM_400000_NS6detail17trampoline_kernelINS0_14default_configENS1_20scan_config_selectorIN3c108BFloat16EEEZZNS1_9scan_implILNS1_25lookback_scan_determinismE0ELb0ELb0ES3_PKS6_PS6_S6_ZZZN2at6native31launch_logcumsumexp_cuda_kernelERKNSD_10TensorBaseESH_lENKUlvE_clEvENKUlvE4_clEvEUlS6_S6_E_S6_EEDaPvRmT3_T4_T5_mT6_P12ihipStream_tbENKUlT_T0_E_clISt17integral_constantIbLb1EESX_IbLb0EEEEDaST_SU_EUlST_E0_NS1_11comp_targetILNS1_3genE8ELNS1_11target_archE1030ELNS1_3gpuE2ELNS1_3repE0EEENS1_30default_config_static_selectorELNS0_4arch9wavefront6targetE1EEEvT1_
; %bb.0:
	.section	.rodata,"a",@progbits
	.p2align	6, 0x0
	.amdhsa_kernel _ZN7rocprim17ROCPRIM_400000_NS6detail17trampoline_kernelINS0_14default_configENS1_20scan_config_selectorIN3c108BFloat16EEEZZNS1_9scan_implILNS1_25lookback_scan_determinismE0ELb0ELb0ES3_PKS6_PS6_S6_ZZZN2at6native31launch_logcumsumexp_cuda_kernelERKNSD_10TensorBaseESH_lENKUlvE_clEvENKUlvE4_clEvEUlS6_S6_E_S6_EEDaPvRmT3_T4_T5_mT6_P12ihipStream_tbENKUlT_T0_E_clISt17integral_constantIbLb1EESX_IbLb0EEEEDaST_SU_EUlST_E0_NS1_11comp_targetILNS1_3genE8ELNS1_11target_archE1030ELNS1_3gpuE2ELNS1_3repE0EEENS1_30default_config_static_selectorELNS0_4arch9wavefront6targetE1EEEvT1_
		.amdhsa_group_segment_fixed_size 0
		.amdhsa_private_segment_fixed_size 0
		.amdhsa_kernarg_size 32
		.amdhsa_user_sgpr_count 2
		.amdhsa_user_sgpr_dispatch_ptr 0
		.amdhsa_user_sgpr_queue_ptr 0
		.amdhsa_user_sgpr_kernarg_segment_ptr 1
		.amdhsa_user_sgpr_dispatch_id 0
		.amdhsa_user_sgpr_kernarg_preload_length 0
		.amdhsa_user_sgpr_kernarg_preload_offset 0
		.amdhsa_user_sgpr_private_segment_size 0
		.amdhsa_uses_dynamic_stack 0
		.amdhsa_enable_private_segment 0
		.amdhsa_system_sgpr_workgroup_id_x 1
		.amdhsa_system_sgpr_workgroup_id_y 0
		.amdhsa_system_sgpr_workgroup_id_z 0
		.amdhsa_system_sgpr_workgroup_info 0
		.amdhsa_system_vgpr_workitem_id 0
		.amdhsa_next_free_vgpr 1
		.amdhsa_next_free_sgpr 0
		.amdhsa_accum_offset 4
		.amdhsa_reserve_vcc 0
		.amdhsa_float_round_mode_32 0
		.amdhsa_float_round_mode_16_64 0
		.amdhsa_float_denorm_mode_32 3
		.amdhsa_float_denorm_mode_16_64 3
		.amdhsa_dx10_clamp 1
		.amdhsa_ieee_mode 1
		.amdhsa_fp16_overflow 0
		.amdhsa_tg_split 0
		.amdhsa_exception_fp_ieee_invalid_op 0
		.amdhsa_exception_fp_denorm_src 0
		.amdhsa_exception_fp_ieee_div_zero 0
		.amdhsa_exception_fp_ieee_overflow 0
		.amdhsa_exception_fp_ieee_underflow 0
		.amdhsa_exception_fp_ieee_inexact 0
		.amdhsa_exception_int_div_zero 0
	.end_amdhsa_kernel
	.section	.text._ZN7rocprim17ROCPRIM_400000_NS6detail17trampoline_kernelINS0_14default_configENS1_20scan_config_selectorIN3c108BFloat16EEEZZNS1_9scan_implILNS1_25lookback_scan_determinismE0ELb0ELb0ES3_PKS6_PS6_S6_ZZZN2at6native31launch_logcumsumexp_cuda_kernelERKNSD_10TensorBaseESH_lENKUlvE_clEvENKUlvE4_clEvEUlS6_S6_E_S6_EEDaPvRmT3_T4_T5_mT6_P12ihipStream_tbENKUlT_T0_E_clISt17integral_constantIbLb1EESX_IbLb0EEEEDaST_SU_EUlST_E0_NS1_11comp_targetILNS1_3genE8ELNS1_11target_archE1030ELNS1_3gpuE2ELNS1_3repE0EEENS1_30default_config_static_selectorELNS0_4arch9wavefront6targetE1EEEvT1_,"axG",@progbits,_ZN7rocprim17ROCPRIM_400000_NS6detail17trampoline_kernelINS0_14default_configENS1_20scan_config_selectorIN3c108BFloat16EEEZZNS1_9scan_implILNS1_25lookback_scan_determinismE0ELb0ELb0ES3_PKS6_PS6_S6_ZZZN2at6native31launch_logcumsumexp_cuda_kernelERKNSD_10TensorBaseESH_lENKUlvE_clEvENKUlvE4_clEvEUlS6_S6_E_S6_EEDaPvRmT3_T4_T5_mT6_P12ihipStream_tbENKUlT_T0_E_clISt17integral_constantIbLb1EESX_IbLb0EEEEDaST_SU_EUlST_E0_NS1_11comp_targetILNS1_3genE8ELNS1_11target_archE1030ELNS1_3gpuE2ELNS1_3repE0EEENS1_30default_config_static_selectorELNS0_4arch9wavefront6targetE1EEEvT1_,comdat
.Lfunc_end501:
	.size	_ZN7rocprim17ROCPRIM_400000_NS6detail17trampoline_kernelINS0_14default_configENS1_20scan_config_selectorIN3c108BFloat16EEEZZNS1_9scan_implILNS1_25lookback_scan_determinismE0ELb0ELb0ES3_PKS6_PS6_S6_ZZZN2at6native31launch_logcumsumexp_cuda_kernelERKNSD_10TensorBaseESH_lENKUlvE_clEvENKUlvE4_clEvEUlS6_S6_E_S6_EEDaPvRmT3_T4_T5_mT6_P12ihipStream_tbENKUlT_T0_E_clISt17integral_constantIbLb1EESX_IbLb0EEEEDaST_SU_EUlST_E0_NS1_11comp_targetILNS1_3genE8ELNS1_11target_archE1030ELNS1_3gpuE2ELNS1_3repE0EEENS1_30default_config_static_selectorELNS0_4arch9wavefront6targetE1EEEvT1_, .Lfunc_end501-_ZN7rocprim17ROCPRIM_400000_NS6detail17trampoline_kernelINS0_14default_configENS1_20scan_config_selectorIN3c108BFloat16EEEZZNS1_9scan_implILNS1_25lookback_scan_determinismE0ELb0ELb0ES3_PKS6_PS6_S6_ZZZN2at6native31launch_logcumsumexp_cuda_kernelERKNSD_10TensorBaseESH_lENKUlvE_clEvENKUlvE4_clEvEUlS6_S6_E_S6_EEDaPvRmT3_T4_T5_mT6_P12ihipStream_tbENKUlT_T0_E_clISt17integral_constantIbLb1EESX_IbLb0EEEEDaST_SU_EUlST_E0_NS1_11comp_targetILNS1_3genE8ELNS1_11target_archE1030ELNS1_3gpuE2ELNS1_3repE0EEENS1_30default_config_static_selectorELNS0_4arch9wavefront6targetE1EEEvT1_
                                        ; -- End function
	.set _ZN7rocprim17ROCPRIM_400000_NS6detail17trampoline_kernelINS0_14default_configENS1_20scan_config_selectorIN3c108BFloat16EEEZZNS1_9scan_implILNS1_25lookback_scan_determinismE0ELb0ELb0ES3_PKS6_PS6_S6_ZZZN2at6native31launch_logcumsumexp_cuda_kernelERKNSD_10TensorBaseESH_lENKUlvE_clEvENKUlvE4_clEvEUlS6_S6_E_S6_EEDaPvRmT3_T4_T5_mT6_P12ihipStream_tbENKUlT_T0_E_clISt17integral_constantIbLb1EESX_IbLb0EEEEDaST_SU_EUlST_E0_NS1_11comp_targetILNS1_3genE8ELNS1_11target_archE1030ELNS1_3gpuE2ELNS1_3repE0EEENS1_30default_config_static_selectorELNS0_4arch9wavefront6targetE1EEEvT1_.num_vgpr, 0
	.set _ZN7rocprim17ROCPRIM_400000_NS6detail17trampoline_kernelINS0_14default_configENS1_20scan_config_selectorIN3c108BFloat16EEEZZNS1_9scan_implILNS1_25lookback_scan_determinismE0ELb0ELb0ES3_PKS6_PS6_S6_ZZZN2at6native31launch_logcumsumexp_cuda_kernelERKNSD_10TensorBaseESH_lENKUlvE_clEvENKUlvE4_clEvEUlS6_S6_E_S6_EEDaPvRmT3_T4_T5_mT6_P12ihipStream_tbENKUlT_T0_E_clISt17integral_constantIbLb1EESX_IbLb0EEEEDaST_SU_EUlST_E0_NS1_11comp_targetILNS1_3genE8ELNS1_11target_archE1030ELNS1_3gpuE2ELNS1_3repE0EEENS1_30default_config_static_selectorELNS0_4arch9wavefront6targetE1EEEvT1_.num_agpr, 0
	.set _ZN7rocprim17ROCPRIM_400000_NS6detail17trampoline_kernelINS0_14default_configENS1_20scan_config_selectorIN3c108BFloat16EEEZZNS1_9scan_implILNS1_25lookback_scan_determinismE0ELb0ELb0ES3_PKS6_PS6_S6_ZZZN2at6native31launch_logcumsumexp_cuda_kernelERKNSD_10TensorBaseESH_lENKUlvE_clEvENKUlvE4_clEvEUlS6_S6_E_S6_EEDaPvRmT3_T4_T5_mT6_P12ihipStream_tbENKUlT_T0_E_clISt17integral_constantIbLb1EESX_IbLb0EEEEDaST_SU_EUlST_E0_NS1_11comp_targetILNS1_3genE8ELNS1_11target_archE1030ELNS1_3gpuE2ELNS1_3repE0EEENS1_30default_config_static_selectorELNS0_4arch9wavefront6targetE1EEEvT1_.numbered_sgpr, 0
	.set _ZN7rocprim17ROCPRIM_400000_NS6detail17trampoline_kernelINS0_14default_configENS1_20scan_config_selectorIN3c108BFloat16EEEZZNS1_9scan_implILNS1_25lookback_scan_determinismE0ELb0ELb0ES3_PKS6_PS6_S6_ZZZN2at6native31launch_logcumsumexp_cuda_kernelERKNSD_10TensorBaseESH_lENKUlvE_clEvENKUlvE4_clEvEUlS6_S6_E_S6_EEDaPvRmT3_T4_T5_mT6_P12ihipStream_tbENKUlT_T0_E_clISt17integral_constantIbLb1EESX_IbLb0EEEEDaST_SU_EUlST_E0_NS1_11comp_targetILNS1_3genE8ELNS1_11target_archE1030ELNS1_3gpuE2ELNS1_3repE0EEENS1_30default_config_static_selectorELNS0_4arch9wavefront6targetE1EEEvT1_.num_named_barrier, 0
	.set _ZN7rocprim17ROCPRIM_400000_NS6detail17trampoline_kernelINS0_14default_configENS1_20scan_config_selectorIN3c108BFloat16EEEZZNS1_9scan_implILNS1_25lookback_scan_determinismE0ELb0ELb0ES3_PKS6_PS6_S6_ZZZN2at6native31launch_logcumsumexp_cuda_kernelERKNSD_10TensorBaseESH_lENKUlvE_clEvENKUlvE4_clEvEUlS6_S6_E_S6_EEDaPvRmT3_T4_T5_mT6_P12ihipStream_tbENKUlT_T0_E_clISt17integral_constantIbLb1EESX_IbLb0EEEEDaST_SU_EUlST_E0_NS1_11comp_targetILNS1_3genE8ELNS1_11target_archE1030ELNS1_3gpuE2ELNS1_3repE0EEENS1_30default_config_static_selectorELNS0_4arch9wavefront6targetE1EEEvT1_.private_seg_size, 0
	.set _ZN7rocprim17ROCPRIM_400000_NS6detail17trampoline_kernelINS0_14default_configENS1_20scan_config_selectorIN3c108BFloat16EEEZZNS1_9scan_implILNS1_25lookback_scan_determinismE0ELb0ELb0ES3_PKS6_PS6_S6_ZZZN2at6native31launch_logcumsumexp_cuda_kernelERKNSD_10TensorBaseESH_lENKUlvE_clEvENKUlvE4_clEvEUlS6_S6_E_S6_EEDaPvRmT3_T4_T5_mT6_P12ihipStream_tbENKUlT_T0_E_clISt17integral_constantIbLb1EESX_IbLb0EEEEDaST_SU_EUlST_E0_NS1_11comp_targetILNS1_3genE8ELNS1_11target_archE1030ELNS1_3gpuE2ELNS1_3repE0EEENS1_30default_config_static_selectorELNS0_4arch9wavefront6targetE1EEEvT1_.uses_vcc, 0
	.set _ZN7rocprim17ROCPRIM_400000_NS6detail17trampoline_kernelINS0_14default_configENS1_20scan_config_selectorIN3c108BFloat16EEEZZNS1_9scan_implILNS1_25lookback_scan_determinismE0ELb0ELb0ES3_PKS6_PS6_S6_ZZZN2at6native31launch_logcumsumexp_cuda_kernelERKNSD_10TensorBaseESH_lENKUlvE_clEvENKUlvE4_clEvEUlS6_S6_E_S6_EEDaPvRmT3_T4_T5_mT6_P12ihipStream_tbENKUlT_T0_E_clISt17integral_constantIbLb1EESX_IbLb0EEEEDaST_SU_EUlST_E0_NS1_11comp_targetILNS1_3genE8ELNS1_11target_archE1030ELNS1_3gpuE2ELNS1_3repE0EEENS1_30default_config_static_selectorELNS0_4arch9wavefront6targetE1EEEvT1_.uses_flat_scratch, 0
	.set _ZN7rocprim17ROCPRIM_400000_NS6detail17trampoline_kernelINS0_14default_configENS1_20scan_config_selectorIN3c108BFloat16EEEZZNS1_9scan_implILNS1_25lookback_scan_determinismE0ELb0ELb0ES3_PKS6_PS6_S6_ZZZN2at6native31launch_logcumsumexp_cuda_kernelERKNSD_10TensorBaseESH_lENKUlvE_clEvENKUlvE4_clEvEUlS6_S6_E_S6_EEDaPvRmT3_T4_T5_mT6_P12ihipStream_tbENKUlT_T0_E_clISt17integral_constantIbLb1EESX_IbLb0EEEEDaST_SU_EUlST_E0_NS1_11comp_targetILNS1_3genE8ELNS1_11target_archE1030ELNS1_3gpuE2ELNS1_3repE0EEENS1_30default_config_static_selectorELNS0_4arch9wavefront6targetE1EEEvT1_.has_dyn_sized_stack, 0
	.set _ZN7rocprim17ROCPRIM_400000_NS6detail17trampoline_kernelINS0_14default_configENS1_20scan_config_selectorIN3c108BFloat16EEEZZNS1_9scan_implILNS1_25lookback_scan_determinismE0ELb0ELb0ES3_PKS6_PS6_S6_ZZZN2at6native31launch_logcumsumexp_cuda_kernelERKNSD_10TensorBaseESH_lENKUlvE_clEvENKUlvE4_clEvEUlS6_S6_E_S6_EEDaPvRmT3_T4_T5_mT6_P12ihipStream_tbENKUlT_T0_E_clISt17integral_constantIbLb1EESX_IbLb0EEEEDaST_SU_EUlST_E0_NS1_11comp_targetILNS1_3genE8ELNS1_11target_archE1030ELNS1_3gpuE2ELNS1_3repE0EEENS1_30default_config_static_selectorELNS0_4arch9wavefront6targetE1EEEvT1_.has_recursion, 0
	.set _ZN7rocprim17ROCPRIM_400000_NS6detail17trampoline_kernelINS0_14default_configENS1_20scan_config_selectorIN3c108BFloat16EEEZZNS1_9scan_implILNS1_25lookback_scan_determinismE0ELb0ELb0ES3_PKS6_PS6_S6_ZZZN2at6native31launch_logcumsumexp_cuda_kernelERKNSD_10TensorBaseESH_lENKUlvE_clEvENKUlvE4_clEvEUlS6_S6_E_S6_EEDaPvRmT3_T4_T5_mT6_P12ihipStream_tbENKUlT_T0_E_clISt17integral_constantIbLb1EESX_IbLb0EEEEDaST_SU_EUlST_E0_NS1_11comp_targetILNS1_3genE8ELNS1_11target_archE1030ELNS1_3gpuE2ELNS1_3repE0EEENS1_30default_config_static_selectorELNS0_4arch9wavefront6targetE1EEEvT1_.has_indirect_call, 0
	.section	.AMDGPU.csdata,"",@progbits
; Kernel info:
; codeLenInByte = 0
; TotalNumSgprs: 6
; NumVgprs: 0
; NumAgprs: 0
; TotalNumVgprs: 0
; ScratchSize: 0
; MemoryBound: 0
; FloatMode: 240
; IeeeMode: 1
; LDSByteSize: 0 bytes/workgroup (compile time only)
; SGPRBlocks: 0
; VGPRBlocks: 0
; NumSGPRsForWavesPerEU: 6
; NumVGPRsForWavesPerEU: 1
; AccumOffset: 4
; Occupancy: 8
; WaveLimiterHint : 0
; COMPUTE_PGM_RSRC2:SCRATCH_EN: 0
; COMPUTE_PGM_RSRC2:USER_SGPR: 2
; COMPUTE_PGM_RSRC2:TRAP_HANDLER: 0
; COMPUTE_PGM_RSRC2:TGID_X_EN: 1
; COMPUTE_PGM_RSRC2:TGID_Y_EN: 0
; COMPUTE_PGM_RSRC2:TGID_Z_EN: 0
; COMPUTE_PGM_RSRC2:TIDIG_COMP_CNT: 0
; COMPUTE_PGM_RSRC3_GFX90A:ACCUM_OFFSET: 0
; COMPUTE_PGM_RSRC3_GFX90A:TG_SPLIT: 0
	.section	.text._ZN7rocprim17ROCPRIM_400000_NS6detail31init_lookback_scan_state_kernelINS1_19lookback_scan_stateIN3c108BFloat16ELb0ELb1EEENS1_16block_id_wrapperIjLb1EEEEEvT_jT0_jPNS9_10value_typeE,"axG",@progbits,_ZN7rocprim17ROCPRIM_400000_NS6detail31init_lookback_scan_state_kernelINS1_19lookback_scan_stateIN3c108BFloat16ELb0ELb1EEENS1_16block_id_wrapperIjLb1EEEEEvT_jT0_jPNS9_10value_typeE,comdat
	.protected	_ZN7rocprim17ROCPRIM_400000_NS6detail31init_lookback_scan_state_kernelINS1_19lookback_scan_stateIN3c108BFloat16ELb0ELb1EEENS1_16block_id_wrapperIjLb1EEEEEvT_jT0_jPNS9_10value_typeE ; -- Begin function _ZN7rocprim17ROCPRIM_400000_NS6detail31init_lookback_scan_state_kernelINS1_19lookback_scan_stateIN3c108BFloat16ELb0ELb1EEENS1_16block_id_wrapperIjLb1EEEEEvT_jT0_jPNS9_10value_typeE
	.globl	_ZN7rocprim17ROCPRIM_400000_NS6detail31init_lookback_scan_state_kernelINS1_19lookback_scan_stateIN3c108BFloat16ELb0ELb1EEENS1_16block_id_wrapperIjLb1EEEEEvT_jT0_jPNS9_10value_typeE
	.p2align	8
	.type	_ZN7rocprim17ROCPRIM_400000_NS6detail31init_lookback_scan_state_kernelINS1_19lookback_scan_stateIN3c108BFloat16ELb0ELb1EEENS1_16block_id_wrapperIjLb1EEEEEvT_jT0_jPNS9_10value_typeE,@function
_ZN7rocprim17ROCPRIM_400000_NS6detail31init_lookback_scan_state_kernelINS1_19lookback_scan_stateIN3c108BFloat16ELb0ELb1EEENS1_16block_id_wrapperIjLb1EEEEEvT_jT0_jPNS9_10value_typeE: ; @_ZN7rocprim17ROCPRIM_400000_NS6detail31init_lookback_scan_state_kernelINS1_19lookback_scan_stateIN3c108BFloat16ELb0ELb1EEENS1_16block_id_wrapperIjLb1EEEEEvT_jT0_jPNS9_10value_typeE
; %bb.0:
	s_load_dword s3, s[0:1], 0x34
	s_load_dwordx2 s[6:7], s[0:1], 0x20
	s_load_dwordx2 s[4:5], s[0:1], 0x0
	s_load_dword s10, s[0:1], 0x8
	s_waitcnt lgkmcnt(0)
	s_and_b32 s3, s3, 0xffff
	s_mul_i32 s2, s2, s3
	s_cmp_eq_u64 s[6:7], 0
	v_add_u32_e32 v0, s2, v0
	s_cbranch_scc1 .LBB502_6
; %bb.1:
	s_load_dword s8, s[0:1], 0x18
	s_mov_b32 s9, 0
	s_waitcnt lgkmcnt(0)
	s_cmp_lt_u32 s8, s10
	s_cselect_b32 s2, s8, 0
	v_cmp_eq_u32_e32 vcc, s2, v0
	s_and_saveexec_b64 s[2:3], vcc
	s_cbranch_execz .LBB502_5
; %bb.2:
	s_add_i32 s8, s8, 64
	s_lshl_b64 s[8:9], s[8:9], 2
	s_add_u32 s8, s4, s8
	s_addc_u32 s9, s5, s9
	v_mov_b32_e32 v2, 0
	global_load_dword v1, v2, s[8:9] sc1
	s_waitcnt vmcnt(0)
	v_and_b32_e32 v3, 0xff0000, v1
	v_cmp_ne_u32_e32 vcc, 0, v3
	s_cbranch_vccnz .LBB502_4
.LBB502_3:                              ; =>This Inner Loop Header: Depth=1
	global_load_dword v1, v2, s[8:9] sc1
	s_waitcnt vmcnt(0)
	v_and_b32_e32 v3, 0xff0000, v1
	v_cmp_eq_u32_e32 vcc, 0, v3
	s_cbranch_vccnz .LBB502_3
.LBB502_4:
	v_mov_b32_e32 v2, 0
	global_store_short v2, v1, s[6:7]
.LBB502_5:
	s_or_b64 exec, exec, s[2:3]
.LBB502_6:
	v_cmp_eq_u32_e32 vcc, 0, v0
	s_and_saveexec_b64 s[2:3], vcc
	s_cbranch_execnz .LBB502_10
; %bb.7:
	s_or_b64 exec, exec, s[2:3]
	v_cmp_gt_u32_e32 vcc, s10, v0
	s_and_saveexec_b64 s[0:1], vcc
	s_cbranch_execnz .LBB502_11
.LBB502_8:
	s_or_b64 exec, exec, s[0:1]
	v_cmp_gt_u32_e32 vcc, 64, v0
	s_and_saveexec_b64 s[0:1], vcc
	s_cbranch_execnz .LBB502_12
.LBB502_9:
	s_endpgm
.LBB502_10:
	s_load_dwordx2 s[0:1], s[0:1], 0x10
	v_mov_b32_e32 v1, 0
	s_waitcnt lgkmcnt(0)
	global_store_dword v1, v1, s[0:1]
	s_or_b64 exec, exec, s[2:3]
	v_cmp_gt_u32_e32 vcc, s10, v0
	s_and_saveexec_b64 s[0:1], vcc
	s_cbranch_execz .LBB502_8
.LBB502_11:
	v_add_u32_e32 v2, 64, v0
	v_mov_b32_e32 v3, 0
	v_lshl_add_u64 v[4:5], v[2:3], 2, s[4:5]
	global_store_dword v[4:5], v3, off
	s_or_b64 exec, exec, s[0:1]
	v_cmp_gt_u32_e32 vcc, 64, v0
	s_and_saveexec_b64 s[0:1], vcc
	s_cbranch_execz .LBB502_9
.LBB502_12:
	v_mov_b32_e32 v1, 0
	v_lshl_add_u64 v[0:1], v[0:1], 2, s[4:5]
	v_mov_b32_e32 v2, 0xff0000
	global_store_dword v[0:1], v2, off
	s_endpgm
	.section	.rodata,"a",@progbits
	.p2align	6, 0x0
	.amdhsa_kernel _ZN7rocprim17ROCPRIM_400000_NS6detail31init_lookback_scan_state_kernelINS1_19lookback_scan_stateIN3c108BFloat16ELb0ELb1EEENS1_16block_id_wrapperIjLb1EEEEEvT_jT0_jPNS9_10value_typeE
		.amdhsa_group_segment_fixed_size 0
		.amdhsa_private_segment_fixed_size 0
		.amdhsa_kernarg_size 296
		.amdhsa_user_sgpr_count 2
		.amdhsa_user_sgpr_dispatch_ptr 0
		.amdhsa_user_sgpr_queue_ptr 0
		.amdhsa_user_sgpr_kernarg_segment_ptr 1
		.amdhsa_user_sgpr_dispatch_id 0
		.amdhsa_user_sgpr_kernarg_preload_length 0
		.amdhsa_user_sgpr_kernarg_preload_offset 0
		.amdhsa_user_sgpr_private_segment_size 0
		.amdhsa_uses_dynamic_stack 0
		.amdhsa_enable_private_segment 0
		.amdhsa_system_sgpr_workgroup_id_x 1
		.amdhsa_system_sgpr_workgroup_id_y 0
		.amdhsa_system_sgpr_workgroup_id_z 0
		.amdhsa_system_sgpr_workgroup_info 0
		.amdhsa_system_vgpr_workitem_id 0
		.amdhsa_next_free_vgpr 6
		.amdhsa_next_free_sgpr 11
		.amdhsa_accum_offset 8
		.amdhsa_reserve_vcc 1
		.amdhsa_float_round_mode_32 0
		.amdhsa_float_round_mode_16_64 0
		.amdhsa_float_denorm_mode_32 3
		.amdhsa_float_denorm_mode_16_64 3
		.amdhsa_dx10_clamp 1
		.amdhsa_ieee_mode 1
		.amdhsa_fp16_overflow 0
		.amdhsa_tg_split 0
		.amdhsa_exception_fp_ieee_invalid_op 0
		.amdhsa_exception_fp_denorm_src 0
		.amdhsa_exception_fp_ieee_div_zero 0
		.amdhsa_exception_fp_ieee_overflow 0
		.amdhsa_exception_fp_ieee_underflow 0
		.amdhsa_exception_fp_ieee_inexact 0
		.amdhsa_exception_int_div_zero 0
	.end_amdhsa_kernel
	.section	.text._ZN7rocprim17ROCPRIM_400000_NS6detail31init_lookback_scan_state_kernelINS1_19lookback_scan_stateIN3c108BFloat16ELb0ELb1EEENS1_16block_id_wrapperIjLb1EEEEEvT_jT0_jPNS9_10value_typeE,"axG",@progbits,_ZN7rocprim17ROCPRIM_400000_NS6detail31init_lookback_scan_state_kernelINS1_19lookback_scan_stateIN3c108BFloat16ELb0ELb1EEENS1_16block_id_wrapperIjLb1EEEEEvT_jT0_jPNS9_10value_typeE,comdat
.Lfunc_end502:
	.size	_ZN7rocprim17ROCPRIM_400000_NS6detail31init_lookback_scan_state_kernelINS1_19lookback_scan_stateIN3c108BFloat16ELb0ELb1EEENS1_16block_id_wrapperIjLb1EEEEEvT_jT0_jPNS9_10value_typeE, .Lfunc_end502-_ZN7rocprim17ROCPRIM_400000_NS6detail31init_lookback_scan_state_kernelINS1_19lookback_scan_stateIN3c108BFloat16ELb0ELb1EEENS1_16block_id_wrapperIjLb1EEEEEvT_jT0_jPNS9_10value_typeE
                                        ; -- End function
	.set _ZN7rocprim17ROCPRIM_400000_NS6detail31init_lookback_scan_state_kernelINS1_19lookback_scan_stateIN3c108BFloat16ELb0ELb1EEENS1_16block_id_wrapperIjLb1EEEEEvT_jT0_jPNS9_10value_typeE.num_vgpr, 6
	.set _ZN7rocprim17ROCPRIM_400000_NS6detail31init_lookback_scan_state_kernelINS1_19lookback_scan_stateIN3c108BFloat16ELb0ELb1EEENS1_16block_id_wrapperIjLb1EEEEEvT_jT0_jPNS9_10value_typeE.num_agpr, 0
	.set _ZN7rocprim17ROCPRIM_400000_NS6detail31init_lookback_scan_state_kernelINS1_19lookback_scan_stateIN3c108BFloat16ELb0ELb1EEENS1_16block_id_wrapperIjLb1EEEEEvT_jT0_jPNS9_10value_typeE.numbered_sgpr, 11
	.set _ZN7rocprim17ROCPRIM_400000_NS6detail31init_lookback_scan_state_kernelINS1_19lookback_scan_stateIN3c108BFloat16ELb0ELb1EEENS1_16block_id_wrapperIjLb1EEEEEvT_jT0_jPNS9_10value_typeE.num_named_barrier, 0
	.set _ZN7rocprim17ROCPRIM_400000_NS6detail31init_lookback_scan_state_kernelINS1_19lookback_scan_stateIN3c108BFloat16ELb0ELb1EEENS1_16block_id_wrapperIjLb1EEEEEvT_jT0_jPNS9_10value_typeE.private_seg_size, 0
	.set _ZN7rocprim17ROCPRIM_400000_NS6detail31init_lookback_scan_state_kernelINS1_19lookback_scan_stateIN3c108BFloat16ELb0ELb1EEENS1_16block_id_wrapperIjLb1EEEEEvT_jT0_jPNS9_10value_typeE.uses_vcc, 1
	.set _ZN7rocprim17ROCPRIM_400000_NS6detail31init_lookback_scan_state_kernelINS1_19lookback_scan_stateIN3c108BFloat16ELb0ELb1EEENS1_16block_id_wrapperIjLb1EEEEEvT_jT0_jPNS9_10value_typeE.uses_flat_scratch, 0
	.set _ZN7rocprim17ROCPRIM_400000_NS6detail31init_lookback_scan_state_kernelINS1_19lookback_scan_stateIN3c108BFloat16ELb0ELb1EEENS1_16block_id_wrapperIjLb1EEEEEvT_jT0_jPNS9_10value_typeE.has_dyn_sized_stack, 0
	.set _ZN7rocprim17ROCPRIM_400000_NS6detail31init_lookback_scan_state_kernelINS1_19lookback_scan_stateIN3c108BFloat16ELb0ELb1EEENS1_16block_id_wrapperIjLb1EEEEEvT_jT0_jPNS9_10value_typeE.has_recursion, 0
	.set _ZN7rocprim17ROCPRIM_400000_NS6detail31init_lookback_scan_state_kernelINS1_19lookback_scan_stateIN3c108BFloat16ELb0ELb1EEENS1_16block_id_wrapperIjLb1EEEEEvT_jT0_jPNS9_10value_typeE.has_indirect_call, 0
	.section	.AMDGPU.csdata,"",@progbits
; Kernel info:
; codeLenInByte = 348
; TotalNumSgprs: 17
; NumVgprs: 6
; NumAgprs: 0
; TotalNumVgprs: 6
; ScratchSize: 0
; MemoryBound: 0
; FloatMode: 240
; IeeeMode: 1
; LDSByteSize: 0 bytes/workgroup (compile time only)
; SGPRBlocks: 2
; VGPRBlocks: 0
; NumSGPRsForWavesPerEU: 17
; NumVGPRsForWavesPerEU: 6
; AccumOffset: 8
; Occupancy: 8
; WaveLimiterHint : 0
; COMPUTE_PGM_RSRC2:SCRATCH_EN: 0
; COMPUTE_PGM_RSRC2:USER_SGPR: 2
; COMPUTE_PGM_RSRC2:TRAP_HANDLER: 0
; COMPUTE_PGM_RSRC2:TGID_X_EN: 1
; COMPUTE_PGM_RSRC2:TGID_Y_EN: 0
; COMPUTE_PGM_RSRC2:TGID_Z_EN: 0
; COMPUTE_PGM_RSRC2:TIDIG_COMP_CNT: 0
; COMPUTE_PGM_RSRC3_GFX90A:ACCUM_OFFSET: 1
; COMPUTE_PGM_RSRC3_GFX90A:TG_SPLIT: 0
	.section	.text._ZN7rocprim17ROCPRIM_400000_NS6detail17trampoline_kernelINS0_14default_configENS1_20scan_config_selectorIN3c108BFloat16EEEZZNS1_9scan_implILNS1_25lookback_scan_determinismE0ELb0ELb0ES3_PKS6_PS6_S6_ZZZN2at6native31launch_logcumsumexp_cuda_kernelERKNSD_10TensorBaseESH_lENKUlvE_clEvENKUlvE4_clEvEUlS6_S6_E_S6_EEDaPvRmT3_T4_T5_mT6_P12ihipStream_tbENKUlT_T0_E_clISt17integral_constantIbLb0EESX_IbLb1EEEEDaST_SU_EUlST_E_NS1_11comp_targetILNS1_3genE0ELNS1_11target_archE4294967295ELNS1_3gpuE0ELNS1_3repE0EEENS1_30default_config_static_selectorELNS0_4arch9wavefront6targetE1EEEvT1_,"axG",@progbits,_ZN7rocprim17ROCPRIM_400000_NS6detail17trampoline_kernelINS0_14default_configENS1_20scan_config_selectorIN3c108BFloat16EEEZZNS1_9scan_implILNS1_25lookback_scan_determinismE0ELb0ELb0ES3_PKS6_PS6_S6_ZZZN2at6native31launch_logcumsumexp_cuda_kernelERKNSD_10TensorBaseESH_lENKUlvE_clEvENKUlvE4_clEvEUlS6_S6_E_S6_EEDaPvRmT3_T4_T5_mT6_P12ihipStream_tbENKUlT_T0_E_clISt17integral_constantIbLb0EESX_IbLb1EEEEDaST_SU_EUlST_E_NS1_11comp_targetILNS1_3genE0ELNS1_11target_archE4294967295ELNS1_3gpuE0ELNS1_3repE0EEENS1_30default_config_static_selectorELNS0_4arch9wavefront6targetE1EEEvT1_,comdat
	.globl	_ZN7rocprim17ROCPRIM_400000_NS6detail17trampoline_kernelINS0_14default_configENS1_20scan_config_selectorIN3c108BFloat16EEEZZNS1_9scan_implILNS1_25lookback_scan_determinismE0ELb0ELb0ES3_PKS6_PS6_S6_ZZZN2at6native31launch_logcumsumexp_cuda_kernelERKNSD_10TensorBaseESH_lENKUlvE_clEvENKUlvE4_clEvEUlS6_S6_E_S6_EEDaPvRmT3_T4_T5_mT6_P12ihipStream_tbENKUlT_T0_E_clISt17integral_constantIbLb0EESX_IbLb1EEEEDaST_SU_EUlST_E_NS1_11comp_targetILNS1_3genE0ELNS1_11target_archE4294967295ELNS1_3gpuE0ELNS1_3repE0EEENS1_30default_config_static_selectorELNS0_4arch9wavefront6targetE1EEEvT1_ ; -- Begin function _ZN7rocprim17ROCPRIM_400000_NS6detail17trampoline_kernelINS0_14default_configENS1_20scan_config_selectorIN3c108BFloat16EEEZZNS1_9scan_implILNS1_25lookback_scan_determinismE0ELb0ELb0ES3_PKS6_PS6_S6_ZZZN2at6native31launch_logcumsumexp_cuda_kernelERKNSD_10TensorBaseESH_lENKUlvE_clEvENKUlvE4_clEvEUlS6_S6_E_S6_EEDaPvRmT3_T4_T5_mT6_P12ihipStream_tbENKUlT_T0_E_clISt17integral_constantIbLb0EESX_IbLb1EEEEDaST_SU_EUlST_E_NS1_11comp_targetILNS1_3genE0ELNS1_11target_archE4294967295ELNS1_3gpuE0ELNS1_3repE0EEENS1_30default_config_static_selectorELNS0_4arch9wavefront6targetE1EEEvT1_
	.p2align	8
	.type	_ZN7rocprim17ROCPRIM_400000_NS6detail17trampoline_kernelINS0_14default_configENS1_20scan_config_selectorIN3c108BFloat16EEEZZNS1_9scan_implILNS1_25lookback_scan_determinismE0ELb0ELb0ES3_PKS6_PS6_S6_ZZZN2at6native31launch_logcumsumexp_cuda_kernelERKNSD_10TensorBaseESH_lENKUlvE_clEvENKUlvE4_clEvEUlS6_S6_E_S6_EEDaPvRmT3_T4_T5_mT6_P12ihipStream_tbENKUlT_T0_E_clISt17integral_constantIbLb0EESX_IbLb1EEEEDaST_SU_EUlST_E_NS1_11comp_targetILNS1_3genE0ELNS1_11target_archE4294967295ELNS1_3gpuE0ELNS1_3repE0EEENS1_30default_config_static_selectorELNS0_4arch9wavefront6targetE1EEEvT1_,@function
_ZN7rocprim17ROCPRIM_400000_NS6detail17trampoline_kernelINS0_14default_configENS1_20scan_config_selectorIN3c108BFloat16EEEZZNS1_9scan_implILNS1_25lookback_scan_determinismE0ELb0ELb0ES3_PKS6_PS6_S6_ZZZN2at6native31launch_logcumsumexp_cuda_kernelERKNSD_10TensorBaseESH_lENKUlvE_clEvENKUlvE4_clEvEUlS6_S6_E_S6_EEDaPvRmT3_T4_T5_mT6_P12ihipStream_tbENKUlT_T0_E_clISt17integral_constantIbLb0EESX_IbLb1EEEEDaST_SU_EUlST_E_NS1_11comp_targetILNS1_3genE0ELNS1_11target_archE4294967295ELNS1_3gpuE0ELNS1_3repE0EEENS1_30default_config_static_selectorELNS0_4arch9wavefront6targetE1EEEvT1_: ; @_ZN7rocprim17ROCPRIM_400000_NS6detail17trampoline_kernelINS0_14default_configENS1_20scan_config_selectorIN3c108BFloat16EEEZZNS1_9scan_implILNS1_25lookback_scan_determinismE0ELb0ELb0ES3_PKS6_PS6_S6_ZZZN2at6native31launch_logcumsumexp_cuda_kernelERKNSD_10TensorBaseESH_lENKUlvE_clEvENKUlvE4_clEvEUlS6_S6_E_S6_EEDaPvRmT3_T4_T5_mT6_P12ihipStream_tbENKUlT_T0_E_clISt17integral_constantIbLb0EESX_IbLb1EEEEDaST_SU_EUlST_E_NS1_11comp_targetILNS1_3genE0ELNS1_11target_archE4294967295ELNS1_3gpuE0ELNS1_3repE0EEENS1_30default_config_static_selectorELNS0_4arch9wavefront6targetE1EEEvT1_
; %bb.0:
	s_load_dwordx2 s[56:57], s[0:1], 0x28
	v_cmp_ne_u32_e64 s[2:3], 0, v0
	v_cmp_eq_u32_e64 s[4:5], 0, v0
	s_and_saveexec_b64 s[6:7], s[4:5]
	s_cbranch_execz .LBB503_4
; %bb.1:
	s_mov_b64 s[10:11], exec
	v_mbcnt_lo_u32_b32 v1, s10, 0
	v_mbcnt_hi_u32_b32 v1, s11, v1
	v_cmp_eq_u32_e32 vcc, 0, v1
                                        ; implicit-def: $vgpr2
	s_and_saveexec_b64 s[8:9], vcc
	s_cbranch_execz .LBB503_3
; %bb.2:
	s_load_dwordx2 s[12:13], s[0:1], 0x58
	s_bcnt1_i32_b64 s10, s[10:11]
	v_mov_b32_e32 v2, 0
	v_mov_b32_e32 v3, s10
	s_waitcnt lgkmcnt(0)
	global_atomic_add v2, v2, v3, s[12:13] sc0
.LBB503_3:
	s_or_b64 exec, exec, s[8:9]
	s_waitcnt vmcnt(0)
	v_readfirstlane_b32 s8, v2
	v_mov_b32_e32 v2, 0
	s_nop 0
	v_add_u32_e32 v1, s8, v1
	ds_write_b32 v2, v1
.LBB503_4:
	s_or_b64 exec, exec, s[6:7]
	s_load_dwordx8 s[48:55], s[0:1], 0x0
	s_load_dword s6, s[0:1], 0x30
	s_load_dwordx8 s[40:47], s[0:1], 0x38
	v_mov_b32_e32 v1, 0
	s_waitcnt lgkmcnt(0)
	s_barrier
	ds_read_b32 v1, v1
	s_lshl_b64 s[50:51], s[50:51], 1
	s_add_u32 s7, s48, s50
	s_addc_u32 s10, s49, s51
	s_add_i32 s0, s6, -1
	s_waitcnt lgkmcnt(0)
	v_readfirstlane_b32 s61, v1
	s_mul_i32 s1, s0, 0x700
	s_mul_i32 s8, s61, 0x700
	s_mov_b32 s9, 0
	s_sub_u32 s33, s54, s1
	s_subb_u32 s60, s55, 0
	s_lshl_b64 s[48:49], s[8:9], 1
	v_cmp_ne_u32_e64 s[0:1], s0, v1
	s_add_u32 s8, s7, s48
	s_addc_u32 s9, s10, s49
	s_mov_b64 s[6:7], -1
	s_and_b64 vcc, exec, s[0:1]
	v_lshlrev_b32_e32 v2, 1, v0
	s_barrier
	s_cbranch_vccz .LBB503_6
; %bb.5:
	global_load_ushort v1, v2, s[8:9]
	global_load_ushort v3, v2, s[8:9] offset:256
	global_load_ushort v4, v2, s[8:9] offset:512
	;; [unrolled: 1-line block ×13, first 2 shown]
	s_mov_b64 s[6:7], 0
	s_waitcnt vmcnt(13)
	ds_write_b16 v2, v1
	s_waitcnt vmcnt(12)
	ds_write_b16 v2, v3 offset:256
	s_waitcnt vmcnt(11)
	ds_write_b16 v2, v4 offset:512
	;; [unrolled: 2-line block ×13, first 2 shown]
	s_waitcnt lgkmcnt(0)
	s_barrier
.LBB503_6:
	s_andn2_b64 vcc, exec, s[6:7]
	v_cmp_gt_u32_e64 s[6:7], s33, v0
	s_cbranch_vccnz .LBB503_36
; %bb.7:
	v_mov_b32_e32 v1, 0
	global_load_ushort v1, v1, s[8:9]
	s_waitcnt vmcnt(0)
	v_mov_b32_e32 v3, v1
	s_and_saveexec_b64 s[10:11], s[6:7]
	s_cbranch_execz .LBB503_9
; %bb.8:
	global_load_ushort v3, v2, s[8:9]
.LBB503_9:
	s_or_b64 exec, exec, s[10:11]
	v_or_b32_e32 v4, 0x80, v0
	v_cmp_gt_u32_e32 vcc, s33, v4
	v_mov_b32_e32 v4, v1
	s_and_saveexec_b64 s[6:7], vcc
	s_cbranch_execz .LBB503_11
; %bb.10:
	global_load_ushort v4, v2, s[8:9] offset:256
.LBB503_11:
	s_or_b64 exec, exec, s[6:7]
	v_or_b32_e32 v5, 0x100, v0
	v_cmp_gt_u32_e32 vcc, s33, v5
	v_mov_b32_e32 v5, v1
	s_and_saveexec_b64 s[6:7], vcc
	s_cbranch_execz .LBB503_13
; %bb.12:
	global_load_ushort v5, v2, s[8:9] offset:512
.LBB503_13:
	;; [unrolled: 9-line block ×12, first 2 shown]
	s_or_b64 exec, exec, s[6:7]
	v_or_b32_e32 v16, 0x680, v0
	v_cmp_gt_u32_e32 vcc, s33, v16
	s_and_saveexec_b64 s[6:7], vcc
	s_cbranch_execz .LBB503_35
; %bb.34:
	global_load_ushort v1, v2, s[8:9] offset:3328
.LBB503_35:
	s_or_b64 exec, exec, s[6:7]
	s_waitcnt vmcnt(0)
	ds_write_b16 v2, v3
	ds_write_b16 v2, v4 offset:256
	ds_write_b16 v2, v5 offset:512
	ds_write_b16 v2, v6 offset:768
	ds_write_b16 v2, v7 offset:1024
	ds_write_b16 v2, v8 offset:1280
	ds_write_b16 v2, v9 offset:1536
	ds_write_b16 v2, v10 offset:1792
	ds_write_b16 v2, v11 offset:2048
	ds_write_b16 v2, v12 offset:2304
	ds_write_b16 v2, v13 offset:2560
	ds_write_b16 v2, v14 offset:2816
	ds_write_b16 v2, v15 offset:3072
	ds_write_b16 v2, v1 offset:3328
	s_waitcnt lgkmcnt(0)
	s_barrier
.LBB503_36:
	v_mul_u32_u24_e32 v1, 28, v0
	ds_read2_b32 v[8:9], v1 offset1:1
	ds_read2_b32 v[6:7], v1 offset0:2 offset1:3
	ds_read2_b32 v[4:5], v1 offset0:4 offset1:5
	ds_read_b32 v3, v1 offset:24
	s_cmp_lg_u32 s61, 0
	s_waitcnt lgkmcnt(0)
	s_barrier
	s_cbranch_scc0 .LBB503_164
; %bb.37:
	v_mov_b32_e32 v10, 16
	v_lshlrev_b32_e32 v44, 16, v8
	v_lshlrev_b32_sdwa v18, v10, v8 dst_sel:DWORD dst_unused:UNUSED_PAD src0_sel:DWORD src1_sel:WORD_1
	v_max_f32_e32 v19, v18, v18
	v_max_f32_e32 v45, v44, v44
	v_min_f32_e32 v11, v45, v19
	v_cmp_u_f32_e64 s[34:35], v44, v44
	v_cmp_u_f32_e64 s[6:7], v18, v18
	s_movk_i32 s10, 0x1f8
	v_cndmask_b32_e64 v11, v11, v44, s[34:35]
	v_cndmask_b32_e64 v13, v11, v18, s[6:7]
	v_max_f32_e32 v11, v45, v19
	v_cndmask_b32_e64 v11, v11, v44, s[34:35]
	v_cndmask_b32_e64 v11, v11, v18, s[6:7]
	v_cmp_neq_f32_e32 vcc, v13, v11
	v_cmp_class_f32_e64 s[8:9], v13, s10
	s_or_b64 s[12:13], vcc, s[8:9]
	v_mov_b32_e32 v12, v44
	s_and_saveexec_b64 s[8:9], s[12:13]
	s_cbranch_execz .LBB503_39
; %bb.38:
	v_sub_f32_e32 v12, v13, v11
	s_mov_b32 s11, 0x3fb8aa3b
	v_mul_f32_e32 v13, 0x3fb8aa3b, v12
	v_fma_f32 v14, v12, s11, -v13
	v_rndne_f32_e32 v15, v13
	v_fmamk_f32 v14, v12, 0x32a5705f, v14
	v_sub_f32_e32 v13, v13, v15
	v_add_f32_e32 v13, v13, v14
	v_exp_f32_e32 v13, v13
	v_cvt_i32_f32_e32 v14, v15
	s_mov_b32 s11, 0xc2ce8ed0
	v_cmp_ngt_f32_e32 vcc, s11, v12
	s_mov_b32 s11, 0x42b17218
	v_ldexp_f32 v13, v13, v14
	v_cndmask_b32_e32 v13, 0, v13, vcc
	v_mov_b32_e32 v28, 0x7f800000
	v_cmp_nlt_f32_e32 vcc, s11, v12
	s_mov_b32 s11, 0x3f2aaaab
	s_mov_b32 s12, 0x7f800000
	v_cndmask_b32_e32 v29, v28, v13, vcc
	v_add_f32_e32 v14, 1.0, v29
	v_add_f32_e32 v12, -1.0, v14
	v_sub_f32_e32 v13, v12, v14
	v_add_f32_e32 v13, 1.0, v13
	v_sub_f32_e32 v12, v29, v12
	v_add_f32_e32 v15, v12, v13
	v_frexp_mant_f32_e32 v16, v14
	v_cvt_f64_f32_e32 v[12:13], v14
	v_frexp_exp_i32_f64_e32 v12, v[12:13]
	v_cmp_gt_f32_e32 vcc, s11, v16
	s_mov_b32 s11, 0x3f317218
	s_nop 0
	v_subbrev_co_u32_e32 v22, vcc, 0, v12, vcc
	v_sub_u32_e32 v12, 0, v22
	v_ldexp_f32 v13, v14, v12
	v_add_f32_e32 v14, -1.0, v13
	v_add_f32_e32 v16, 1.0, v13
	v_ldexp_f32 v12, v15, v12
	v_add_f32_e32 v15, 1.0, v14
	v_add_f32_e32 v17, -1.0, v16
	v_sub_f32_e32 v15, v13, v15
	v_sub_f32_e32 v13, v13, v17
	v_add_f32_e32 v15, v12, v15
	v_add_f32_e32 v12, v12, v13
	;; [unrolled: 1-line block ×3, first 2 shown]
	v_rcp_f32_e32 v25, v23
	v_sub_f32_e32 v13, v16, v23
	v_add_f32_e32 v24, v12, v13
	v_add_f32_e32 v13, v14, v15
	v_mul_f32_e32 v27, v13, v25
	v_sub_f32_e32 v12, v14, v13
	v_mul_f32_e32 v14, v23, v27
	v_fma_f32 v16, v27, v23, -v14
	v_fmac_f32_e32 v16, v27, v24
	v_add_f32_e32 v26, v15, v12
	v_add_f32_e32 v12, v14, v16
	v_sub_f32_e32 v15, v13, v12
	v_pk_add_f32 v[20:21], v[12:13], v[14:15] neg_lo:[0,1] neg_hi:[0,1]
	v_mov_b32_e32 v17, v12
	v_pk_add_f32 v[12:13], v[20:21], v[16:17] neg_lo:[0,1] neg_hi:[0,1]
	v_cmp_neq_f32_e32 vcc, s12, v29
	v_add_f32_e32 v13, v26, v13
	v_add_f32_e32 v12, v12, v13
	;; [unrolled: 1-line block ×3, first 2 shown]
	v_mul_f32_e32 v26, v25, v13
	v_mul_f32_e32 v14, v23, v26
	v_fma_f32 v16, v26, v23, -v14
	v_fmac_f32_e32 v16, v26, v24
	v_sub_f32_e32 v15, v15, v13
	v_add_f32_e32 v23, v12, v15
	v_add_f32_e32 v12, v14, v16
	v_sub_f32_e32 v15, v13, v12
	v_pk_add_f32 v[20:21], v[12:13], v[14:15] neg_lo:[0,1] neg_hi:[0,1]
	v_mov_b32_e32 v17, v12
	v_pk_add_f32 v[12:13], v[20:21], v[16:17] neg_lo:[0,1] neg_hi:[0,1]
	v_cvt_f32_i32_e32 v14, v22
	v_add_f32_e32 v13, v23, v13
	v_add_f32_e32 v12, v12, v13
	;; [unrolled: 1-line block ×4, first 2 shown]
	v_sub_f32_e32 v13, v15, v27
	v_mul_f32_e32 v12, v25, v12
	v_sub_f32_e32 v13, v26, v13
	v_add_f32_e32 v12, v13, v12
	v_add_f32_e32 v16, v15, v12
	v_mul_f32_e32 v20, v16, v16
	v_mov_b32_e32 v13, 0x3ecc95a3
	v_sub_f32_e32 v15, v16, v15
	v_fmac_f32_e32 v13, 0x3e9b6dac, v20
	v_sub_f32_e32 v12, v12, v15
	v_fmaak_f32 v13, v20, v13, 0x3f2aaada
	v_ldexp_f32 v21, v12, 1
	v_mul_f32_e32 v15, v16, v20
	v_mov_b32_e32 v12, 0x3f317218
	v_pk_mul_f32 v[12:13], v[14:15], v[12:13]
	v_ldexp_f32 v17, v16, 1
	v_fma_f32 v15, v14, s11, -v12
	v_fmamk_f32 v16, v14, 0xb102e308, v15
	v_pk_add_f32 v[14:15], v[12:13], v[16:17]
	v_mov_b32_e32 v20, v12
	v_sub_f32_e32 v17, v15, v17
	v_sub_f32_e32 v17, v13, v17
	v_add_f32_e32 v21, v21, v17
	v_pk_add_f32 v[12:13], v[14:15], v[12:13] neg_lo:[0,1] neg_hi:[0,1]
	v_pk_add_f32 v[22:23], v[14:15], v[20:21]
	v_mov_b32_e32 v17, v14
	v_mov_b32_e32 v13, v23
	v_pk_add_f32 v[24:25], v[16:17], v[12:13] neg_lo:[0,1] neg_hi:[0,1]
	v_pk_add_f32 v[12:13], v[16:17], v[12:13]
	v_mov_b32_e32 v20, v21
	v_pk_add_f32 v[16:17], v[12:13], v[14:15] op_sel:[1,0] op_sel_hi:[0,1] neg_lo:[0,1] neg_hi:[0,1]
	v_pk_add_f32 v[26:27], v[22:23], v[16:17] op_sel_hi:[1,0] neg_lo:[0,1] neg_hi:[0,1]
	v_mov_b32_e32 v22, v23
	v_mov_b32_e32 v23, v13
	v_pk_mov_b32 v[16:17], v[14:15], v[16:17] op_sel:[1,0]
	v_mov_b32_e32 v21, v14
	v_pk_add_f32 v[16:17], v[22:23], v[16:17] neg_lo:[0,1] neg_hi:[0,1]
	v_mov_b32_e32 v26, v24
	v_pk_add_f32 v[14:15], v[20:21], v[16:17] neg_lo:[0,1] neg_hi:[0,1]
	v_mov_b32_e32 v25, v13
	v_pk_add_f32 v[16:17], v[26:27], v[14:15]
	s_mov_b32 s11, 0x33800000
	v_pk_add_f32 v[20:21], v[16:17], v[16:17] op_sel:[0,1] op_sel_hi:[1,0]
	s_nop 0
	v_pk_add_f32 v[12:13], v[12:13], v[20:21] op_sel:[1,0] op_sel_hi:[0,1]
	v_mov_b32_e32 v17, v12
	v_pk_add_f32 v[22:23], v[16:17], v[24:25] neg_lo:[0,1] neg_hi:[0,1]
	v_mov_b32_e32 v15, v20
	v_sub_f32_e32 v13, v16, v22
	v_pk_add_f32 v[14:15], v[14:15], v[22:23] neg_lo:[0,1] neg_hi:[0,1]
	v_sub_f32_e32 v13, v24, v13
	v_add_f32_e32 v13, v14, v13
	v_add_f32_e32 v13, v13, v15
	;; [unrolled: 1-line block ×3, first 2 shown]
	v_cndmask_b32_e32 v12, v28, v12, vcc
	v_cmp_lt_f32_e64 vcc, |v29|, s11
	s_nop 1
	v_cndmask_b32_e32 v12, v12, v29, vcc
	v_add_f32_e32 v12, v11, v12
.LBB503_39:
	s_or_b64 exec, exec, s[8:9]
	v_bfe_u32 v11, v12, 16, 1
	s_movk_i32 s12, 0x7fff
	v_add3_u32 v11, v12, v11, s12
	v_and_b32_e32 v13, 0xffff0000, v11
	v_mov_b32_e32 v11, 0x7fc00000
	v_cmp_o_f32_e32 vcc, v12, v12
	v_lshlrev_b32_sdwa v20, v10, v9 dst_sel:DWORD dst_unused:UNUSED_PAD src0_sel:DWORD src1_sel:WORD_0
	v_max_f32_e32 v22, v20, v20
	v_cndmask_b32_e32 v12, v11, v13, vcc
	v_max_f32_e32 v10, v12, v12
	v_min_f32_e32 v13, v10, v22
	v_cmp_u_f32_e32 vcc, v12, v12
	v_max_f32_e32 v10, v10, v22
	v_cmp_u_f32_e64 s[8:9], v20, v20
	v_cndmask_b32_e32 v13, v13, v12, vcc
	v_cndmask_b32_e32 v10, v10, v12, vcc
	v_cndmask_b32_e64 v13, v13, v20, s[8:9]
	v_cndmask_b32_e64 v10, v10, v20, s[8:9]
	v_cmp_neq_f32_e32 vcc, v13, v10
	v_cmp_class_f32_e64 s[10:11], v13, s10
	s_or_b64 s[14:15], vcc, s[10:11]
	s_and_saveexec_b64 s[10:11], s[14:15]
	s_cbranch_execz .LBB503_41
; %bb.40:
	v_sub_f32_e32 v12, v13, v10
	s_mov_b32 s13, 0x3fb8aa3b
	v_mul_f32_e32 v13, 0x3fb8aa3b, v12
	v_fma_f32 v14, v12, s13, -v13
	v_rndne_f32_e32 v15, v13
	v_fmamk_f32 v14, v12, 0x32a5705f, v14
	v_sub_f32_e32 v13, v13, v15
	v_add_f32_e32 v13, v13, v14
	v_exp_f32_e32 v13, v13
	v_cvt_i32_f32_e32 v14, v15
	s_mov_b32 s13, 0xc2ce8ed0
	v_cmp_ngt_f32_e32 vcc, s13, v12
	s_mov_b32 s13, 0x42b17218
	v_ldexp_f32 v13, v13, v14
	v_cndmask_b32_e32 v13, 0, v13, vcc
	v_mov_b32_e32 v21, 0x7f800000
	v_cmp_nlt_f32_e32 vcc, s13, v12
	s_mov_b32 s13, 0x3f2aaaab
	s_mov_b32 s14, 0x7f800000
	v_cndmask_b32_e32 v23, v21, v13, vcc
	v_add_f32_e32 v14, 1.0, v23
	v_add_f32_e32 v12, -1.0, v14
	v_sub_f32_e32 v13, v12, v14
	v_add_f32_e32 v13, 1.0, v13
	v_sub_f32_e32 v12, v23, v12
	v_add_f32_e32 v15, v12, v13
	v_frexp_mant_f32_e32 v16, v14
	v_cvt_f64_f32_e32 v[12:13], v14
	v_frexp_exp_i32_f64_e32 v12, v[12:13]
	v_cmp_gt_f32_e32 vcc, s13, v16
	s_mov_b32 s13, 0x3f317218
	s_nop 0
	v_subbrev_co_u32_e32 v26, vcc, 0, v12, vcc
	v_sub_u32_e32 v12, 0, v26
	v_ldexp_f32 v13, v14, v12
	v_add_f32_e32 v14, -1.0, v13
	v_add_f32_e32 v16, 1.0, v13
	v_ldexp_f32 v12, v15, v12
	v_add_f32_e32 v15, 1.0, v14
	v_add_f32_e32 v17, -1.0, v16
	v_sub_f32_e32 v15, v13, v15
	v_sub_f32_e32 v13, v13, v17
	v_add_f32_e32 v15, v12, v15
	v_add_f32_e32 v12, v12, v13
	;; [unrolled: 1-line block ×3, first 2 shown]
	v_rcp_f32_e32 v29, v27
	v_sub_f32_e32 v13, v16, v27
	v_add_f32_e32 v28, v12, v13
	v_add_f32_e32 v13, v14, v15
	v_mul_f32_e32 v31, v13, v29
	v_sub_f32_e32 v12, v14, v13
	v_mul_f32_e32 v14, v27, v31
	v_fma_f32 v16, v31, v27, -v14
	v_fmac_f32_e32 v16, v31, v28
	v_add_f32_e32 v30, v15, v12
	v_add_f32_e32 v12, v14, v16
	v_sub_f32_e32 v15, v13, v12
	v_pk_add_f32 v[24:25], v[12:13], v[14:15] neg_lo:[0,1] neg_hi:[0,1]
	v_mov_b32_e32 v17, v12
	v_pk_add_f32 v[12:13], v[24:25], v[16:17] neg_lo:[0,1] neg_hi:[0,1]
	v_cmp_neq_f32_e32 vcc, s14, v23
	v_add_f32_e32 v13, v30, v13
	v_add_f32_e32 v12, v12, v13
	;; [unrolled: 1-line block ×3, first 2 shown]
	v_mul_f32_e32 v30, v29, v13
	v_mul_f32_e32 v14, v27, v30
	v_fma_f32 v16, v30, v27, -v14
	v_fmac_f32_e32 v16, v30, v28
	v_sub_f32_e32 v15, v15, v13
	v_add_f32_e32 v27, v12, v15
	v_add_f32_e32 v12, v14, v16
	v_sub_f32_e32 v15, v13, v12
	v_pk_add_f32 v[24:25], v[12:13], v[14:15] neg_lo:[0,1] neg_hi:[0,1]
	v_mov_b32_e32 v17, v12
	v_pk_add_f32 v[12:13], v[24:25], v[16:17] neg_lo:[0,1] neg_hi:[0,1]
	v_cvt_f32_i32_e32 v14, v26
	v_add_f32_e32 v13, v27, v13
	v_add_f32_e32 v12, v12, v13
	;; [unrolled: 1-line block ×4, first 2 shown]
	v_sub_f32_e32 v13, v15, v31
	v_mul_f32_e32 v12, v29, v12
	v_sub_f32_e32 v13, v30, v13
	v_add_f32_e32 v12, v13, v12
	v_add_f32_e32 v16, v15, v12
	v_mul_f32_e32 v24, v16, v16
	v_mov_b32_e32 v13, 0x3ecc95a3
	v_sub_f32_e32 v15, v16, v15
	v_fmac_f32_e32 v13, 0x3e9b6dac, v24
	v_sub_f32_e32 v12, v12, v15
	v_fmaak_f32 v13, v24, v13, 0x3f2aaada
	v_ldexp_f32 v25, v12, 1
	v_mul_f32_e32 v15, v16, v24
	v_mov_b32_e32 v12, 0x3f317218
	v_pk_mul_f32 v[12:13], v[14:15], v[12:13]
	v_ldexp_f32 v17, v16, 1
	v_fma_f32 v15, v14, s13, -v12
	v_fmamk_f32 v16, v14, 0xb102e308, v15
	v_pk_add_f32 v[14:15], v[12:13], v[16:17]
	v_mov_b32_e32 v24, v12
	v_sub_f32_e32 v17, v15, v17
	v_sub_f32_e32 v17, v13, v17
	v_add_f32_e32 v25, v25, v17
	v_pk_add_f32 v[12:13], v[14:15], v[12:13] neg_lo:[0,1] neg_hi:[0,1]
	v_pk_add_f32 v[26:27], v[14:15], v[24:25]
	v_mov_b32_e32 v17, v14
	v_mov_b32_e32 v13, v27
	v_pk_add_f32 v[28:29], v[16:17], v[12:13] neg_lo:[0,1] neg_hi:[0,1]
	v_pk_add_f32 v[12:13], v[16:17], v[12:13]
	v_mov_b32_e32 v24, v25
	v_pk_add_f32 v[16:17], v[12:13], v[14:15] op_sel:[1,0] op_sel_hi:[0,1] neg_lo:[0,1] neg_hi:[0,1]
	v_pk_add_f32 v[30:31], v[26:27], v[16:17] op_sel_hi:[1,0] neg_lo:[0,1] neg_hi:[0,1]
	v_mov_b32_e32 v26, v27
	v_mov_b32_e32 v27, v13
	v_pk_mov_b32 v[16:17], v[14:15], v[16:17] op_sel:[1,0]
	v_mov_b32_e32 v25, v14
	v_pk_add_f32 v[16:17], v[26:27], v[16:17] neg_lo:[0,1] neg_hi:[0,1]
	v_mov_b32_e32 v30, v28
	v_pk_add_f32 v[14:15], v[24:25], v[16:17] neg_lo:[0,1] neg_hi:[0,1]
	v_mov_b32_e32 v29, v13
	v_pk_add_f32 v[16:17], v[30:31], v[14:15]
	s_mov_b32 s13, 0x33800000
	v_pk_add_f32 v[24:25], v[16:17], v[16:17] op_sel:[0,1] op_sel_hi:[1,0]
	s_nop 0
	v_pk_add_f32 v[12:13], v[12:13], v[24:25] op_sel:[1,0] op_sel_hi:[0,1]
	v_mov_b32_e32 v17, v12
	v_pk_add_f32 v[26:27], v[16:17], v[28:29] neg_lo:[0,1] neg_hi:[0,1]
	v_mov_b32_e32 v15, v24
	v_sub_f32_e32 v13, v16, v26
	v_pk_add_f32 v[14:15], v[14:15], v[26:27] neg_lo:[0,1] neg_hi:[0,1]
	v_sub_f32_e32 v13, v28, v13
	v_add_f32_e32 v13, v14, v13
	v_add_f32_e32 v13, v13, v15
	;; [unrolled: 1-line block ×3, first 2 shown]
	v_cndmask_b32_e32 v12, v21, v12, vcc
	v_cmp_lt_f32_e64 vcc, |v23|, s13
	s_nop 1
	v_cndmask_b32_e32 v12, v12, v23, vcc
	v_add_f32_e32 v12, v10, v12
.LBB503_41:
	s_or_b64 exec, exec, s[10:11]
	v_bfe_u32 v10, v12, 16, 1
	v_add3_u32 v10, v12, v10, s12
	v_and_b32_e32 v10, 0xffff0000, v10
	v_cmp_o_f32_e32 vcc, v12, v12
	s_movk_i32 s14, 0x1f8
	s_nop 0
	v_cndmask_b32_e32 v12, v11, v10, vcc
	v_mov_b32_e32 v10, 16
	v_lshlrev_b32_sdwa v21, v10, v9 dst_sel:DWORD dst_unused:UNUSED_PAD src0_sel:DWORD src1_sel:WORD_1
	v_max_f32_e32 v11, v12, v12
	v_max_f32_e32 v23, v21, v21
	v_min_f32_e32 v13, v11, v23
	v_cmp_u_f32_e32 vcc, v12, v12
	v_max_f32_e32 v11, v11, v23
	v_cmp_u_f32_e64 s[10:11], v21, v21
	v_cndmask_b32_e32 v13, v13, v12, vcc
	v_cndmask_b32_e32 v11, v11, v12, vcc
	v_cndmask_b32_e64 v13, v13, v21, s[10:11]
	v_cndmask_b32_e64 v11, v11, v21, s[10:11]
	v_cmp_neq_f32_e32 vcc, v13, v11
	v_cmp_class_f32_e64 s[12:13], v13, s14
	s_or_b64 s[16:17], vcc, s[12:13]
	s_and_saveexec_b64 s[12:13], s[16:17]
	s_cbranch_execz .LBB503_43
; %bb.42:
	v_sub_f32_e32 v12, v13, v11
	s_mov_b32 s15, 0x3fb8aa3b
	v_mul_f32_e32 v13, 0x3fb8aa3b, v12
	v_fma_f32 v14, v12, s15, -v13
	v_rndne_f32_e32 v15, v13
	v_fmamk_f32 v14, v12, 0x32a5705f, v14
	v_sub_f32_e32 v13, v13, v15
	v_add_f32_e32 v13, v13, v14
	v_exp_f32_e32 v13, v13
	v_cvt_i32_f32_e32 v14, v15
	s_mov_b32 s15, 0xc2ce8ed0
	v_cmp_ngt_f32_e32 vcc, s15, v12
	s_mov_b32 s15, 0x42b17218
	v_ldexp_f32 v13, v13, v14
	v_cndmask_b32_e32 v13, 0, v13, vcc
	v_mov_b32_e32 v32, 0x7f800000
	v_cmp_nlt_f32_e32 vcc, s15, v12
	s_mov_b32 s15, 0x3f2aaaab
	s_mov_b32 s16, 0x7f800000
	v_cndmask_b32_e32 v33, v32, v13, vcc
	v_add_f32_e32 v14, 1.0, v33
	v_add_f32_e32 v12, -1.0, v14
	v_sub_f32_e32 v13, v12, v14
	v_add_f32_e32 v13, 1.0, v13
	v_sub_f32_e32 v12, v33, v12
	v_add_f32_e32 v15, v12, v13
	v_frexp_mant_f32_e32 v16, v14
	v_cvt_f64_f32_e32 v[12:13], v14
	v_frexp_exp_i32_f64_e32 v12, v[12:13]
	v_cmp_gt_f32_e32 vcc, s15, v16
	s_mov_b32 s15, 0x3f317218
	s_nop 0
	v_subbrev_co_u32_e32 v26, vcc, 0, v12, vcc
	v_sub_u32_e32 v12, 0, v26
	v_ldexp_f32 v13, v14, v12
	v_add_f32_e32 v14, -1.0, v13
	v_add_f32_e32 v16, 1.0, v13
	v_ldexp_f32 v12, v15, v12
	v_add_f32_e32 v15, 1.0, v14
	v_add_f32_e32 v17, -1.0, v16
	v_sub_f32_e32 v15, v13, v15
	v_sub_f32_e32 v13, v13, v17
	v_add_f32_e32 v15, v12, v15
	v_add_f32_e32 v12, v12, v13
	;; [unrolled: 1-line block ×3, first 2 shown]
	v_rcp_f32_e32 v29, v27
	v_sub_f32_e32 v13, v16, v27
	v_add_f32_e32 v28, v12, v13
	v_add_f32_e32 v13, v14, v15
	v_mul_f32_e32 v31, v13, v29
	v_sub_f32_e32 v12, v14, v13
	v_mul_f32_e32 v14, v27, v31
	v_fma_f32 v16, v31, v27, -v14
	v_fmac_f32_e32 v16, v31, v28
	v_add_f32_e32 v30, v15, v12
	v_add_f32_e32 v12, v14, v16
	v_sub_f32_e32 v15, v13, v12
	v_pk_add_f32 v[24:25], v[12:13], v[14:15] neg_lo:[0,1] neg_hi:[0,1]
	v_mov_b32_e32 v17, v12
	v_pk_add_f32 v[12:13], v[24:25], v[16:17] neg_lo:[0,1] neg_hi:[0,1]
	v_cmp_neq_f32_e32 vcc, s16, v33
	v_add_f32_e32 v13, v30, v13
	v_add_f32_e32 v12, v12, v13
	;; [unrolled: 1-line block ×3, first 2 shown]
	v_mul_f32_e32 v30, v29, v13
	v_mul_f32_e32 v14, v27, v30
	v_fma_f32 v16, v30, v27, -v14
	v_fmac_f32_e32 v16, v30, v28
	v_sub_f32_e32 v15, v15, v13
	v_add_f32_e32 v27, v12, v15
	v_add_f32_e32 v12, v14, v16
	v_sub_f32_e32 v15, v13, v12
	v_pk_add_f32 v[24:25], v[12:13], v[14:15] neg_lo:[0,1] neg_hi:[0,1]
	v_mov_b32_e32 v17, v12
	v_pk_add_f32 v[12:13], v[24:25], v[16:17] neg_lo:[0,1] neg_hi:[0,1]
	v_cvt_f32_i32_e32 v14, v26
	v_add_f32_e32 v13, v27, v13
	v_add_f32_e32 v12, v12, v13
	;; [unrolled: 1-line block ×4, first 2 shown]
	v_sub_f32_e32 v13, v15, v31
	v_mul_f32_e32 v12, v29, v12
	v_sub_f32_e32 v13, v30, v13
	v_add_f32_e32 v12, v13, v12
	v_add_f32_e32 v16, v15, v12
	v_mul_f32_e32 v24, v16, v16
	v_mov_b32_e32 v13, 0x3ecc95a3
	v_sub_f32_e32 v15, v16, v15
	v_fmac_f32_e32 v13, 0x3e9b6dac, v24
	v_sub_f32_e32 v12, v12, v15
	v_fmaak_f32 v13, v24, v13, 0x3f2aaada
	v_ldexp_f32 v25, v12, 1
	v_mul_f32_e32 v15, v16, v24
	v_mov_b32_e32 v12, 0x3f317218
	v_pk_mul_f32 v[12:13], v[14:15], v[12:13]
	v_ldexp_f32 v17, v16, 1
	v_fma_f32 v15, v14, s15, -v12
	v_fmamk_f32 v16, v14, 0xb102e308, v15
	v_pk_add_f32 v[14:15], v[12:13], v[16:17]
	v_mov_b32_e32 v24, v12
	v_sub_f32_e32 v17, v15, v17
	v_sub_f32_e32 v17, v13, v17
	v_add_f32_e32 v25, v25, v17
	v_pk_add_f32 v[12:13], v[14:15], v[12:13] neg_lo:[0,1] neg_hi:[0,1]
	v_pk_add_f32 v[26:27], v[14:15], v[24:25]
	v_mov_b32_e32 v17, v14
	v_mov_b32_e32 v13, v27
	v_pk_add_f32 v[28:29], v[16:17], v[12:13] neg_lo:[0,1] neg_hi:[0,1]
	v_pk_add_f32 v[12:13], v[16:17], v[12:13]
	v_mov_b32_e32 v24, v25
	v_pk_add_f32 v[16:17], v[12:13], v[14:15] op_sel:[1,0] op_sel_hi:[0,1] neg_lo:[0,1] neg_hi:[0,1]
	v_pk_add_f32 v[30:31], v[26:27], v[16:17] op_sel_hi:[1,0] neg_lo:[0,1] neg_hi:[0,1]
	v_mov_b32_e32 v26, v27
	v_mov_b32_e32 v27, v13
	v_pk_mov_b32 v[16:17], v[14:15], v[16:17] op_sel:[1,0]
	v_mov_b32_e32 v25, v14
	v_pk_add_f32 v[16:17], v[26:27], v[16:17] neg_lo:[0,1] neg_hi:[0,1]
	v_mov_b32_e32 v30, v28
	v_pk_add_f32 v[14:15], v[24:25], v[16:17] neg_lo:[0,1] neg_hi:[0,1]
	v_mov_b32_e32 v29, v13
	v_pk_add_f32 v[16:17], v[30:31], v[14:15]
	s_mov_b32 s15, 0x33800000
	v_pk_add_f32 v[24:25], v[16:17], v[16:17] op_sel:[0,1] op_sel_hi:[1,0]
	s_nop 0
	v_pk_add_f32 v[12:13], v[12:13], v[24:25] op_sel:[1,0] op_sel_hi:[0,1]
	v_mov_b32_e32 v17, v12
	v_pk_add_f32 v[26:27], v[16:17], v[28:29] neg_lo:[0,1] neg_hi:[0,1]
	v_mov_b32_e32 v15, v24
	v_sub_f32_e32 v13, v16, v26
	v_pk_add_f32 v[14:15], v[14:15], v[26:27] neg_lo:[0,1] neg_hi:[0,1]
	v_sub_f32_e32 v13, v28, v13
	v_add_f32_e32 v13, v14, v13
	v_add_f32_e32 v13, v13, v15
	;; [unrolled: 1-line block ×3, first 2 shown]
	v_cndmask_b32_e32 v12, v32, v12, vcc
	v_cmp_lt_f32_e64 vcc, |v33|, s15
	s_nop 1
	v_cndmask_b32_e32 v12, v12, v33, vcc
	v_add_f32_e32 v12, v11, v12
.LBB503_43:
	s_or_b64 exec, exec, s[12:13]
	v_bfe_u32 v11, v12, 16, 1
	s_movk_i32 s16, 0x7fff
	v_add3_u32 v11, v12, v11, s16
	v_and_b32_e32 v13, 0xffff0000, v11
	v_mov_b32_e32 v11, 0x7fc00000
	v_cmp_o_f32_e32 vcc, v12, v12
	v_lshlrev_b32_sdwa v24, v10, v6 dst_sel:DWORD dst_unused:UNUSED_PAD src0_sel:DWORD src1_sel:WORD_0
	v_max_f32_e32 v26, v24, v24
	v_cndmask_b32_e32 v12, v11, v13, vcc
	v_max_f32_e32 v10, v12, v12
	v_min_f32_e32 v13, v10, v26
	v_cmp_u_f32_e32 vcc, v12, v12
	v_max_f32_e32 v10, v10, v26
	v_cmp_u_f32_e64 s[12:13], v24, v24
	v_cndmask_b32_e32 v13, v13, v12, vcc
	v_cndmask_b32_e32 v10, v10, v12, vcc
	v_cndmask_b32_e64 v13, v13, v24, s[12:13]
	v_cndmask_b32_e64 v10, v10, v24, s[12:13]
	v_cmp_neq_f32_e32 vcc, v13, v10
	v_cmp_class_f32_e64 s[14:15], v13, s14
	s_or_b64 s[18:19], vcc, s[14:15]
	s_and_saveexec_b64 s[14:15], s[18:19]
	s_cbranch_execz .LBB503_45
; %bb.44:
	v_sub_f32_e32 v12, v13, v10
	s_mov_b32 s17, 0x3fb8aa3b
	v_mul_f32_e32 v13, 0x3fb8aa3b, v12
	v_fma_f32 v14, v12, s17, -v13
	v_rndne_f32_e32 v15, v13
	v_fmamk_f32 v14, v12, 0x32a5705f, v14
	v_sub_f32_e32 v13, v13, v15
	v_add_f32_e32 v13, v13, v14
	v_exp_f32_e32 v13, v13
	v_cvt_i32_f32_e32 v14, v15
	s_mov_b32 s17, 0xc2ce8ed0
	v_cmp_ngt_f32_e32 vcc, s17, v12
	s_mov_b32 s17, 0x42b17218
	v_ldexp_f32 v13, v13, v14
	v_cndmask_b32_e32 v13, 0, v13, vcc
	v_mov_b32_e32 v25, 0x7f800000
	v_cmp_nlt_f32_e32 vcc, s17, v12
	s_mov_b32 s17, 0x3f2aaaab
	s_mov_b32 s18, 0x7f800000
	v_cndmask_b32_e32 v27, v25, v13, vcc
	v_add_f32_e32 v14, 1.0, v27
	v_add_f32_e32 v12, -1.0, v14
	v_sub_f32_e32 v13, v12, v14
	v_add_f32_e32 v13, 1.0, v13
	v_sub_f32_e32 v12, v27, v12
	v_add_f32_e32 v15, v12, v13
	v_frexp_mant_f32_e32 v16, v14
	v_cvt_f64_f32_e32 v[12:13], v14
	v_frexp_exp_i32_f64_e32 v12, v[12:13]
	v_cmp_gt_f32_e32 vcc, s17, v16
	s_mov_b32 s17, 0x3f317218
	s_nop 0
	v_subbrev_co_u32_e32 v30, vcc, 0, v12, vcc
	v_sub_u32_e32 v12, 0, v30
	v_ldexp_f32 v13, v14, v12
	v_add_f32_e32 v14, -1.0, v13
	v_add_f32_e32 v16, 1.0, v13
	v_ldexp_f32 v12, v15, v12
	v_add_f32_e32 v15, 1.0, v14
	v_add_f32_e32 v17, -1.0, v16
	v_sub_f32_e32 v15, v13, v15
	v_sub_f32_e32 v13, v13, v17
	v_add_f32_e32 v15, v12, v15
	v_add_f32_e32 v12, v12, v13
	;; [unrolled: 1-line block ×3, first 2 shown]
	v_rcp_f32_e32 v33, v31
	v_sub_f32_e32 v13, v16, v31
	v_add_f32_e32 v32, v12, v13
	v_add_f32_e32 v13, v14, v15
	v_mul_f32_e32 v35, v13, v33
	v_sub_f32_e32 v12, v14, v13
	v_mul_f32_e32 v14, v31, v35
	v_fma_f32 v16, v35, v31, -v14
	v_fmac_f32_e32 v16, v35, v32
	v_add_f32_e32 v34, v15, v12
	v_add_f32_e32 v12, v14, v16
	v_sub_f32_e32 v15, v13, v12
	v_pk_add_f32 v[28:29], v[12:13], v[14:15] neg_lo:[0,1] neg_hi:[0,1]
	v_mov_b32_e32 v17, v12
	v_pk_add_f32 v[12:13], v[28:29], v[16:17] neg_lo:[0,1] neg_hi:[0,1]
	v_cmp_neq_f32_e32 vcc, s18, v27
	v_add_f32_e32 v13, v34, v13
	v_add_f32_e32 v12, v12, v13
	;; [unrolled: 1-line block ×3, first 2 shown]
	v_mul_f32_e32 v34, v33, v13
	v_mul_f32_e32 v14, v31, v34
	v_fma_f32 v16, v34, v31, -v14
	v_fmac_f32_e32 v16, v34, v32
	v_sub_f32_e32 v15, v15, v13
	v_add_f32_e32 v31, v12, v15
	v_add_f32_e32 v12, v14, v16
	v_sub_f32_e32 v15, v13, v12
	v_pk_add_f32 v[28:29], v[12:13], v[14:15] neg_lo:[0,1] neg_hi:[0,1]
	v_mov_b32_e32 v17, v12
	v_pk_add_f32 v[12:13], v[28:29], v[16:17] neg_lo:[0,1] neg_hi:[0,1]
	v_cvt_f32_i32_e32 v14, v30
	v_add_f32_e32 v13, v31, v13
	v_add_f32_e32 v12, v12, v13
	;; [unrolled: 1-line block ×4, first 2 shown]
	v_sub_f32_e32 v13, v15, v35
	v_mul_f32_e32 v12, v33, v12
	v_sub_f32_e32 v13, v34, v13
	v_add_f32_e32 v12, v13, v12
	v_add_f32_e32 v16, v15, v12
	v_mul_f32_e32 v28, v16, v16
	v_mov_b32_e32 v13, 0x3ecc95a3
	v_sub_f32_e32 v15, v16, v15
	v_fmac_f32_e32 v13, 0x3e9b6dac, v28
	v_sub_f32_e32 v12, v12, v15
	v_fmaak_f32 v13, v28, v13, 0x3f2aaada
	v_ldexp_f32 v29, v12, 1
	v_mul_f32_e32 v15, v16, v28
	v_mov_b32_e32 v12, 0x3f317218
	v_pk_mul_f32 v[12:13], v[14:15], v[12:13]
	v_ldexp_f32 v17, v16, 1
	v_fma_f32 v15, v14, s17, -v12
	v_fmamk_f32 v16, v14, 0xb102e308, v15
	v_pk_add_f32 v[14:15], v[12:13], v[16:17]
	v_mov_b32_e32 v28, v12
	v_sub_f32_e32 v17, v15, v17
	v_sub_f32_e32 v17, v13, v17
	v_add_f32_e32 v29, v29, v17
	v_pk_add_f32 v[12:13], v[14:15], v[12:13] neg_lo:[0,1] neg_hi:[0,1]
	v_pk_add_f32 v[30:31], v[14:15], v[28:29]
	v_mov_b32_e32 v17, v14
	v_mov_b32_e32 v13, v31
	v_pk_add_f32 v[32:33], v[16:17], v[12:13] neg_lo:[0,1] neg_hi:[0,1]
	v_pk_add_f32 v[12:13], v[16:17], v[12:13]
	v_mov_b32_e32 v28, v29
	v_pk_add_f32 v[16:17], v[12:13], v[14:15] op_sel:[1,0] op_sel_hi:[0,1] neg_lo:[0,1] neg_hi:[0,1]
	v_pk_add_f32 v[34:35], v[30:31], v[16:17] op_sel_hi:[1,0] neg_lo:[0,1] neg_hi:[0,1]
	v_mov_b32_e32 v30, v31
	v_mov_b32_e32 v31, v13
	v_pk_mov_b32 v[16:17], v[14:15], v[16:17] op_sel:[1,0]
	v_mov_b32_e32 v29, v14
	v_pk_add_f32 v[16:17], v[30:31], v[16:17] neg_lo:[0,1] neg_hi:[0,1]
	v_mov_b32_e32 v34, v32
	v_pk_add_f32 v[14:15], v[28:29], v[16:17] neg_lo:[0,1] neg_hi:[0,1]
	v_mov_b32_e32 v33, v13
	v_pk_add_f32 v[16:17], v[34:35], v[14:15]
	s_mov_b32 s17, 0x33800000
	v_pk_add_f32 v[28:29], v[16:17], v[16:17] op_sel:[0,1] op_sel_hi:[1,0]
	s_nop 0
	v_pk_add_f32 v[12:13], v[12:13], v[28:29] op_sel:[1,0] op_sel_hi:[0,1]
	v_mov_b32_e32 v17, v12
	v_pk_add_f32 v[30:31], v[16:17], v[32:33] neg_lo:[0,1] neg_hi:[0,1]
	v_mov_b32_e32 v15, v28
	v_sub_f32_e32 v13, v16, v30
	v_pk_add_f32 v[14:15], v[14:15], v[30:31] neg_lo:[0,1] neg_hi:[0,1]
	v_sub_f32_e32 v13, v32, v13
	v_add_f32_e32 v13, v14, v13
	v_add_f32_e32 v13, v13, v15
	;; [unrolled: 1-line block ×3, first 2 shown]
	v_cndmask_b32_e32 v12, v25, v12, vcc
	v_cmp_lt_f32_e64 vcc, |v27|, s17
	s_nop 1
	v_cndmask_b32_e32 v12, v12, v27, vcc
	v_add_f32_e32 v12, v10, v12
.LBB503_45:
	s_or_b64 exec, exec, s[14:15]
	v_bfe_u32 v10, v12, 16, 1
	v_add3_u32 v10, v12, v10, s16
	v_and_b32_e32 v10, 0xffff0000, v10
	v_cmp_o_f32_e32 vcc, v12, v12
	s_movk_i32 s18, 0x1f8
	s_nop 0
	v_cndmask_b32_e32 v12, v11, v10, vcc
	v_mov_b32_e32 v10, 16
	v_lshlrev_b32_sdwa v25, v10, v6 dst_sel:DWORD dst_unused:UNUSED_PAD src0_sel:DWORD src1_sel:WORD_1
	v_max_f32_e32 v11, v12, v12
	v_max_f32_e32 v27, v25, v25
	v_min_f32_e32 v13, v11, v27
	v_cmp_u_f32_e32 vcc, v12, v12
	v_max_f32_e32 v11, v11, v27
	v_cmp_u_f32_e64 s[14:15], v25, v25
	v_cndmask_b32_e32 v13, v13, v12, vcc
	v_cndmask_b32_e32 v11, v11, v12, vcc
	v_cndmask_b32_e64 v13, v13, v25, s[14:15]
	v_cndmask_b32_e64 v11, v11, v25, s[14:15]
	v_cmp_neq_f32_e32 vcc, v13, v11
	v_cmp_class_f32_e64 s[16:17], v13, s18
	s_or_b64 s[20:21], vcc, s[16:17]
	s_and_saveexec_b64 s[16:17], s[20:21]
	s_cbranch_execz .LBB503_47
; %bb.46:
	v_sub_f32_e32 v12, v13, v11
	s_mov_b32 s19, 0x3fb8aa3b
	v_mul_f32_e32 v13, 0x3fb8aa3b, v12
	v_fma_f32 v14, v12, s19, -v13
	v_rndne_f32_e32 v15, v13
	v_fmamk_f32 v14, v12, 0x32a5705f, v14
	v_sub_f32_e32 v13, v13, v15
	v_add_f32_e32 v13, v13, v14
	v_exp_f32_e32 v13, v13
	v_cvt_i32_f32_e32 v14, v15
	s_mov_b32 s19, 0xc2ce8ed0
	v_cmp_ngt_f32_e32 vcc, s19, v12
	s_mov_b32 s19, 0x42b17218
	v_ldexp_f32 v13, v13, v14
	v_cndmask_b32_e32 v13, 0, v13, vcc
	v_mov_b32_e32 v36, 0x7f800000
	v_cmp_nlt_f32_e32 vcc, s19, v12
	s_mov_b32 s19, 0x3f2aaaab
	s_mov_b32 s20, 0x7f800000
	v_cndmask_b32_e32 v37, v36, v13, vcc
	v_add_f32_e32 v14, 1.0, v37
	v_add_f32_e32 v12, -1.0, v14
	v_sub_f32_e32 v13, v12, v14
	v_add_f32_e32 v13, 1.0, v13
	v_sub_f32_e32 v12, v37, v12
	v_add_f32_e32 v15, v12, v13
	v_frexp_mant_f32_e32 v16, v14
	v_cvt_f64_f32_e32 v[12:13], v14
	v_frexp_exp_i32_f64_e32 v12, v[12:13]
	v_cmp_gt_f32_e32 vcc, s19, v16
	s_mov_b32 s19, 0x3f317218
	s_nop 0
	v_subbrev_co_u32_e32 v30, vcc, 0, v12, vcc
	v_sub_u32_e32 v12, 0, v30
	v_ldexp_f32 v13, v14, v12
	v_add_f32_e32 v14, -1.0, v13
	v_add_f32_e32 v16, 1.0, v13
	v_ldexp_f32 v12, v15, v12
	v_add_f32_e32 v15, 1.0, v14
	v_add_f32_e32 v17, -1.0, v16
	v_sub_f32_e32 v15, v13, v15
	v_sub_f32_e32 v13, v13, v17
	v_add_f32_e32 v15, v12, v15
	v_add_f32_e32 v12, v12, v13
	v_add_f32_e32 v31, v16, v12
	v_rcp_f32_e32 v33, v31
	v_sub_f32_e32 v13, v16, v31
	v_add_f32_e32 v32, v12, v13
	v_add_f32_e32 v13, v14, v15
	v_mul_f32_e32 v35, v13, v33
	v_sub_f32_e32 v12, v14, v13
	v_mul_f32_e32 v14, v31, v35
	v_fma_f32 v16, v35, v31, -v14
	v_fmac_f32_e32 v16, v35, v32
	v_add_f32_e32 v34, v15, v12
	v_add_f32_e32 v12, v14, v16
	v_sub_f32_e32 v15, v13, v12
	v_pk_add_f32 v[28:29], v[12:13], v[14:15] neg_lo:[0,1] neg_hi:[0,1]
	v_mov_b32_e32 v17, v12
	v_pk_add_f32 v[12:13], v[28:29], v[16:17] neg_lo:[0,1] neg_hi:[0,1]
	v_cmp_neq_f32_e32 vcc, s20, v37
	v_add_f32_e32 v13, v34, v13
	v_add_f32_e32 v12, v12, v13
	;; [unrolled: 1-line block ×3, first 2 shown]
	v_mul_f32_e32 v34, v33, v13
	v_mul_f32_e32 v14, v31, v34
	v_fma_f32 v16, v34, v31, -v14
	v_fmac_f32_e32 v16, v34, v32
	v_sub_f32_e32 v15, v15, v13
	v_add_f32_e32 v31, v12, v15
	v_add_f32_e32 v12, v14, v16
	v_sub_f32_e32 v15, v13, v12
	v_pk_add_f32 v[28:29], v[12:13], v[14:15] neg_lo:[0,1] neg_hi:[0,1]
	v_mov_b32_e32 v17, v12
	v_pk_add_f32 v[12:13], v[28:29], v[16:17] neg_lo:[0,1] neg_hi:[0,1]
	v_cvt_f32_i32_e32 v14, v30
	v_add_f32_e32 v13, v31, v13
	v_add_f32_e32 v12, v12, v13
	v_add_f32_e32 v12, v15, v12
	v_add_f32_e32 v15, v35, v34
	v_sub_f32_e32 v13, v15, v35
	v_mul_f32_e32 v12, v33, v12
	v_sub_f32_e32 v13, v34, v13
	v_add_f32_e32 v12, v13, v12
	v_add_f32_e32 v16, v15, v12
	v_mul_f32_e32 v28, v16, v16
	v_mov_b32_e32 v13, 0x3ecc95a3
	v_sub_f32_e32 v15, v16, v15
	v_fmac_f32_e32 v13, 0x3e9b6dac, v28
	v_sub_f32_e32 v12, v12, v15
	v_fmaak_f32 v13, v28, v13, 0x3f2aaada
	v_ldexp_f32 v29, v12, 1
	v_mul_f32_e32 v15, v16, v28
	v_mov_b32_e32 v12, 0x3f317218
	v_pk_mul_f32 v[12:13], v[14:15], v[12:13]
	v_ldexp_f32 v17, v16, 1
	v_fma_f32 v15, v14, s19, -v12
	v_fmamk_f32 v16, v14, 0xb102e308, v15
	v_pk_add_f32 v[14:15], v[12:13], v[16:17]
	v_mov_b32_e32 v28, v12
	v_sub_f32_e32 v17, v15, v17
	v_sub_f32_e32 v17, v13, v17
	v_add_f32_e32 v29, v29, v17
	v_pk_add_f32 v[12:13], v[14:15], v[12:13] neg_lo:[0,1] neg_hi:[0,1]
	v_pk_add_f32 v[30:31], v[14:15], v[28:29]
	v_mov_b32_e32 v17, v14
	v_mov_b32_e32 v13, v31
	v_pk_add_f32 v[32:33], v[16:17], v[12:13] neg_lo:[0,1] neg_hi:[0,1]
	v_pk_add_f32 v[12:13], v[16:17], v[12:13]
	v_mov_b32_e32 v28, v29
	v_pk_add_f32 v[16:17], v[12:13], v[14:15] op_sel:[1,0] op_sel_hi:[0,1] neg_lo:[0,1] neg_hi:[0,1]
	v_pk_add_f32 v[34:35], v[30:31], v[16:17] op_sel_hi:[1,0] neg_lo:[0,1] neg_hi:[0,1]
	v_mov_b32_e32 v30, v31
	v_mov_b32_e32 v31, v13
	v_pk_mov_b32 v[16:17], v[14:15], v[16:17] op_sel:[1,0]
	v_mov_b32_e32 v29, v14
	v_pk_add_f32 v[16:17], v[30:31], v[16:17] neg_lo:[0,1] neg_hi:[0,1]
	v_mov_b32_e32 v34, v32
	v_pk_add_f32 v[14:15], v[28:29], v[16:17] neg_lo:[0,1] neg_hi:[0,1]
	v_mov_b32_e32 v33, v13
	v_pk_add_f32 v[16:17], v[34:35], v[14:15]
	s_mov_b32 s19, 0x33800000
	v_pk_add_f32 v[28:29], v[16:17], v[16:17] op_sel:[0,1] op_sel_hi:[1,0]
	s_nop 0
	v_pk_add_f32 v[12:13], v[12:13], v[28:29] op_sel:[1,0] op_sel_hi:[0,1]
	v_mov_b32_e32 v17, v12
	v_pk_add_f32 v[30:31], v[16:17], v[32:33] neg_lo:[0,1] neg_hi:[0,1]
	v_mov_b32_e32 v15, v28
	v_sub_f32_e32 v13, v16, v30
	v_pk_add_f32 v[14:15], v[14:15], v[30:31] neg_lo:[0,1] neg_hi:[0,1]
	v_sub_f32_e32 v13, v32, v13
	v_add_f32_e32 v13, v14, v13
	v_add_f32_e32 v13, v13, v15
	;; [unrolled: 1-line block ×3, first 2 shown]
	v_cndmask_b32_e32 v12, v36, v12, vcc
	v_cmp_lt_f32_e64 vcc, |v37|, s19
	s_nop 1
	v_cndmask_b32_e32 v12, v12, v37, vcc
	v_add_f32_e32 v12, v11, v12
.LBB503_47:
	s_or_b64 exec, exec, s[16:17]
	v_bfe_u32 v11, v12, 16, 1
	s_movk_i32 s20, 0x7fff
	v_add3_u32 v11, v12, v11, s20
	v_and_b32_e32 v13, 0xffff0000, v11
	v_mov_b32_e32 v11, 0x7fc00000
	v_cmp_o_f32_e32 vcc, v12, v12
	v_lshlrev_b32_sdwa v28, v10, v7 dst_sel:DWORD dst_unused:UNUSED_PAD src0_sel:DWORD src1_sel:WORD_0
	v_max_f32_e32 v30, v28, v28
	v_cndmask_b32_e32 v12, v11, v13, vcc
	v_max_f32_e32 v10, v12, v12
	v_min_f32_e32 v13, v10, v30
	v_cmp_u_f32_e32 vcc, v12, v12
	v_max_f32_e32 v10, v10, v30
	v_cmp_u_f32_e64 s[16:17], v28, v28
	v_cndmask_b32_e32 v13, v13, v12, vcc
	v_cndmask_b32_e32 v10, v10, v12, vcc
	v_cndmask_b32_e64 v13, v13, v28, s[16:17]
	v_cndmask_b32_e64 v10, v10, v28, s[16:17]
	v_cmp_neq_f32_e32 vcc, v13, v10
	v_cmp_class_f32_e64 s[18:19], v13, s18
	s_or_b64 s[22:23], vcc, s[18:19]
	s_and_saveexec_b64 s[18:19], s[22:23]
	s_cbranch_execz .LBB503_49
; %bb.48:
	v_sub_f32_e32 v12, v13, v10
	s_mov_b32 s21, 0x3fb8aa3b
	v_mul_f32_e32 v13, 0x3fb8aa3b, v12
	v_fma_f32 v14, v12, s21, -v13
	v_rndne_f32_e32 v15, v13
	v_fmamk_f32 v14, v12, 0x32a5705f, v14
	v_sub_f32_e32 v13, v13, v15
	v_add_f32_e32 v13, v13, v14
	v_exp_f32_e32 v13, v13
	v_cvt_i32_f32_e32 v14, v15
	s_mov_b32 s21, 0xc2ce8ed0
	v_cmp_ngt_f32_e32 vcc, s21, v12
	s_mov_b32 s21, 0x42b17218
	v_ldexp_f32 v13, v13, v14
	v_cndmask_b32_e32 v13, 0, v13, vcc
	v_mov_b32_e32 v29, 0x7f800000
	v_cmp_nlt_f32_e32 vcc, s21, v12
	s_mov_b32 s21, 0x3f2aaaab
	s_mov_b32 s22, 0x7f800000
	v_cndmask_b32_e32 v31, v29, v13, vcc
	v_add_f32_e32 v14, 1.0, v31
	v_add_f32_e32 v12, -1.0, v14
	v_sub_f32_e32 v13, v12, v14
	v_add_f32_e32 v13, 1.0, v13
	v_sub_f32_e32 v12, v31, v12
	v_add_f32_e32 v15, v12, v13
	v_frexp_mant_f32_e32 v16, v14
	v_cvt_f64_f32_e32 v[12:13], v14
	v_frexp_exp_i32_f64_e32 v12, v[12:13]
	v_cmp_gt_f32_e32 vcc, s21, v16
	s_mov_b32 s21, 0x3f317218
	s_nop 0
	v_subbrev_co_u32_e32 v34, vcc, 0, v12, vcc
	v_sub_u32_e32 v12, 0, v34
	v_ldexp_f32 v13, v14, v12
	v_add_f32_e32 v14, -1.0, v13
	v_add_f32_e32 v16, 1.0, v13
	v_ldexp_f32 v12, v15, v12
	v_add_f32_e32 v15, 1.0, v14
	v_add_f32_e32 v17, -1.0, v16
	v_sub_f32_e32 v15, v13, v15
	v_sub_f32_e32 v13, v13, v17
	v_add_f32_e32 v15, v12, v15
	v_add_f32_e32 v12, v12, v13
	;; [unrolled: 1-line block ×3, first 2 shown]
	v_rcp_f32_e32 v37, v35
	v_sub_f32_e32 v13, v16, v35
	v_add_f32_e32 v36, v12, v13
	v_add_f32_e32 v13, v14, v15
	v_mul_f32_e32 v39, v13, v37
	v_sub_f32_e32 v12, v14, v13
	v_mul_f32_e32 v14, v35, v39
	v_fma_f32 v16, v39, v35, -v14
	v_fmac_f32_e32 v16, v39, v36
	v_add_f32_e32 v38, v15, v12
	v_add_f32_e32 v12, v14, v16
	v_sub_f32_e32 v15, v13, v12
	v_pk_add_f32 v[32:33], v[12:13], v[14:15] neg_lo:[0,1] neg_hi:[0,1]
	v_mov_b32_e32 v17, v12
	v_pk_add_f32 v[12:13], v[32:33], v[16:17] neg_lo:[0,1] neg_hi:[0,1]
	v_cmp_neq_f32_e32 vcc, s22, v31
	v_add_f32_e32 v13, v38, v13
	v_add_f32_e32 v12, v12, v13
	;; [unrolled: 1-line block ×3, first 2 shown]
	v_mul_f32_e32 v38, v37, v13
	v_mul_f32_e32 v14, v35, v38
	v_fma_f32 v16, v38, v35, -v14
	v_fmac_f32_e32 v16, v38, v36
	v_sub_f32_e32 v15, v15, v13
	v_add_f32_e32 v35, v12, v15
	v_add_f32_e32 v12, v14, v16
	v_sub_f32_e32 v15, v13, v12
	v_pk_add_f32 v[32:33], v[12:13], v[14:15] neg_lo:[0,1] neg_hi:[0,1]
	v_mov_b32_e32 v17, v12
	v_pk_add_f32 v[12:13], v[32:33], v[16:17] neg_lo:[0,1] neg_hi:[0,1]
	v_cvt_f32_i32_e32 v14, v34
	v_add_f32_e32 v13, v35, v13
	v_add_f32_e32 v12, v12, v13
	;; [unrolled: 1-line block ×4, first 2 shown]
	v_sub_f32_e32 v13, v15, v39
	v_mul_f32_e32 v12, v37, v12
	v_sub_f32_e32 v13, v38, v13
	v_add_f32_e32 v12, v13, v12
	v_add_f32_e32 v16, v15, v12
	v_mul_f32_e32 v32, v16, v16
	v_mov_b32_e32 v13, 0x3ecc95a3
	v_sub_f32_e32 v15, v16, v15
	v_fmac_f32_e32 v13, 0x3e9b6dac, v32
	v_sub_f32_e32 v12, v12, v15
	v_fmaak_f32 v13, v32, v13, 0x3f2aaada
	v_ldexp_f32 v33, v12, 1
	v_mul_f32_e32 v15, v16, v32
	v_mov_b32_e32 v12, 0x3f317218
	v_pk_mul_f32 v[12:13], v[14:15], v[12:13]
	v_ldexp_f32 v17, v16, 1
	v_fma_f32 v15, v14, s21, -v12
	v_fmamk_f32 v16, v14, 0xb102e308, v15
	v_pk_add_f32 v[14:15], v[12:13], v[16:17]
	v_mov_b32_e32 v32, v12
	v_sub_f32_e32 v17, v15, v17
	v_sub_f32_e32 v17, v13, v17
	v_add_f32_e32 v33, v33, v17
	v_pk_add_f32 v[12:13], v[14:15], v[12:13] neg_lo:[0,1] neg_hi:[0,1]
	v_pk_add_f32 v[34:35], v[14:15], v[32:33]
	v_mov_b32_e32 v17, v14
	v_mov_b32_e32 v13, v35
	v_pk_add_f32 v[36:37], v[16:17], v[12:13] neg_lo:[0,1] neg_hi:[0,1]
	v_pk_add_f32 v[12:13], v[16:17], v[12:13]
	v_mov_b32_e32 v32, v33
	v_pk_add_f32 v[16:17], v[12:13], v[14:15] op_sel:[1,0] op_sel_hi:[0,1] neg_lo:[0,1] neg_hi:[0,1]
	v_pk_add_f32 v[38:39], v[34:35], v[16:17] op_sel_hi:[1,0] neg_lo:[0,1] neg_hi:[0,1]
	v_mov_b32_e32 v34, v35
	v_mov_b32_e32 v35, v13
	v_pk_mov_b32 v[16:17], v[14:15], v[16:17] op_sel:[1,0]
	v_mov_b32_e32 v33, v14
	v_pk_add_f32 v[16:17], v[34:35], v[16:17] neg_lo:[0,1] neg_hi:[0,1]
	v_mov_b32_e32 v38, v36
	v_pk_add_f32 v[14:15], v[32:33], v[16:17] neg_lo:[0,1] neg_hi:[0,1]
	v_mov_b32_e32 v37, v13
	v_pk_add_f32 v[16:17], v[38:39], v[14:15]
	s_mov_b32 s21, 0x33800000
	v_pk_add_f32 v[32:33], v[16:17], v[16:17] op_sel:[0,1] op_sel_hi:[1,0]
	s_nop 0
	v_pk_add_f32 v[12:13], v[12:13], v[32:33] op_sel:[1,0] op_sel_hi:[0,1]
	v_mov_b32_e32 v17, v12
	v_pk_add_f32 v[34:35], v[16:17], v[36:37] neg_lo:[0,1] neg_hi:[0,1]
	v_mov_b32_e32 v15, v32
	v_sub_f32_e32 v13, v16, v34
	v_pk_add_f32 v[14:15], v[14:15], v[34:35] neg_lo:[0,1] neg_hi:[0,1]
	v_sub_f32_e32 v13, v36, v13
	v_add_f32_e32 v13, v14, v13
	v_add_f32_e32 v13, v13, v15
	;; [unrolled: 1-line block ×3, first 2 shown]
	v_cndmask_b32_e32 v12, v29, v12, vcc
	v_cmp_lt_f32_e64 vcc, |v31|, s21
	s_nop 1
	v_cndmask_b32_e32 v12, v12, v31, vcc
	v_add_f32_e32 v12, v10, v12
.LBB503_49:
	s_or_b64 exec, exec, s[18:19]
	v_bfe_u32 v10, v12, 16, 1
	v_add3_u32 v10, v12, v10, s20
	v_and_b32_e32 v10, 0xffff0000, v10
	v_cmp_o_f32_e32 vcc, v12, v12
	s_movk_i32 s22, 0x1f8
	s_nop 0
	v_cndmask_b32_e32 v12, v11, v10, vcc
	v_mov_b32_e32 v10, 16
	v_lshlrev_b32_sdwa v29, v10, v7 dst_sel:DWORD dst_unused:UNUSED_PAD src0_sel:DWORD src1_sel:WORD_1
	v_max_f32_e32 v11, v12, v12
	v_max_f32_e32 v31, v29, v29
	v_min_f32_e32 v13, v11, v31
	v_cmp_u_f32_e32 vcc, v12, v12
	v_max_f32_e32 v11, v11, v31
	v_cmp_u_f32_e64 s[18:19], v29, v29
	v_cndmask_b32_e32 v13, v13, v12, vcc
	v_cndmask_b32_e32 v11, v11, v12, vcc
	v_cndmask_b32_e64 v13, v13, v29, s[18:19]
	v_cndmask_b32_e64 v11, v11, v29, s[18:19]
	v_cmp_neq_f32_e32 vcc, v13, v11
	v_cmp_class_f32_e64 s[20:21], v13, s22
	s_or_b64 s[24:25], vcc, s[20:21]
	s_and_saveexec_b64 s[20:21], s[24:25]
	s_cbranch_execz .LBB503_51
; %bb.50:
	v_sub_f32_e32 v12, v13, v11
	s_mov_b32 s23, 0x3fb8aa3b
	v_mul_f32_e32 v13, 0x3fb8aa3b, v12
	v_fma_f32 v14, v12, s23, -v13
	v_rndne_f32_e32 v15, v13
	v_fmamk_f32 v14, v12, 0x32a5705f, v14
	v_sub_f32_e32 v13, v13, v15
	v_add_f32_e32 v13, v13, v14
	v_exp_f32_e32 v13, v13
	v_cvt_i32_f32_e32 v14, v15
	s_mov_b32 s23, 0xc2ce8ed0
	v_cmp_ngt_f32_e32 vcc, s23, v12
	s_mov_b32 s23, 0x42b17218
	v_ldexp_f32 v13, v13, v14
	v_cndmask_b32_e32 v13, 0, v13, vcc
	v_mov_b32_e32 v40, 0x7f800000
	v_cmp_nlt_f32_e32 vcc, s23, v12
	s_mov_b32 s23, 0x3f2aaaab
	s_mov_b32 s24, 0x7f800000
	v_cndmask_b32_e32 v41, v40, v13, vcc
	v_add_f32_e32 v14, 1.0, v41
	v_add_f32_e32 v12, -1.0, v14
	v_sub_f32_e32 v13, v12, v14
	v_add_f32_e32 v13, 1.0, v13
	v_sub_f32_e32 v12, v41, v12
	v_add_f32_e32 v15, v12, v13
	v_frexp_mant_f32_e32 v16, v14
	v_cvt_f64_f32_e32 v[12:13], v14
	v_frexp_exp_i32_f64_e32 v12, v[12:13]
	v_cmp_gt_f32_e32 vcc, s23, v16
	s_mov_b32 s23, 0x3f317218
	s_nop 0
	v_subbrev_co_u32_e32 v34, vcc, 0, v12, vcc
	v_sub_u32_e32 v12, 0, v34
	v_ldexp_f32 v13, v14, v12
	v_add_f32_e32 v14, -1.0, v13
	v_add_f32_e32 v16, 1.0, v13
	v_ldexp_f32 v12, v15, v12
	v_add_f32_e32 v15, 1.0, v14
	v_add_f32_e32 v17, -1.0, v16
	v_sub_f32_e32 v15, v13, v15
	v_sub_f32_e32 v13, v13, v17
	v_add_f32_e32 v15, v12, v15
	v_add_f32_e32 v12, v12, v13
	v_add_f32_e32 v35, v16, v12
	v_rcp_f32_e32 v37, v35
	v_sub_f32_e32 v13, v16, v35
	v_add_f32_e32 v36, v12, v13
	v_add_f32_e32 v13, v14, v15
	v_mul_f32_e32 v39, v13, v37
	v_sub_f32_e32 v12, v14, v13
	v_mul_f32_e32 v14, v35, v39
	v_fma_f32 v16, v39, v35, -v14
	v_fmac_f32_e32 v16, v39, v36
	v_add_f32_e32 v38, v15, v12
	v_add_f32_e32 v12, v14, v16
	v_sub_f32_e32 v15, v13, v12
	v_pk_add_f32 v[32:33], v[12:13], v[14:15] neg_lo:[0,1] neg_hi:[0,1]
	v_mov_b32_e32 v17, v12
	v_pk_add_f32 v[12:13], v[32:33], v[16:17] neg_lo:[0,1] neg_hi:[0,1]
	v_cmp_neq_f32_e32 vcc, s24, v41
	v_add_f32_e32 v13, v38, v13
	v_add_f32_e32 v12, v12, v13
	;; [unrolled: 1-line block ×3, first 2 shown]
	v_mul_f32_e32 v38, v37, v13
	v_mul_f32_e32 v14, v35, v38
	v_fma_f32 v16, v38, v35, -v14
	v_fmac_f32_e32 v16, v38, v36
	v_sub_f32_e32 v15, v15, v13
	v_add_f32_e32 v35, v12, v15
	v_add_f32_e32 v12, v14, v16
	v_sub_f32_e32 v15, v13, v12
	v_pk_add_f32 v[32:33], v[12:13], v[14:15] neg_lo:[0,1] neg_hi:[0,1]
	v_mov_b32_e32 v17, v12
	v_pk_add_f32 v[12:13], v[32:33], v[16:17] neg_lo:[0,1] neg_hi:[0,1]
	v_cvt_f32_i32_e32 v14, v34
	v_add_f32_e32 v13, v35, v13
	v_add_f32_e32 v12, v12, v13
	;; [unrolled: 1-line block ×4, first 2 shown]
	v_sub_f32_e32 v13, v15, v39
	v_mul_f32_e32 v12, v37, v12
	v_sub_f32_e32 v13, v38, v13
	v_add_f32_e32 v12, v13, v12
	v_add_f32_e32 v16, v15, v12
	v_mul_f32_e32 v32, v16, v16
	v_mov_b32_e32 v13, 0x3ecc95a3
	v_sub_f32_e32 v15, v16, v15
	v_fmac_f32_e32 v13, 0x3e9b6dac, v32
	v_sub_f32_e32 v12, v12, v15
	v_fmaak_f32 v13, v32, v13, 0x3f2aaada
	v_ldexp_f32 v33, v12, 1
	v_mul_f32_e32 v15, v16, v32
	v_mov_b32_e32 v12, 0x3f317218
	v_pk_mul_f32 v[12:13], v[14:15], v[12:13]
	v_ldexp_f32 v17, v16, 1
	v_fma_f32 v15, v14, s23, -v12
	v_fmamk_f32 v16, v14, 0xb102e308, v15
	v_pk_add_f32 v[14:15], v[12:13], v[16:17]
	v_mov_b32_e32 v32, v12
	v_sub_f32_e32 v17, v15, v17
	v_sub_f32_e32 v17, v13, v17
	v_add_f32_e32 v33, v33, v17
	v_pk_add_f32 v[12:13], v[14:15], v[12:13] neg_lo:[0,1] neg_hi:[0,1]
	v_pk_add_f32 v[34:35], v[14:15], v[32:33]
	v_mov_b32_e32 v17, v14
	v_mov_b32_e32 v13, v35
	v_pk_add_f32 v[36:37], v[16:17], v[12:13] neg_lo:[0,1] neg_hi:[0,1]
	v_pk_add_f32 v[12:13], v[16:17], v[12:13]
	v_mov_b32_e32 v32, v33
	v_pk_add_f32 v[16:17], v[12:13], v[14:15] op_sel:[1,0] op_sel_hi:[0,1] neg_lo:[0,1] neg_hi:[0,1]
	v_pk_add_f32 v[38:39], v[34:35], v[16:17] op_sel_hi:[1,0] neg_lo:[0,1] neg_hi:[0,1]
	v_mov_b32_e32 v34, v35
	v_mov_b32_e32 v35, v13
	v_pk_mov_b32 v[16:17], v[14:15], v[16:17] op_sel:[1,0]
	v_mov_b32_e32 v33, v14
	v_pk_add_f32 v[16:17], v[34:35], v[16:17] neg_lo:[0,1] neg_hi:[0,1]
	v_mov_b32_e32 v38, v36
	v_pk_add_f32 v[14:15], v[32:33], v[16:17] neg_lo:[0,1] neg_hi:[0,1]
	v_mov_b32_e32 v37, v13
	v_pk_add_f32 v[16:17], v[38:39], v[14:15]
	s_mov_b32 s23, 0x33800000
	v_pk_add_f32 v[32:33], v[16:17], v[16:17] op_sel:[0,1] op_sel_hi:[1,0]
	s_nop 0
	v_pk_add_f32 v[12:13], v[12:13], v[32:33] op_sel:[1,0] op_sel_hi:[0,1]
	v_mov_b32_e32 v17, v12
	v_pk_add_f32 v[34:35], v[16:17], v[36:37] neg_lo:[0,1] neg_hi:[0,1]
	v_mov_b32_e32 v15, v32
	v_sub_f32_e32 v13, v16, v34
	v_pk_add_f32 v[14:15], v[14:15], v[34:35] neg_lo:[0,1] neg_hi:[0,1]
	v_sub_f32_e32 v13, v36, v13
	v_add_f32_e32 v13, v14, v13
	v_add_f32_e32 v13, v13, v15
	;; [unrolled: 1-line block ×3, first 2 shown]
	v_cndmask_b32_e32 v12, v40, v12, vcc
	v_cmp_lt_f32_e64 vcc, |v41|, s23
	s_nop 1
	v_cndmask_b32_e32 v12, v12, v41, vcc
	v_add_f32_e32 v12, v11, v12
.LBB503_51:
	s_or_b64 exec, exec, s[20:21]
	v_bfe_u32 v11, v12, 16, 1
	s_movk_i32 s24, 0x7fff
	v_add3_u32 v11, v12, v11, s24
	v_and_b32_e32 v13, 0xffff0000, v11
	v_mov_b32_e32 v11, 0x7fc00000
	v_cmp_o_f32_e32 vcc, v12, v12
	v_lshlrev_b32_sdwa v32, v10, v4 dst_sel:DWORD dst_unused:UNUSED_PAD src0_sel:DWORD src1_sel:WORD_0
	v_max_f32_e32 v34, v32, v32
	v_cndmask_b32_e32 v12, v11, v13, vcc
	v_max_f32_e32 v10, v12, v12
	v_min_f32_e32 v13, v10, v34
	v_cmp_u_f32_e32 vcc, v12, v12
	v_max_f32_e32 v10, v10, v34
	v_cmp_u_f32_e64 s[20:21], v32, v32
	v_cndmask_b32_e32 v13, v13, v12, vcc
	v_cndmask_b32_e32 v10, v10, v12, vcc
	v_cndmask_b32_e64 v13, v13, v32, s[20:21]
	v_cndmask_b32_e64 v10, v10, v32, s[20:21]
	v_cmp_neq_f32_e32 vcc, v13, v10
	v_cmp_class_f32_e64 s[22:23], v13, s22
	s_or_b64 s[26:27], vcc, s[22:23]
	s_and_saveexec_b64 s[22:23], s[26:27]
	s_cbranch_execz .LBB503_53
; %bb.52:
	v_sub_f32_e32 v12, v13, v10
	s_mov_b32 s25, 0x3fb8aa3b
	v_mul_f32_e32 v13, 0x3fb8aa3b, v12
	v_fma_f32 v14, v12, s25, -v13
	v_rndne_f32_e32 v15, v13
	v_fmamk_f32 v14, v12, 0x32a5705f, v14
	v_sub_f32_e32 v13, v13, v15
	v_add_f32_e32 v13, v13, v14
	v_exp_f32_e32 v13, v13
	v_cvt_i32_f32_e32 v14, v15
	s_mov_b32 s25, 0xc2ce8ed0
	v_cmp_ngt_f32_e32 vcc, s25, v12
	s_mov_b32 s25, 0x42b17218
	v_ldexp_f32 v13, v13, v14
	v_cndmask_b32_e32 v13, 0, v13, vcc
	v_mov_b32_e32 v33, 0x7f800000
	v_cmp_nlt_f32_e32 vcc, s25, v12
	s_mov_b32 s25, 0x3f2aaaab
	s_mov_b32 s26, 0x7f800000
	v_cndmask_b32_e32 v35, v33, v13, vcc
	v_add_f32_e32 v14, 1.0, v35
	v_add_f32_e32 v12, -1.0, v14
	v_sub_f32_e32 v13, v12, v14
	v_add_f32_e32 v13, 1.0, v13
	v_sub_f32_e32 v12, v35, v12
	v_add_f32_e32 v15, v12, v13
	v_frexp_mant_f32_e32 v16, v14
	v_cvt_f64_f32_e32 v[12:13], v14
	v_frexp_exp_i32_f64_e32 v12, v[12:13]
	v_cmp_gt_f32_e32 vcc, s25, v16
	s_mov_b32 s25, 0x3f317218
	s_nop 0
	v_subbrev_co_u32_e32 v38, vcc, 0, v12, vcc
	v_sub_u32_e32 v12, 0, v38
	v_ldexp_f32 v13, v14, v12
	v_add_f32_e32 v14, -1.0, v13
	v_add_f32_e32 v16, 1.0, v13
	v_ldexp_f32 v12, v15, v12
	v_add_f32_e32 v15, 1.0, v14
	v_add_f32_e32 v17, -1.0, v16
	v_sub_f32_e32 v15, v13, v15
	v_sub_f32_e32 v13, v13, v17
	v_add_f32_e32 v15, v12, v15
	v_add_f32_e32 v12, v12, v13
	;; [unrolled: 1-line block ×3, first 2 shown]
	v_rcp_f32_e32 v41, v39
	v_sub_f32_e32 v13, v16, v39
	v_add_f32_e32 v40, v12, v13
	v_add_f32_e32 v13, v14, v15
	v_mul_f32_e32 v43, v13, v41
	v_sub_f32_e32 v12, v14, v13
	v_mul_f32_e32 v14, v39, v43
	v_fma_f32 v16, v43, v39, -v14
	v_fmac_f32_e32 v16, v43, v40
	v_add_f32_e32 v42, v15, v12
	v_add_f32_e32 v12, v14, v16
	v_sub_f32_e32 v15, v13, v12
	v_pk_add_f32 v[36:37], v[12:13], v[14:15] neg_lo:[0,1] neg_hi:[0,1]
	v_mov_b32_e32 v17, v12
	v_pk_add_f32 v[12:13], v[36:37], v[16:17] neg_lo:[0,1] neg_hi:[0,1]
	v_cmp_neq_f32_e32 vcc, s26, v35
	v_add_f32_e32 v13, v42, v13
	v_add_f32_e32 v12, v12, v13
	;; [unrolled: 1-line block ×3, first 2 shown]
	v_mul_f32_e32 v42, v41, v13
	v_mul_f32_e32 v14, v39, v42
	v_fma_f32 v16, v42, v39, -v14
	v_fmac_f32_e32 v16, v42, v40
	v_sub_f32_e32 v15, v15, v13
	v_add_f32_e32 v39, v12, v15
	v_add_f32_e32 v12, v14, v16
	v_sub_f32_e32 v15, v13, v12
	v_pk_add_f32 v[36:37], v[12:13], v[14:15] neg_lo:[0,1] neg_hi:[0,1]
	v_mov_b32_e32 v17, v12
	v_pk_add_f32 v[12:13], v[36:37], v[16:17] neg_lo:[0,1] neg_hi:[0,1]
	v_cvt_f32_i32_e32 v14, v38
	v_add_f32_e32 v13, v39, v13
	v_add_f32_e32 v12, v12, v13
	;; [unrolled: 1-line block ×4, first 2 shown]
	v_sub_f32_e32 v13, v15, v43
	v_mul_f32_e32 v12, v41, v12
	v_sub_f32_e32 v13, v42, v13
	v_add_f32_e32 v12, v13, v12
	v_add_f32_e32 v16, v15, v12
	v_mul_f32_e32 v36, v16, v16
	v_mov_b32_e32 v13, 0x3ecc95a3
	v_sub_f32_e32 v15, v16, v15
	v_fmac_f32_e32 v13, 0x3e9b6dac, v36
	v_sub_f32_e32 v12, v12, v15
	v_fmaak_f32 v13, v36, v13, 0x3f2aaada
	v_ldexp_f32 v37, v12, 1
	v_mul_f32_e32 v15, v16, v36
	v_mov_b32_e32 v12, 0x3f317218
	v_pk_mul_f32 v[12:13], v[14:15], v[12:13]
	v_ldexp_f32 v17, v16, 1
	v_fma_f32 v15, v14, s25, -v12
	v_fmamk_f32 v16, v14, 0xb102e308, v15
	v_pk_add_f32 v[14:15], v[12:13], v[16:17]
	v_mov_b32_e32 v36, v12
	v_sub_f32_e32 v17, v15, v17
	v_sub_f32_e32 v17, v13, v17
	v_add_f32_e32 v37, v37, v17
	v_pk_add_f32 v[12:13], v[14:15], v[12:13] neg_lo:[0,1] neg_hi:[0,1]
	v_pk_add_f32 v[38:39], v[14:15], v[36:37]
	v_mov_b32_e32 v17, v14
	v_mov_b32_e32 v13, v39
	v_pk_add_f32 v[40:41], v[16:17], v[12:13] neg_lo:[0,1] neg_hi:[0,1]
	v_pk_add_f32 v[12:13], v[16:17], v[12:13]
	v_mov_b32_e32 v36, v37
	v_pk_add_f32 v[16:17], v[12:13], v[14:15] op_sel:[1,0] op_sel_hi:[0,1] neg_lo:[0,1] neg_hi:[0,1]
	v_pk_add_f32 v[42:43], v[38:39], v[16:17] op_sel_hi:[1,0] neg_lo:[0,1] neg_hi:[0,1]
	v_mov_b32_e32 v38, v39
	v_mov_b32_e32 v39, v13
	v_pk_mov_b32 v[16:17], v[14:15], v[16:17] op_sel:[1,0]
	v_mov_b32_e32 v37, v14
	v_pk_add_f32 v[16:17], v[38:39], v[16:17] neg_lo:[0,1] neg_hi:[0,1]
	v_mov_b32_e32 v42, v40
	v_pk_add_f32 v[14:15], v[36:37], v[16:17] neg_lo:[0,1] neg_hi:[0,1]
	v_mov_b32_e32 v41, v13
	v_pk_add_f32 v[16:17], v[42:43], v[14:15]
	s_mov_b32 s25, 0x33800000
	v_pk_add_f32 v[36:37], v[16:17], v[16:17] op_sel:[0,1] op_sel_hi:[1,0]
	s_nop 0
	v_pk_add_f32 v[12:13], v[12:13], v[36:37] op_sel:[1,0] op_sel_hi:[0,1]
	v_mov_b32_e32 v17, v12
	v_pk_add_f32 v[38:39], v[16:17], v[40:41] neg_lo:[0,1] neg_hi:[0,1]
	v_mov_b32_e32 v15, v36
	v_sub_f32_e32 v13, v16, v38
	v_pk_add_f32 v[14:15], v[14:15], v[38:39] neg_lo:[0,1] neg_hi:[0,1]
	v_sub_f32_e32 v13, v40, v13
	v_add_f32_e32 v13, v14, v13
	v_add_f32_e32 v13, v13, v15
	;; [unrolled: 1-line block ×3, first 2 shown]
	v_cndmask_b32_e32 v12, v33, v12, vcc
	v_cmp_lt_f32_e64 vcc, |v35|, s25
	s_nop 1
	v_cndmask_b32_e32 v12, v12, v35, vcc
	v_add_f32_e32 v12, v10, v12
.LBB503_53:
	s_or_b64 exec, exec, s[22:23]
	v_bfe_u32 v10, v12, 16, 1
	v_add3_u32 v10, v12, v10, s24
	v_and_b32_e32 v10, 0xffff0000, v10
	v_cmp_o_f32_e32 vcc, v12, v12
	s_movk_i32 s26, 0x1f8
	s_nop 0
	v_cndmask_b32_e32 v12, v11, v10, vcc
	v_mov_b32_e32 v10, 16
	v_lshlrev_b32_sdwa v33, v10, v4 dst_sel:DWORD dst_unused:UNUSED_PAD src0_sel:DWORD src1_sel:WORD_1
	v_max_f32_e32 v11, v12, v12
	v_max_f32_e32 v35, v33, v33
	v_min_f32_e32 v13, v11, v35
	v_cmp_u_f32_e32 vcc, v12, v12
	v_max_f32_e32 v11, v11, v35
	v_cmp_u_f32_e64 s[22:23], v33, v33
	v_cndmask_b32_e32 v13, v13, v12, vcc
	v_cndmask_b32_e32 v11, v11, v12, vcc
	v_cndmask_b32_e64 v13, v13, v33, s[22:23]
	v_cndmask_b32_e64 v11, v11, v33, s[22:23]
	v_cmp_neq_f32_e32 vcc, v13, v11
	v_cmp_class_f32_e64 s[24:25], v13, s26
	s_or_b64 s[28:29], vcc, s[24:25]
	s_and_saveexec_b64 s[24:25], s[28:29]
	s_cbranch_execz .LBB503_55
; %bb.54:
	v_sub_f32_e32 v12, v13, v11
	s_mov_b32 s27, 0x3fb8aa3b
	v_mul_f32_e32 v13, 0x3fb8aa3b, v12
	v_fma_f32 v14, v12, s27, -v13
	v_rndne_f32_e32 v15, v13
	v_fmamk_f32 v14, v12, 0x32a5705f, v14
	v_sub_f32_e32 v13, v13, v15
	v_add_f32_e32 v13, v13, v14
	v_exp_f32_e32 v13, v13
	v_cvt_i32_f32_e32 v14, v15
	s_mov_b32 s27, 0xc2ce8ed0
	v_cmp_ngt_f32_e32 vcc, s27, v12
	s_mov_b32 s27, 0x42b17218
	v_ldexp_f32 v13, v13, v14
	v_cndmask_b32_e32 v13, 0, v13, vcc
	v_mov_b32_e32 v46, 0x7f800000
	v_cmp_nlt_f32_e32 vcc, s27, v12
	s_mov_b32 s27, 0x3f2aaaab
	s_mov_b32 s28, 0x7f800000
	v_cndmask_b32_e32 v47, v46, v13, vcc
	v_add_f32_e32 v14, 1.0, v47
	v_add_f32_e32 v12, -1.0, v14
	v_sub_f32_e32 v13, v12, v14
	v_add_f32_e32 v13, 1.0, v13
	v_sub_f32_e32 v12, v47, v12
	v_add_f32_e32 v15, v12, v13
	v_frexp_mant_f32_e32 v16, v14
	v_cvt_f64_f32_e32 v[12:13], v14
	v_frexp_exp_i32_f64_e32 v12, v[12:13]
	v_cmp_gt_f32_e32 vcc, s27, v16
	s_mov_b32 s27, 0x3f317218
	s_nop 0
	v_subbrev_co_u32_e32 v38, vcc, 0, v12, vcc
	v_sub_u32_e32 v12, 0, v38
	v_ldexp_f32 v13, v14, v12
	v_add_f32_e32 v14, -1.0, v13
	v_add_f32_e32 v16, 1.0, v13
	v_ldexp_f32 v12, v15, v12
	v_add_f32_e32 v15, 1.0, v14
	v_add_f32_e32 v17, -1.0, v16
	v_sub_f32_e32 v15, v13, v15
	v_sub_f32_e32 v13, v13, v17
	v_add_f32_e32 v15, v12, v15
	v_add_f32_e32 v12, v12, v13
	v_add_f32_e32 v39, v16, v12
	v_rcp_f32_e32 v41, v39
	v_sub_f32_e32 v13, v16, v39
	v_add_f32_e32 v40, v12, v13
	v_add_f32_e32 v13, v14, v15
	v_mul_f32_e32 v43, v13, v41
	v_sub_f32_e32 v12, v14, v13
	v_mul_f32_e32 v14, v39, v43
	v_fma_f32 v16, v43, v39, -v14
	v_fmac_f32_e32 v16, v43, v40
	v_add_f32_e32 v42, v15, v12
	v_add_f32_e32 v12, v14, v16
	v_sub_f32_e32 v15, v13, v12
	v_pk_add_f32 v[36:37], v[12:13], v[14:15] neg_lo:[0,1] neg_hi:[0,1]
	v_mov_b32_e32 v17, v12
	v_pk_add_f32 v[12:13], v[36:37], v[16:17] neg_lo:[0,1] neg_hi:[0,1]
	v_cmp_neq_f32_e32 vcc, s28, v47
	v_add_f32_e32 v13, v42, v13
	v_add_f32_e32 v12, v12, v13
	;; [unrolled: 1-line block ×3, first 2 shown]
	v_mul_f32_e32 v42, v41, v13
	v_mul_f32_e32 v14, v39, v42
	v_fma_f32 v16, v42, v39, -v14
	v_fmac_f32_e32 v16, v42, v40
	v_sub_f32_e32 v15, v15, v13
	v_add_f32_e32 v39, v12, v15
	v_add_f32_e32 v12, v14, v16
	v_sub_f32_e32 v15, v13, v12
	v_pk_add_f32 v[36:37], v[12:13], v[14:15] neg_lo:[0,1] neg_hi:[0,1]
	v_mov_b32_e32 v17, v12
	v_pk_add_f32 v[12:13], v[36:37], v[16:17] neg_lo:[0,1] neg_hi:[0,1]
	v_cvt_f32_i32_e32 v14, v38
	v_add_f32_e32 v13, v39, v13
	v_add_f32_e32 v12, v12, v13
	;; [unrolled: 1-line block ×4, first 2 shown]
	v_sub_f32_e32 v13, v15, v43
	v_mul_f32_e32 v12, v41, v12
	v_sub_f32_e32 v13, v42, v13
	v_add_f32_e32 v12, v13, v12
	v_add_f32_e32 v16, v15, v12
	v_mul_f32_e32 v36, v16, v16
	v_mov_b32_e32 v13, 0x3ecc95a3
	v_sub_f32_e32 v15, v16, v15
	v_fmac_f32_e32 v13, 0x3e9b6dac, v36
	v_sub_f32_e32 v12, v12, v15
	v_fmaak_f32 v13, v36, v13, 0x3f2aaada
	v_ldexp_f32 v37, v12, 1
	v_mul_f32_e32 v15, v16, v36
	v_mov_b32_e32 v12, 0x3f317218
	v_pk_mul_f32 v[12:13], v[14:15], v[12:13]
	v_ldexp_f32 v17, v16, 1
	v_fma_f32 v15, v14, s27, -v12
	v_fmamk_f32 v16, v14, 0xb102e308, v15
	v_pk_add_f32 v[14:15], v[12:13], v[16:17]
	v_mov_b32_e32 v36, v12
	v_sub_f32_e32 v17, v15, v17
	v_sub_f32_e32 v17, v13, v17
	v_add_f32_e32 v37, v37, v17
	v_pk_add_f32 v[12:13], v[14:15], v[12:13] neg_lo:[0,1] neg_hi:[0,1]
	v_pk_add_f32 v[38:39], v[14:15], v[36:37]
	v_mov_b32_e32 v17, v14
	v_mov_b32_e32 v13, v39
	v_pk_add_f32 v[40:41], v[16:17], v[12:13] neg_lo:[0,1] neg_hi:[0,1]
	v_pk_add_f32 v[12:13], v[16:17], v[12:13]
	v_mov_b32_e32 v36, v37
	v_pk_add_f32 v[16:17], v[12:13], v[14:15] op_sel:[1,0] op_sel_hi:[0,1] neg_lo:[0,1] neg_hi:[0,1]
	v_pk_add_f32 v[42:43], v[38:39], v[16:17] op_sel_hi:[1,0] neg_lo:[0,1] neg_hi:[0,1]
	v_mov_b32_e32 v38, v39
	v_mov_b32_e32 v39, v13
	v_pk_mov_b32 v[16:17], v[14:15], v[16:17] op_sel:[1,0]
	v_mov_b32_e32 v37, v14
	v_pk_add_f32 v[16:17], v[38:39], v[16:17] neg_lo:[0,1] neg_hi:[0,1]
	v_mov_b32_e32 v42, v40
	v_pk_add_f32 v[14:15], v[36:37], v[16:17] neg_lo:[0,1] neg_hi:[0,1]
	v_mov_b32_e32 v41, v13
	v_pk_add_f32 v[16:17], v[42:43], v[14:15]
	s_mov_b32 s27, 0x33800000
	v_pk_add_f32 v[36:37], v[16:17], v[16:17] op_sel:[0,1] op_sel_hi:[1,0]
	s_nop 0
	v_pk_add_f32 v[12:13], v[12:13], v[36:37] op_sel:[1,0] op_sel_hi:[0,1]
	v_mov_b32_e32 v17, v12
	v_pk_add_f32 v[38:39], v[16:17], v[40:41] neg_lo:[0,1] neg_hi:[0,1]
	v_mov_b32_e32 v15, v36
	v_sub_f32_e32 v13, v16, v38
	v_pk_add_f32 v[14:15], v[14:15], v[38:39] neg_lo:[0,1] neg_hi:[0,1]
	v_sub_f32_e32 v13, v40, v13
	v_add_f32_e32 v13, v14, v13
	v_add_f32_e32 v13, v13, v15
	;; [unrolled: 1-line block ×3, first 2 shown]
	v_cndmask_b32_e32 v12, v46, v12, vcc
	v_cmp_lt_f32_e64 vcc, |v47|, s27
	s_nop 1
	v_cndmask_b32_e32 v12, v12, v47, vcc
	v_add_f32_e32 v12, v11, v12
.LBB503_55:
	s_or_b64 exec, exec, s[24:25]
	v_bfe_u32 v11, v12, 16, 1
	s_movk_i32 s28, 0x7fff
	v_add3_u32 v11, v12, v11, s28
	v_and_b32_e32 v13, 0xffff0000, v11
	v_mov_b32_e32 v11, 0x7fc00000
	v_cmp_o_f32_e32 vcc, v12, v12
	v_lshlrev_b32_sdwa v36, v10, v5 dst_sel:DWORD dst_unused:UNUSED_PAD src0_sel:DWORD src1_sel:WORD_0
	v_max_f32_e32 v38, v36, v36
	v_cndmask_b32_e32 v12, v11, v13, vcc
	v_max_f32_e32 v10, v12, v12
	v_min_f32_e32 v13, v10, v38
	v_cmp_u_f32_e32 vcc, v12, v12
	v_max_f32_e32 v10, v10, v38
	v_cmp_u_f32_e64 s[24:25], v36, v36
	v_cndmask_b32_e32 v13, v13, v12, vcc
	v_cndmask_b32_e32 v10, v10, v12, vcc
	v_cndmask_b32_e64 v13, v13, v36, s[24:25]
	v_cndmask_b32_e64 v10, v10, v36, s[24:25]
	v_cmp_neq_f32_e32 vcc, v13, v10
	v_cmp_class_f32_e64 s[26:27], v13, s26
	s_or_b64 s[30:31], vcc, s[26:27]
	s_and_saveexec_b64 s[26:27], s[30:31]
	s_cbranch_execz .LBB503_57
; %bb.56:
	v_sub_f32_e32 v12, v13, v10
	s_mov_b32 s29, 0x3fb8aa3b
	v_mul_f32_e32 v13, 0x3fb8aa3b, v12
	v_fma_f32 v14, v12, s29, -v13
	v_rndne_f32_e32 v15, v13
	v_fmamk_f32 v14, v12, 0x32a5705f, v14
	v_sub_f32_e32 v13, v13, v15
	v_add_f32_e32 v13, v13, v14
	v_exp_f32_e32 v13, v13
	v_cvt_i32_f32_e32 v14, v15
	s_mov_b32 s29, 0xc2ce8ed0
	v_cmp_ngt_f32_e32 vcc, s29, v12
	s_mov_b32 s29, 0x42b17218
	v_ldexp_f32 v13, v13, v14
	v_cndmask_b32_e32 v13, 0, v13, vcc
	v_mov_b32_e32 v37, 0x7f800000
	v_cmp_nlt_f32_e32 vcc, s29, v12
	s_mov_b32 s29, 0x3f2aaaab
	s_mov_b32 s30, 0x7f800000
	v_cndmask_b32_e32 v39, v37, v13, vcc
	v_add_f32_e32 v14, 1.0, v39
	v_add_f32_e32 v12, -1.0, v14
	v_sub_f32_e32 v13, v12, v14
	v_add_f32_e32 v13, 1.0, v13
	v_sub_f32_e32 v12, v39, v12
	v_add_f32_e32 v15, v12, v13
	v_frexp_mant_f32_e32 v16, v14
	v_cvt_f64_f32_e32 v[12:13], v14
	v_frexp_exp_i32_f64_e32 v12, v[12:13]
	v_cmp_gt_f32_e32 vcc, s29, v16
	s_mov_b32 s29, 0x3f317218
	s_nop 0
	v_subbrev_co_u32_e32 v42, vcc, 0, v12, vcc
	v_sub_u32_e32 v12, 0, v42
	v_ldexp_f32 v13, v14, v12
	v_add_f32_e32 v14, -1.0, v13
	v_add_f32_e32 v16, 1.0, v13
	v_ldexp_f32 v12, v15, v12
	v_add_f32_e32 v15, 1.0, v14
	v_add_f32_e32 v17, -1.0, v16
	v_sub_f32_e32 v15, v13, v15
	v_sub_f32_e32 v13, v13, v17
	v_add_f32_e32 v15, v12, v15
	v_add_f32_e32 v12, v12, v13
	v_add_f32_e32 v43, v16, v12
	v_rcp_f32_e32 v47, v43
	v_sub_f32_e32 v13, v16, v43
	v_add_f32_e32 v46, v12, v13
	v_add_f32_e32 v13, v14, v15
	v_mul_f32_e32 v49, v13, v47
	v_sub_f32_e32 v12, v14, v13
	v_mul_f32_e32 v14, v43, v49
	v_fma_f32 v16, v49, v43, -v14
	v_fmac_f32_e32 v16, v49, v46
	v_add_f32_e32 v48, v15, v12
	v_add_f32_e32 v12, v14, v16
	v_sub_f32_e32 v15, v13, v12
	v_pk_add_f32 v[40:41], v[12:13], v[14:15] neg_lo:[0,1] neg_hi:[0,1]
	v_mov_b32_e32 v17, v12
	v_pk_add_f32 v[12:13], v[40:41], v[16:17] neg_lo:[0,1] neg_hi:[0,1]
	v_cmp_neq_f32_e32 vcc, s30, v39
	v_add_f32_e32 v13, v48, v13
	v_add_f32_e32 v12, v12, v13
	;; [unrolled: 1-line block ×3, first 2 shown]
	v_mul_f32_e32 v48, v47, v13
	v_mul_f32_e32 v14, v43, v48
	v_fma_f32 v16, v48, v43, -v14
	v_fmac_f32_e32 v16, v48, v46
	v_sub_f32_e32 v15, v15, v13
	v_add_f32_e32 v43, v12, v15
	v_add_f32_e32 v12, v14, v16
	v_sub_f32_e32 v15, v13, v12
	v_pk_add_f32 v[40:41], v[12:13], v[14:15] neg_lo:[0,1] neg_hi:[0,1]
	v_mov_b32_e32 v17, v12
	v_pk_add_f32 v[12:13], v[40:41], v[16:17] neg_lo:[0,1] neg_hi:[0,1]
	v_cvt_f32_i32_e32 v14, v42
	v_add_f32_e32 v13, v43, v13
	v_add_f32_e32 v12, v12, v13
	;; [unrolled: 1-line block ×4, first 2 shown]
	v_sub_f32_e32 v13, v15, v49
	v_mul_f32_e32 v12, v47, v12
	v_sub_f32_e32 v13, v48, v13
	v_add_f32_e32 v12, v13, v12
	v_add_f32_e32 v16, v15, v12
	v_mul_f32_e32 v40, v16, v16
	v_mov_b32_e32 v13, 0x3ecc95a3
	v_sub_f32_e32 v15, v16, v15
	v_fmac_f32_e32 v13, 0x3e9b6dac, v40
	v_sub_f32_e32 v12, v12, v15
	v_fmaak_f32 v13, v40, v13, 0x3f2aaada
	v_ldexp_f32 v41, v12, 1
	v_mul_f32_e32 v15, v16, v40
	v_mov_b32_e32 v12, 0x3f317218
	v_pk_mul_f32 v[12:13], v[14:15], v[12:13]
	v_ldexp_f32 v17, v16, 1
	v_fma_f32 v15, v14, s29, -v12
	v_fmamk_f32 v16, v14, 0xb102e308, v15
	v_pk_add_f32 v[14:15], v[12:13], v[16:17]
	v_mov_b32_e32 v40, v12
	v_sub_f32_e32 v17, v15, v17
	v_sub_f32_e32 v17, v13, v17
	v_add_f32_e32 v41, v41, v17
	v_pk_add_f32 v[12:13], v[14:15], v[12:13] neg_lo:[0,1] neg_hi:[0,1]
	v_pk_add_f32 v[42:43], v[14:15], v[40:41]
	v_mov_b32_e32 v17, v14
	v_mov_b32_e32 v13, v43
	v_pk_add_f32 v[46:47], v[16:17], v[12:13] neg_lo:[0,1] neg_hi:[0,1]
	v_pk_add_f32 v[12:13], v[16:17], v[12:13]
	v_mov_b32_e32 v40, v41
	v_pk_add_f32 v[16:17], v[12:13], v[14:15] op_sel:[1,0] op_sel_hi:[0,1] neg_lo:[0,1] neg_hi:[0,1]
	v_pk_add_f32 v[48:49], v[42:43], v[16:17] op_sel_hi:[1,0] neg_lo:[0,1] neg_hi:[0,1]
	v_mov_b32_e32 v42, v43
	v_mov_b32_e32 v43, v13
	v_pk_mov_b32 v[16:17], v[14:15], v[16:17] op_sel:[1,0]
	v_mov_b32_e32 v41, v14
	v_pk_add_f32 v[16:17], v[42:43], v[16:17] neg_lo:[0,1] neg_hi:[0,1]
	v_mov_b32_e32 v48, v46
	v_pk_add_f32 v[14:15], v[40:41], v[16:17] neg_lo:[0,1] neg_hi:[0,1]
	v_mov_b32_e32 v47, v13
	v_pk_add_f32 v[16:17], v[48:49], v[14:15]
	s_mov_b32 s29, 0x33800000
	v_pk_add_f32 v[40:41], v[16:17], v[16:17] op_sel:[0,1] op_sel_hi:[1,0]
	s_nop 0
	v_pk_add_f32 v[12:13], v[12:13], v[40:41] op_sel:[1,0] op_sel_hi:[0,1]
	v_mov_b32_e32 v17, v12
	v_pk_add_f32 v[42:43], v[16:17], v[46:47] neg_lo:[0,1] neg_hi:[0,1]
	v_mov_b32_e32 v15, v40
	v_sub_f32_e32 v13, v16, v42
	v_pk_add_f32 v[14:15], v[14:15], v[42:43] neg_lo:[0,1] neg_hi:[0,1]
	v_sub_f32_e32 v13, v46, v13
	v_add_f32_e32 v13, v14, v13
	v_add_f32_e32 v13, v13, v15
	;; [unrolled: 1-line block ×3, first 2 shown]
	v_cndmask_b32_e32 v12, v37, v12, vcc
	v_cmp_lt_f32_e64 vcc, |v39|, s29
	s_nop 1
	v_cndmask_b32_e32 v12, v12, v39, vcc
	v_add_f32_e32 v12, v10, v12
.LBB503_57:
	s_or_b64 exec, exec, s[26:27]
	v_bfe_u32 v10, v12, 16, 1
	v_add3_u32 v10, v12, v10, s28
	v_and_b32_e32 v10, 0xffff0000, v10
	v_cmp_o_f32_e32 vcc, v12, v12
	s_movk_i32 s30, 0x1f8
	s_nop 0
	v_cndmask_b32_e32 v12, v11, v10, vcc
	v_mov_b32_e32 v10, 16
	v_lshlrev_b32_sdwa v37, v10, v5 dst_sel:DWORD dst_unused:UNUSED_PAD src0_sel:DWORD src1_sel:WORD_1
	v_max_f32_e32 v11, v12, v12
	v_max_f32_e32 v39, v37, v37
	v_min_f32_e32 v13, v11, v39
	v_cmp_u_f32_e32 vcc, v12, v12
	v_max_f32_e32 v11, v11, v39
	v_cmp_u_f32_e64 s[26:27], v37, v37
	v_cndmask_b32_e32 v13, v13, v12, vcc
	v_cndmask_b32_e32 v11, v11, v12, vcc
	v_cndmask_b32_e64 v13, v13, v37, s[26:27]
	v_cndmask_b32_e64 v11, v11, v37, s[26:27]
	v_cmp_neq_f32_e32 vcc, v13, v11
	v_cmp_class_f32_e64 s[28:29], v13, s30
	s_or_b64 s[36:37], vcc, s[28:29]
	s_and_saveexec_b64 s[28:29], s[36:37]
	s_cbranch_execz .LBB503_59
; %bb.58:
	v_sub_f32_e32 v12, v13, v11
	s_mov_b32 s31, 0x3fb8aa3b
	v_mul_f32_e32 v13, 0x3fb8aa3b, v12
	v_fma_f32 v14, v12, s31, -v13
	v_rndne_f32_e32 v15, v13
	v_fmamk_f32 v14, v12, 0x32a5705f, v14
	v_sub_f32_e32 v13, v13, v15
	v_add_f32_e32 v13, v13, v14
	v_exp_f32_e32 v13, v13
	v_cvt_i32_f32_e32 v14, v15
	s_mov_b32 s31, 0xc2ce8ed0
	v_cmp_ngt_f32_e32 vcc, s31, v12
	s_mov_b32 s31, 0x42b17218
	v_ldexp_f32 v13, v13, v14
	v_cndmask_b32_e32 v13, 0, v13, vcc
	v_mov_b32_e32 v50, 0x7f800000
	v_cmp_nlt_f32_e32 vcc, s31, v12
	s_mov_b32 s31, 0x3f2aaaab
	s_mov_b32 s36, 0x7f800000
	v_cndmask_b32_e32 v51, v50, v13, vcc
	v_add_f32_e32 v14, 1.0, v51
	v_add_f32_e32 v12, -1.0, v14
	v_sub_f32_e32 v13, v12, v14
	v_add_f32_e32 v13, 1.0, v13
	v_sub_f32_e32 v12, v51, v12
	v_add_f32_e32 v15, v12, v13
	v_frexp_mant_f32_e32 v16, v14
	v_cvt_f64_f32_e32 v[12:13], v14
	v_frexp_exp_i32_f64_e32 v12, v[12:13]
	v_cmp_gt_f32_e32 vcc, s31, v16
	s_mov_b32 s31, 0x3f317218
	s_nop 0
	v_subbrev_co_u32_e32 v42, vcc, 0, v12, vcc
	v_sub_u32_e32 v12, 0, v42
	v_ldexp_f32 v13, v14, v12
	v_add_f32_e32 v14, -1.0, v13
	v_add_f32_e32 v16, 1.0, v13
	v_ldexp_f32 v12, v15, v12
	v_add_f32_e32 v15, 1.0, v14
	v_add_f32_e32 v17, -1.0, v16
	v_sub_f32_e32 v15, v13, v15
	v_sub_f32_e32 v13, v13, v17
	v_add_f32_e32 v15, v12, v15
	v_add_f32_e32 v12, v12, v13
	;; [unrolled: 1-line block ×3, first 2 shown]
	v_rcp_f32_e32 v47, v43
	v_sub_f32_e32 v13, v16, v43
	v_add_f32_e32 v46, v12, v13
	v_add_f32_e32 v13, v14, v15
	v_mul_f32_e32 v49, v13, v47
	v_sub_f32_e32 v12, v14, v13
	v_mul_f32_e32 v14, v43, v49
	v_fma_f32 v16, v49, v43, -v14
	v_fmac_f32_e32 v16, v49, v46
	v_add_f32_e32 v48, v15, v12
	v_add_f32_e32 v12, v14, v16
	v_sub_f32_e32 v15, v13, v12
	v_pk_add_f32 v[40:41], v[12:13], v[14:15] neg_lo:[0,1] neg_hi:[0,1]
	v_mov_b32_e32 v17, v12
	v_pk_add_f32 v[12:13], v[40:41], v[16:17] neg_lo:[0,1] neg_hi:[0,1]
	v_cmp_neq_f32_e32 vcc, s36, v51
	v_add_f32_e32 v13, v48, v13
	v_add_f32_e32 v12, v12, v13
	;; [unrolled: 1-line block ×3, first 2 shown]
	v_mul_f32_e32 v48, v47, v13
	v_mul_f32_e32 v14, v43, v48
	v_fma_f32 v16, v48, v43, -v14
	v_fmac_f32_e32 v16, v48, v46
	v_sub_f32_e32 v15, v15, v13
	v_add_f32_e32 v43, v12, v15
	v_add_f32_e32 v12, v14, v16
	v_sub_f32_e32 v15, v13, v12
	v_pk_add_f32 v[40:41], v[12:13], v[14:15] neg_lo:[0,1] neg_hi:[0,1]
	v_mov_b32_e32 v17, v12
	v_pk_add_f32 v[12:13], v[40:41], v[16:17] neg_lo:[0,1] neg_hi:[0,1]
	v_cvt_f32_i32_e32 v14, v42
	v_add_f32_e32 v13, v43, v13
	v_add_f32_e32 v12, v12, v13
	;; [unrolled: 1-line block ×4, first 2 shown]
	v_sub_f32_e32 v13, v15, v49
	v_mul_f32_e32 v12, v47, v12
	v_sub_f32_e32 v13, v48, v13
	v_add_f32_e32 v12, v13, v12
	v_add_f32_e32 v16, v15, v12
	v_mul_f32_e32 v40, v16, v16
	v_mov_b32_e32 v13, 0x3ecc95a3
	v_sub_f32_e32 v15, v16, v15
	v_fmac_f32_e32 v13, 0x3e9b6dac, v40
	v_sub_f32_e32 v12, v12, v15
	v_fmaak_f32 v13, v40, v13, 0x3f2aaada
	v_ldexp_f32 v41, v12, 1
	v_mul_f32_e32 v15, v16, v40
	v_mov_b32_e32 v12, 0x3f317218
	v_pk_mul_f32 v[12:13], v[14:15], v[12:13]
	v_ldexp_f32 v17, v16, 1
	v_fma_f32 v15, v14, s31, -v12
	v_fmamk_f32 v16, v14, 0xb102e308, v15
	v_pk_add_f32 v[14:15], v[12:13], v[16:17]
	v_mov_b32_e32 v40, v12
	v_sub_f32_e32 v17, v15, v17
	v_sub_f32_e32 v17, v13, v17
	v_add_f32_e32 v41, v41, v17
	v_pk_add_f32 v[12:13], v[14:15], v[12:13] neg_lo:[0,1] neg_hi:[0,1]
	v_pk_add_f32 v[42:43], v[14:15], v[40:41]
	v_mov_b32_e32 v17, v14
	v_mov_b32_e32 v13, v43
	v_pk_add_f32 v[46:47], v[16:17], v[12:13] neg_lo:[0,1] neg_hi:[0,1]
	v_pk_add_f32 v[12:13], v[16:17], v[12:13]
	v_mov_b32_e32 v40, v41
	v_pk_add_f32 v[16:17], v[12:13], v[14:15] op_sel:[1,0] op_sel_hi:[0,1] neg_lo:[0,1] neg_hi:[0,1]
	v_pk_add_f32 v[48:49], v[42:43], v[16:17] op_sel_hi:[1,0] neg_lo:[0,1] neg_hi:[0,1]
	v_mov_b32_e32 v42, v43
	v_mov_b32_e32 v43, v13
	v_pk_mov_b32 v[16:17], v[14:15], v[16:17] op_sel:[1,0]
	v_mov_b32_e32 v41, v14
	v_pk_add_f32 v[16:17], v[42:43], v[16:17] neg_lo:[0,1] neg_hi:[0,1]
	v_mov_b32_e32 v48, v46
	v_pk_add_f32 v[14:15], v[40:41], v[16:17] neg_lo:[0,1] neg_hi:[0,1]
	v_mov_b32_e32 v47, v13
	v_pk_add_f32 v[16:17], v[48:49], v[14:15]
	s_mov_b32 s31, 0x33800000
	v_pk_add_f32 v[40:41], v[16:17], v[16:17] op_sel:[0,1] op_sel_hi:[1,0]
	s_nop 0
	v_pk_add_f32 v[12:13], v[12:13], v[40:41] op_sel:[1,0] op_sel_hi:[0,1]
	v_mov_b32_e32 v17, v12
	v_pk_add_f32 v[42:43], v[16:17], v[46:47] neg_lo:[0,1] neg_hi:[0,1]
	v_mov_b32_e32 v15, v40
	v_sub_f32_e32 v13, v16, v42
	v_pk_add_f32 v[14:15], v[14:15], v[42:43] neg_lo:[0,1] neg_hi:[0,1]
	v_sub_f32_e32 v13, v46, v13
	v_add_f32_e32 v13, v14, v13
	v_add_f32_e32 v13, v13, v15
	;; [unrolled: 1-line block ×3, first 2 shown]
	v_cndmask_b32_e32 v12, v50, v12, vcc
	v_cmp_lt_f32_e64 vcc, |v51|, s31
	s_nop 1
	v_cndmask_b32_e32 v12, v12, v51, vcc
	v_add_f32_e32 v12, v11, v12
.LBB503_59:
	s_or_b64 exec, exec, s[28:29]
	v_bfe_u32 v11, v12, 16, 1
	s_movk_i32 s36, 0x7fff
	v_add3_u32 v11, v12, v11, s36
	v_and_b32_e32 v13, 0xffff0000, v11
	v_mov_b32_e32 v11, 0x7fc00000
	v_cmp_o_f32_e32 vcc, v12, v12
	v_lshlrev_b32_sdwa v40, v10, v3 dst_sel:DWORD dst_unused:UNUSED_PAD src0_sel:DWORD src1_sel:WORD_0
	v_max_f32_e32 v42, v40, v40
	v_cndmask_b32_e32 v12, v11, v13, vcc
	v_max_f32_e32 v10, v12, v12
	v_min_f32_e32 v13, v10, v42
	v_cmp_u_f32_e32 vcc, v12, v12
	v_max_f32_e32 v10, v10, v42
	v_cmp_u_f32_e64 s[28:29], v40, v40
	v_cndmask_b32_e32 v13, v13, v12, vcc
	v_cndmask_b32_e32 v10, v10, v12, vcc
	v_cndmask_b32_e64 v13, v13, v40, s[28:29]
	v_cndmask_b32_e64 v10, v10, v40, s[28:29]
	v_cmp_neq_f32_e32 vcc, v13, v10
	v_cmp_class_f32_e64 s[30:31], v13, s30
	s_or_b64 s[38:39], vcc, s[30:31]
	s_and_saveexec_b64 s[30:31], s[38:39]
	s_cbranch_execz .LBB503_61
; %bb.60:
	v_sub_f32_e32 v12, v13, v10
	s_mov_b32 s37, 0x3fb8aa3b
	v_mul_f32_e32 v13, 0x3fb8aa3b, v12
	v_fma_f32 v14, v12, s37, -v13
	v_rndne_f32_e32 v15, v13
	v_fmamk_f32 v14, v12, 0x32a5705f, v14
	v_sub_f32_e32 v13, v13, v15
	v_add_f32_e32 v13, v13, v14
	v_exp_f32_e32 v13, v13
	v_cvt_i32_f32_e32 v14, v15
	s_mov_b32 s37, 0xc2ce8ed0
	v_cmp_ngt_f32_e32 vcc, s37, v12
	s_mov_b32 s37, 0x42b17218
	v_ldexp_f32 v13, v13, v14
	v_cndmask_b32_e32 v13, 0, v13, vcc
	v_mov_b32_e32 v41, 0x7f800000
	v_cmp_nlt_f32_e32 vcc, s37, v12
	s_mov_b32 s37, 0x3f2aaaab
	s_mov_b32 s38, 0x7f800000
	v_cndmask_b32_e32 v43, v41, v13, vcc
	v_add_f32_e32 v14, 1.0, v43
	v_add_f32_e32 v12, -1.0, v14
	v_sub_f32_e32 v13, v12, v14
	v_add_f32_e32 v13, 1.0, v13
	v_sub_f32_e32 v12, v43, v12
	v_add_f32_e32 v15, v12, v13
	v_frexp_mant_f32_e32 v16, v14
	v_cvt_f64_f32_e32 v[12:13], v14
	v_frexp_exp_i32_f64_e32 v12, v[12:13]
	v_cmp_gt_f32_e32 vcc, s37, v16
	s_mov_b32 s37, 0x3f317218
	s_nop 0
	v_subbrev_co_u32_e32 v48, vcc, 0, v12, vcc
	v_sub_u32_e32 v12, 0, v48
	v_ldexp_f32 v13, v14, v12
	v_add_f32_e32 v14, -1.0, v13
	v_add_f32_e32 v16, 1.0, v13
	v_ldexp_f32 v12, v15, v12
	v_add_f32_e32 v15, 1.0, v14
	v_add_f32_e32 v17, -1.0, v16
	v_sub_f32_e32 v15, v13, v15
	v_sub_f32_e32 v13, v13, v17
	v_add_f32_e32 v15, v12, v15
	v_add_f32_e32 v12, v12, v13
	;; [unrolled: 1-line block ×3, first 2 shown]
	v_rcp_f32_e32 v51, v49
	v_sub_f32_e32 v13, v16, v49
	v_add_f32_e32 v50, v12, v13
	v_add_f32_e32 v13, v14, v15
	v_mul_f32_e32 v53, v13, v51
	v_sub_f32_e32 v12, v14, v13
	v_mul_f32_e32 v14, v49, v53
	v_fma_f32 v16, v53, v49, -v14
	v_fmac_f32_e32 v16, v53, v50
	v_add_f32_e32 v52, v15, v12
	v_add_f32_e32 v12, v14, v16
	v_sub_f32_e32 v15, v13, v12
	v_pk_add_f32 v[46:47], v[12:13], v[14:15] neg_lo:[0,1] neg_hi:[0,1]
	v_mov_b32_e32 v17, v12
	v_pk_add_f32 v[12:13], v[46:47], v[16:17] neg_lo:[0,1] neg_hi:[0,1]
	v_cmp_neq_f32_e32 vcc, s38, v43
	v_add_f32_e32 v13, v52, v13
	v_add_f32_e32 v12, v12, v13
	;; [unrolled: 1-line block ×3, first 2 shown]
	v_mul_f32_e32 v52, v51, v13
	v_mul_f32_e32 v14, v49, v52
	v_fma_f32 v16, v52, v49, -v14
	v_fmac_f32_e32 v16, v52, v50
	v_sub_f32_e32 v15, v15, v13
	v_add_f32_e32 v49, v12, v15
	v_add_f32_e32 v12, v14, v16
	v_sub_f32_e32 v15, v13, v12
	v_pk_add_f32 v[46:47], v[12:13], v[14:15] neg_lo:[0,1] neg_hi:[0,1]
	v_mov_b32_e32 v17, v12
	v_pk_add_f32 v[12:13], v[46:47], v[16:17] neg_lo:[0,1] neg_hi:[0,1]
	v_cvt_f32_i32_e32 v14, v48
	v_add_f32_e32 v13, v49, v13
	v_add_f32_e32 v12, v12, v13
	;; [unrolled: 1-line block ×4, first 2 shown]
	v_sub_f32_e32 v13, v15, v53
	v_mul_f32_e32 v12, v51, v12
	v_sub_f32_e32 v13, v52, v13
	v_add_f32_e32 v12, v13, v12
	v_add_f32_e32 v16, v15, v12
	v_mul_f32_e32 v46, v16, v16
	v_mov_b32_e32 v13, 0x3ecc95a3
	v_sub_f32_e32 v15, v16, v15
	v_fmac_f32_e32 v13, 0x3e9b6dac, v46
	v_sub_f32_e32 v12, v12, v15
	v_fmaak_f32 v13, v46, v13, 0x3f2aaada
	v_ldexp_f32 v47, v12, 1
	v_mul_f32_e32 v15, v16, v46
	v_mov_b32_e32 v12, 0x3f317218
	v_pk_mul_f32 v[12:13], v[14:15], v[12:13]
	v_ldexp_f32 v17, v16, 1
	v_fma_f32 v15, v14, s37, -v12
	v_fmamk_f32 v16, v14, 0xb102e308, v15
	v_pk_add_f32 v[14:15], v[12:13], v[16:17]
	v_mov_b32_e32 v46, v12
	v_sub_f32_e32 v17, v15, v17
	v_sub_f32_e32 v17, v13, v17
	v_add_f32_e32 v47, v47, v17
	v_pk_add_f32 v[12:13], v[14:15], v[12:13] neg_lo:[0,1] neg_hi:[0,1]
	v_pk_add_f32 v[48:49], v[14:15], v[46:47]
	v_mov_b32_e32 v17, v14
	v_mov_b32_e32 v13, v49
	v_pk_add_f32 v[50:51], v[16:17], v[12:13] neg_lo:[0,1] neg_hi:[0,1]
	v_pk_add_f32 v[12:13], v[16:17], v[12:13]
	v_mov_b32_e32 v46, v47
	v_pk_add_f32 v[16:17], v[12:13], v[14:15] op_sel:[1,0] op_sel_hi:[0,1] neg_lo:[0,1] neg_hi:[0,1]
	v_pk_add_f32 v[52:53], v[48:49], v[16:17] op_sel_hi:[1,0] neg_lo:[0,1] neg_hi:[0,1]
	v_mov_b32_e32 v48, v49
	v_mov_b32_e32 v49, v13
	v_pk_mov_b32 v[16:17], v[14:15], v[16:17] op_sel:[1,0]
	v_mov_b32_e32 v47, v14
	v_pk_add_f32 v[16:17], v[48:49], v[16:17] neg_lo:[0,1] neg_hi:[0,1]
	v_mov_b32_e32 v52, v50
	v_pk_add_f32 v[14:15], v[46:47], v[16:17] neg_lo:[0,1] neg_hi:[0,1]
	v_mov_b32_e32 v51, v13
	v_pk_add_f32 v[16:17], v[52:53], v[14:15]
	s_mov_b32 s37, 0x33800000
	v_pk_add_f32 v[46:47], v[16:17], v[16:17] op_sel:[0,1] op_sel_hi:[1,0]
	s_nop 0
	v_pk_add_f32 v[12:13], v[12:13], v[46:47] op_sel:[1,0] op_sel_hi:[0,1]
	v_mov_b32_e32 v17, v12
	v_pk_add_f32 v[48:49], v[16:17], v[50:51] neg_lo:[0,1] neg_hi:[0,1]
	v_mov_b32_e32 v15, v46
	v_sub_f32_e32 v13, v16, v48
	v_pk_add_f32 v[14:15], v[14:15], v[48:49] neg_lo:[0,1] neg_hi:[0,1]
	v_sub_f32_e32 v13, v50, v13
	v_add_f32_e32 v13, v14, v13
	v_add_f32_e32 v13, v13, v15
	;; [unrolled: 1-line block ×3, first 2 shown]
	v_cndmask_b32_e32 v12, v41, v12, vcc
	v_cmp_lt_f32_e64 vcc, |v43|, s37
	s_nop 1
	v_cndmask_b32_e32 v12, v12, v43, vcc
	v_add_f32_e32 v12, v10, v12
.LBB503_61:
	s_or_b64 exec, exec, s[30:31]
	v_bfe_u32 v10, v12, 16, 1
	v_add3_u32 v10, v12, v10, s36
	v_and_b32_e32 v10, 0xffff0000, v10
	v_cmp_o_f32_e32 vcc, v12, v12
	s_movk_i32 s36, 0x1f8
	s_nop 0
	v_cndmask_b32_e32 v11, v11, v10, vcc
	v_mov_b32_e32 v10, 16
	v_lshlrev_b32_sdwa v41, v10, v3 dst_sel:DWORD dst_unused:UNUSED_PAD src0_sel:DWORD src1_sel:WORD_1
	v_max_f32_e32 v10, v11, v11
	v_max_f32_e32 v43, v41, v41
	v_min_f32_e32 v12, v10, v43
	v_cmp_u_f32_e32 vcc, v11, v11
	v_max_f32_e32 v10, v10, v43
	v_cmp_u_f32_e64 s[30:31], v41, v41
	v_cndmask_b32_e32 v12, v12, v11, vcc
	v_cndmask_b32_e32 v10, v10, v11, vcc
	v_cndmask_b32_e64 v12, v12, v41, s[30:31]
	v_cndmask_b32_e64 v10, v10, v41, s[30:31]
	v_cmp_neq_f32_e32 vcc, v12, v10
	v_cmp_class_f32_e64 s[36:37], v12, s36
	s_or_b64 s[38:39], vcc, s[36:37]
	s_and_saveexec_b64 s[36:37], s[38:39]
	s_cbranch_execz .LBB503_63
; %bb.62:
	v_sub_f32_e32 v11, v12, v10
	s_mov_b32 s38, 0x3fb8aa3b
	v_mul_f32_e32 v12, 0x3fb8aa3b, v11
	v_fma_f32 v13, v11, s38, -v12
	v_rndne_f32_e32 v14, v12
	v_fmamk_f32 v13, v11, 0x32a5705f, v13
	v_sub_f32_e32 v12, v12, v14
	v_add_f32_e32 v12, v12, v13
	v_exp_f32_e32 v12, v12
	v_cvt_i32_f32_e32 v13, v14
	s_mov_b32 s38, 0xc2ce8ed0
	v_cmp_ngt_f32_e32 vcc, s38, v11
	s_mov_b32 s38, 0x42b17218
	v_ldexp_f32 v12, v12, v13
	v_cndmask_b32_e32 v12, 0, v12, vcc
	v_mov_b32_e32 v54, 0x7f800000
	v_cmp_nlt_f32_e32 vcc, s38, v11
	s_mov_b32 s38, 0x3f2aaaab
	s_mov_b32 s39, 0x7f800000
	v_cndmask_b32_e32 v11, v54, v12, vcc
	v_add_f32_e32 v14, 1.0, v11
	v_add_f32_e32 v12, -1.0, v14
	v_sub_f32_e32 v13, v12, v14
	v_add_f32_e32 v13, 1.0, v13
	v_sub_f32_e32 v12, v11, v12
	v_add_f32_e32 v15, v12, v13
	v_frexp_mant_f32_e32 v16, v14
	v_cvt_f64_f32_e32 v[12:13], v14
	v_frexp_exp_i32_f64_e32 v12, v[12:13]
	v_cmp_gt_f32_e32 vcc, s38, v16
	s_mov_b32 s38, 0x3f317218
	s_nop 0
	v_subbrev_co_u32_e32 v48, vcc, 0, v12, vcc
	v_sub_u32_e32 v12, 0, v48
	v_ldexp_f32 v13, v14, v12
	v_add_f32_e32 v14, -1.0, v13
	v_add_f32_e32 v16, 1.0, v13
	v_ldexp_f32 v12, v15, v12
	v_add_f32_e32 v15, 1.0, v14
	v_add_f32_e32 v17, -1.0, v16
	v_sub_f32_e32 v15, v13, v15
	v_sub_f32_e32 v13, v13, v17
	v_add_f32_e32 v15, v12, v15
	v_add_f32_e32 v12, v12, v13
	;; [unrolled: 1-line block ×3, first 2 shown]
	v_rcp_f32_e32 v51, v49
	v_sub_f32_e32 v13, v16, v49
	v_add_f32_e32 v50, v12, v13
	v_add_f32_e32 v13, v14, v15
	v_mul_f32_e32 v53, v13, v51
	v_sub_f32_e32 v12, v14, v13
	v_mul_f32_e32 v14, v49, v53
	v_fma_f32 v16, v53, v49, -v14
	v_fmac_f32_e32 v16, v53, v50
	v_add_f32_e32 v52, v15, v12
	v_add_f32_e32 v12, v14, v16
	v_sub_f32_e32 v15, v13, v12
	v_pk_add_f32 v[46:47], v[12:13], v[14:15] neg_lo:[0,1] neg_hi:[0,1]
	v_mov_b32_e32 v17, v12
	v_pk_add_f32 v[12:13], v[46:47], v[16:17] neg_lo:[0,1] neg_hi:[0,1]
	v_cmp_neq_f32_e32 vcc, s39, v11
	v_add_f32_e32 v13, v52, v13
	v_add_f32_e32 v12, v12, v13
	;; [unrolled: 1-line block ×3, first 2 shown]
	v_mul_f32_e32 v52, v51, v13
	v_mul_f32_e32 v14, v49, v52
	v_fma_f32 v16, v52, v49, -v14
	v_fmac_f32_e32 v16, v52, v50
	v_sub_f32_e32 v15, v15, v13
	v_add_f32_e32 v49, v12, v15
	v_add_f32_e32 v12, v14, v16
	v_sub_f32_e32 v15, v13, v12
	v_pk_add_f32 v[46:47], v[12:13], v[14:15] neg_lo:[0,1] neg_hi:[0,1]
	v_mov_b32_e32 v17, v12
	v_pk_add_f32 v[12:13], v[46:47], v[16:17] neg_lo:[0,1] neg_hi:[0,1]
	v_cvt_f32_i32_e32 v14, v48
	v_add_f32_e32 v13, v49, v13
	v_add_f32_e32 v12, v12, v13
	;; [unrolled: 1-line block ×4, first 2 shown]
	v_sub_f32_e32 v13, v15, v53
	v_mul_f32_e32 v12, v51, v12
	v_sub_f32_e32 v13, v52, v13
	v_add_f32_e32 v12, v13, v12
	v_add_f32_e32 v16, v15, v12
	v_mul_f32_e32 v46, v16, v16
	v_mov_b32_e32 v13, 0x3ecc95a3
	v_sub_f32_e32 v15, v16, v15
	v_fmac_f32_e32 v13, 0x3e9b6dac, v46
	v_sub_f32_e32 v12, v12, v15
	v_fmaak_f32 v13, v46, v13, 0x3f2aaada
	v_ldexp_f32 v47, v12, 1
	v_mul_f32_e32 v15, v16, v46
	v_mov_b32_e32 v12, 0x3f317218
	v_pk_mul_f32 v[12:13], v[14:15], v[12:13]
	v_ldexp_f32 v17, v16, 1
	v_fma_f32 v15, v14, s38, -v12
	v_fmamk_f32 v16, v14, 0xb102e308, v15
	v_pk_add_f32 v[14:15], v[12:13], v[16:17]
	v_mov_b32_e32 v46, v12
	v_sub_f32_e32 v17, v15, v17
	v_sub_f32_e32 v17, v13, v17
	v_add_f32_e32 v47, v47, v17
	v_pk_add_f32 v[12:13], v[14:15], v[12:13] neg_lo:[0,1] neg_hi:[0,1]
	v_pk_add_f32 v[48:49], v[14:15], v[46:47]
	v_mov_b32_e32 v17, v14
	v_mov_b32_e32 v13, v49
	v_pk_add_f32 v[50:51], v[16:17], v[12:13] neg_lo:[0,1] neg_hi:[0,1]
	v_pk_add_f32 v[12:13], v[16:17], v[12:13]
	v_mov_b32_e32 v46, v47
	v_pk_add_f32 v[16:17], v[12:13], v[14:15] op_sel:[1,0] op_sel_hi:[0,1] neg_lo:[0,1] neg_hi:[0,1]
	v_pk_add_f32 v[52:53], v[48:49], v[16:17] op_sel_hi:[1,0] neg_lo:[0,1] neg_hi:[0,1]
	v_mov_b32_e32 v48, v49
	v_mov_b32_e32 v49, v13
	v_pk_mov_b32 v[16:17], v[14:15], v[16:17] op_sel:[1,0]
	v_mov_b32_e32 v47, v14
	v_pk_add_f32 v[16:17], v[48:49], v[16:17] neg_lo:[0,1] neg_hi:[0,1]
	v_mov_b32_e32 v52, v50
	v_pk_add_f32 v[14:15], v[46:47], v[16:17] neg_lo:[0,1] neg_hi:[0,1]
	v_mov_b32_e32 v51, v13
	v_pk_add_f32 v[16:17], v[52:53], v[14:15]
	s_mov_b32 s38, 0x33800000
	v_pk_add_f32 v[46:47], v[16:17], v[16:17] op_sel:[0,1] op_sel_hi:[1,0]
	s_nop 0
	v_pk_add_f32 v[12:13], v[12:13], v[46:47] op_sel:[1,0] op_sel_hi:[0,1]
	v_mov_b32_e32 v17, v12
	v_pk_add_f32 v[48:49], v[16:17], v[50:51] neg_lo:[0,1] neg_hi:[0,1]
	v_mov_b32_e32 v15, v46
	v_sub_f32_e32 v13, v16, v48
	v_pk_add_f32 v[14:15], v[14:15], v[48:49] neg_lo:[0,1] neg_hi:[0,1]
	v_sub_f32_e32 v13, v50, v13
	v_add_f32_e32 v13, v14, v13
	v_add_f32_e32 v13, v13, v15
	v_add_f32_e32 v12, v12, v13
	v_cndmask_b32_e32 v12, v54, v12, vcc
	v_cmp_lt_f32_e64 vcc, |v11|, s38
	s_nop 1
	v_cndmask_b32_e32 v11, v12, v11, vcc
	v_add_f32_e32 v11, v10, v11
.LBB503_63:
	s_or_b64 exec, exec, s[36:37]
	v_bfe_u32 v10, v11, 16, 1
	s_movk_i32 s36, 0x7fff
	v_add3_u32 v10, v11, v10, s36
	v_cmp_o_f32_e32 vcc, v11, v11
	v_mov_b32_e32 v11, 0x7fc0
	s_nop 0
	v_cndmask_b32_sdwa v12, v11, v10, vcc dst_sel:DWORD dst_unused:UNUSED_PAD src0_sel:DWORD src1_sel:WORD_1
	v_mbcnt_lo_u32_b32 v10, -1, 0
	v_mbcnt_hi_u32_b32 v11, -1, v10
	v_and_b32_e32 v10, 15, v11
	v_and_b32_e32 v13, 0xffff, v12
	v_cmp_ne_u32_e32 vcc, 0, v10
	s_nop 0
	v_mov_b32_dpp v14, v13 row_shr:1 row_mask:0xf bank_mask:0xf
	s_and_saveexec_b64 s[38:39], vcc
	s_cbranch_execz .LBB503_67
; %bb.64:
	v_lshlrev_b32_e32 v14, 16, v14
	v_lshlrev_b32_e32 v12, 16, v13
	v_max_f32_e32 v15, v12, v12
	v_max_f32_e32 v16, v14, v14
	v_min_f32_e32 v13, v16, v15
	v_cmp_u_f32_e32 vcc, v14, v14
	v_max_f32_e32 v15, v16, v15
	v_cmp_u_f32_e64 s[36:37], v12, v12
	v_cndmask_b32_e32 v13, v13, v14, vcc
	v_cndmask_b32_e32 v15, v15, v14, vcc
	v_cndmask_b32_e64 v13, v13, v12, s[36:37]
	v_cndmask_b32_e64 v12, v15, v12, s[36:37]
	s_movk_i32 s36, 0x1f8
	v_cmp_neq_f32_e32 vcc, v13, v12
	v_cmp_class_f32_e64 s[36:37], v13, s36
	s_or_b64 s[54:55], vcc, s[36:37]
	s_and_saveexec_b64 s[36:37], s[54:55]
	s_cbranch_execz .LBB503_66
; %bb.65:
	v_sub_f32_e32 v13, v13, v12
	s_mov_b32 s54, 0x3fb8aa3b
	v_mul_f32_e32 v14, 0x3fb8aa3b, v13
	v_fma_f32 v15, v13, s54, -v14
	v_rndne_f32_e32 v16, v14
	v_fmamk_f32 v15, v13, 0x32a5705f, v15
	v_sub_f32_e32 v14, v14, v16
	v_add_f32_e32 v14, v14, v15
	v_exp_f32_e32 v14, v14
	v_cvt_i32_f32_e32 v15, v16
	s_mov_b32 s54, 0xc2ce8ed0
	v_cmp_ngt_f32_e32 vcc, s54, v13
	s_mov_b32 s54, 0x42b17218
	v_ldexp_f32 v14, v14, v15
	v_cndmask_b32_e32 v14, 0, v14, vcc
	v_mov_b32_e32 v56, 0x7f800000
	v_cmp_nlt_f32_e32 vcc, s54, v13
	s_mov_b32 s54, 0x3f2aaaab
	s_mov_b32 s55, 0x7f800000
	v_cndmask_b32_e32 v13, v56, v14, vcc
	v_add_f32_e32 v16, 1.0, v13
	v_add_f32_e32 v14, -1.0, v16
	v_sub_f32_e32 v15, v14, v16
	v_add_f32_e32 v15, 1.0, v15
	v_sub_f32_e32 v14, v13, v14
	v_add_f32_e32 v17, v14, v15
	v_frexp_mant_f32_e32 v46, v16
	v_cvt_f64_f32_e32 v[14:15], v16
	v_frexp_exp_i32_f64_e32 v14, v[14:15]
	v_cmp_gt_f32_e32 vcc, s54, v46
	s_mov_b32 s54, 0x3f317218
	s_nop 0
	v_subbrev_co_u32_e32 v50, vcc, 0, v14, vcc
	v_sub_u32_e32 v14, 0, v50
	v_ldexp_f32 v15, v16, v14
	v_add_f32_e32 v16, -1.0, v15
	v_add_f32_e32 v46, 1.0, v15
	v_ldexp_f32 v14, v17, v14
	v_add_f32_e32 v17, 1.0, v16
	v_add_f32_e32 v47, -1.0, v46
	v_sub_f32_e32 v17, v15, v17
	v_sub_f32_e32 v15, v15, v47
	v_add_f32_e32 v17, v14, v17
	v_add_f32_e32 v14, v14, v15
	;; [unrolled: 1-line block ×3, first 2 shown]
	v_rcp_f32_e32 v53, v51
	v_sub_f32_e32 v15, v46, v51
	v_add_f32_e32 v52, v14, v15
	v_add_f32_e32 v15, v16, v17
	v_mul_f32_e32 v55, v15, v53
	v_sub_f32_e32 v14, v16, v15
	v_mul_f32_e32 v16, v51, v55
	v_fma_f32 v46, v55, v51, -v16
	v_fmac_f32_e32 v46, v55, v52
	v_add_f32_e32 v54, v17, v14
	v_add_f32_e32 v14, v16, v46
	v_sub_f32_e32 v17, v15, v14
	v_pk_add_f32 v[48:49], v[14:15], v[16:17] neg_lo:[0,1] neg_hi:[0,1]
	v_mov_b32_e32 v47, v14
	v_pk_add_f32 v[14:15], v[48:49], v[46:47] neg_lo:[0,1] neg_hi:[0,1]
	v_cmp_neq_f32_e32 vcc, s55, v13
	v_add_f32_e32 v15, v54, v15
	v_add_f32_e32 v14, v14, v15
	;; [unrolled: 1-line block ×3, first 2 shown]
	v_mul_f32_e32 v54, v53, v15
	v_mul_f32_e32 v16, v51, v54
	v_fma_f32 v46, v54, v51, -v16
	v_fmac_f32_e32 v46, v54, v52
	v_sub_f32_e32 v17, v17, v15
	v_add_f32_e32 v51, v14, v17
	v_add_f32_e32 v14, v16, v46
	v_sub_f32_e32 v17, v15, v14
	v_pk_add_f32 v[48:49], v[14:15], v[16:17] neg_lo:[0,1] neg_hi:[0,1]
	v_mov_b32_e32 v47, v14
	v_pk_add_f32 v[14:15], v[48:49], v[46:47] neg_lo:[0,1] neg_hi:[0,1]
	v_cvt_f32_i32_e32 v16, v50
	v_add_f32_e32 v15, v51, v15
	v_add_f32_e32 v14, v14, v15
	;; [unrolled: 1-line block ×4, first 2 shown]
	v_sub_f32_e32 v15, v17, v55
	v_mul_f32_e32 v14, v53, v14
	v_sub_f32_e32 v15, v54, v15
	v_add_f32_e32 v14, v15, v14
	v_add_f32_e32 v46, v17, v14
	v_mul_f32_e32 v48, v46, v46
	v_mov_b32_e32 v15, 0x3ecc95a3
	v_sub_f32_e32 v17, v46, v17
	v_fmac_f32_e32 v15, 0x3e9b6dac, v48
	v_sub_f32_e32 v14, v14, v17
	v_fmaak_f32 v15, v48, v15, 0x3f2aaada
	v_ldexp_f32 v49, v14, 1
	v_mul_f32_e32 v17, v46, v48
	v_mov_b32_e32 v14, 0x3f317218
	v_pk_mul_f32 v[14:15], v[16:17], v[14:15]
	v_ldexp_f32 v47, v46, 1
	v_fma_f32 v17, v16, s54, -v14
	v_fmamk_f32 v46, v16, 0xb102e308, v17
	v_pk_add_f32 v[16:17], v[14:15], v[46:47]
	v_mov_b32_e32 v48, v14
	v_sub_f32_e32 v47, v17, v47
	v_sub_f32_e32 v47, v15, v47
	v_add_f32_e32 v49, v49, v47
	v_pk_add_f32 v[14:15], v[16:17], v[14:15] neg_lo:[0,1] neg_hi:[0,1]
	v_pk_add_f32 v[50:51], v[16:17], v[48:49]
	v_mov_b32_e32 v47, v16
	v_mov_b32_e32 v15, v51
	v_pk_add_f32 v[52:53], v[46:47], v[14:15] neg_lo:[0,1] neg_hi:[0,1]
	v_pk_add_f32 v[14:15], v[46:47], v[14:15]
	v_mov_b32_e32 v48, v49
	v_pk_add_f32 v[46:47], v[14:15], v[16:17] op_sel:[1,0] op_sel_hi:[0,1] neg_lo:[0,1] neg_hi:[0,1]
	v_pk_add_f32 v[54:55], v[50:51], v[46:47] op_sel_hi:[1,0] neg_lo:[0,1] neg_hi:[0,1]
	v_mov_b32_e32 v50, v51
	v_mov_b32_e32 v51, v15
	v_pk_mov_b32 v[46:47], v[16:17], v[46:47] op_sel:[1,0]
	v_mov_b32_e32 v49, v16
	v_pk_add_f32 v[46:47], v[50:51], v[46:47] neg_lo:[0,1] neg_hi:[0,1]
	v_mov_b32_e32 v54, v52
	v_pk_add_f32 v[16:17], v[48:49], v[46:47] neg_lo:[0,1] neg_hi:[0,1]
	v_mov_b32_e32 v53, v15
	v_pk_add_f32 v[46:47], v[54:55], v[16:17]
	s_mov_b32 s54, 0x33800000
	v_pk_add_f32 v[48:49], v[46:47], v[46:47] op_sel:[0,1] op_sel_hi:[1,0]
	s_nop 0
	v_pk_add_f32 v[14:15], v[14:15], v[48:49] op_sel:[1,0] op_sel_hi:[0,1]
	v_mov_b32_e32 v47, v14
	v_pk_add_f32 v[50:51], v[46:47], v[52:53] neg_lo:[0,1] neg_hi:[0,1]
	v_mov_b32_e32 v17, v48
	v_sub_f32_e32 v15, v46, v50
	v_pk_add_f32 v[16:17], v[16:17], v[50:51] neg_lo:[0,1] neg_hi:[0,1]
	v_sub_f32_e32 v15, v52, v15
	v_add_f32_e32 v15, v16, v15
	v_add_f32_e32 v15, v15, v17
	;; [unrolled: 1-line block ×3, first 2 shown]
	v_cndmask_b32_e32 v14, v56, v14, vcc
	v_cmp_lt_f32_e64 vcc, |v13|, s54
	s_nop 1
	v_cndmask_b32_e32 v13, v14, v13, vcc
	v_add_f32_e32 v14, v12, v13
.LBB503_66:
	s_or_b64 exec, exec, s[36:37]
	v_bfe_u32 v12, v14, 16, 1
	s_movk_i32 s36, 0x7fff
	v_add3_u32 v12, v14, v12, s36
	v_cmp_o_f32_e32 vcc, v14, v14
	v_mov_b32_e32 v13, 0x7fc0
	s_nop 0
	v_cndmask_b32_sdwa v12, v13, v12, vcc dst_sel:DWORD dst_unused:UNUSED_PAD src0_sel:DWORD src1_sel:WORD_1
	v_and_b32_e32 v13, 0xffff, v12
.LBB503_67:
	s_or_b64 exec, exec, s[38:39]
	s_nop 0
	v_mov_b32_dpp v14, v13 row_shr:2 row_mask:0xf bank_mask:0xf
	v_cmp_lt_u32_e32 vcc, 1, v10
	s_and_saveexec_b64 s[38:39], vcc
	s_cbranch_execz .LBB503_71
; %bb.68:
	v_lshlrev_b32_e32 v14, 16, v14
	v_lshlrev_b32_e32 v12, 16, v13
	v_max_f32_e32 v15, v12, v12
	v_max_f32_e32 v16, v14, v14
	v_min_f32_e32 v13, v16, v15
	v_cmp_u_f32_e32 vcc, v14, v14
	v_max_f32_e32 v15, v16, v15
	v_cmp_u_f32_e64 s[36:37], v12, v12
	v_cndmask_b32_e32 v13, v13, v14, vcc
	v_cndmask_b32_e32 v15, v15, v14, vcc
	v_cndmask_b32_e64 v13, v13, v12, s[36:37]
	v_cndmask_b32_e64 v12, v15, v12, s[36:37]
	s_movk_i32 s36, 0x1f8
	v_cmp_neq_f32_e32 vcc, v13, v12
	v_cmp_class_f32_e64 s[36:37], v13, s36
	s_or_b64 s[54:55], vcc, s[36:37]
	s_and_saveexec_b64 s[36:37], s[54:55]
	s_cbranch_execz .LBB503_70
; %bb.69:
	v_sub_f32_e32 v13, v13, v12
	s_mov_b32 s54, 0x3fb8aa3b
	v_mul_f32_e32 v14, 0x3fb8aa3b, v13
	v_fma_f32 v15, v13, s54, -v14
	v_rndne_f32_e32 v16, v14
	v_fmamk_f32 v15, v13, 0x32a5705f, v15
	v_sub_f32_e32 v14, v14, v16
	v_add_f32_e32 v14, v14, v15
	v_exp_f32_e32 v14, v14
	v_cvt_i32_f32_e32 v15, v16
	s_mov_b32 s54, 0xc2ce8ed0
	v_cmp_ngt_f32_e32 vcc, s54, v13
	s_mov_b32 s54, 0x42b17218
	v_ldexp_f32 v14, v14, v15
	v_cndmask_b32_e32 v14, 0, v14, vcc
	v_mov_b32_e32 v56, 0x7f800000
	v_cmp_nlt_f32_e32 vcc, s54, v13
	s_mov_b32 s54, 0x3f2aaaab
	s_mov_b32 s55, 0x7f800000
	v_cndmask_b32_e32 v13, v56, v14, vcc
	v_add_f32_e32 v16, 1.0, v13
	v_add_f32_e32 v14, -1.0, v16
	v_sub_f32_e32 v15, v14, v16
	v_add_f32_e32 v15, 1.0, v15
	v_sub_f32_e32 v14, v13, v14
	v_add_f32_e32 v17, v14, v15
	v_frexp_mant_f32_e32 v46, v16
	v_cvt_f64_f32_e32 v[14:15], v16
	v_frexp_exp_i32_f64_e32 v14, v[14:15]
	v_cmp_gt_f32_e32 vcc, s54, v46
	s_mov_b32 s54, 0x3f317218
	s_nop 0
	v_subbrev_co_u32_e32 v50, vcc, 0, v14, vcc
	v_sub_u32_e32 v14, 0, v50
	v_ldexp_f32 v15, v16, v14
	v_add_f32_e32 v16, -1.0, v15
	v_add_f32_e32 v46, 1.0, v15
	v_ldexp_f32 v14, v17, v14
	v_add_f32_e32 v17, 1.0, v16
	v_add_f32_e32 v47, -1.0, v46
	v_sub_f32_e32 v17, v15, v17
	v_sub_f32_e32 v15, v15, v47
	v_add_f32_e32 v17, v14, v17
	v_add_f32_e32 v14, v14, v15
	v_add_f32_e32 v51, v46, v14
	v_rcp_f32_e32 v53, v51
	v_sub_f32_e32 v15, v46, v51
	v_add_f32_e32 v52, v14, v15
	v_add_f32_e32 v15, v16, v17
	v_mul_f32_e32 v55, v15, v53
	v_sub_f32_e32 v14, v16, v15
	v_mul_f32_e32 v16, v51, v55
	v_fma_f32 v46, v55, v51, -v16
	v_fmac_f32_e32 v46, v55, v52
	v_add_f32_e32 v54, v17, v14
	v_add_f32_e32 v14, v16, v46
	v_sub_f32_e32 v17, v15, v14
	v_pk_add_f32 v[48:49], v[14:15], v[16:17] neg_lo:[0,1] neg_hi:[0,1]
	v_mov_b32_e32 v47, v14
	v_pk_add_f32 v[14:15], v[48:49], v[46:47] neg_lo:[0,1] neg_hi:[0,1]
	v_cmp_neq_f32_e32 vcc, s55, v13
	v_add_f32_e32 v15, v54, v15
	v_add_f32_e32 v14, v14, v15
	;; [unrolled: 1-line block ×3, first 2 shown]
	v_mul_f32_e32 v54, v53, v15
	v_mul_f32_e32 v16, v51, v54
	v_fma_f32 v46, v54, v51, -v16
	v_fmac_f32_e32 v46, v54, v52
	v_sub_f32_e32 v17, v17, v15
	v_add_f32_e32 v51, v14, v17
	v_add_f32_e32 v14, v16, v46
	v_sub_f32_e32 v17, v15, v14
	v_pk_add_f32 v[48:49], v[14:15], v[16:17] neg_lo:[0,1] neg_hi:[0,1]
	v_mov_b32_e32 v47, v14
	v_pk_add_f32 v[14:15], v[48:49], v[46:47] neg_lo:[0,1] neg_hi:[0,1]
	v_cvt_f32_i32_e32 v16, v50
	v_add_f32_e32 v15, v51, v15
	v_add_f32_e32 v14, v14, v15
	;; [unrolled: 1-line block ×4, first 2 shown]
	v_sub_f32_e32 v15, v17, v55
	v_mul_f32_e32 v14, v53, v14
	v_sub_f32_e32 v15, v54, v15
	v_add_f32_e32 v14, v15, v14
	v_add_f32_e32 v46, v17, v14
	v_mul_f32_e32 v48, v46, v46
	v_mov_b32_e32 v15, 0x3ecc95a3
	v_sub_f32_e32 v17, v46, v17
	v_fmac_f32_e32 v15, 0x3e9b6dac, v48
	v_sub_f32_e32 v14, v14, v17
	v_fmaak_f32 v15, v48, v15, 0x3f2aaada
	v_ldexp_f32 v49, v14, 1
	v_mul_f32_e32 v17, v46, v48
	v_mov_b32_e32 v14, 0x3f317218
	v_pk_mul_f32 v[14:15], v[16:17], v[14:15]
	v_ldexp_f32 v47, v46, 1
	v_fma_f32 v17, v16, s54, -v14
	v_fmamk_f32 v46, v16, 0xb102e308, v17
	v_pk_add_f32 v[16:17], v[14:15], v[46:47]
	v_mov_b32_e32 v48, v14
	v_sub_f32_e32 v47, v17, v47
	v_sub_f32_e32 v47, v15, v47
	v_add_f32_e32 v49, v49, v47
	v_pk_add_f32 v[14:15], v[16:17], v[14:15] neg_lo:[0,1] neg_hi:[0,1]
	v_pk_add_f32 v[50:51], v[16:17], v[48:49]
	v_mov_b32_e32 v47, v16
	v_mov_b32_e32 v15, v51
	v_pk_add_f32 v[52:53], v[46:47], v[14:15] neg_lo:[0,1] neg_hi:[0,1]
	v_pk_add_f32 v[14:15], v[46:47], v[14:15]
	v_mov_b32_e32 v48, v49
	v_pk_add_f32 v[46:47], v[14:15], v[16:17] op_sel:[1,0] op_sel_hi:[0,1] neg_lo:[0,1] neg_hi:[0,1]
	v_pk_add_f32 v[54:55], v[50:51], v[46:47] op_sel_hi:[1,0] neg_lo:[0,1] neg_hi:[0,1]
	v_mov_b32_e32 v50, v51
	v_mov_b32_e32 v51, v15
	v_pk_mov_b32 v[46:47], v[16:17], v[46:47] op_sel:[1,0]
	v_mov_b32_e32 v49, v16
	v_pk_add_f32 v[46:47], v[50:51], v[46:47] neg_lo:[0,1] neg_hi:[0,1]
	v_mov_b32_e32 v54, v52
	v_pk_add_f32 v[16:17], v[48:49], v[46:47] neg_lo:[0,1] neg_hi:[0,1]
	v_mov_b32_e32 v53, v15
	v_pk_add_f32 v[46:47], v[54:55], v[16:17]
	s_mov_b32 s54, 0x33800000
	v_pk_add_f32 v[48:49], v[46:47], v[46:47] op_sel:[0,1] op_sel_hi:[1,0]
	s_nop 0
	v_pk_add_f32 v[14:15], v[14:15], v[48:49] op_sel:[1,0] op_sel_hi:[0,1]
	v_mov_b32_e32 v47, v14
	v_pk_add_f32 v[50:51], v[46:47], v[52:53] neg_lo:[0,1] neg_hi:[0,1]
	v_mov_b32_e32 v17, v48
	v_sub_f32_e32 v15, v46, v50
	v_pk_add_f32 v[16:17], v[16:17], v[50:51] neg_lo:[0,1] neg_hi:[0,1]
	v_sub_f32_e32 v15, v52, v15
	v_add_f32_e32 v15, v16, v15
	v_add_f32_e32 v15, v15, v17
	;; [unrolled: 1-line block ×3, first 2 shown]
	v_cndmask_b32_e32 v14, v56, v14, vcc
	v_cmp_lt_f32_e64 vcc, |v13|, s54
	s_nop 1
	v_cndmask_b32_e32 v13, v14, v13, vcc
	v_add_f32_e32 v14, v12, v13
.LBB503_70:
	s_or_b64 exec, exec, s[36:37]
	v_bfe_u32 v12, v14, 16, 1
	s_movk_i32 s36, 0x7fff
	v_add3_u32 v12, v14, v12, s36
	v_cmp_o_f32_e32 vcc, v14, v14
	v_mov_b32_e32 v13, 0x7fc0
	s_nop 0
	v_cndmask_b32_sdwa v12, v13, v12, vcc dst_sel:DWORD dst_unused:UNUSED_PAD src0_sel:DWORD src1_sel:WORD_1
	v_and_b32_e32 v13, 0xffff, v12
.LBB503_71:
	s_or_b64 exec, exec, s[38:39]
	s_nop 0
	v_mov_b32_dpp v14, v13 row_shr:4 row_mask:0xf bank_mask:0xf
	v_cmp_lt_u32_e32 vcc, 3, v10
	s_and_saveexec_b64 s[38:39], vcc
	s_cbranch_execz .LBB503_75
; %bb.72:
	v_lshlrev_b32_e32 v14, 16, v14
	v_lshlrev_b32_e32 v12, 16, v13
	v_max_f32_e32 v15, v12, v12
	v_max_f32_e32 v16, v14, v14
	v_min_f32_e32 v13, v16, v15
	v_cmp_u_f32_e32 vcc, v14, v14
	v_max_f32_e32 v15, v16, v15
	v_cmp_u_f32_e64 s[36:37], v12, v12
	v_cndmask_b32_e32 v13, v13, v14, vcc
	v_cndmask_b32_e32 v15, v15, v14, vcc
	v_cndmask_b32_e64 v13, v13, v12, s[36:37]
	v_cndmask_b32_e64 v12, v15, v12, s[36:37]
	s_movk_i32 s36, 0x1f8
	v_cmp_neq_f32_e32 vcc, v13, v12
	v_cmp_class_f32_e64 s[36:37], v13, s36
	s_or_b64 s[54:55], vcc, s[36:37]
	s_and_saveexec_b64 s[36:37], s[54:55]
	s_cbranch_execz .LBB503_74
; %bb.73:
	v_sub_f32_e32 v13, v13, v12
	s_mov_b32 s54, 0x3fb8aa3b
	v_mul_f32_e32 v14, 0x3fb8aa3b, v13
	v_fma_f32 v15, v13, s54, -v14
	v_rndne_f32_e32 v16, v14
	v_fmamk_f32 v15, v13, 0x32a5705f, v15
	v_sub_f32_e32 v14, v14, v16
	v_add_f32_e32 v14, v14, v15
	v_exp_f32_e32 v14, v14
	v_cvt_i32_f32_e32 v15, v16
	s_mov_b32 s54, 0xc2ce8ed0
	v_cmp_ngt_f32_e32 vcc, s54, v13
	s_mov_b32 s54, 0x42b17218
	v_ldexp_f32 v14, v14, v15
	v_cndmask_b32_e32 v14, 0, v14, vcc
	v_mov_b32_e32 v56, 0x7f800000
	v_cmp_nlt_f32_e32 vcc, s54, v13
	s_mov_b32 s54, 0x3f2aaaab
	s_mov_b32 s55, 0x7f800000
	v_cndmask_b32_e32 v13, v56, v14, vcc
	v_add_f32_e32 v16, 1.0, v13
	v_add_f32_e32 v14, -1.0, v16
	v_sub_f32_e32 v15, v14, v16
	v_add_f32_e32 v15, 1.0, v15
	v_sub_f32_e32 v14, v13, v14
	v_add_f32_e32 v17, v14, v15
	v_frexp_mant_f32_e32 v46, v16
	v_cvt_f64_f32_e32 v[14:15], v16
	v_frexp_exp_i32_f64_e32 v14, v[14:15]
	v_cmp_gt_f32_e32 vcc, s54, v46
	s_mov_b32 s54, 0x3f317218
	s_nop 0
	v_subbrev_co_u32_e32 v50, vcc, 0, v14, vcc
	v_sub_u32_e32 v14, 0, v50
	v_ldexp_f32 v15, v16, v14
	v_add_f32_e32 v16, -1.0, v15
	v_add_f32_e32 v46, 1.0, v15
	v_ldexp_f32 v14, v17, v14
	v_add_f32_e32 v17, 1.0, v16
	v_add_f32_e32 v47, -1.0, v46
	v_sub_f32_e32 v17, v15, v17
	v_sub_f32_e32 v15, v15, v47
	v_add_f32_e32 v17, v14, v17
	v_add_f32_e32 v14, v14, v15
	;; [unrolled: 1-line block ×3, first 2 shown]
	v_rcp_f32_e32 v53, v51
	v_sub_f32_e32 v15, v46, v51
	v_add_f32_e32 v52, v14, v15
	v_add_f32_e32 v15, v16, v17
	v_mul_f32_e32 v55, v15, v53
	v_sub_f32_e32 v14, v16, v15
	v_mul_f32_e32 v16, v51, v55
	v_fma_f32 v46, v55, v51, -v16
	v_fmac_f32_e32 v46, v55, v52
	v_add_f32_e32 v54, v17, v14
	v_add_f32_e32 v14, v16, v46
	v_sub_f32_e32 v17, v15, v14
	v_pk_add_f32 v[48:49], v[14:15], v[16:17] neg_lo:[0,1] neg_hi:[0,1]
	v_mov_b32_e32 v47, v14
	v_pk_add_f32 v[14:15], v[48:49], v[46:47] neg_lo:[0,1] neg_hi:[0,1]
	v_cmp_neq_f32_e32 vcc, s55, v13
	v_add_f32_e32 v15, v54, v15
	v_add_f32_e32 v14, v14, v15
	;; [unrolled: 1-line block ×3, first 2 shown]
	v_mul_f32_e32 v54, v53, v15
	v_mul_f32_e32 v16, v51, v54
	v_fma_f32 v46, v54, v51, -v16
	v_fmac_f32_e32 v46, v54, v52
	v_sub_f32_e32 v17, v17, v15
	v_add_f32_e32 v51, v14, v17
	v_add_f32_e32 v14, v16, v46
	v_sub_f32_e32 v17, v15, v14
	v_pk_add_f32 v[48:49], v[14:15], v[16:17] neg_lo:[0,1] neg_hi:[0,1]
	v_mov_b32_e32 v47, v14
	v_pk_add_f32 v[14:15], v[48:49], v[46:47] neg_lo:[0,1] neg_hi:[0,1]
	v_cvt_f32_i32_e32 v16, v50
	v_add_f32_e32 v15, v51, v15
	v_add_f32_e32 v14, v14, v15
	;; [unrolled: 1-line block ×4, first 2 shown]
	v_sub_f32_e32 v15, v17, v55
	v_mul_f32_e32 v14, v53, v14
	v_sub_f32_e32 v15, v54, v15
	v_add_f32_e32 v14, v15, v14
	v_add_f32_e32 v46, v17, v14
	v_mul_f32_e32 v48, v46, v46
	v_mov_b32_e32 v15, 0x3ecc95a3
	v_sub_f32_e32 v17, v46, v17
	v_fmac_f32_e32 v15, 0x3e9b6dac, v48
	v_sub_f32_e32 v14, v14, v17
	v_fmaak_f32 v15, v48, v15, 0x3f2aaada
	v_ldexp_f32 v49, v14, 1
	v_mul_f32_e32 v17, v46, v48
	v_mov_b32_e32 v14, 0x3f317218
	v_pk_mul_f32 v[14:15], v[16:17], v[14:15]
	v_ldexp_f32 v47, v46, 1
	v_fma_f32 v17, v16, s54, -v14
	v_fmamk_f32 v46, v16, 0xb102e308, v17
	v_pk_add_f32 v[16:17], v[14:15], v[46:47]
	v_mov_b32_e32 v48, v14
	v_sub_f32_e32 v47, v17, v47
	v_sub_f32_e32 v47, v15, v47
	v_add_f32_e32 v49, v49, v47
	v_pk_add_f32 v[14:15], v[16:17], v[14:15] neg_lo:[0,1] neg_hi:[0,1]
	v_pk_add_f32 v[50:51], v[16:17], v[48:49]
	v_mov_b32_e32 v47, v16
	v_mov_b32_e32 v15, v51
	v_pk_add_f32 v[52:53], v[46:47], v[14:15] neg_lo:[0,1] neg_hi:[0,1]
	v_pk_add_f32 v[14:15], v[46:47], v[14:15]
	v_mov_b32_e32 v48, v49
	v_pk_add_f32 v[46:47], v[14:15], v[16:17] op_sel:[1,0] op_sel_hi:[0,1] neg_lo:[0,1] neg_hi:[0,1]
	v_pk_add_f32 v[54:55], v[50:51], v[46:47] op_sel_hi:[1,0] neg_lo:[0,1] neg_hi:[0,1]
	v_mov_b32_e32 v50, v51
	v_mov_b32_e32 v51, v15
	v_pk_mov_b32 v[46:47], v[16:17], v[46:47] op_sel:[1,0]
	v_mov_b32_e32 v49, v16
	v_pk_add_f32 v[46:47], v[50:51], v[46:47] neg_lo:[0,1] neg_hi:[0,1]
	v_mov_b32_e32 v54, v52
	v_pk_add_f32 v[16:17], v[48:49], v[46:47] neg_lo:[0,1] neg_hi:[0,1]
	v_mov_b32_e32 v53, v15
	v_pk_add_f32 v[46:47], v[54:55], v[16:17]
	s_mov_b32 s54, 0x33800000
	v_pk_add_f32 v[48:49], v[46:47], v[46:47] op_sel:[0,1] op_sel_hi:[1,0]
	s_nop 0
	v_pk_add_f32 v[14:15], v[14:15], v[48:49] op_sel:[1,0] op_sel_hi:[0,1]
	v_mov_b32_e32 v47, v14
	v_pk_add_f32 v[50:51], v[46:47], v[52:53] neg_lo:[0,1] neg_hi:[0,1]
	v_mov_b32_e32 v17, v48
	v_sub_f32_e32 v15, v46, v50
	v_pk_add_f32 v[16:17], v[16:17], v[50:51] neg_lo:[0,1] neg_hi:[0,1]
	v_sub_f32_e32 v15, v52, v15
	v_add_f32_e32 v15, v16, v15
	v_add_f32_e32 v15, v15, v17
	;; [unrolled: 1-line block ×3, first 2 shown]
	v_cndmask_b32_e32 v14, v56, v14, vcc
	v_cmp_lt_f32_e64 vcc, |v13|, s54
	s_nop 1
	v_cndmask_b32_e32 v13, v14, v13, vcc
	v_add_f32_e32 v14, v12, v13
.LBB503_74:
	s_or_b64 exec, exec, s[36:37]
	v_bfe_u32 v12, v14, 16, 1
	s_movk_i32 s36, 0x7fff
	v_add3_u32 v12, v14, v12, s36
	v_cmp_o_f32_e32 vcc, v14, v14
	v_mov_b32_e32 v13, 0x7fc0
	s_nop 0
	v_cndmask_b32_sdwa v12, v13, v12, vcc dst_sel:DWORD dst_unused:UNUSED_PAD src0_sel:DWORD src1_sel:WORD_1
	v_and_b32_e32 v13, 0xffff, v12
.LBB503_75:
	s_or_b64 exec, exec, s[38:39]
	s_nop 0
	v_mov_b32_dpp v14, v13 row_shr:8 row_mask:0xf bank_mask:0xf
	v_cmp_lt_u32_e32 vcc, 7, v10
	s_and_saveexec_b64 s[38:39], vcc
	s_cbranch_execz .LBB503_79
; %bb.76:
	v_lshlrev_b32_e32 v12, 16, v14
	v_lshlrev_b32_e32 v10, 16, v13
	v_max_f32_e32 v14, v10, v10
	v_max_f32_e32 v15, v12, v12
	v_min_f32_e32 v13, v15, v14
	v_cmp_u_f32_e32 vcc, v12, v12
	v_max_f32_e32 v14, v15, v14
	v_cmp_u_f32_e64 s[36:37], v10, v10
	v_cndmask_b32_e32 v13, v13, v12, vcc
	v_cndmask_b32_e32 v14, v14, v12, vcc
	v_cndmask_b32_e64 v13, v13, v10, s[36:37]
	v_cndmask_b32_e64 v10, v14, v10, s[36:37]
	s_movk_i32 s36, 0x1f8
	v_cmp_neq_f32_e32 vcc, v13, v10
	v_cmp_class_f32_e64 s[36:37], v13, s36
	s_or_b64 s[54:55], vcc, s[36:37]
	s_and_saveexec_b64 s[36:37], s[54:55]
	s_cbranch_execz .LBB503_78
; %bb.77:
	v_sub_f32_e32 v12, v13, v10
	s_mov_b32 s54, 0x3fb8aa3b
	v_mul_f32_e32 v13, 0x3fb8aa3b, v12
	v_fma_f32 v14, v12, s54, -v13
	v_rndne_f32_e32 v15, v13
	v_fmamk_f32 v14, v12, 0x32a5705f, v14
	v_sub_f32_e32 v13, v13, v15
	v_add_f32_e32 v13, v13, v14
	v_exp_f32_e32 v13, v13
	v_cvt_i32_f32_e32 v14, v15
	s_mov_b32 s54, 0xc2ce8ed0
	v_cmp_ngt_f32_e32 vcc, s54, v12
	s_mov_b32 s54, 0x42b17218
	v_ldexp_f32 v13, v13, v14
	v_cndmask_b32_e32 v13, 0, v13, vcc
	v_mov_b32_e32 v54, 0x7f800000
	v_cmp_nlt_f32_e32 vcc, s54, v12
	s_mov_b32 s54, 0x3f2aaaab
	s_mov_b32 s55, 0x7f800000
	v_cndmask_b32_e32 v55, v54, v13, vcc
	v_add_f32_e32 v14, 1.0, v55
	v_add_f32_e32 v12, -1.0, v14
	v_sub_f32_e32 v13, v12, v14
	v_add_f32_e32 v13, 1.0, v13
	v_sub_f32_e32 v12, v55, v12
	v_add_f32_e32 v15, v12, v13
	v_frexp_mant_f32_e32 v16, v14
	v_cvt_f64_f32_e32 v[12:13], v14
	v_frexp_exp_i32_f64_e32 v12, v[12:13]
	v_cmp_gt_f32_e32 vcc, s54, v16
	s_mov_b32 s54, 0x3f317218
	s_nop 0
	v_subbrev_co_u32_e32 v48, vcc, 0, v12, vcc
	v_sub_u32_e32 v12, 0, v48
	v_ldexp_f32 v13, v14, v12
	v_add_f32_e32 v14, -1.0, v13
	v_add_f32_e32 v16, 1.0, v13
	v_ldexp_f32 v12, v15, v12
	v_add_f32_e32 v15, 1.0, v14
	v_add_f32_e32 v17, -1.0, v16
	v_sub_f32_e32 v15, v13, v15
	v_sub_f32_e32 v13, v13, v17
	v_add_f32_e32 v15, v12, v15
	v_add_f32_e32 v12, v12, v13
	;; [unrolled: 1-line block ×3, first 2 shown]
	v_rcp_f32_e32 v51, v49
	v_sub_f32_e32 v13, v16, v49
	v_add_f32_e32 v50, v12, v13
	v_add_f32_e32 v13, v14, v15
	v_mul_f32_e32 v53, v13, v51
	v_sub_f32_e32 v12, v14, v13
	v_mul_f32_e32 v14, v49, v53
	v_fma_f32 v16, v53, v49, -v14
	v_fmac_f32_e32 v16, v53, v50
	v_add_f32_e32 v52, v15, v12
	v_add_f32_e32 v12, v14, v16
	v_sub_f32_e32 v15, v13, v12
	v_pk_add_f32 v[46:47], v[12:13], v[14:15] neg_lo:[0,1] neg_hi:[0,1]
	v_mov_b32_e32 v17, v12
	v_pk_add_f32 v[12:13], v[46:47], v[16:17] neg_lo:[0,1] neg_hi:[0,1]
	v_cmp_neq_f32_e32 vcc, s55, v55
	v_add_f32_e32 v13, v52, v13
	v_add_f32_e32 v12, v12, v13
	;; [unrolled: 1-line block ×3, first 2 shown]
	v_mul_f32_e32 v52, v51, v13
	v_mul_f32_e32 v14, v49, v52
	v_fma_f32 v16, v52, v49, -v14
	v_fmac_f32_e32 v16, v52, v50
	v_sub_f32_e32 v15, v15, v13
	v_add_f32_e32 v49, v12, v15
	v_add_f32_e32 v12, v14, v16
	v_sub_f32_e32 v15, v13, v12
	v_pk_add_f32 v[46:47], v[12:13], v[14:15] neg_lo:[0,1] neg_hi:[0,1]
	v_mov_b32_e32 v17, v12
	v_pk_add_f32 v[12:13], v[46:47], v[16:17] neg_lo:[0,1] neg_hi:[0,1]
	v_cvt_f32_i32_e32 v14, v48
	v_add_f32_e32 v13, v49, v13
	v_add_f32_e32 v12, v12, v13
	;; [unrolled: 1-line block ×4, first 2 shown]
	v_sub_f32_e32 v13, v15, v53
	v_mul_f32_e32 v12, v51, v12
	v_sub_f32_e32 v13, v52, v13
	v_add_f32_e32 v12, v13, v12
	v_add_f32_e32 v16, v15, v12
	v_mul_f32_e32 v46, v16, v16
	v_mov_b32_e32 v13, 0x3ecc95a3
	v_sub_f32_e32 v15, v16, v15
	v_fmac_f32_e32 v13, 0x3e9b6dac, v46
	v_sub_f32_e32 v12, v12, v15
	v_fmaak_f32 v13, v46, v13, 0x3f2aaada
	v_ldexp_f32 v47, v12, 1
	v_mul_f32_e32 v15, v16, v46
	v_mov_b32_e32 v12, 0x3f317218
	v_pk_mul_f32 v[12:13], v[14:15], v[12:13]
	v_ldexp_f32 v17, v16, 1
	v_fma_f32 v15, v14, s54, -v12
	v_fmamk_f32 v16, v14, 0xb102e308, v15
	v_pk_add_f32 v[14:15], v[12:13], v[16:17]
	v_mov_b32_e32 v46, v12
	v_sub_f32_e32 v17, v15, v17
	v_sub_f32_e32 v17, v13, v17
	v_add_f32_e32 v47, v47, v17
	v_pk_add_f32 v[12:13], v[14:15], v[12:13] neg_lo:[0,1] neg_hi:[0,1]
	v_pk_add_f32 v[48:49], v[14:15], v[46:47]
	v_mov_b32_e32 v17, v14
	v_mov_b32_e32 v13, v49
	v_pk_add_f32 v[50:51], v[16:17], v[12:13] neg_lo:[0,1] neg_hi:[0,1]
	v_pk_add_f32 v[12:13], v[16:17], v[12:13]
	v_mov_b32_e32 v46, v47
	v_pk_add_f32 v[16:17], v[12:13], v[14:15] op_sel:[1,0] op_sel_hi:[0,1] neg_lo:[0,1] neg_hi:[0,1]
	v_pk_add_f32 v[52:53], v[48:49], v[16:17] op_sel_hi:[1,0] neg_lo:[0,1] neg_hi:[0,1]
	v_mov_b32_e32 v48, v49
	v_mov_b32_e32 v49, v13
	v_pk_mov_b32 v[16:17], v[14:15], v[16:17] op_sel:[1,0]
	v_mov_b32_e32 v47, v14
	v_pk_add_f32 v[16:17], v[48:49], v[16:17] neg_lo:[0,1] neg_hi:[0,1]
	v_mov_b32_e32 v52, v50
	v_pk_add_f32 v[14:15], v[46:47], v[16:17] neg_lo:[0,1] neg_hi:[0,1]
	v_mov_b32_e32 v51, v13
	v_pk_add_f32 v[16:17], v[52:53], v[14:15]
	s_mov_b32 s54, 0x33800000
	v_pk_add_f32 v[46:47], v[16:17], v[16:17] op_sel:[0,1] op_sel_hi:[1,0]
	s_nop 0
	v_pk_add_f32 v[12:13], v[12:13], v[46:47] op_sel:[1,0] op_sel_hi:[0,1]
	v_mov_b32_e32 v17, v12
	v_pk_add_f32 v[48:49], v[16:17], v[50:51] neg_lo:[0,1] neg_hi:[0,1]
	v_mov_b32_e32 v15, v46
	v_sub_f32_e32 v13, v16, v48
	v_pk_add_f32 v[14:15], v[14:15], v[48:49] neg_lo:[0,1] neg_hi:[0,1]
	v_sub_f32_e32 v13, v50, v13
	v_add_f32_e32 v13, v14, v13
	v_add_f32_e32 v13, v13, v15
	v_add_f32_e32 v12, v12, v13
	v_cndmask_b32_e32 v12, v54, v12, vcc
	v_cmp_lt_f32_e64 vcc, |v55|, s54
	s_nop 1
	v_cndmask_b32_e32 v12, v12, v55, vcc
	v_add_f32_e32 v12, v10, v12
.LBB503_78:
	s_or_b64 exec, exec, s[36:37]
	v_bfe_u32 v10, v12, 16, 1
	s_movk_i32 s36, 0x7fff
	v_add3_u32 v10, v12, v10, s36
	v_cmp_o_f32_e32 vcc, v12, v12
	v_mov_b32_e32 v12, 0x7fc0
	s_nop 0
	v_cndmask_b32_sdwa v12, v12, v10, vcc dst_sel:DWORD dst_unused:UNUSED_PAD src0_sel:DWORD src1_sel:WORD_1
	v_and_b32_e32 v13, 0xffff, v12
.LBB503_79:
	s_or_b64 exec, exec, s[38:39]
	v_and_b32_e32 v14, 16, v11
	v_mov_b32_dpp v10, v13 row_bcast:15 row_mask:0xf bank_mask:0xf
	v_cmp_ne_u32_e32 vcc, 0, v14
	s_and_saveexec_b64 s[38:39], vcc
	s_cbranch_execz .LBB503_83
; %bb.80:
	v_lshlrev_b32_e32 v12, 16, v10
	v_lshlrev_b32_e32 v10, 16, v13
	v_max_f32_e32 v14, v10, v10
	v_max_f32_e32 v15, v12, v12
	v_min_f32_e32 v13, v15, v14
	v_cmp_u_f32_e32 vcc, v12, v12
	v_max_f32_e32 v14, v15, v14
	v_cmp_u_f32_e64 s[36:37], v10, v10
	v_cndmask_b32_e32 v13, v13, v12, vcc
	v_cndmask_b32_e32 v14, v14, v12, vcc
	v_cndmask_b32_e64 v13, v13, v10, s[36:37]
	v_cndmask_b32_e64 v10, v14, v10, s[36:37]
	s_movk_i32 s36, 0x1f8
	v_cmp_neq_f32_e32 vcc, v13, v10
	v_cmp_class_f32_e64 s[36:37], v13, s36
	s_or_b64 s[54:55], vcc, s[36:37]
	s_and_saveexec_b64 s[36:37], s[54:55]
	s_cbranch_execz .LBB503_82
; %bb.81:
	v_sub_f32_e32 v12, v13, v10
	s_mov_b32 s54, 0x3fb8aa3b
	v_mul_f32_e32 v13, 0x3fb8aa3b, v12
	v_fma_f32 v14, v12, s54, -v13
	v_rndne_f32_e32 v15, v13
	v_fmamk_f32 v14, v12, 0x32a5705f, v14
	v_sub_f32_e32 v13, v13, v15
	v_add_f32_e32 v13, v13, v14
	v_exp_f32_e32 v13, v13
	v_cvt_i32_f32_e32 v14, v15
	s_mov_b32 s54, 0xc2ce8ed0
	v_cmp_ngt_f32_e32 vcc, s54, v12
	s_mov_b32 s54, 0x42b17218
	v_ldexp_f32 v13, v13, v14
	v_cndmask_b32_e32 v13, 0, v13, vcc
	v_mov_b32_e32 v54, 0x7f800000
	v_cmp_nlt_f32_e32 vcc, s54, v12
	s_mov_b32 s54, 0x3f2aaaab
	s_mov_b32 s55, 0x7f800000
	v_cndmask_b32_e32 v55, v54, v13, vcc
	v_add_f32_e32 v14, 1.0, v55
	v_add_f32_e32 v12, -1.0, v14
	v_sub_f32_e32 v13, v12, v14
	v_add_f32_e32 v13, 1.0, v13
	v_sub_f32_e32 v12, v55, v12
	v_add_f32_e32 v15, v12, v13
	v_frexp_mant_f32_e32 v16, v14
	v_cvt_f64_f32_e32 v[12:13], v14
	v_frexp_exp_i32_f64_e32 v12, v[12:13]
	v_cmp_gt_f32_e32 vcc, s54, v16
	s_mov_b32 s54, 0x3f317218
	s_nop 0
	v_subbrev_co_u32_e32 v48, vcc, 0, v12, vcc
	v_sub_u32_e32 v12, 0, v48
	v_ldexp_f32 v13, v14, v12
	v_add_f32_e32 v14, -1.0, v13
	v_add_f32_e32 v16, 1.0, v13
	v_ldexp_f32 v12, v15, v12
	v_add_f32_e32 v15, 1.0, v14
	v_add_f32_e32 v17, -1.0, v16
	v_sub_f32_e32 v15, v13, v15
	v_sub_f32_e32 v13, v13, v17
	v_add_f32_e32 v15, v12, v15
	v_add_f32_e32 v12, v12, v13
	;; [unrolled: 1-line block ×3, first 2 shown]
	v_rcp_f32_e32 v51, v49
	v_sub_f32_e32 v13, v16, v49
	v_add_f32_e32 v50, v12, v13
	v_add_f32_e32 v13, v14, v15
	v_mul_f32_e32 v53, v13, v51
	v_sub_f32_e32 v12, v14, v13
	v_mul_f32_e32 v14, v49, v53
	v_fma_f32 v16, v53, v49, -v14
	v_fmac_f32_e32 v16, v53, v50
	v_add_f32_e32 v52, v15, v12
	v_add_f32_e32 v12, v14, v16
	v_sub_f32_e32 v15, v13, v12
	v_pk_add_f32 v[46:47], v[12:13], v[14:15] neg_lo:[0,1] neg_hi:[0,1]
	v_mov_b32_e32 v17, v12
	v_pk_add_f32 v[12:13], v[46:47], v[16:17] neg_lo:[0,1] neg_hi:[0,1]
	v_cmp_neq_f32_e32 vcc, s55, v55
	v_add_f32_e32 v13, v52, v13
	v_add_f32_e32 v12, v12, v13
	;; [unrolled: 1-line block ×3, first 2 shown]
	v_mul_f32_e32 v52, v51, v13
	v_mul_f32_e32 v14, v49, v52
	v_fma_f32 v16, v52, v49, -v14
	v_fmac_f32_e32 v16, v52, v50
	v_sub_f32_e32 v15, v15, v13
	v_add_f32_e32 v49, v12, v15
	v_add_f32_e32 v12, v14, v16
	v_sub_f32_e32 v15, v13, v12
	v_pk_add_f32 v[46:47], v[12:13], v[14:15] neg_lo:[0,1] neg_hi:[0,1]
	v_mov_b32_e32 v17, v12
	v_pk_add_f32 v[12:13], v[46:47], v[16:17] neg_lo:[0,1] neg_hi:[0,1]
	v_cvt_f32_i32_e32 v14, v48
	v_add_f32_e32 v13, v49, v13
	v_add_f32_e32 v12, v12, v13
	;; [unrolled: 1-line block ×4, first 2 shown]
	v_sub_f32_e32 v13, v15, v53
	v_mul_f32_e32 v12, v51, v12
	v_sub_f32_e32 v13, v52, v13
	v_add_f32_e32 v12, v13, v12
	v_add_f32_e32 v16, v15, v12
	v_mul_f32_e32 v46, v16, v16
	v_mov_b32_e32 v13, 0x3ecc95a3
	v_sub_f32_e32 v15, v16, v15
	v_fmac_f32_e32 v13, 0x3e9b6dac, v46
	v_sub_f32_e32 v12, v12, v15
	v_fmaak_f32 v13, v46, v13, 0x3f2aaada
	v_ldexp_f32 v47, v12, 1
	v_mul_f32_e32 v15, v16, v46
	v_mov_b32_e32 v12, 0x3f317218
	v_pk_mul_f32 v[12:13], v[14:15], v[12:13]
	v_ldexp_f32 v17, v16, 1
	v_fma_f32 v15, v14, s54, -v12
	v_fmamk_f32 v16, v14, 0xb102e308, v15
	v_pk_add_f32 v[14:15], v[12:13], v[16:17]
	v_mov_b32_e32 v46, v12
	v_sub_f32_e32 v17, v15, v17
	v_sub_f32_e32 v17, v13, v17
	v_add_f32_e32 v47, v47, v17
	v_pk_add_f32 v[12:13], v[14:15], v[12:13] neg_lo:[0,1] neg_hi:[0,1]
	v_pk_add_f32 v[48:49], v[14:15], v[46:47]
	v_mov_b32_e32 v17, v14
	v_mov_b32_e32 v13, v49
	v_pk_add_f32 v[50:51], v[16:17], v[12:13] neg_lo:[0,1] neg_hi:[0,1]
	v_pk_add_f32 v[12:13], v[16:17], v[12:13]
	v_mov_b32_e32 v46, v47
	v_pk_add_f32 v[16:17], v[12:13], v[14:15] op_sel:[1,0] op_sel_hi:[0,1] neg_lo:[0,1] neg_hi:[0,1]
	v_pk_add_f32 v[52:53], v[48:49], v[16:17] op_sel_hi:[1,0] neg_lo:[0,1] neg_hi:[0,1]
	v_mov_b32_e32 v48, v49
	v_mov_b32_e32 v49, v13
	v_pk_mov_b32 v[16:17], v[14:15], v[16:17] op_sel:[1,0]
	v_mov_b32_e32 v47, v14
	v_pk_add_f32 v[16:17], v[48:49], v[16:17] neg_lo:[0,1] neg_hi:[0,1]
	v_mov_b32_e32 v52, v50
	v_pk_add_f32 v[14:15], v[46:47], v[16:17] neg_lo:[0,1] neg_hi:[0,1]
	v_mov_b32_e32 v51, v13
	v_pk_add_f32 v[16:17], v[52:53], v[14:15]
	s_mov_b32 s54, 0x33800000
	v_pk_add_f32 v[46:47], v[16:17], v[16:17] op_sel:[0,1] op_sel_hi:[1,0]
	s_nop 0
	v_pk_add_f32 v[12:13], v[12:13], v[46:47] op_sel:[1,0] op_sel_hi:[0,1]
	v_mov_b32_e32 v17, v12
	v_pk_add_f32 v[48:49], v[16:17], v[50:51] neg_lo:[0,1] neg_hi:[0,1]
	v_mov_b32_e32 v15, v46
	v_sub_f32_e32 v13, v16, v48
	v_pk_add_f32 v[14:15], v[14:15], v[48:49] neg_lo:[0,1] neg_hi:[0,1]
	v_sub_f32_e32 v13, v50, v13
	v_add_f32_e32 v13, v14, v13
	v_add_f32_e32 v13, v13, v15
	;; [unrolled: 1-line block ×3, first 2 shown]
	v_cndmask_b32_e32 v12, v54, v12, vcc
	v_cmp_lt_f32_e64 vcc, |v55|, s54
	s_nop 1
	v_cndmask_b32_e32 v12, v12, v55, vcc
	v_add_f32_e32 v12, v10, v12
.LBB503_82:
	s_or_b64 exec, exec, s[36:37]
	v_bfe_u32 v10, v12, 16, 1
	s_movk_i32 s36, 0x7fff
	v_add3_u32 v10, v12, v10, s36
	v_cmp_o_f32_e32 vcc, v12, v12
	v_mov_b32_e32 v12, 0x7fc0
	s_nop 0
	v_cndmask_b32_sdwa v12, v12, v10, vcc dst_sel:DWORD dst_unused:UNUSED_PAD src0_sel:DWORD src1_sel:WORD_1
	v_and_b32_e32 v13, 0xffff, v12
.LBB503_83:
	s_or_b64 exec, exec, s[38:39]
	s_nop 0
	v_mov_b32_dpp v10, v13 row_bcast:31 row_mask:0xf bank_mask:0xf
	v_cmp_lt_u32_e32 vcc, 31, v11
	s_and_saveexec_b64 s[38:39], vcc
	s_cbranch_execz .LBB503_87
; %bb.84:
	v_lshlrev_b32_e32 v12, 16, v10
	v_lshlrev_b32_e32 v10, 16, v13
	v_max_f32_e32 v14, v10, v10
	v_max_f32_e32 v15, v12, v12
	v_min_f32_e32 v13, v15, v14
	v_cmp_u_f32_e32 vcc, v12, v12
	v_max_f32_e32 v14, v15, v14
	v_cmp_u_f32_e64 s[36:37], v10, v10
	v_cndmask_b32_e32 v13, v13, v12, vcc
	v_cndmask_b32_e32 v14, v14, v12, vcc
	v_cndmask_b32_e64 v13, v13, v10, s[36:37]
	v_cndmask_b32_e64 v10, v14, v10, s[36:37]
	s_movk_i32 s36, 0x1f8
	v_cmp_neq_f32_e32 vcc, v13, v10
	v_cmp_class_f32_e64 s[36:37], v13, s36
	s_or_b64 s[54:55], vcc, s[36:37]
	s_and_saveexec_b64 s[36:37], s[54:55]
	s_cbranch_execz .LBB503_86
; %bb.85:
	v_sub_f32_e32 v12, v13, v10
	s_mov_b32 s54, 0x3fb8aa3b
	v_mul_f32_e32 v13, 0x3fb8aa3b, v12
	v_fma_f32 v14, v12, s54, -v13
	v_rndne_f32_e32 v15, v13
	v_fmamk_f32 v14, v12, 0x32a5705f, v14
	v_sub_f32_e32 v13, v13, v15
	v_add_f32_e32 v13, v13, v14
	v_exp_f32_e32 v13, v13
	v_cvt_i32_f32_e32 v14, v15
	s_mov_b32 s54, 0xc2ce8ed0
	v_cmp_ngt_f32_e32 vcc, s54, v12
	s_mov_b32 s54, 0x42b17218
	v_ldexp_f32 v13, v13, v14
	v_cndmask_b32_e32 v13, 0, v13, vcc
	v_mov_b32_e32 v54, 0x7f800000
	v_cmp_nlt_f32_e32 vcc, s54, v12
	s_mov_b32 s54, 0x3f2aaaab
	s_mov_b32 s55, 0x7f800000
	v_cndmask_b32_e32 v55, v54, v13, vcc
	v_add_f32_e32 v14, 1.0, v55
	v_add_f32_e32 v12, -1.0, v14
	v_sub_f32_e32 v13, v12, v14
	v_add_f32_e32 v13, 1.0, v13
	v_sub_f32_e32 v12, v55, v12
	v_add_f32_e32 v15, v12, v13
	v_frexp_mant_f32_e32 v16, v14
	v_cvt_f64_f32_e32 v[12:13], v14
	v_frexp_exp_i32_f64_e32 v12, v[12:13]
	v_cmp_gt_f32_e32 vcc, s54, v16
	s_mov_b32 s54, 0x3f317218
	s_nop 0
	v_subbrev_co_u32_e32 v48, vcc, 0, v12, vcc
	v_sub_u32_e32 v12, 0, v48
	v_ldexp_f32 v13, v14, v12
	v_add_f32_e32 v14, -1.0, v13
	v_add_f32_e32 v16, 1.0, v13
	v_ldexp_f32 v12, v15, v12
	v_add_f32_e32 v15, 1.0, v14
	v_add_f32_e32 v17, -1.0, v16
	v_sub_f32_e32 v15, v13, v15
	v_sub_f32_e32 v13, v13, v17
	v_add_f32_e32 v15, v12, v15
	v_add_f32_e32 v12, v12, v13
	;; [unrolled: 1-line block ×3, first 2 shown]
	v_rcp_f32_e32 v51, v49
	v_sub_f32_e32 v13, v16, v49
	v_add_f32_e32 v50, v12, v13
	v_add_f32_e32 v13, v14, v15
	v_mul_f32_e32 v53, v13, v51
	v_sub_f32_e32 v12, v14, v13
	v_mul_f32_e32 v14, v49, v53
	v_fma_f32 v16, v53, v49, -v14
	v_fmac_f32_e32 v16, v53, v50
	v_add_f32_e32 v52, v15, v12
	v_add_f32_e32 v12, v14, v16
	v_sub_f32_e32 v15, v13, v12
	v_pk_add_f32 v[46:47], v[12:13], v[14:15] neg_lo:[0,1] neg_hi:[0,1]
	v_mov_b32_e32 v17, v12
	v_pk_add_f32 v[12:13], v[46:47], v[16:17] neg_lo:[0,1] neg_hi:[0,1]
	v_cmp_neq_f32_e32 vcc, s55, v55
	v_add_f32_e32 v13, v52, v13
	v_add_f32_e32 v12, v12, v13
	;; [unrolled: 1-line block ×3, first 2 shown]
	v_mul_f32_e32 v52, v51, v13
	v_mul_f32_e32 v14, v49, v52
	v_fma_f32 v16, v52, v49, -v14
	v_fmac_f32_e32 v16, v52, v50
	v_sub_f32_e32 v15, v15, v13
	v_add_f32_e32 v49, v12, v15
	v_add_f32_e32 v12, v14, v16
	v_sub_f32_e32 v15, v13, v12
	v_pk_add_f32 v[46:47], v[12:13], v[14:15] neg_lo:[0,1] neg_hi:[0,1]
	v_mov_b32_e32 v17, v12
	v_pk_add_f32 v[12:13], v[46:47], v[16:17] neg_lo:[0,1] neg_hi:[0,1]
	v_cvt_f32_i32_e32 v14, v48
	v_add_f32_e32 v13, v49, v13
	v_add_f32_e32 v12, v12, v13
	;; [unrolled: 1-line block ×4, first 2 shown]
	v_sub_f32_e32 v13, v15, v53
	v_mul_f32_e32 v12, v51, v12
	v_sub_f32_e32 v13, v52, v13
	v_add_f32_e32 v12, v13, v12
	v_add_f32_e32 v16, v15, v12
	v_mul_f32_e32 v46, v16, v16
	v_mov_b32_e32 v13, 0x3ecc95a3
	v_sub_f32_e32 v15, v16, v15
	v_fmac_f32_e32 v13, 0x3e9b6dac, v46
	v_sub_f32_e32 v12, v12, v15
	v_fmaak_f32 v13, v46, v13, 0x3f2aaada
	v_ldexp_f32 v47, v12, 1
	v_mul_f32_e32 v15, v16, v46
	v_mov_b32_e32 v12, 0x3f317218
	v_pk_mul_f32 v[12:13], v[14:15], v[12:13]
	v_ldexp_f32 v17, v16, 1
	v_fma_f32 v15, v14, s54, -v12
	v_fmamk_f32 v16, v14, 0xb102e308, v15
	v_pk_add_f32 v[14:15], v[12:13], v[16:17]
	v_mov_b32_e32 v46, v12
	v_sub_f32_e32 v17, v15, v17
	v_sub_f32_e32 v17, v13, v17
	v_add_f32_e32 v47, v47, v17
	v_pk_add_f32 v[12:13], v[14:15], v[12:13] neg_lo:[0,1] neg_hi:[0,1]
	v_pk_add_f32 v[48:49], v[14:15], v[46:47]
	v_mov_b32_e32 v17, v14
	v_mov_b32_e32 v13, v49
	v_pk_add_f32 v[50:51], v[16:17], v[12:13] neg_lo:[0,1] neg_hi:[0,1]
	v_pk_add_f32 v[12:13], v[16:17], v[12:13]
	v_mov_b32_e32 v46, v47
	v_pk_add_f32 v[16:17], v[12:13], v[14:15] op_sel:[1,0] op_sel_hi:[0,1] neg_lo:[0,1] neg_hi:[0,1]
	v_pk_add_f32 v[52:53], v[48:49], v[16:17] op_sel_hi:[1,0] neg_lo:[0,1] neg_hi:[0,1]
	v_mov_b32_e32 v48, v49
	v_mov_b32_e32 v49, v13
	v_pk_mov_b32 v[16:17], v[14:15], v[16:17] op_sel:[1,0]
	v_mov_b32_e32 v47, v14
	v_pk_add_f32 v[16:17], v[48:49], v[16:17] neg_lo:[0,1] neg_hi:[0,1]
	v_mov_b32_e32 v52, v50
	v_pk_add_f32 v[14:15], v[46:47], v[16:17] neg_lo:[0,1] neg_hi:[0,1]
	v_mov_b32_e32 v51, v13
	v_pk_add_f32 v[16:17], v[52:53], v[14:15]
	s_mov_b32 s54, 0x33800000
	v_pk_add_f32 v[46:47], v[16:17], v[16:17] op_sel:[0,1] op_sel_hi:[1,0]
	s_nop 0
	v_pk_add_f32 v[12:13], v[12:13], v[46:47] op_sel:[1,0] op_sel_hi:[0,1]
	v_mov_b32_e32 v17, v12
	v_pk_add_f32 v[48:49], v[16:17], v[50:51] neg_lo:[0,1] neg_hi:[0,1]
	v_mov_b32_e32 v15, v46
	v_sub_f32_e32 v13, v16, v48
	v_pk_add_f32 v[14:15], v[14:15], v[48:49] neg_lo:[0,1] neg_hi:[0,1]
	v_sub_f32_e32 v13, v50, v13
	v_add_f32_e32 v13, v14, v13
	v_add_f32_e32 v13, v13, v15
	;; [unrolled: 1-line block ×3, first 2 shown]
	v_cndmask_b32_e32 v12, v54, v12, vcc
	v_cmp_lt_f32_e64 vcc, |v55|, s54
	s_nop 1
	v_cndmask_b32_e32 v12, v12, v55, vcc
	v_add_f32_e32 v12, v10, v12
.LBB503_86:
	s_or_b64 exec, exec, s[36:37]
	v_bfe_u32 v10, v12, 16, 1
	s_movk_i32 s36, 0x7fff
	v_add3_u32 v10, v12, v10, s36
	v_cmp_o_f32_e32 vcc, v12, v12
	v_mov_b32_e32 v12, 0x7fc0
	s_nop 0
	v_cndmask_b32_sdwa v12, v12, v10, vcc dst_sel:DWORD dst_unused:UNUSED_PAD src0_sel:DWORD src1_sel:WORD_1
.LBB503_87:
	s_or_b64 exec, exec, s[38:39]
	v_or_b32_e32 v13, 63, v0
	v_lshrrev_b32_e32 v10, 6, v0
	v_cmp_eq_u32_e32 vcc, v0, v13
	s_and_saveexec_b64 s[36:37], vcc
; %bb.88:
	v_lshlrev_b32_e32 v13, 1, v10
	ds_write_b16 v13, v12
; %bb.89:
	s_or_b64 exec, exec, s[36:37]
	v_cmp_gt_u32_e32 vcc, 2, v0
	s_waitcnt lgkmcnt(0)
	s_barrier
	s_and_saveexec_b64 s[38:39], vcc
	s_cbranch_execz .LBB503_95
; %bb.90:
	ds_read_u16 v13, v2
	v_and_b32_e32 v16, 1, v11
	v_cmp_eq_u32_e32 vcc, 1, v16
	s_waitcnt lgkmcnt(0)
	v_and_b32_e32 v15, 0xffff, v13
	s_nop 1
	v_mov_b32_dpp v14, v15 row_shr:1 row_mask:0xf bank_mask:0xf
	s_and_saveexec_b64 s[54:55], vcc
	s_cbranch_execz .LBB503_94
; %bb.91:
	v_lshlrev_b32_e32 v14, 16, v14
	v_lshlrev_b32_e32 v13, 16, v15
	v_max_f32_e32 v16, v13, v13
	v_max_f32_e32 v17, v14, v14
	v_min_f32_e32 v15, v17, v16
	v_cmp_u_f32_e32 vcc, v14, v14
	v_max_f32_e32 v16, v17, v16
	v_cmp_u_f32_e64 s[36:37], v13, v13
	v_cndmask_b32_e32 v15, v15, v14, vcc
	v_cndmask_b32_e32 v16, v16, v14, vcc
	v_cndmask_b32_e64 v15, v15, v13, s[36:37]
	v_cndmask_b32_e64 v13, v16, v13, s[36:37]
	s_movk_i32 s36, 0x1f8
	v_cmp_neq_f32_e32 vcc, v15, v13
	v_cmp_class_f32_e64 s[36:37], v15, s36
	s_or_b64 s[58:59], vcc, s[36:37]
	s_and_saveexec_b64 s[36:37], s[58:59]
	s_cbranch_execz .LBB503_93
; %bb.92:
	v_sub_f32_e32 v14, v15, v13
	s_mov_b32 s58, 0x3fb8aa3b
	v_mul_f32_e32 v15, 0x3fb8aa3b, v14
	v_fma_f32 v16, v14, s58, -v15
	v_rndne_f32_e32 v17, v15
	v_fmamk_f32 v16, v14, 0x32a5705f, v16
	v_sub_f32_e32 v15, v15, v17
	v_add_f32_e32 v15, v15, v16
	v_exp_f32_e32 v15, v15
	v_cvt_i32_f32_e32 v16, v17
	s_mov_b32 s58, 0xc2ce8ed0
	v_cmp_ngt_f32_e32 vcc, s58, v14
	s_mov_b32 s58, 0x42b17218
	v_ldexp_f32 v15, v15, v16
	v_cndmask_b32_e32 v15, 0, v15, vcc
	v_mov_b32_e32 v56, 0x7f800000
	v_cmp_nlt_f32_e32 vcc, s58, v14
	s_mov_b32 s58, 0x3f2aaaab
	s_mov_b32 s59, 0x7f800000
	v_cndmask_b32_e32 v57, v56, v15, vcc
	v_add_f32_e32 v16, 1.0, v57
	v_add_f32_e32 v14, -1.0, v16
	v_sub_f32_e32 v15, v14, v16
	v_add_f32_e32 v15, 1.0, v15
	v_sub_f32_e32 v14, v57, v14
	v_add_f32_e32 v17, v14, v15
	v_frexp_mant_f32_e32 v46, v16
	v_cvt_f64_f32_e32 v[14:15], v16
	v_frexp_exp_i32_f64_e32 v14, v[14:15]
	v_cmp_gt_f32_e32 vcc, s58, v46
	s_mov_b32 s58, 0x3f317218
	s_nop 0
	v_subbrev_co_u32_e32 v50, vcc, 0, v14, vcc
	v_sub_u32_e32 v14, 0, v50
	v_ldexp_f32 v15, v16, v14
	v_add_f32_e32 v16, -1.0, v15
	v_add_f32_e32 v46, 1.0, v15
	v_ldexp_f32 v14, v17, v14
	v_add_f32_e32 v17, 1.0, v16
	v_add_f32_e32 v47, -1.0, v46
	v_sub_f32_e32 v17, v15, v17
	v_sub_f32_e32 v15, v15, v47
	v_add_f32_e32 v17, v14, v17
	v_add_f32_e32 v14, v14, v15
	;; [unrolled: 1-line block ×3, first 2 shown]
	v_rcp_f32_e32 v53, v51
	v_sub_f32_e32 v15, v46, v51
	v_add_f32_e32 v52, v14, v15
	v_add_f32_e32 v15, v16, v17
	v_mul_f32_e32 v55, v15, v53
	v_sub_f32_e32 v14, v16, v15
	v_mul_f32_e32 v16, v51, v55
	v_fma_f32 v46, v55, v51, -v16
	v_fmac_f32_e32 v46, v55, v52
	v_add_f32_e32 v54, v17, v14
	v_add_f32_e32 v14, v16, v46
	v_sub_f32_e32 v17, v15, v14
	v_pk_add_f32 v[48:49], v[14:15], v[16:17] neg_lo:[0,1] neg_hi:[0,1]
	v_mov_b32_e32 v47, v14
	v_pk_add_f32 v[14:15], v[48:49], v[46:47] neg_lo:[0,1] neg_hi:[0,1]
	v_cmp_neq_f32_e32 vcc, s59, v57
	v_add_f32_e32 v15, v54, v15
	v_add_f32_e32 v14, v14, v15
	;; [unrolled: 1-line block ×3, first 2 shown]
	v_mul_f32_e32 v54, v53, v15
	v_mul_f32_e32 v16, v51, v54
	v_fma_f32 v46, v54, v51, -v16
	v_fmac_f32_e32 v46, v54, v52
	v_sub_f32_e32 v17, v17, v15
	v_add_f32_e32 v51, v14, v17
	v_add_f32_e32 v14, v16, v46
	v_sub_f32_e32 v17, v15, v14
	v_pk_add_f32 v[48:49], v[14:15], v[16:17] neg_lo:[0,1] neg_hi:[0,1]
	v_mov_b32_e32 v47, v14
	v_pk_add_f32 v[14:15], v[48:49], v[46:47] neg_lo:[0,1] neg_hi:[0,1]
	v_cvt_f32_i32_e32 v16, v50
	v_add_f32_e32 v15, v51, v15
	v_add_f32_e32 v14, v14, v15
	;; [unrolled: 1-line block ×4, first 2 shown]
	v_sub_f32_e32 v15, v17, v55
	v_mul_f32_e32 v14, v53, v14
	v_sub_f32_e32 v15, v54, v15
	v_add_f32_e32 v14, v15, v14
	v_add_f32_e32 v46, v17, v14
	v_mul_f32_e32 v48, v46, v46
	v_mov_b32_e32 v15, 0x3ecc95a3
	v_sub_f32_e32 v17, v46, v17
	v_fmac_f32_e32 v15, 0x3e9b6dac, v48
	v_sub_f32_e32 v14, v14, v17
	v_fmaak_f32 v15, v48, v15, 0x3f2aaada
	v_ldexp_f32 v49, v14, 1
	v_mul_f32_e32 v17, v46, v48
	v_mov_b32_e32 v14, 0x3f317218
	v_pk_mul_f32 v[14:15], v[16:17], v[14:15]
	v_ldexp_f32 v47, v46, 1
	v_fma_f32 v17, v16, s58, -v14
	v_fmamk_f32 v46, v16, 0xb102e308, v17
	v_pk_add_f32 v[16:17], v[14:15], v[46:47]
	v_mov_b32_e32 v48, v14
	v_sub_f32_e32 v47, v17, v47
	v_sub_f32_e32 v47, v15, v47
	v_add_f32_e32 v49, v49, v47
	v_pk_add_f32 v[14:15], v[16:17], v[14:15] neg_lo:[0,1] neg_hi:[0,1]
	v_pk_add_f32 v[50:51], v[16:17], v[48:49]
	v_mov_b32_e32 v47, v16
	v_mov_b32_e32 v15, v51
	v_pk_add_f32 v[52:53], v[46:47], v[14:15] neg_lo:[0,1] neg_hi:[0,1]
	v_pk_add_f32 v[14:15], v[46:47], v[14:15]
	v_mov_b32_e32 v48, v49
	v_pk_add_f32 v[46:47], v[14:15], v[16:17] op_sel:[1,0] op_sel_hi:[0,1] neg_lo:[0,1] neg_hi:[0,1]
	v_pk_add_f32 v[54:55], v[50:51], v[46:47] op_sel_hi:[1,0] neg_lo:[0,1] neg_hi:[0,1]
	v_mov_b32_e32 v50, v51
	v_mov_b32_e32 v51, v15
	v_pk_mov_b32 v[46:47], v[16:17], v[46:47] op_sel:[1,0]
	v_mov_b32_e32 v49, v16
	v_pk_add_f32 v[46:47], v[50:51], v[46:47] neg_lo:[0,1] neg_hi:[0,1]
	v_mov_b32_e32 v54, v52
	v_pk_add_f32 v[16:17], v[48:49], v[46:47] neg_lo:[0,1] neg_hi:[0,1]
	v_mov_b32_e32 v53, v15
	v_pk_add_f32 v[46:47], v[54:55], v[16:17]
	s_mov_b32 s58, 0x33800000
	v_pk_add_f32 v[48:49], v[46:47], v[46:47] op_sel:[0,1] op_sel_hi:[1,0]
	s_nop 0
	v_pk_add_f32 v[14:15], v[14:15], v[48:49] op_sel:[1,0] op_sel_hi:[0,1]
	v_mov_b32_e32 v47, v14
	v_pk_add_f32 v[50:51], v[46:47], v[52:53] neg_lo:[0,1] neg_hi:[0,1]
	v_mov_b32_e32 v17, v48
	v_sub_f32_e32 v15, v46, v50
	v_pk_add_f32 v[16:17], v[16:17], v[50:51] neg_lo:[0,1] neg_hi:[0,1]
	v_sub_f32_e32 v15, v52, v15
	v_add_f32_e32 v15, v16, v15
	v_add_f32_e32 v15, v15, v17
	;; [unrolled: 1-line block ×3, first 2 shown]
	v_cndmask_b32_e32 v14, v56, v14, vcc
	v_cmp_lt_f32_e64 vcc, |v57|, s58
	s_nop 1
	v_cndmask_b32_e32 v14, v14, v57, vcc
	v_add_f32_e32 v14, v13, v14
.LBB503_93:
	s_or_b64 exec, exec, s[36:37]
	v_bfe_u32 v13, v14, 16, 1
	s_movk_i32 s36, 0x7fff
	v_add3_u32 v13, v14, v13, s36
	v_cmp_o_f32_e32 vcc, v14, v14
	v_mov_b32_e32 v14, 0x7fc0
	s_nop 0
	v_cndmask_b32_sdwa v13, v14, v13, vcc dst_sel:DWORD dst_unused:UNUSED_PAD src0_sel:DWORD src1_sel:WORD_1
.LBB503_94:
	s_or_b64 exec, exec, s[54:55]
	ds_write_b16 v2, v13
.LBB503_95:
	s_or_b64 exec, exec, s[38:39]
	v_cmp_gt_u32_e64 s[38:39], 64, v0
	v_cmp_lt_u32_e32 vcc, 63, v0
	s_waitcnt lgkmcnt(0)
	s_barrier
                                        ; implicit-def: $vgpr46
	s_and_saveexec_b64 s[54:55], vcc
	s_cbranch_execz .LBB503_99
; %bb.96:
	v_lshl_add_u32 v10, v10, 1, -2
	ds_read_u16 v46, v10
	v_lshlrev_b32_e32 v10, 16, v12
	v_max_f32_e32 v14, v10, v10
	v_cmp_u_f32_e64 s[36:37], v10, v10
	s_waitcnt lgkmcnt(0)
	v_lshlrev_b32_e32 v12, 16, v46
	v_max_f32_e32 v15, v12, v12
	v_min_f32_e32 v13, v15, v14
	v_cmp_u_f32_e32 vcc, v12, v12
	v_max_f32_e32 v14, v15, v14
	s_nop 0
	v_cndmask_b32_e32 v13, v13, v12, vcc
	v_cndmask_b32_e32 v14, v14, v12, vcc
	v_cndmask_b32_e64 v13, v13, v10, s[36:37]
	v_cndmask_b32_e64 v10, v14, v10, s[36:37]
	s_movk_i32 s36, 0x1f8
	v_cmp_neq_f32_e32 vcc, v13, v10
	v_cmp_class_f32_e64 s[36:37], v13, s36
	s_or_b64 s[58:59], vcc, s[36:37]
	s_and_saveexec_b64 s[36:37], s[58:59]
	s_cbranch_execz .LBB503_98
; %bb.97:
	v_sub_f32_e32 v12, v13, v10
	s_mov_b32 s58, 0x3fb8aa3b
	v_mul_f32_e32 v13, 0x3fb8aa3b, v12
	v_fma_f32 v14, v12, s58, -v13
	v_rndne_f32_e32 v15, v13
	v_fmamk_f32 v14, v12, 0x32a5705f, v14
	v_sub_f32_e32 v13, v13, v15
	v_add_f32_e32 v13, v13, v14
	v_exp_f32_e32 v13, v13
	v_cvt_i32_f32_e32 v14, v15
	s_mov_b32 s58, 0xc2ce8ed0
	v_cmp_ngt_f32_e32 vcc, s58, v12
	s_mov_b32 s58, 0x42b17218
	v_ldexp_f32 v13, v13, v14
	v_cndmask_b32_e32 v13, 0, v13, vcc
	v_mov_b32_e32 v47, 0x7f800000
	v_cmp_nlt_f32_e32 vcc, s58, v12
	s_mov_b32 s58, 0x3f2aaaab
	s_mov_b32 s59, 0x7f800000
	v_cndmask_b32_e32 v56, v47, v13, vcc
	v_add_f32_e32 v14, 1.0, v56
	v_add_f32_e32 v12, -1.0, v14
	v_sub_f32_e32 v13, v12, v14
	v_add_f32_e32 v13, 1.0, v13
	v_sub_f32_e32 v12, v56, v12
	v_add_f32_e32 v15, v12, v13
	v_frexp_mant_f32_e32 v16, v14
	v_cvt_f64_f32_e32 v[12:13], v14
	v_frexp_exp_i32_f64_e32 v12, v[12:13]
	v_cmp_gt_f32_e32 vcc, s58, v16
	s_mov_b32 s58, 0x3f317218
	s_nop 0
	v_subbrev_co_u32_e32 v50, vcc, 0, v12, vcc
	v_sub_u32_e32 v12, 0, v50
	v_ldexp_f32 v13, v14, v12
	v_add_f32_e32 v14, -1.0, v13
	v_add_f32_e32 v16, 1.0, v13
	v_ldexp_f32 v12, v15, v12
	v_add_f32_e32 v15, 1.0, v14
	v_add_f32_e32 v17, -1.0, v16
	v_sub_f32_e32 v15, v13, v15
	v_sub_f32_e32 v13, v13, v17
	v_add_f32_e32 v15, v12, v15
	v_add_f32_e32 v12, v12, v13
	;; [unrolled: 1-line block ×3, first 2 shown]
	v_rcp_f32_e32 v53, v51
	v_sub_f32_e32 v13, v16, v51
	v_add_f32_e32 v52, v12, v13
	v_add_f32_e32 v13, v14, v15
	v_mul_f32_e32 v55, v13, v53
	v_sub_f32_e32 v12, v14, v13
	v_mul_f32_e32 v14, v51, v55
	v_fma_f32 v16, v55, v51, -v14
	v_fmac_f32_e32 v16, v55, v52
	v_add_f32_e32 v54, v15, v12
	v_add_f32_e32 v12, v14, v16
	v_sub_f32_e32 v15, v13, v12
	v_pk_add_f32 v[48:49], v[12:13], v[14:15] neg_lo:[0,1] neg_hi:[0,1]
	v_mov_b32_e32 v17, v12
	v_pk_add_f32 v[12:13], v[48:49], v[16:17] neg_lo:[0,1] neg_hi:[0,1]
	v_cmp_neq_f32_e32 vcc, s59, v56
	v_add_f32_e32 v13, v54, v13
	v_add_f32_e32 v12, v12, v13
	;; [unrolled: 1-line block ×3, first 2 shown]
	v_mul_f32_e32 v54, v53, v13
	v_mul_f32_e32 v14, v51, v54
	v_fma_f32 v16, v54, v51, -v14
	v_fmac_f32_e32 v16, v54, v52
	v_sub_f32_e32 v15, v15, v13
	v_add_f32_e32 v51, v12, v15
	v_add_f32_e32 v12, v14, v16
	v_sub_f32_e32 v15, v13, v12
	v_pk_add_f32 v[48:49], v[12:13], v[14:15] neg_lo:[0,1] neg_hi:[0,1]
	v_mov_b32_e32 v17, v12
	v_pk_add_f32 v[12:13], v[48:49], v[16:17] neg_lo:[0,1] neg_hi:[0,1]
	v_cvt_f32_i32_e32 v14, v50
	v_add_f32_e32 v13, v51, v13
	v_add_f32_e32 v12, v12, v13
	;; [unrolled: 1-line block ×4, first 2 shown]
	v_sub_f32_e32 v13, v15, v55
	v_mul_f32_e32 v12, v53, v12
	v_sub_f32_e32 v13, v54, v13
	v_add_f32_e32 v12, v13, v12
	v_add_f32_e32 v16, v15, v12
	v_mul_f32_e32 v48, v16, v16
	v_mov_b32_e32 v13, 0x3ecc95a3
	v_sub_f32_e32 v15, v16, v15
	v_fmac_f32_e32 v13, 0x3e9b6dac, v48
	v_sub_f32_e32 v12, v12, v15
	v_fmaak_f32 v13, v48, v13, 0x3f2aaada
	v_ldexp_f32 v49, v12, 1
	v_mul_f32_e32 v15, v16, v48
	v_mov_b32_e32 v12, 0x3f317218
	v_pk_mul_f32 v[12:13], v[14:15], v[12:13]
	v_ldexp_f32 v17, v16, 1
	v_fma_f32 v15, v14, s58, -v12
	v_fmamk_f32 v16, v14, 0xb102e308, v15
	v_pk_add_f32 v[14:15], v[12:13], v[16:17]
	v_mov_b32_e32 v48, v12
	v_sub_f32_e32 v17, v15, v17
	v_sub_f32_e32 v17, v13, v17
	v_add_f32_e32 v49, v49, v17
	v_pk_add_f32 v[12:13], v[14:15], v[12:13] neg_lo:[0,1] neg_hi:[0,1]
	v_pk_add_f32 v[50:51], v[14:15], v[48:49]
	v_mov_b32_e32 v17, v14
	v_mov_b32_e32 v13, v51
	v_pk_add_f32 v[52:53], v[16:17], v[12:13] neg_lo:[0,1] neg_hi:[0,1]
	v_pk_add_f32 v[12:13], v[16:17], v[12:13]
	v_mov_b32_e32 v48, v49
	v_pk_add_f32 v[16:17], v[12:13], v[14:15] op_sel:[1,0] op_sel_hi:[0,1] neg_lo:[0,1] neg_hi:[0,1]
	v_pk_add_f32 v[54:55], v[50:51], v[16:17] op_sel_hi:[1,0] neg_lo:[0,1] neg_hi:[0,1]
	v_mov_b32_e32 v50, v51
	v_mov_b32_e32 v51, v13
	v_pk_mov_b32 v[16:17], v[14:15], v[16:17] op_sel:[1,0]
	v_mov_b32_e32 v49, v14
	v_pk_add_f32 v[16:17], v[50:51], v[16:17] neg_lo:[0,1] neg_hi:[0,1]
	v_mov_b32_e32 v54, v52
	v_pk_add_f32 v[14:15], v[48:49], v[16:17] neg_lo:[0,1] neg_hi:[0,1]
	v_mov_b32_e32 v53, v13
	v_pk_add_f32 v[16:17], v[54:55], v[14:15]
	s_mov_b32 s58, 0x33800000
	v_pk_add_f32 v[48:49], v[16:17], v[16:17] op_sel:[0,1] op_sel_hi:[1,0]
	s_nop 0
	v_pk_add_f32 v[12:13], v[12:13], v[48:49] op_sel:[1,0] op_sel_hi:[0,1]
	v_mov_b32_e32 v17, v12
	v_pk_add_f32 v[50:51], v[16:17], v[52:53] neg_lo:[0,1] neg_hi:[0,1]
	v_mov_b32_e32 v15, v48
	v_sub_f32_e32 v13, v16, v50
	v_pk_add_f32 v[14:15], v[14:15], v[50:51] neg_lo:[0,1] neg_hi:[0,1]
	v_sub_f32_e32 v13, v52, v13
	v_add_f32_e32 v13, v14, v13
	v_add_f32_e32 v13, v13, v15
	;; [unrolled: 1-line block ×3, first 2 shown]
	v_cndmask_b32_e32 v12, v47, v12, vcc
	v_cmp_lt_f32_e64 vcc, |v56|, s58
	s_nop 1
	v_cndmask_b32_e32 v12, v12, v56, vcc
	v_add_f32_e32 v12, v10, v12
.LBB503_98:
	s_or_b64 exec, exec, s[36:37]
	v_bfe_u32 v10, v12, 16, 1
	s_movk_i32 s36, 0x7fff
	v_add3_u32 v10, v12, v10, s36
	v_cmp_o_f32_e32 vcc, v12, v12
	v_mov_b32_e32 v12, 0x7fc0
	s_nop 0
	v_cndmask_b32_sdwa v12, v12, v10, vcc dst_sel:DWORD dst_unused:UNUSED_PAD src0_sel:DWORD src1_sel:WORD_1
.LBB503_99:
	s_or_b64 exec, exec, s[54:55]
	v_subrev_co_u32_e64 v10, s[36:37], 1, v11
	v_and_b32_e32 v13, 64, v11
	v_cmp_lt_i32_e32 vcc, v10, v13
	v_and_b32_e32 v12, 0xffff, v12
	s_nop 0
	v_cndmask_b32_e32 v10, v10, v11, vcc
	v_lshlrev_b32_e32 v10, 2, v10
	ds_bpermute_b32 v47, v10, v12
	s_and_saveexec_b64 s[54:55], s[38:39]
	s_cbranch_execz .LBB503_171
; %bb.100:
	v_mov_b32_e32 v13, 0
	ds_read_u16 v48, v13 offset:2
	s_and_saveexec_b64 s[38:39], s[36:37]
	s_cbranch_execz .LBB503_102
; %bb.101:
	s_add_i32 s58, s61, 64
	s_mov_b32 s59, 0
	s_lshl_b64 s[58:59], s[58:59], 2
	s_add_u32 s58, s56, s58
	s_addc_u32 s59, s57, s59
	s_waitcnt lgkmcnt(0)
	v_or_b32_e32 v10, 0x10000, v48
	global_store_dword v13, v10, s[58:59] sc1
.LBB503_102:
	s_or_b64 exec, exec, s[38:39]
	v_xad_u32 v10, v11, -1, s61
	v_add_u32_e32 v12, 64, v10
	v_lshl_add_u64 v[14:15], v[12:13], 2, s[56:57]
	global_load_dword v16, v[14:15], off sc1
	s_waitcnt vmcnt(0)
	v_lshrrev_b32_e32 v49, 16, v16
	v_cmp_eq_u16_sdwa s[58:59], v49, v13 src0_sel:BYTE_0 src1_sel:DWORD
	s_and_saveexec_b64 s[38:39], s[58:59]
	s_cbranch_execz .LBB503_106
; %bb.103:
	s_mov_b64 s[58:59], 0
	v_mov_b32_e32 v12, 0
.LBB503_104:                            ; =>This Inner Loop Header: Depth=1
	global_load_dword v16, v[14:15], off sc1
	s_waitcnt vmcnt(0)
	v_lshrrev_b32_e32 v49, 16, v16
	v_cmp_ne_u16_sdwa s[62:63], v49, v12 src0_sel:BYTE_0 src1_sel:DWORD
	s_or_b64 s[58:59], s[62:63], s[58:59]
	s_andn2_b64 exec, exec, s[58:59]
	s_cbranch_execnz .LBB503_104
; %bb.105:
	s_or_b64 exec, exec, s[58:59]
.LBB503_106:
	s_or_b64 exec, exec, s[38:39]
	v_and_b32_e32 v50, 63, v11
	v_mov_b32_e32 v12, 2
	v_cmp_ne_u32_e32 vcc, 63, v50
	v_cmp_eq_u16_sdwa s[38:39], v49, v12 src0_sel:BYTE_0 src1_sel:DWORD
	v_lshlrev_b64 v[12:13], v11, -1
	v_addc_co_u32_e32 v15, vcc, 0, v11, vcc
	v_and_b32_e32 v14, s39, v13
	v_lshlrev_b32_e32 v51, 2, v15
	v_and_b32_e32 v15, 0xffff, v16
	v_or_b32_e32 v14, 0x80000000, v14
	ds_bpermute_b32 v17, v51, v15
	v_and_b32_e32 v52, s38, v12
	v_ffbl_b32_e32 v14, v14
	v_add_u32_e32 v14, 32, v14
	v_ffbl_b32_e32 v52, v52
	v_min_u32_e32 v14, v52, v14
	v_cmp_lt_u32_e32 vcc, v50, v14
	s_and_saveexec_b64 s[58:59], vcc
	s_cbranch_execz .LBB503_110
; %bb.107:
	s_waitcnt lgkmcnt(0)
	v_lshlrev_b32_e32 v16, 16, v17
	v_lshlrev_b32_e32 v15, 16, v15
	v_max_f32_e32 v52, v15, v15
	v_max_f32_e32 v53, v16, v16
	v_min_f32_e32 v17, v53, v52
	v_cmp_u_f32_e32 vcc, v16, v16
	v_max_f32_e32 v52, v53, v52
	v_cmp_u_f32_e64 s[38:39], v15, v15
	v_cndmask_b32_e32 v17, v17, v16, vcc
	v_cndmask_b32_e32 v52, v52, v16, vcc
	v_cndmask_b32_e64 v17, v17, v15, s[38:39]
	v_cndmask_b32_e64 v15, v52, v15, s[38:39]
	s_movk_i32 s38, 0x1f8
	v_cmp_neq_f32_e32 vcc, v17, v15
	v_cmp_class_f32_e64 s[38:39], v17, s38
	s_or_b64 s[62:63], vcc, s[38:39]
	s_and_saveexec_b64 s[38:39], s[62:63]
	s_cbranch_execz .LBB503_109
; %bb.108:
	v_sub_f32_e32 v16, v17, v15
	s_mov_b32 s62, 0x3fb8aa3b
	v_mul_f32_e32 v17, 0x3fb8aa3b, v16
	v_fma_f32 v52, v16, s62, -v17
	v_rndne_f32_e32 v53, v17
	v_fmamk_f32 v52, v16, 0x32a5705f, v52
	v_sub_f32_e32 v17, v17, v53
	v_add_f32_e32 v17, v17, v52
	v_exp_f32_e32 v17, v17
	v_cvt_i32_f32_e32 v52, v53
	s_mov_b32 s62, 0xc2ce8ed0
	v_cmp_ngt_f32_e32 vcc, s62, v16
	s_mov_b32 s62, 0x42b17218
	v_ldexp_f32 v17, v17, v52
	v_cndmask_b32_e32 v17, 0, v17, vcc
	v_mov_b32_e32 v64, 0x7f800000
	v_cmp_nlt_f32_e32 vcc, s62, v16
	s_mov_b32 s62, 0x3f2aaaab
	s_mov_b32 s63, 0x7f800000
	v_cndmask_b32_e32 v65, v64, v17, vcc
	v_add_f32_e32 v52, 1.0, v65
	v_add_f32_e32 v16, -1.0, v52
	v_sub_f32_e32 v17, v16, v52
	v_add_f32_e32 v17, 1.0, v17
	v_sub_f32_e32 v16, v65, v16
	v_add_f32_e32 v53, v16, v17
	v_frexp_mant_f32_e32 v54, v52
	v_cvt_f64_f32_e32 v[16:17], v52
	v_frexp_exp_i32_f64_e32 v16, v[16:17]
	v_cmp_gt_f32_e32 vcc, s62, v54
	s_mov_b32 s62, 0x3f317218
	s_nop 0
	v_subbrev_co_u32_e32 v58, vcc, 0, v16, vcc
	v_sub_u32_e32 v16, 0, v58
	v_ldexp_f32 v17, v52, v16
	v_add_f32_e32 v52, -1.0, v17
	v_add_f32_e32 v54, 1.0, v17
	v_ldexp_f32 v16, v53, v16
	v_add_f32_e32 v53, 1.0, v52
	v_add_f32_e32 v55, -1.0, v54
	v_sub_f32_e32 v53, v17, v53
	v_sub_f32_e32 v17, v17, v55
	v_add_f32_e32 v53, v16, v53
	v_add_f32_e32 v16, v16, v17
	;; [unrolled: 1-line block ×3, first 2 shown]
	v_rcp_f32_e32 v61, v59
	v_sub_f32_e32 v17, v54, v59
	v_add_f32_e32 v60, v16, v17
	v_add_f32_e32 v17, v52, v53
	v_mul_f32_e32 v63, v17, v61
	v_sub_f32_e32 v16, v52, v17
	v_mul_f32_e32 v52, v59, v63
	v_fma_f32 v54, v63, v59, -v52
	v_fmac_f32_e32 v54, v63, v60
	v_add_f32_e32 v62, v53, v16
	v_add_f32_e32 v16, v52, v54
	v_sub_f32_e32 v53, v17, v16
	v_pk_add_f32 v[56:57], v[16:17], v[52:53] neg_lo:[0,1] neg_hi:[0,1]
	v_mov_b32_e32 v55, v16
	v_pk_add_f32 v[16:17], v[56:57], v[54:55] neg_lo:[0,1] neg_hi:[0,1]
	v_cmp_neq_f32_e32 vcc, s63, v65
	v_add_f32_e32 v17, v62, v17
	v_add_f32_e32 v16, v16, v17
	;; [unrolled: 1-line block ×3, first 2 shown]
	v_mul_f32_e32 v62, v61, v17
	v_mul_f32_e32 v52, v59, v62
	v_fma_f32 v54, v62, v59, -v52
	v_fmac_f32_e32 v54, v62, v60
	v_sub_f32_e32 v53, v53, v17
	v_add_f32_e32 v59, v16, v53
	v_add_f32_e32 v16, v52, v54
	v_sub_f32_e32 v53, v17, v16
	v_pk_add_f32 v[56:57], v[16:17], v[52:53] neg_lo:[0,1] neg_hi:[0,1]
	v_mov_b32_e32 v55, v16
	v_pk_add_f32 v[16:17], v[56:57], v[54:55] neg_lo:[0,1] neg_hi:[0,1]
	v_cvt_f32_i32_e32 v52, v58
	v_add_f32_e32 v17, v59, v17
	v_add_f32_e32 v16, v16, v17
	;; [unrolled: 1-line block ×4, first 2 shown]
	v_sub_f32_e32 v17, v53, v63
	v_mul_f32_e32 v16, v61, v16
	v_sub_f32_e32 v17, v62, v17
	v_add_f32_e32 v16, v17, v16
	v_add_f32_e32 v54, v53, v16
	v_mul_f32_e32 v56, v54, v54
	v_mov_b32_e32 v17, 0x3ecc95a3
	v_sub_f32_e32 v53, v54, v53
	v_fmac_f32_e32 v17, 0x3e9b6dac, v56
	v_sub_f32_e32 v16, v16, v53
	v_fmaak_f32 v17, v56, v17, 0x3f2aaada
	v_ldexp_f32 v57, v16, 1
	v_mul_f32_e32 v53, v54, v56
	v_mov_b32_e32 v16, 0x3f317218
	v_pk_mul_f32 v[16:17], v[52:53], v[16:17]
	v_ldexp_f32 v55, v54, 1
	v_fma_f32 v53, v52, s62, -v16
	v_fmamk_f32 v54, v52, 0xb102e308, v53
	v_pk_add_f32 v[52:53], v[16:17], v[54:55]
	v_mov_b32_e32 v56, v16
	v_sub_f32_e32 v55, v53, v55
	v_sub_f32_e32 v55, v17, v55
	v_add_f32_e32 v57, v57, v55
	v_pk_add_f32 v[16:17], v[52:53], v[16:17] neg_lo:[0,1] neg_hi:[0,1]
	v_pk_add_f32 v[58:59], v[52:53], v[56:57]
	v_mov_b32_e32 v55, v52
	v_mov_b32_e32 v17, v59
	v_pk_add_f32 v[60:61], v[54:55], v[16:17] neg_lo:[0,1] neg_hi:[0,1]
	v_pk_add_f32 v[16:17], v[54:55], v[16:17]
	v_mov_b32_e32 v56, v57
	v_pk_add_f32 v[54:55], v[16:17], v[52:53] op_sel:[1,0] op_sel_hi:[0,1] neg_lo:[0,1] neg_hi:[0,1]
	v_pk_add_f32 v[62:63], v[58:59], v[54:55] op_sel_hi:[1,0] neg_lo:[0,1] neg_hi:[0,1]
	v_mov_b32_e32 v58, v59
	v_mov_b32_e32 v59, v17
	v_pk_mov_b32 v[54:55], v[52:53], v[54:55] op_sel:[1,0]
	v_mov_b32_e32 v57, v52
	v_pk_add_f32 v[54:55], v[58:59], v[54:55] neg_lo:[0,1] neg_hi:[0,1]
	v_mov_b32_e32 v62, v60
	v_pk_add_f32 v[52:53], v[56:57], v[54:55] neg_lo:[0,1] neg_hi:[0,1]
	v_mov_b32_e32 v61, v17
	v_pk_add_f32 v[54:55], v[62:63], v[52:53]
	s_mov_b32 s62, 0x33800000
	v_pk_add_f32 v[56:57], v[54:55], v[54:55] op_sel:[0,1] op_sel_hi:[1,0]
	s_nop 0
	v_pk_add_f32 v[16:17], v[16:17], v[56:57] op_sel:[1,0] op_sel_hi:[0,1]
	v_mov_b32_e32 v55, v16
	v_pk_add_f32 v[58:59], v[54:55], v[60:61] neg_lo:[0,1] neg_hi:[0,1]
	v_mov_b32_e32 v53, v56
	v_sub_f32_e32 v17, v54, v58
	v_pk_add_f32 v[52:53], v[52:53], v[58:59] neg_lo:[0,1] neg_hi:[0,1]
	v_sub_f32_e32 v17, v60, v17
	v_add_f32_e32 v17, v52, v17
	v_add_f32_e32 v17, v17, v53
	;; [unrolled: 1-line block ×3, first 2 shown]
	v_cndmask_b32_e32 v16, v64, v16, vcc
	v_cmp_lt_f32_e64 vcc, |v65|, s62
	s_nop 1
	v_cndmask_b32_e32 v16, v16, v65, vcc
	v_add_f32_e32 v16, v15, v16
.LBB503_109:
	s_or_b64 exec, exec, s[38:39]
	v_bfe_u32 v15, v16, 16, 1
	s_movk_i32 s38, 0x7fff
	v_add3_u32 v15, v16, v15, s38
	v_cmp_o_f32_e32 vcc, v16, v16
	v_mov_b32_e32 v16, 0x7fc0
	s_nop 0
	v_cndmask_b32_sdwa v16, v16, v15, vcc dst_sel:DWORD dst_unused:UNUSED_PAD src0_sel:DWORD src1_sel:WORD_1
	v_and_b32_e32 v15, 0xffff, v16
.LBB503_110:
	s_or_b64 exec, exec, s[58:59]
	v_cmp_gt_u32_e32 vcc, 62, v50
	v_add_u32_e32 v53, 2, v50
	s_waitcnt lgkmcnt(0)
	v_cndmask_b32_e64 v17, 0, 2, vcc
	v_add_lshl_u32 v52, v17, v11, 2
	ds_bpermute_b32 v17, v52, v15
	v_cmp_le_u32_e32 vcc, v53, v14
	s_and_saveexec_b64 s[58:59], vcc
	s_cbranch_execz .LBB503_114
; %bb.111:
	s_waitcnt lgkmcnt(0)
	v_lshlrev_b32_e32 v16, 16, v17
	v_lshlrev_b32_e32 v15, 16, v15
	v_max_f32_e32 v54, v15, v15
	v_max_f32_e32 v55, v16, v16
	v_min_f32_e32 v17, v55, v54
	v_cmp_u_f32_e32 vcc, v16, v16
	v_max_f32_e32 v54, v55, v54
	v_cmp_u_f32_e64 s[38:39], v15, v15
	v_cndmask_b32_e32 v17, v17, v16, vcc
	v_cndmask_b32_e32 v54, v54, v16, vcc
	v_cndmask_b32_e64 v17, v17, v15, s[38:39]
	v_cndmask_b32_e64 v15, v54, v15, s[38:39]
	s_movk_i32 s38, 0x1f8
	v_cmp_neq_f32_e32 vcc, v17, v15
	v_cmp_class_f32_e64 s[38:39], v17, s38
	s_or_b64 s[62:63], vcc, s[38:39]
	s_and_saveexec_b64 s[38:39], s[62:63]
	s_cbranch_execz .LBB503_113
; %bb.112:
	v_sub_f32_e32 v16, v17, v15
	s_mov_b32 s62, 0x3fb8aa3b
	v_mul_f32_e32 v17, 0x3fb8aa3b, v16
	v_fma_f32 v54, v16, s62, -v17
	v_rndne_f32_e32 v55, v17
	v_fmamk_f32 v54, v16, 0x32a5705f, v54
	v_sub_f32_e32 v17, v17, v55
	v_add_f32_e32 v17, v17, v54
	v_exp_f32_e32 v17, v17
	v_cvt_i32_f32_e32 v54, v55
	s_mov_b32 s62, 0xc2ce8ed0
	v_cmp_ngt_f32_e32 vcc, s62, v16
	s_mov_b32 s62, 0x42b17218
	v_ldexp_f32 v17, v17, v54
	v_cndmask_b32_e32 v17, 0, v17, vcc
	v_mov_b32_e32 v66, 0x7f800000
	v_cmp_nlt_f32_e32 vcc, s62, v16
	s_mov_b32 s62, 0x3f2aaaab
	s_mov_b32 s63, 0x7f800000
	v_cndmask_b32_e32 v67, v66, v17, vcc
	v_add_f32_e32 v54, 1.0, v67
	v_add_f32_e32 v16, -1.0, v54
	v_sub_f32_e32 v17, v16, v54
	v_add_f32_e32 v17, 1.0, v17
	v_sub_f32_e32 v16, v67, v16
	v_add_f32_e32 v55, v16, v17
	v_frexp_mant_f32_e32 v56, v54
	v_cvt_f64_f32_e32 v[16:17], v54
	v_frexp_exp_i32_f64_e32 v16, v[16:17]
	v_cmp_gt_f32_e32 vcc, s62, v56
	s_mov_b32 s62, 0x3f317218
	s_nop 0
	v_subbrev_co_u32_e32 v60, vcc, 0, v16, vcc
	v_sub_u32_e32 v16, 0, v60
	v_ldexp_f32 v17, v54, v16
	v_add_f32_e32 v54, -1.0, v17
	v_add_f32_e32 v56, 1.0, v17
	v_ldexp_f32 v16, v55, v16
	v_add_f32_e32 v55, 1.0, v54
	v_add_f32_e32 v57, -1.0, v56
	v_sub_f32_e32 v55, v17, v55
	v_sub_f32_e32 v17, v17, v57
	v_add_f32_e32 v55, v16, v55
	v_add_f32_e32 v16, v16, v17
	;; [unrolled: 1-line block ×3, first 2 shown]
	v_rcp_f32_e32 v63, v61
	v_sub_f32_e32 v17, v56, v61
	v_add_f32_e32 v62, v16, v17
	v_add_f32_e32 v17, v54, v55
	v_mul_f32_e32 v65, v17, v63
	v_sub_f32_e32 v16, v54, v17
	v_mul_f32_e32 v54, v61, v65
	v_fma_f32 v56, v65, v61, -v54
	v_fmac_f32_e32 v56, v65, v62
	v_add_f32_e32 v64, v55, v16
	v_add_f32_e32 v16, v54, v56
	v_sub_f32_e32 v55, v17, v16
	v_pk_add_f32 v[58:59], v[16:17], v[54:55] neg_lo:[0,1] neg_hi:[0,1]
	v_mov_b32_e32 v57, v16
	v_pk_add_f32 v[16:17], v[58:59], v[56:57] neg_lo:[0,1] neg_hi:[0,1]
	v_cmp_neq_f32_e32 vcc, s63, v67
	v_add_f32_e32 v17, v64, v17
	v_add_f32_e32 v16, v16, v17
	;; [unrolled: 1-line block ×3, first 2 shown]
	v_mul_f32_e32 v64, v63, v17
	v_mul_f32_e32 v54, v61, v64
	v_fma_f32 v56, v64, v61, -v54
	v_fmac_f32_e32 v56, v64, v62
	v_sub_f32_e32 v55, v55, v17
	v_add_f32_e32 v61, v16, v55
	v_add_f32_e32 v16, v54, v56
	v_sub_f32_e32 v55, v17, v16
	v_pk_add_f32 v[58:59], v[16:17], v[54:55] neg_lo:[0,1] neg_hi:[0,1]
	v_mov_b32_e32 v57, v16
	v_pk_add_f32 v[16:17], v[58:59], v[56:57] neg_lo:[0,1] neg_hi:[0,1]
	v_cvt_f32_i32_e32 v54, v60
	v_add_f32_e32 v17, v61, v17
	v_add_f32_e32 v16, v16, v17
	;; [unrolled: 1-line block ×4, first 2 shown]
	v_sub_f32_e32 v17, v55, v65
	v_mul_f32_e32 v16, v63, v16
	v_sub_f32_e32 v17, v64, v17
	v_add_f32_e32 v16, v17, v16
	v_add_f32_e32 v56, v55, v16
	v_mul_f32_e32 v58, v56, v56
	v_mov_b32_e32 v17, 0x3ecc95a3
	v_sub_f32_e32 v55, v56, v55
	v_fmac_f32_e32 v17, 0x3e9b6dac, v58
	v_sub_f32_e32 v16, v16, v55
	v_fmaak_f32 v17, v58, v17, 0x3f2aaada
	v_ldexp_f32 v59, v16, 1
	v_mul_f32_e32 v55, v56, v58
	v_mov_b32_e32 v16, 0x3f317218
	v_pk_mul_f32 v[16:17], v[54:55], v[16:17]
	v_ldexp_f32 v57, v56, 1
	v_fma_f32 v55, v54, s62, -v16
	v_fmamk_f32 v56, v54, 0xb102e308, v55
	v_pk_add_f32 v[54:55], v[16:17], v[56:57]
	v_mov_b32_e32 v58, v16
	v_sub_f32_e32 v57, v55, v57
	v_sub_f32_e32 v57, v17, v57
	v_add_f32_e32 v59, v59, v57
	v_pk_add_f32 v[16:17], v[54:55], v[16:17] neg_lo:[0,1] neg_hi:[0,1]
	v_pk_add_f32 v[60:61], v[54:55], v[58:59]
	v_mov_b32_e32 v57, v54
	v_mov_b32_e32 v17, v61
	v_pk_add_f32 v[62:63], v[56:57], v[16:17] neg_lo:[0,1] neg_hi:[0,1]
	v_pk_add_f32 v[16:17], v[56:57], v[16:17]
	v_mov_b32_e32 v58, v59
	v_pk_add_f32 v[56:57], v[16:17], v[54:55] op_sel:[1,0] op_sel_hi:[0,1] neg_lo:[0,1] neg_hi:[0,1]
	v_pk_add_f32 v[64:65], v[60:61], v[56:57] op_sel_hi:[1,0] neg_lo:[0,1] neg_hi:[0,1]
	v_mov_b32_e32 v60, v61
	v_mov_b32_e32 v61, v17
	v_pk_mov_b32 v[56:57], v[54:55], v[56:57] op_sel:[1,0]
	v_mov_b32_e32 v59, v54
	v_pk_add_f32 v[56:57], v[60:61], v[56:57] neg_lo:[0,1] neg_hi:[0,1]
	v_mov_b32_e32 v64, v62
	v_pk_add_f32 v[54:55], v[58:59], v[56:57] neg_lo:[0,1] neg_hi:[0,1]
	v_mov_b32_e32 v63, v17
	v_pk_add_f32 v[56:57], v[64:65], v[54:55]
	s_mov_b32 s62, 0x33800000
	v_pk_add_f32 v[58:59], v[56:57], v[56:57] op_sel:[0,1] op_sel_hi:[1,0]
	s_nop 0
	v_pk_add_f32 v[16:17], v[16:17], v[58:59] op_sel:[1,0] op_sel_hi:[0,1]
	v_mov_b32_e32 v57, v16
	v_pk_add_f32 v[60:61], v[56:57], v[62:63] neg_lo:[0,1] neg_hi:[0,1]
	v_mov_b32_e32 v55, v58
	v_sub_f32_e32 v17, v56, v60
	v_pk_add_f32 v[54:55], v[54:55], v[60:61] neg_lo:[0,1] neg_hi:[0,1]
	v_sub_f32_e32 v17, v62, v17
	v_add_f32_e32 v17, v54, v17
	v_add_f32_e32 v17, v17, v55
	;; [unrolled: 1-line block ×3, first 2 shown]
	v_cndmask_b32_e32 v16, v66, v16, vcc
	v_cmp_lt_f32_e64 vcc, |v67|, s62
	s_nop 1
	v_cndmask_b32_e32 v16, v16, v67, vcc
	v_add_f32_e32 v16, v15, v16
.LBB503_113:
	s_or_b64 exec, exec, s[38:39]
	v_bfe_u32 v15, v16, 16, 1
	s_movk_i32 s38, 0x7fff
	v_add3_u32 v15, v16, v15, s38
	v_cmp_o_f32_e32 vcc, v16, v16
	v_mov_b32_e32 v16, 0x7fc0
	s_nop 0
	v_cndmask_b32_sdwa v16, v16, v15, vcc dst_sel:DWORD dst_unused:UNUSED_PAD src0_sel:DWORD src1_sel:WORD_1
	v_and_b32_e32 v15, 0xffff, v16
.LBB503_114:
	s_or_b64 exec, exec, s[58:59]
	v_cmp_gt_u32_e32 vcc, 60, v50
	v_add_u32_e32 v55, 4, v50
	s_waitcnt lgkmcnt(0)
	v_cndmask_b32_e64 v17, 0, 4, vcc
	v_add_lshl_u32 v54, v17, v11, 2
	ds_bpermute_b32 v17, v54, v15
	v_cmp_le_u32_e32 vcc, v55, v14
	s_and_saveexec_b64 s[58:59], vcc
	s_cbranch_execz .LBB503_118
; %bb.115:
	s_waitcnt lgkmcnt(0)
	v_lshlrev_b32_e32 v16, 16, v17
	v_lshlrev_b32_e32 v15, 16, v15
	v_max_f32_e32 v56, v15, v15
	v_max_f32_e32 v57, v16, v16
	v_min_f32_e32 v17, v57, v56
	v_cmp_u_f32_e32 vcc, v16, v16
	v_max_f32_e32 v56, v57, v56
	v_cmp_u_f32_e64 s[38:39], v15, v15
	v_cndmask_b32_e32 v17, v17, v16, vcc
	v_cndmask_b32_e32 v56, v56, v16, vcc
	v_cndmask_b32_e64 v17, v17, v15, s[38:39]
	v_cndmask_b32_e64 v15, v56, v15, s[38:39]
	s_movk_i32 s38, 0x1f8
	v_cmp_neq_f32_e32 vcc, v17, v15
	v_cmp_class_f32_e64 s[38:39], v17, s38
	s_or_b64 s[62:63], vcc, s[38:39]
	s_and_saveexec_b64 s[38:39], s[62:63]
	s_cbranch_execz .LBB503_117
; %bb.116:
	v_sub_f32_e32 v16, v17, v15
	s_mov_b32 s62, 0x3fb8aa3b
	v_mul_f32_e32 v17, 0x3fb8aa3b, v16
	v_fma_f32 v56, v16, s62, -v17
	v_rndne_f32_e32 v57, v17
	v_fmamk_f32 v56, v16, 0x32a5705f, v56
	v_sub_f32_e32 v17, v17, v57
	v_add_f32_e32 v17, v17, v56
	v_exp_f32_e32 v17, v17
	v_cvt_i32_f32_e32 v56, v57
	s_mov_b32 s62, 0xc2ce8ed0
	v_cmp_ngt_f32_e32 vcc, s62, v16
	s_mov_b32 s62, 0x42b17218
	v_ldexp_f32 v17, v17, v56
	v_cndmask_b32_e32 v17, 0, v17, vcc
	v_mov_b32_e32 v68, 0x7f800000
	v_cmp_nlt_f32_e32 vcc, s62, v16
	s_mov_b32 s62, 0x3f2aaaab
	s_mov_b32 s63, 0x7f800000
	v_cndmask_b32_e32 v69, v68, v17, vcc
	v_add_f32_e32 v56, 1.0, v69
	v_add_f32_e32 v16, -1.0, v56
	v_sub_f32_e32 v17, v16, v56
	v_add_f32_e32 v17, 1.0, v17
	v_sub_f32_e32 v16, v69, v16
	v_add_f32_e32 v57, v16, v17
	v_frexp_mant_f32_e32 v58, v56
	v_cvt_f64_f32_e32 v[16:17], v56
	v_frexp_exp_i32_f64_e32 v16, v[16:17]
	v_cmp_gt_f32_e32 vcc, s62, v58
	s_mov_b32 s62, 0x3f317218
	s_nop 0
	v_subbrev_co_u32_e32 v62, vcc, 0, v16, vcc
	v_sub_u32_e32 v16, 0, v62
	v_ldexp_f32 v17, v56, v16
	v_add_f32_e32 v56, -1.0, v17
	v_add_f32_e32 v58, 1.0, v17
	v_ldexp_f32 v16, v57, v16
	v_add_f32_e32 v57, 1.0, v56
	v_add_f32_e32 v59, -1.0, v58
	v_sub_f32_e32 v57, v17, v57
	v_sub_f32_e32 v17, v17, v59
	v_add_f32_e32 v57, v16, v57
	v_add_f32_e32 v16, v16, v17
	;; [unrolled: 1-line block ×3, first 2 shown]
	v_rcp_f32_e32 v65, v63
	v_sub_f32_e32 v17, v58, v63
	v_add_f32_e32 v64, v16, v17
	v_add_f32_e32 v17, v56, v57
	v_mul_f32_e32 v67, v17, v65
	v_sub_f32_e32 v16, v56, v17
	v_mul_f32_e32 v56, v63, v67
	v_fma_f32 v58, v67, v63, -v56
	v_fmac_f32_e32 v58, v67, v64
	v_add_f32_e32 v66, v57, v16
	v_add_f32_e32 v16, v56, v58
	v_sub_f32_e32 v57, v17, v16
	v_pk_add_f32 v[60:61], v[16:17], v[56:57] neg_lo:[0,1] neg_hi:[0,1]
	v_mov_b32_e32 v59, v16
	v_pk_add_f32 v[16:17], v[60:61], v[58:59] neg_lo:[0,1] neg_hi:[0,1]
	v_cmp_neq_f32_e32 vcc, s63, v69
	v_add_f32_e32 v17, v66, v17
	v_add_f32_e32 v16, v16, v17
	;; [unrolled: 1-line block ×3, first 2 shown]
	v_mul_f32_e32 v66, v65, v17
	v_mul_f32_e32 v56, v63, v66
	v_fma_f32 v58, v66, v63, -v56
	v_fmac_f32_e32 v58, v66, v64
	v_sub_f32_e32 v57, v57, v17
	v_add_f32_e32 v63, v16, v57
	v_add_f32_e32 v16, v56, v58
	v_sub_f32_e32 v57, v17, v16
	v_pk_add_f32 v[60:61], v[16:17], v[56:57] neg_lo:[0,1] neg_hi:[0,1]
	v_mov_b32_e32 v59, v16
	v_pk_add_f32 v[16:17], v[60:61], v[58:59] neg_lo:[0,1] neg_hi:[0,1]
	v_cvt_f32_i32_e32 v56, v62
	v_add_f32_e32 v17, v63, v17
	v_add_f32_e32 v16, v16, v17
	;; [unrolled: 1-line block ×4, first 2 shown]
	v_sub_f32_e32 v17, v57, v67
	v_mul_f32_e32 v16, v65, v16
	v_sub_f32_e32 v17, v66, v17
	v_add_f32_e32 v16, v17, v16
	v_add_f32_e32 v58, v57, v16
	v_mul_f32_e32 v60, v58, v58
	v_mov_b32_e32 v17, 0x3ecc95a3
	v_sub_f32_e32 v57, v58, v57
	v_fmac_f32_e32 v17, 0x3e9b6dac, v60
	v_sub_f32_e32 v16, v16, v57
	v_fmaak_f32 v17, v60, v17, 0x3f2aaada
	v_ldexp_f32 v61, v16, 1
	v_mul_f32_e32 v57, v58, v60
	v_mov_b32_e32 v16, 0x3f317218
	v_pk_mul_f32 v[16:17], v[56:57], v[16:17]
	v_ldexp_f32 v59, v58, 1
	v_fma_f32 v57, v56, s62, -v16
	v_fmamk_f32 v58, v56, 0xb102e308, v57
	v_pk_add_f32 v[56:57], v[16:17], v[58:59]
	v_mov_b32_e32 v60, v16
	v_sub_f32_e32 v59, v57, v59
	v_sub_f32_e32 v59, v17, v59
	v_add_f32_e32 v61, v61, v59
	v_pk_add_f32 v[16:17], v[56:57], v[16:17] neg_lo:[0,1] neg_hi:[0,1]
	v_pk_add_f32 v[62:63], v[56:57], v[60:61]
	v_mov_b32_e32 v59, v56
	v_mov_b32_e32 v17, v63
	v_pk_add_f32 v[64:65], v[58:59], v[16:17] neg_lo:[0,1] neg_hi:[0,1]
	v_pk_add_f32 v[16:17], v[58:59], v[16:17]
	v_mov_b32_e32 v60, v61
	v_pk_add_f32 v[58:59], v[16:17], v[56:57] op_sel:[1,0] op_sel_hi:[0,1] neg_lo:[0,1] neg_hi:[0,1]
	v_pk_add_f32 v[66:67], v[62:63], v[58:59] op_sel_hi:[1,0] neg_lo:[0,1] neg_hi:[0,1]
	v_mov_b32_e32 v62, v63
	v_mov_b32_e32 v63, v17
	v_pk_mov_b32 v[58:59], v[56:57], v[58:59] op_sel:[1,0]
	v_mov_b32_e32 v61, v56
	v_pk_add_f32 v[58:59], v[62:63], v[58:59] neg_lo:[0,1] neg_hi:[0,1]
	v_mov_b32_e32 v66, v64
	v_pk_add_f32 v[56:57], v[60:61], v[58:59] neg_lo:[0,1] neg_hi:[0,1]
	v_mov_b32_e32 v65, v17
	v_pk_add_f32 v[58:59], v[66:67], v[56:57]
	s_mov_b32 s62, 0x33800000
	v_pk_add_f32 v[60:61], v[58:59], v[58:59] op_sel:[0,1] op_sel_hi:[1,0]
	s_nop 0
	v_pk_add_f32 v[16:17], v[16:17], v[60:61] op_sel:[1,0] op_sel_hi:[0,1]
	v_mov_b32_e32 v59, v16
	v_pk_add_f32 v[62:63], v[58:59], v[64:65] neg_lo:[0,1] neg_hi:[0,1]
	v_mov_b32_e32 v57, v60
	v_sub_f32_e32 v17, v58, v62
	v_pk_add_f32 v[56:57], v[56:57], v[62:63] neg_lo:[0,1] neg_hi:[0,1]
	v_sub_f32_e32 v17, v64, v17
	v_add_f32_e32 v17, v56, v17
	v_add_f32_e32 v17, v17, v57
	;; [unrolled: 1-line block ×3, first 2 shown]
	v_cndmask_b32_e32 v16, v68, v16, vcc
	v_cmp_lt_f32_e64 vcc, |v69|, s62
	s_nop 1
	v_cndmask_b32_e32 v16, v16, v69, vcc
	v_add_f32_e32 v16, v15, v16
.LBB503_117:
	s_or_b64 exec, exec, s[38:39]
	v_bfe_u32 v15, v16, 16, 1
	s_movk_i32 s38, 0x7fff
	v_add3_u32 v15, v16, v15, s38
	v_cmp_o_f32_e32 vcc, v16, v16
	v_mov_b32_e32 v16, 0x7fc0
	s_nop 0
	v_cndmask_b32_sdwa v16, v16, v15, vcc dst_sel:DWORD dst_unused:UNUSED_PAD src0_sel:DWORD src1_sel:WORD_1
	v_and_b32_e32 v15, 0xffff, v16
.LBB503_118:
	s_or_b64 exec, exec, s[58:59]
	v_cmp_gt_u32_e32 vcc, 56, v50
	v_add_u32_e32 v57, 8, v50
	s_waitcnt lgkmcnt(0)
	v_cndmask_b32_e64 v17, 0, 8, vcc
	v_add_lshl_u32 v56, v17, v11, 2
	ds_bpermute_b32 v17, v56, v15
	v_cmp_le_u32_e32 vcc, v57, v14
	s_and_saveexec_b64 s[58:59], vcc
	s_cbranch_execz .LBB503_122
; %bb.119:
	s_waitcnt lgkmcnt(0)
	v_lshlrev_b32_e32 v16, 16, v17
	v_lshlrev_b32_e32 v15, 16, v15
	v_max_f32_e32 v58, v15, v15
	v_max_f32_e32 v59, v16, v16
	v_min_f32_e32 v17, v59, v58
	v_cmp_u_f32_e32 vcc, v16, v16
	v_max_f32_e32 v58, v59, v58
	v_cmp_u_f32_e64 s[38:39], v15, v15
	v_cndmask_b32_e32 v17, v17, v16, vcc
	v_cndmask_b32_e32 v58, v58, v16, vcc
	v_cndmask_b32_e64 v17, v17, v15, s[38:39]
	v_cndmask_b32_e64 v15, v58, v15, s[38:39]
	s_movk_i32 s38, 0x1f8
	v_cmp_neq_f32_e32 vcc, v17, v15
	v_cmp_class_f32_e64 s[38:39], v17, s38
	s_or_b64 s[62:63], vcc, s[38:39]
	s_and_saveexec_b64 s[38:39], s[62:63]
	s_cbranch_execz .LBB503_121
; %bb.120:
	v_sub_f32_e32 v16, v17, v15
	s_mov_b32 s62, 0x3fb8aa3b
	v_mul_f32_e32 v17, 0x3fb8aa3b, v16
	v_fma_f32 v58, v16, s62, -v17
	v_rndne_f32_e32 v59, v17
	v_fmamk_f32 v58, v16, 0x32a5705f, v58
	v_sub_f32_e32 v17, v17, v59
	v_add_f32_e32 v17, v17, v58
	v_exp_f32_e32 v17, v17
	v_cvt_i32_f32_e32 v58, v59
	s_mov_b32 s62, 0xc2ce8ed0
	v_cmp_ngt_f32_e32 vcc, s62, v16
	s_mov_b32 s62, 0x42b17218
	v_ldexp_f32 v17, v17, v58
	v_cndmask_b32_e32 v17, 0, v17, vcc
	v_mov_b32_e32 v70, 0x7f800000
	v_cmp_nlt_f32_e32 vcc, s62, v16
	s_mov_b32 s62, 0x3f2aaaab
	s_mov_b32 s63, 0x7f800000
	v_cndmask_b32_e32 v71, v70, v17, vcc
	v_add_f32_e32 v58, 1.0, v71
	v_add_f32_e32 v16, -1.0, v58
	v_sub_f32_e32 v17, v16, v58
	v_add_f32_e32 v17, 1.0, v17
	v_sub_f32_e32 v16, v71, v16
	v_add_f32_e32 v59, v16, v17
	v_frexp_mant_f32_e32 v60, v58
	v_cvt_f64_f32_e32 v[16:17], v58
	v_frexp_exp_i32_f64_e32 v16, v[16:17]
	v_cmp_gt_f32_e32 vcc, s62, v60
	s_mov_b32 s62, 0x3f317218
	s_nop 0
	v_subbrev_co_u32_e32 v64, vcc, 0, v16, vcc
	v_sub_u32_e32 v16, 0, v64
	v_ldexp_f32 v17, v58, v16
	v_add_f32_e32 v58, -1.0, v17
	v_add_f32_e32 v60, 1.0, v17
	v_ldexp_f32 v16, v59, v16
	v_add_f32_e32 v59, 1.0, v58
	v_add_f32_e32 v61, -1.0, v60
	v_sub_f32_e32 v59, v17, v59
	v_sub_f32_e32 v17, v17, v61
	v_add_f32_e32 v59, v16, v59
	v_add_f32_e32 v16, v16, v17
	;; [unrolled: 1-line block ×3, first 2 shown]
	v_rcp_f32_e32 v67, v65
	v_sub_f32_e32 v17, v60, v65
	v_add_f32_e32 v66, v16, v17
	v_add_f32_e32 v17, v58, v59
	v_mul_f32_e32 v69, v17, v67
	v_sub_f32_e32 v16, v58, v17
	v_mul_f32_e32 v58, v65, v69
	v_fma_f32 v60, v69, v65, -v58
	v_fmac_f32_e32 v60, v69, v66
	v_add_f32_e32 v68, v59, v16
	v_add_f32_e32 v16, v58, v60
	v_sub_f32_e32 v59, v17, v16
	v_pk_add_f32 v[62:63], v[16:17], v[58:59] neg_lo:[0,1] neg_hi:[0,1]
	v_mov_b32_e32 v61, v16
	v_pk_add_f32 v[16:17], v[62:63], v[60:61] neg_lo:[0,1] neg_hi:[0,1]
	v_cmp_neq_f32_e32 vcc, s63, v71
	v_add_f32_e32 v17, v68, v17
	v_add_f32_e32 v16, v16, v17
	v_add_f32_e32 v17, v59, v16
	v_mul_f32_e32 v68, v67, v17
	v_mul_f32_e32 v58, v65, v68
	v_fma_f32 v60, v68, v65, -v58
	v_fmac_f32_e32 v60, v68, v66
	v_sub_f32_e32 v59, v59, v17
	v_add_f32_e32 v65, v16, v59
	v_add_f32_e32 v16, v58, v60
	v_sub_f32_e32 v59, v17, v16
	v_pk_add_f32 v[62:63], v[16:17], v[58:59] neg_lo:[0,1] neg_hi:[0,1]
	v_mov_b32_e32 v61, v16
	v_pk_add_f32 v[16:17], v[62:63], v[60:61] neg_lo:[0,1] neg_hi:[0,1]
	v_cvt_f32_i32_e32 v58, v64
	v_add_f32_e32 v17, v65, v17
	v_add_f32_e32 v16, v16, v17
	;; [unrolled: 1-line block ×4, first 2 shown]
	v_sub_f32_e32 v17, v59, v69
	v_mul_f32_e32 v16, v67, v16
	v_sub_f32_e32 v17, v68, v17
	v_add_f32_e32 v16, v17, v16
	v_add_f32_e32 v60, v59, v16
	v_mul_f32_e32 v62, v60, v60
	v_mov_b32_e32 v17, 0x3ecc95a3
	v_sub_f32_e32 v59, v60, v59
	v_fmac_f32_e32 v17, 0x3e9b6dac, v62
	v_sub_f32_e32 v16, v16, v59
	v_fmaak_f32 v17, v62, v17, 0x3f2aaada
	v_ldexp_f32 v63, v16, 1
	v_mul_f32_e32 v59, v60, v62
	v_mov_b32_e32 v16, 0x3f317218
	v_pk_mul_f32 v[16:17], v[58:59], v[16:17]
	v_ldexp_f32 v61, v60, 1
	v_fma_f32 v59, v58, s62, -v16
	v_fmamk_f32 v60, v58, 0xb102e308, v59
	v_pk_add_f32 v[58:59], v[16:17], v[60:61]
	v_mov_b32_e32 v62, v16
	v_sub_f32_e32 v61, v59, v61
	v_sub_f32_e32 v61, v17, v61
	v_add_f32_e32 v63, v63, v61
	v_pk_add_f32 v[16:17], v[58:59], v[16:17] neg_lo:[0,1] neg_hi:[0,1]
	v_pk_add_f32 v[64:65], v[58:59], v[62:63]
	v_mov_b32_e32 v61, v58
	v_mov_b32_e32 v17, v65
	v_pk_add_f32 v[66:67], v[60:61], v[16:17] neg_lo:[0,1] neg_hi:[0,1]
	v_pk_add_f32 v[16:17], v[60:61], v[16:17]
	v_mov_b32_e32 v62, v63
	v_pk_add_f32 v[60:61], v[16:17], v[58:59] op_sel:[1,0] op_sel_hi:[0,1] neg_lo:[0,1] neg_hi:[0,1]
	v_pk_add_f32 v[68:69], v[64:65], v[60:61] op_sel_hi:[1,0] neg_lo:[0,1] neg_hi:[0,1]
	v_mov_b32_e32 v64, v65
	v_mov_b32_e32 v65, v17
	v_pk_mov_b32 v[60:61], v[58:59], v[60:61] op_sel:[1,0]
	v_mov_b32_e32 v63, v58
	v_pk_add_f32 v[60:61], v[64:65], v[60:61] neg_lo:[0,1] neg_hi:[0,1]
	v_mov_b32_e32 v68, v66
	v_pk_add_f32 v[58:59], v[62:63], v[60:61] neg_lo:[0,1] neg_hi:[0,1]
	v_mov_b32_e32 v67, v17
	v_pk_add_f32 v[60:61], v[68:69], v[58:59]
	s_mov_b32 s62, 0x33800000
	v_pk_add_f32 v[62:63], v[60:61], v[60:61] op_sel:[0,1] op_sel_hi:[1,0]
	s_nop 0
	v_pk_add_f32 v[16:17], v[16:17], v[62:63] op_sel:[1,0] op_sel_hi:[0,1]
	v_mov_b32_e32 v61, v16
	v_pk_add_f32 v[64:65], v[60:61], v[66:67] neg_lo:[0,1] neg_hi:[0,1]
	v_mov_b32_e32 v59, v62
	v_sub_f32_e32 v17, v60, v64
	v_pk_add_f32 v[58:59], v[58:59], v[64:65] neg_lo:[0,1] neg_hi:[0,1]
	v_sub_f32_e32 v17, v66, v17
	v_add_f32_e32 v17, v58, v17
	v_add_f32_e32 v17, v17, v59
	;; [unrolled: 1-line block ×3, first 2 shown]
	v_cndmask_b32_e32 v16, v70, v16, vcc
	v_cmp_lt_f32_e64 vcc, |v71|, s62
	s_nop 1
	v_cndmask_b32_e32 v16, v16, v71, vcc
	v_add_f32_e32 v16, v15, v16
.LBB503_121:
	s_or_b64 exec, exec, s[38:39]
	v_bfe_u32 v15, v16, 16, 1
	s_movk_i32 s38, 0x7fff
	v_add3_u32 v15, v16, v15, s38
	v_cmp_o_f32_e32 vcc, v16, v16
	v_mov_b32_e32 v16, 0x7fc0
	s_nop 0
	v_cndmask_b32_sdwa v16, v16, v15, vcc dst_sel:DWORD dst_unused:UNUSED_PAD src0_sel:DWORD src1_sel:WORD_1
	v_and_b32_e32 v15, 0xffff, v16
.LBB503_122:
	s_or_b64 exec, exec, s[58:59]
	v_cmp_gt_u32_e32 vcc, 48, v50
	v_add_u32_e32 v59, 16, v50
	s_waitcnt lgkmcnt(0)
	v_cndmask_b32_e64 v17, 0, 16, vcc
	v_add_lshl_u32 v58, v17, v11, 2
	ds_bpermute_b32 v17, v58, v15
	v_cmp_le_u32_e32 vcc, v59, v14
	s_and_saveexec_b64 s[58:59], vcc
	s_cbranch_execz .LBB503_126
; %bb.123:
	s_waitcnt lgkmcnt(0)
	v_lshlrev_b32_e32 v16, 16, v17
	v_lshlrev_b32_e32 v15, 16, v15
	v_max_f32_e32 v60, v15, v15
	v_max_f32_e32 v61, v16, v16
	v_min_f32_e32 v17, v61, v60
	v_cmp_u_f32_e32 vcc, v16, v16
	v_max_f32_e32 v60, v61, v60
	v_cmp_u_f32_e64 s[38:39], v15, v15
	v_cndmask_b32_e32 v17, v17, v16, vcc
	v_cndmask_b32_e32 v60, v60, v16, vcc
	v_cndmask_b32_e64 v17, v17, v15, s[38:39]
	v_cndmask_b32_e64 v15, v60, v15, s[38:39]
	s_movk_i32 s38, 0x1f8
	v_cmp_neq_f32_e32 vcc, v17, v15
	v_cmp_class_f32_e64 s[38:39], v17, s38
	s_or_b64 s[62:63], vcc, s[38:39]
	s_and_saveexec_b64 s[38:39], s[62:63]
	s_cbranch_execz .LBB503_125
; %bb.124:
	v_sub_f32_e32 v16, v17, v15
	s_mov_b32 s62, 0x3fb8aa3b
	v_mul_f32_e32 v17, 0x3fb8aa3b, v16
	v_fma_f32 v60, v16, s62, -v17
	v_rndne_f32_e32 v61, v17
	v_fmamk_f32 v60, v16, 0x32a5705f, v60
	v_sub_f32_e32 v17, v17, v61
	v_add_f32_e32 v17, v17, v60
	v_exp_f32_e32 v17, v17
	v_cvt_i32_f32_e32 v60, v61
	s_mov_b32 s62, 0xc2ce8ed0
	v_cmp_ngt_f32_e32 vcc, s62, v16
	s_mov_b32 s62, 0x42b17218
	v_ldexp_f32 v17, v17, v60
	v_cndmask_b32_e32 v17, 0, v17, vcc
	v_mov_b32_e32 v72, 0x7f800000
	v_cmp_nlt_f32_e32 vcc, s62, v16
	s_mov_b32 s62, 0x3f2aaaab
	s_mov_b32 s63, 0x7f800000
	v_cndmask_b32_e32 v73, v72, v17, vcc
	v_add_f32_e32 v60, 1.0, v73
	v_add_f32_e32 v16, -1.0, v60
	v_sub_f32_e32 v17, v16, v60
	v_add_f32_e32 v17, 1.0, v17
	v_sub_f32_e32 v16, v73, v16
	v_add_f32_e32 v61, v16, v17
	v_frexp_mant_f32_e32 v62, v60
	v_cvt_f64_f32_e32 v[16:17], v60
	v_frexp_exp_i32_f64_e32 v16, v[16:17]
	v_cmp_gt_f32_e32 vcc, s62, v62
	s_mov_b32 s62, 0x3f317218
	s_nop 0
	v_subbrev_co_u32_e32 v66, vcc, 0, v16, vcc
	v_sub_u32_e32 v16, 0, v66
	v_ldexp_f32 v17, v60, v16
	v_add_f32_e32 v60, -1.0, v17
	v_add_f32_e32 v62, 1.0, v17
	v_ldexp_f32 v16, v61, v16
	v_add_f32_e32 v61, 1.0, v60
	v_add_f32_e32 v63, -1.0, v62
	v_sub_f32_e32 v61, v17, v61
	v_sub_f32_e32 v17, v17, v63
	v_add_f32_e32 v61, v16, v61
	v_add_f32_e32 v16, v16, v17
	;; [unrolled: 1-line block ×3, first 2 shown]
	v_rcp_f32_e32 v69, v67
	v_sub_f32_e32 v17, v62, v67
	v_add_f32_e32 v68, v16, v17
	v_add_f32_e32 v17, v60, v61
	v_mul_f32_e32 v71, v17, v69
	v_sub_f32_e32 v16, v60, v17
	v_mul_f32_e32 v60, v67, v71
	v_fma_f32 v62, v71, v67, -v60
	v_fmac_f32_e32 v62, v71, v68
	v_add_f32_e32 v70, v61, v16
	v_add_f32_e32 v16, v60, v62
	v_sub_f32_e32 v61, v17, v16
	v_pk_add_f32 v[64:65], v[16:17], v[60:61] neg_lo:[0,1] neg_hi:[0,1]
	v_mov_b32_e32 v63, v16
	v_pk_add_f32 v[16:17], v[64:65], v[62:63] neg_lo:[0,1] neg_hi:[0,1]
	v_cmp_neq_f32_e32 vcc, s63, v73
	v_add_f32_e32 v17, v70, v17
	v_add_f32_e32 v16, v16, v17
	;; [unrolled: 1-line block ×3, first 2 shown]
	v_mul_f32_e32 v70, v69, v17
	v_mul_f32_e32 v60, v67, v70
	v_fma_f32 v62, v70, v67, -v60
	v_fmac_f32_e32 v62, v70, v68
	v_sub_f32_e32 v61, v61, v17
	v_add_f32_e32 v67, v16, v61
	v_add_f32_e32 v16, v60, v62
	v_sub_f32_e32 v61, v17, v16
	v_pk_add_f32 v[64:65], v[16:17], v[60:61] neg_lo:[0,1] neg_hi:[0,1]
	v_mov_b32_e32 v63, v16
	v_pk_add_f32 v[16:17], v[64:65], v[62:63] neg_lo:[0,1] neg_hi:[0,1]
	v_cvt_f32_i32_e32 v60, v66
	v_add_f32_e32 v17, v67, v17
	v_add_f32_e32 v16, v16, v17
	;; [unrolled: 1-line block ×4, first 2 shown]
	v_sub_f32_e32 v17, v61, v71
	v_mul_f32_e32 v16, v69, v16
	v_sub_f32_e32 v17, v70, v17
	v_add_f32_e32 v16, v17, v16
	v_add_f32_e32 v62, v61, v16
	v_mul_f32_e32 v64, v62, v62
	v_mov_b32_e32 v17, 0x3ecc95a3
	v_sub_f32_e32 v61, v62, v61
	v_fmac_f32_e32 v17, 0x3e9b6dac, v64
	v_sub_f32_e32 v16, v16, v61
	v_fmaak_f32 v17, v64, v17, 0x3f2aaada
	v_ldexp_f32 v65, v16, 1
	v_mul_f32_e32 v61, v62, v64
	v_mov_b32_e32 v16, 0x3f317218
	v_pk_mul_f32 v[16:17], v[60:61], v[16:17]
	v_ldexp_f32 v63, v62, 1
	v_fma_f32 v61, v60, s62, -v16
	v_fmamk_f32 v62, v60, 0xb102e308, v61
	v_pk_add_f32 v[60:61], v[16:17], v[62:63]
	v_mov_b32_e32 v64, v16
	v_sub_f32_e32 v63, v61, v63
	v_sub_f32_e32 v63, v17, v63
	v_add_f32_e32 v65, v65, v63
	v_pk_add_f32 v[16:17], v[60:61], v[16:17] neg_lo:[0,1] neg_hi:[0,1]
	v_pk_add_f32 v[66:67], v[60:61], v[64:65]
	v_mov_b32_e32 v63, v60
	v_mov_b32_e32 v17, v67
	v_pk_add_f32 v[68:69], v[62:63], v[16:17] neg_lo:[0,1] neg_hi:[0,1]
	v_pk_add_f32 v[16:17], v[62:63], v[16:17]
	v_mov_b32_e32 v64, v65
	v_pk_add_f32 v[62:63], v[16:17], v[60:61] op_sel:[1,0] op_sel_hi:[0,1] neg_lo:[0,1] neg_hi:[0,1]
	v_pk_add_f32 v[70:71], v[66:67], v[62:63] op_sel_hi:[1,0] neg_lo:[0,1] neg_hi:[0,1]
	v_mov_b32_e32 v66, v67
	v_mov_b32_e32 v67, v17
	v_pk_mov_b32 v[62:63], v[60:61], v[62:63] op_sel:[1,0]
	v_mov_b32_e32 v65, v60
	v_pk_add_f32 v[62:63], v[66:67], v[62:63] neg_lo:[0,1] neg_hi:[0,1]
	v_mov_b32_e32 v70, v68
	v_pk_add_f32 v[60:61], v[64:65], v[62:63] neg_lo:[0,1] neg_hi:[0,1]
	v_mov_b32_e32 v69, v17
	v_pk_add_f32 v[62:63], v[70:71], v[60:61]
	s_mov_b32 s62, 0x33800000
	v_pk_add_f32 v[64:65], v[62:63], v[62:63] op_sel:[0,1] op_sel_hi:[1,0]
	s_nop 0
	v_pk_add_f32 v[16:17], v[16:17], v[64:65] op_sel:[1,0] op_sel_hi:[0,1]
	v_mov_b32_e32 v63, v16
	v_pk_add_f32 v[66:67], v[62:63], v[68:69] neg_lo:[0,1] neg_hi:[0,1]
	v_mov_b32_e32 v61, v64
	v_sub_f32_e32 v17, v62, v66
	v_pk_add_f32 v[60:61], v[60:61], v[66:67] neg_lo:[0,1] neg_hi:[0,1]
	v_sub_f32_e32 v17, v68, v17
	v_add_f32_e32 v17, v60, v17
	v_add_f32_e32 v17, v17, v61
	;; [unrolled: 1-line block ×3, first 2 shown]
	v_cndmask_b32_e32 v16, v72, v16, vcc
	v_cmp_lt_f32_e64 vcc, |v73|, s62
	s_nop 1
	v_cndmask_b32_e32 v16, v16, v73, vcc
	v_add_f32_e32 v16, v15, v16
.LBB503_125:
	s_or_b64 exec, exec, s[38:39]
	v_bfe_u32 v15, v16, 16, 1
	s_movk_i32 s38, 0x7fff
	v_add3_u32 v15, v16, v15, s38
	v_cmp_o_f32_e32 vcc, v16, v16
	v_mov_b32_e32 v16, 0x7fc0
	s_nop 0
	v_cndmask_b32_sdwa v16, v16, v15, vcc dst_sel:DWORD dst_unused:UNUSED_PAD src0_sel:DWORD src1_sel:WORD_1
	v_and_b32_e32 v15, 0xffff, v16
.LBB503_126:
	s_or_b64 exec, exec, s[58:59]
	s_waitcnt lgkmcnt(0)
	v_mov_b32_e32 v17, 0x80
	v_lshl_or_b32 v60, v11, 2, v17
	ds_bpermute_b32 v11, v60, v15
	v_add_u32_e32 v61, 32, v50
	v_cmp_le_u32_e32 vcc, v61, v14
	s_and_saveexec_b64 s[58:59], vcc
	s_cbranch_execz .LBB503_130
; %bb.127:
	s_waitcnt lgkmcnt(0)
	v_lshlrev_b32_e32 v14, 16, v11
	v_lshlrev_b32_e32 v11, 16, v15
	v_max_f32_e32 v16, v11, v11
	v_max_f32_e32 v17, v14, v14
	v_min_f32_e32 v15, v17, v16
	v_cmp_u_f32_e32 vcc, v14, v14
	v_max_f32_e32 v16, v17, v16
	v_cmp_u_f32_e64 s[38:39], v11, v11
	v_cndmask_b32_e32 v15, v15, v14, vcc
	v_cndmask_b32_e32 v16, v16, v14, vcc
	v_cndmask_b32_e64 v15, v15, v11, s[38:39]
	v_cndmask_b32_e64 v11, v16, v11, s[38:39]
	s_movk_i32 s38, 0x1f8
	v_cmp_neq_f32_e32 vcc, v15, v11
	v_cmp_class_f32_e64 s[38:39], v15, s38
	s_or_b64 s[62:63], vcc, s[38:39]
	s_and_saveexec_b64 s[38:39], s[62:63]
	s_cbranch_execz .LBB503_129
; %bb.128:
	v_sub_f32_e32 v14, v15, v11
	s_mov_b32 s62, 0x3fb8aa3b
	v_mul_f32_e32 v15, 0x3fb8aa3b, v14
	v_fma_f32 v16, v14, s62, -v15
	v_rndne_f32_e32 v17, v15
	v_fmamk_f32 v16, v14, 0x32a5705f, v16
	v_sub_f32_e32 v15, v15, v17
	v_add_f32_e32 v15, v15, v16
	v_exp_f32_e32 v15, v15
	v_cvt_i32_f32_e32 v16, v17
	s_mov_b32 s62, 0xc2ce8ed0
	v_cmp_ngt_f32_e32 vcc, s62, v14
	s_mov_b32 s62, 0x42b17218
	v_ldexp_f32 v15, v15, v16
	v_cndmask_b32_e32 v15, 0, v15, vcc
	v_mov_b32_e32 v72, 0x7f800000
	v_cmp_nlt_f32_e32 vcc, s62, v14
	s_mov_b32 s62, 0x3f2aaaab
	s_mov_b32 s63, 0x7f800000
	v_cndmask_b32_e32 v73, v72, v15, vcc
	v_add_f32_e32 v16, 1.0, v73
	v_add_f32_e32 v14, -1.0, v16
	v_sub_f32_e32 v15, v14, v16
	v_add_f32_e32 v15, 1.0, v15
	v_sub_f32_e32 v14, v73, v14
	v_add_f32_e32 v17, v14, v15
	v_frexp_mant_f32_e32 v62, v16
	v_cvt_f64_f32_e32 v[14:15], v16
	v_frexp_exp_i32_f64_e32 v14, v[14:15]
	v_cmp_gt_f32_e32 vcc, s62, v62
	s_mov_b32 s62, 0x3f317218
	s_nop 0
	v_subbrev_co_u32_e32 v66, vcc, 0, v14, vcc
	v_sub_u32_e32 v14, 0, v66
	v_ldexp_f32 v15, v16, v14
	v_add_f32_e32 v16, -1.0, v15
	v_add_f32_e32 v62, 1.0, v15
	v_ldexp_f32 v14, v17, v14
	v_add_f32_e32 v17, 1.0, v16
	v_add_f32_e32 v63, -1.0, v62
	v_sub_f32_e32 v17, v15, v17
	v_sub_f32_e32 v15, v15, v63
	v_add_f32_e32 v17, v14, v17
	v_add_f32_e32 v14, v14, v15
	;; [unrolled: 1-line block ×3, first 2 shown]
	v_rcp_f32_e32 v69, v67
	v_sub_f32_e32 v15, v62, v67
	v_add_f32_e32 v68, v14, v15
	v_add_f32_e32 v15, v16, v17
	v_mul_f32_e32 v71, v15, v69
	v_sub_f32_e32 v14, v16, v15
	v_mul_f32_e32 v16, v67, v71
	v_fma_f32 v62, v71, v67, -v16
	v_fmac_f32_e32 v62, v71, v68
	v_add_f32_e32 v70, v17, v14
	v_add_f32_e32 v14, v16, v62
	v_sub_f32_e32 v17, v15, v14
	v_pk_add_f32 v[64:65], v[14:15], v[16:17] neg_lo:[0,1] neg_hi:[0,1]
	v_mov_b32_e32 v63, v14
	v_pk_add_f32 v[14:15], v[64:65], v[62:63] neg_lo:[0,1] neg_hi:[0,1]
	v_cmp_neq_f32_e32 vcc, s63, v73
	v_add_f32_e32 v15, v70, v15
	v_add_f32_e32 v14, v14, v15
	;; [unrolled: 1-line block ×3, first 2 shown]
	v_mul_f32_e32 v70, v69, v15
	v_mul_f32_e32 v16, v67, v70
	v_fma_f32 v62, v70, v67, -v16
	v_fmac_f32_e32 v62, v70, v68
	v_sub_f32_e32 v17, v17, v15
	v_add_f32_e32 v67, v14, v17
	v_add_f32_e32 v14, v16, v62
	v_sub_f32_e32 v17, v15, v14
	v_pk_add_f32 v[64:65], v[14:15], v[16:17] neg_lo:[0,1] neg_hi:[0,1]
	v_mov_b32_e32 v63, v14
	v_pk_add_f32 v[14:15], v[64:65], v[62:63] neg_lo:[0,1] neg_hi:[0,1]
	v_cvt_f32_i32_e32 v16, v66
	v_add_f32_e32 v15, v67, v15
	v_add_f32_e32 v14, v14, v15
	v_add_f32_e32 v14, v17, v14
	v_add_f32_e32 v17, v71, v70
	v_sub_f32_e32 v15, v17, v71
	v_mul_f32_e32 v14, v69, v14
	v_sub_f32_e32 v15, v70, v15
	v_add_f32_e32 v14, v15, v14
	v_add_f32_e32 v62, v17, v14
	v_mul_f32_e32 v64, v62, v62
	v_mov_b32_e32 v15, 0x3ecc95a3
	v_sub_f32_e32 v17, v62, v17
	v_fmac_f32_e32 v15, 0x3e9b6dac, v64
	v_sub_f32_e32 v14, v14, v17
	v_fmaak_f32 v15, v64, v15, 0x3f2aaada
	v_ldexp_f32 v65, v14, 1
	v_mul_f32_e32 v17, v62, v64
	v_mov_b32_e32 v14, 0x3f317218
	v_pk_mul_f32 v[14:15], v[16:17], v[14:15]
	v_ldexp_f32 v63, v62, 1
	v_fma_f32 v17, v16, s62, -v14
	v_fmamk_f32 v62, v16, 0xb102e308, v17
	v_pk_add_f32 v[16:17], v[14:15], v[62:63]
	v_mov_b32_e32 v64, v14
	v_sub_f32_e32 v63, v17, v63
	v_sub_f32_e32 v63, v15, v63
	v_add_f32_e32 v65, v65, v63
	v_pk_add_f32 v[14:15], v[16:17], v[14:15] neg_lo:[0,1] neg_hi:[0,1]
	v_pk_add_f32 v[66:67], v[16:17], v[64:65]
	v_mov_b32_e32 v63, v16
	v_mov_b32_e32 v15, v67
	v_pk_add_f32 v[68:69], v[62:63], v[14:15] neg_lo:[0,1] neg_hi:[0,1]
	v_pk_add_f32 v[14:15], v[62:63], v[14:15]
	v_mov_b32_e32 v64, v65
	v_pk_add_f32 v[62:63], v[14:15], v[16:17] op_sel:[1,0] op_sel_hi:[0,1] neg_lo:[0,1] neg_hi:[0,1]
	v_pk_add_f32 v[70:71], v[66:67], v[62:63] op_sel_hi:[1,0] neg_lo:[0,1] neg_hi:[0,1]
	v_mov_b32_e32 v66, v67
	v_mov_b32_e32 v67, v15
	v_pk_mov_b32 v[62:63], v[16:17], v[62:63] op_sel:[1,0]
	v_mov_b32_e32 v65, v16
	v_pk_add_f32 v[62:63], v[66:67], v[62:63] neg_lo:[0,1] neg_hi:[0,1]
	v_mov_b32_e32 v70, v68
	v_pk_add_f32 v[16:17], v[64:65], v[62:63] neg_lo:[0,1] neg_hi:[0,1]
	v_mov_b32_e32 v69, v15
	v_pk_add_f32 v[62:63], v[70:71], v[16:17]
	s_mov_b32 s62, 0x33800000
	v_pk_add_f32 v[64:65], v[62:63], v[62:63] op_sel:[0,1] op_sel_hi:[1,0]
	s_nop 0
	v_pk_add_f32 v[14:15], v[14:15], v[64:65] op_sel:[1,0] op_sel_hi:[0,1]
	v_mov_b32_e32 v63, v14
	v_pk_add_f32 v[66:67], v[62:63], v[68:69] neg_lo:[0,1] neg_hi:[0,1]
	v_mov_b32_e32 v17, v64
	v_sub_f32_e32 v15, v62, v66
	v_pk_add_f32 v[16:17], v[16:17], v[66:67] neg_lo:[0,1] neg_hi:[0,1]
	v_sub_f32_e32 v15, v68, v15
	v_add_f32_e32 v15, v16, v15
	v_add_f32_e32 v15, v15, v17
	;; [unrolled: 1-line block ×3, first 2 shown]
	v_cndmask_b32_e32 v14, v72, v14, vcc
	v_cmp_lt_f32_e64 vcc, |v73|, s62
	s_nop 1
	v_cndmask_b32_e32 v14, v14, v73, vcc
	v_add_f32_e32 v14, v11, v14
.LBB503_129:
	s_or_b64 exec, exec, s[38:39]
	v_bfe_u32 v11, v14, 16, 1
	s_movk_i32 s38, 0x7fff
	v_add3_u32 v11, v14, v11, s38
	v_cmp_o_f32_e32 vcc, v14, v14
	v_mov_b32_e32 v14, 0x7fc0
	s_nop 0
	v_cndmask_b32_sdwa v16, v14, v11, vcc dst_sel:DWORD dst_unused:UNUSED_PAD src0_sel:DWORD src1_sel:WORD_1
.LBB503_130:
	s_or_b64 exec, exec, s[58:59]
                                        ; implicit-def: $vgpr14
	s_waitcnt lgkmcnt(0)
	v_mov_b32_e32 v11, 0
	s_movk_i32 s62, 0x1f8
	s_mov_b32 s63, 0x3fb8aa3b
	s_mov_b32 s64, 0xc2ce8ed0
	;; [unrolled: 1-line block ×5, first 2 shown]
	v_mov_b32_e32 v63, 0x3ecc95a3
	s_mov_b32 s68, 0x3f317218
	s_mov_b32 s69, 0x33800000
	s_movk_i32 s70, 0x7fff
	v_mov_b32_e32 v64, 2
	v_mov_b32_e32 v65, 0x7f800000
	;; [unrolled: 1-line block ×4, first 2 shown]
	s_branch .LBB503_133
.LBB503_131:                            ;   in Loop: Header=BB503_133 Depth=1
	s_or_b64 exec, exec, s[38:39]
	v_bfe_u32 v16, v15, 16, 1
	v_add3_u32 v16, v15, v16, s70
	v_cmp_o_f32_e32 vcc, v15, v15
	v_subrev_u32_e32 v10, 64, v10
	s_mov_b64 s[38:39], 0
	v_cndmask_b32_sdwa v16, v66, v16, vcc dst_sel:DWORD dst_unused:UNUSED_PAD src0_sel:DWORD src1_sel:WORD_1
.LBB503_132:                            ;   in Loop: Header=BB503_133 Depth=1
	s_and_b64 vcc, exec, s[38:39]
	s_cbranch_vccnz .LBB503_165
.LBB503_133:                            ; =>This Loop Header: Depth=1
                                        ;     Child Loop BB503_136 Depth 2
	v_cmp_ne_u16_sdwa s[38:39], v49, v64 src0_sel:BYTE_0 src1_sel:DWORD
	v_mov_b32_e32 v62, v16
	s_cmp_lg_u64 s[38:39], exec
	s_mov_b64 s[38:39], -1
                                        ; implicit-def: $vgpr16
                                        ; implicit-def: $vgpr49
	s_cbranch_scc1 .LBB503_132
; %bb.134:                              ;   in Loop: Header=BB503_133 Depth=1
	v_lshl_add_u64 v[16:17], v[10:11], 2, s[56:57]
	global_load_dword v15, v[16:17], off sc1
	s_waitcnt vmcnt(0)
	v_lshrrev_b32_e32 v49, 16, v15
	v_cmp_eq_u16_sdwa s[58:59], v49, v11 src0_sel:BYTE_0 src1_sel:DWORD
	s_and_saveexec_b64 s[38:39], s[58:59]
	s_cbranch_execz .LBB503_138
; %bb.135:                              ;   in Loop: Header=BB503_133 Depth=1
	s_mov_b64 s[58:59], 0
.LBB503_136:                            ;   Parent Loop BB503_133 Depth=1
                                        ; =>  This Inner Loop Header: Depth=2
	global_load_dword v15, v[16:17], off sc1
	s_waitcnt vmcnt(0)
	v_lshrrev_b32_e32 v49, 16, v15
	v_cmp_ne_u16_sdwa s[72:73], v49, v11 src0_sel:BYTE_0 src1_sel:DWORD
	s_or_b64 s[58:59], s[72:73], s[58:59]
	s_andn2_b64 exec, exec, s[58:59]
	s_cbranch_execnz .LBB503_136
; %bb.137:                              ;   in Loop: Header=BB503_133 Depth=1
	s_or_b64 exec, exec, s[58:59]
.LBB503_138:                            ;   in Loop: Header=BB503_133 Depth=1
	s_or_b64 exec, exec, s[38:39]
	v_cmp_eq_u16_sdwa s[38:39], v49, v64 src0_sel:BYTE_0 src1_sel:DWORD
	v_and_b32_e32 v17, 0xffff, v15
	ds_bpermute_b32 v67, v51, v17
	v_and_b32_e32 v16, s39, v13
	v_or_b32_e32 v16, 0x80000000, v16
	v_and_b32_e32 v68, s38, v12
	v_ffbl_b32_e32 v16, v16
	v_add_u32_e32 v16, 32, v16
	v_ffbl_b32_e32 v68, v68
	v_min_u32_e32 v16, v68, v16
	v_cmp_lt_u32_e32 vcc, v50, v16
	s_and_saveexec_b64 s[58:59], vcc
	s_cbranch_execz .LBB503_142
; %bb.139:                              ;   in Loop: Header=BB503_133 Depth=1
	s_waitcnt lgkmcnt(0)
	v_lshlrev_b32_e32 v15, 16, v67
	v_lshlrev_b32_e32 v17, 16, v17
	v_max_f32_e32 v68, v17, v17
	v_max_f32_e32 v69, v15, v15
	v_min_f32_e32 v67, v69, v68
	v_cmp_u_f32_e32 vcc, v15, v15
	v_max_f32_e32 v68, v69, v68
	v_cmp_u_f32_e64 s[38:39], v17, v17
	v_cndmask_b32_e32 v67, v67, v15, vcc
	v_cndmask_b32_e32 v68, v68, v15, vcc
	v_cndmask_b32_e64 v67, v67, v17, s[38:39]
	v_cndmask_b32_e64 v17, v68, v17, s[38:39]
	v_cmp_neq_f32_e32 vcc, v67, v17
	v_cmp_class_f32_e64 s[38:39], v67, s62
	s_or_b64 s[72:73], vcc, s[38:39]
	s_and_saveexec_b64 s[38:39], s[72:73]
	s_cbranch_execz .LBB503_141
; %bb.140:                              ;   in Loop: Header=BB503_133 Depth=1
	v_sub_f32_e32 v15, v67, v17
	v_mul_f32_e32 v67, 0x3fb8aa3b, v15
	v_fma_f32 v68, v15, s63, -v67
	v_rndne_f32_e32 v69, v67
	v_fmac_f32_e32 v68, 0x32a5705f, v15
	v_sub_f32_e32 v67, v67, v69
	v_add_f32_e32 v67, v67, v68
	v_cvt_i32_f32_e32 v68, v69
	v_exp_f32_e32 v67, v67
	v_cmp_ngt_f32_e32 vcc, s64, v15
	v_ldexp_f32 v67, v67, v68
	s_nop 0
	v_cndmask_b32_e32 v67, 0, v67, vcc
	v_cmp_nlt_f32_e32 vcc, s65, v15
	s_nop 1
	v_cndmask_b32_e32 v67, v65, v67, vcc
	v_add_f32_e32 v15, 1.0, v67
	v_add_f32_e32 v68, -1.0, v15
	v_sub_f32_e32 v69, v68, v15
	v_add_f32_e32 v69, 1.0, v69
	v_sub_f32_e32 v68, v67, v68
	v_add_f32_e32 v70, v68, v69
	v_frexp_mant_f32_e32 v71, v15
	v_cvt_f64_f32_e32 v[68:69], v15
	v_frexp_exp_i32_f64_e32 v68, v[68:69]
	v_cmp_gt_f32_e32 vcc, s67, v71
	s_nop 1
	v_subbrev_co_u32_e32 v76, vcc, 0, v68, vcc
	v_sub_u32_e32 v68, 0, v76
	v_ldexp_f32 v15, v15, v68
	v_ldexp_f32 v68, v70, v68
	v_add_f32_e32 v70, -1.0, v15
	v_add_f32_e32 v69, 1.0, v70
	v_sub_f32_e32 v69, v15, v69
	v_add_f32_e32 v71, v68, v69
	v_add_f32_e32 v69, 1.0, v15
	v_add_f32_e32 v72, -1.0, v69
	v_sub_f32_e32 v15, v15, v72
	v_add_f32_e32 v15, v68, v15
	v_add_f32_e32 v77, v69, v15
	v_rcp_f32_e32 v78, v77
	v_sub_f32_e32 v68, v69, v77
	v_add_f32_e32 v69, v70, v71
	v_add_f32_e32 v15, v15, v68
	v_mul_f32_e32 v80, v69, v78
	v_sub_f32_e32 v68, v70, v69
	v_mul_f32_e32 v70, v77, v80
	v_fma_f32 v72, v80, v77, -v70
	v_fmac_f32_e32 v72, v80, v15
	v_add_f32_e32 v79, v71, v68
	v_add_f32_e32 v68, v70, v72
	v_sub_f32_e32 v71, v69, v68
	v_pk_add_f32 v[74:75], v[68:69], v[70:71] neg_lo:[0,1] neg_hi:[0,1]
	v_mov_b32_e32 v73, v68
	v_pk_add_f32 v[68:69], v[74:75], v[72:73] neg_lo:[0,1] neg_hi:[0,1]
	v_cmp_neq_f32_e32 vcc, s66, v67
	v_add_f32_e32 v69, v79, v69
	v_add_f32_e32 v68, v68, v69
	;; [unrolled: 1-line block ×3, first 2 shown]
	v_mul_f32_e32 v79, v78, v69
	v_mul_f32_e32 v70, v77, v79
	v_fma_f32 v72, v79, v77, -v70
	v_fmac_f32_e32 v72, v79, v15
	v_sub_f32_e32 v15, v71, v69
	v_add_f32_e32 v15, v68, v15
	v_add_f32_e32 v68, v70, v72
	v_sub_f32_e32 v71, v69, v68
	v_pk_add_f32 v[74:75], v[68:69], v[70:71] neg_lo:[0,1] neg_hi:[0,1]
	v_mov_b32_e32 v73, v68
	v_pk_add_f32 v[68:69], v[74:75], v[72:73] neg_lo:[0,1] neg_hi:[0,1]
	s_nop 0
	v_add_f32_e32 v15, v15, v69
	v_add_f32_e32 v15, v68, v15
	;; [unrolled: 1-line block ×4, first 2 shown]
	v_sub_f32_e32 v68, v69, v80
	v_mul_f32_e32 v15, v78, v15
	v_sub_f32_e32 v68, v79, v68
	v_add_f32_e32 v70, v68, v15
	v_add_f32_e32 v72, v69, v70
	v_cvt_f32_i32_e32 v68, v76
	v_mul_f32_e32 v73, v72, v72
	v_sub_f32_e32 v69, v72, v69
	v_fmamk_f32 v15, v73, 0x3e9b6dac, v63
	v_sub_f32_e32 v69, v70, v69
	v_fmaak_f32 v15, v73, v15, 0x3f2aaada
	v_ldexp_f32 v74, v69, 1
	v_mul_f32_e32 v69, v72, v73
	v_ldexp_f32 v71, v72, 1
	v_pk_mul_f32 v[72:73], v[68:69], v[14:15]
	s_nop 0
	v_fma_f32 v70, v68, s68, -v72
	v_fmac_f32_e32 v70, 0xb102e308, v68
	v_pk_add_f32 v[68:69], v[72:73], v[70:71]
	s_nop 0
	v_sub_f32_e32 v15, v69, v71
	v_sub_f32_e32 v15, v73, v15
	v_add_f32_e32 v75, v74, v15
	v_mov_b32_e32 v74, v72
	v_pk_add_f32 v[72:73], v[68:69], v[72:73] neg_lo:[0,1] neg_hi:[0,1]
	v_pk_add_f32 v[76:77], v[68:69], v[74:75]
	v_mov_b32_e32 v71, v68
	v_mov_b32_e32 v73, v77
	v_pk_add_f32 v[78:79], v[70:71], v[72:73] neg_lo:[0,1] neg_hi:[0,1]
	v_pk_add_f32 v[70:71], v[70:71], v[72:73]
	v_mov_b32_e32 v74, v75
	v_pk_add_f32 v[72:73], v[70:71], v[68:69] op_sel:[1,0] op_sel_hi:[0,1] neg_lo:[0,1] neg_hi:[0,1]
	v_pk_add_f32 v[80:81], v[76:77], v[72:73] op_sel_hi:[1,0] neg_lo:[0,1] neg_hi:[0,1]
	v_mov_b32_e32 v76, v77
	v_mov_b32_e32 v77, v71
	v_pk_mov_b32 v[72:73], v[68:69], v[72:73] op_sel:[1,0]
	v_mov_b32_e32 v75, v68
	v_pk_add_f32 v[72:73], v[76:77], v[72:73] neg_lo:[0,1] neg_hi:[0,1]
	v_mov_b32_e32 v80, v78
	v_pk_add_f32 v[68:69], v[74:75], v[72:73] neg_lo:[0,1] neg_hi:[0,1]
	v_mov_b32_e32 v79, v71
	v_pk_add_f32 v[72:73], v[80:81], v[68:69]
	s_nop 0
	v_pk_add_f32 v[74:75], v[72:73], v[72:73] op_sel:[0,1] op_sel_hi:[1,0]
	s_nop 0
	v_pk_add_f32 v[70:71], v[70:71], v[74:75] op_sel:[1,0] op_sel_hi:[0,1]
	v_mov_b32_e32 v73, v70
	v_pk_add_f32 v[76:77], v[72:73], v[78:79] neg_lo:[0,1] neg_hi:[0,1]
	v_mov_b32_e32 v69, v74
	v_sub_f32_e32 v15, v72, v76
	v_pk_add_f32 v[68:69], v[68:69], v[76:77] neg_lo:[0,1] neg_hi:[0,1]
	v_sub_f32_e32 v15, v78, v15
	v_add_f32_e32 v15, v68, v15
	v_add_f32_e32 v15, v15, v69
	;; [unrolled: 1-line block ×3, first 2 shown]
	v_cndmask_b32_e32 v15, v65, v15, vcc
	v_cmp_lt_f32_e64 vcc, |v67|, s69
	s_nop 1
	v_cndmask_b32_e32 v15, v15, v67, vcc
	v_add_f32_e32 v15, v17, v15
.LBB503_141:                            ;   in Loop: Header=BB503_133 Depth=1
	s_or_b64 exec, exec, s[38:39]
	v_bfe_u32 v17, v15, 16, 1
	v_add3_u32 v17, v15, v17, s70
	v_cmp_o_f32_e32 vcc, v15, v15
	s_nop 1
	v_cndmask_b32_sdwa v15, v66, v17, vcc dst_sel:DWORD dst_unused:UNUSED_PAD src0_sel:DWORD src1_sel:WORD_1
	v_and_b32_e32 v17, 0xffff, v15
.LBB503_142:                            ;   in Loop: Header=BB503_133 Depth=1
	s_or_b64 exec, exec, s[58:59]
	s_waitcnt lgkmcnt(0)
	ds_bpermute_b32 v67, v52, v17
	v_cmp_le_u32_e32 vcc, v53, v16
	s_and_saveexec_b64 s[58:59], vcc
	s_cbranch_execz .LBB503_146
; %bb.143:                              ;   in Loop: Header=BB503_133 Depth=1
	s_waitcnt lgkmcnt(0)
	v_lshlrev_b32_e32 v15, 16, v67
	v_lshlrev_b32_e32 v17, 16, v17
	v_max_f32_e32 v68, v17, v17
	v_max_f32_e32 v69, v15, v15
	v_min_f32_e32 v67, v69, v68
	v_cmp_u_f32_e32 vcc, v15, v15
	v_max_f32_e32 v68, v69, v68
	v_cmp_u_f32_e64 s[38:39], v17, v17
	v_cndmask_b32_e32 v67, v67, v15, vcc
	v_cndmask_b32_e32 v68, v68, v15, vcc
	v_cndmask_b32_e64 v67, v67, v17, s[38:39]
	v_cndmask_b32_e64 v17, v68, v17, s[38:39]
	v_cmp_neq_f32_e32 vcc, v67, v17
	v_cmp_class_f32_e64 s[38:39], v67, s62
	s_or_b64 s[72:73], vcc, s[38:39]
	s_and_saveexec_b64 s[38:39], s[72:73]
	s_cbranch_execz .LBB503_145
; %bb.144:                              ;   in Loop: Header=BB503_133 Depth=1
	v_sub_f32_e32 v15, v67, v17
	v_mul_f32_e32 v67, 0x3fb8aa3b, v15
	v_fma_f32 v68, v15, s63, -v67
	v_rndne_f32_e32 v69, v67
	v_fmac_f32_e32 v68, 0x32a5705f, v15
	v_sub_f32_e32 v67, v67, v69
	v_add_f32_e32 v67, v67, v68
	v_cvt_i32_f32_e32 v68, v69
	v_exp_f32_e32 v67, v67
	v_cmp_ngt_f32_e32 vcc, s64, v15
	v_ldexp_f32 v67, v67, v68
	s_nop 0
	v_cndmask_b32_e32 v67, 0, v67, vcc
	v_cmp_nlt_f32_e32 vcc, s65, v15
	s_nop 1
	v_cndmask_b32_e32 v67, v65, v67, vcc
	v_add_f32_e32 v15, 1.0, v67
	v_add_f32_e32 v68, -1.0, v15
	v_sub_f32_e32 v69, v68, v15
	v_add_f32_e32 v69, 1.0, v69
	v_sub_f32_e32 v68, v67, v68
	v_add_f32_e32 v70, v68, v69
	v_frexp_mant_f32_e32 v71, v15
	v_cvt_f64_f32_e32 v[68:69], v15
	v_frexp_exp_i32_f64_e32 v68, v[68:69]
	v_cmp_gt_f32_e32 vcc, s67, v71
	s_nop 1
	v_subbrev_co_u32_e32 v76, vcc, 0, v68, vcc
	v_sub_u32_e32 v68, 0, v76
	v_ldexp_f32 v15, v15, v68
	v_ldexp_f32 v68, v70, v68
	v_add_f32_e32 v70, -1.0, v15
	v_add_f32_e32 v69, 1.0, v70
	v_sub_f32_e32 v69, v15, v69
	v_add_f32_e32 v71, v68, v69
	v_add_f32_e32 v69, 1.0, v15
	v_add_f32_e32 v72, -1.0, v69
	v_sub_f32_e32 v15, v15, v72
	v_add_f32_e32 v15, v68, v15
	v_add_f32_e32 v77, v69, v15
	v_rcp_f32_e32 v78, v77
	v_sub_f32_e32 v68, v69, v77
	v_add_f32_e32 v69, v70, v71
	v_add_f32_e32 v15, v15, v68
	v_mul_f32_e32 v80, v69, v78
	v_sub_f32_e32 v68, v70, v69
	v_mul_f32_e32 v70, v77, v80
	v_fma_f32 v72, v80, v77, -v70
	v_fmac_f32_e32 v72, v80, v15
	v_add_f32_e32 v79, v71, v68
	v_add_f32_e32 v68, v70, v72
	v_sub_f32_e32 v71, v69, v68
	v_pk_add_f32 v[74:75], v[68:69], v[70:71] neg_lo:[0,1] neg_hi:[0,1]
	v_mov_b32_e32 v73, v68
	v_pk_add_f32 v[68:69], v[74:75], v[72:73] neg_lo:[0,1] neg_hi:[0,1]
	v_cmp_neq_f32_e32 vcc, s66, v67
	v_add_f32_e32 v69, v79, v69
	v_add_f32_e32 v68, v68, v69
	;; [unrolled: 1-line block ×3, first 2 shown]
	v_mul_f32_e32 v79, v78, v69
	v_mul_f32_e32 v70, v77, v79
	v_fma_f32 v72, v79, v77, -v70
	v_fmac_f32_e32 v72, v79, v15
	v_sub_f32_e32 v15, v71, v69
	v_add_f32_e32 v15, v68, v15
	v_add_f32_e32 v68, v70, v72
	v_sub_f32_e32 v71, v69, v68
	v_pk_add_f32 v[74:75], v[68:69], v[70:71] neg_lo:[0,1] neg_hi:[0,1]
	v_mov_b32_e32 v73, v68
	v_pk_add_f32 v[68:69], v[74:75], v[72:73] neg_lo:[0,1] neg_hi:[0,1]
	s_nop 0
	v_add_f32_e32 v15, v15, v69
	v_add_f32_e32 v15, v68, v15
	;; [unrolled: 1-line block ×4, first 2 shown]
	v_sub_f32_e32 v68, v69, v80
	v_mul_f32_e32 v15, v78, v15
	v_sub_f32_e32 v68, v79, v68
	v_add_f32_e32 v70, v68, v15
	v_add_f32_e32 v72, v69, v70
	v_cvt_f32_i32_e32 v68, v76
	v_mul_f32_e32 v73, v72, v72
	v_sub_f32_e32 v69, v72, v69
	v_fmamk_f32 v15, v73, 0x3e9b6dac, v63
	v_sub_f32_e32 v69, v70, v69
	v_fmaak_f32 v15, v73, v15, 0x3f2aaada
	v_ldexp_f32 v74, v69, 1
	v_mul_f32_e32 v69, v72, v73
	v_ldexp_f32 v71, v72, 1
	v_pk_mul_f32 v[72:73], v[68:69], v[14:15]
	s_nop 0
	v_fma_f32 v70, v68, s68, -v72
	v_fmac_f32_e32 v70, 0xb102e308, v68
	v_pk_add_f32 v[68:69], v[72:73], v[70:71]
	s_nop 0
	v_sub_f32_e32 v15, v69, v71
	v_sub_f32_e32 v15, v73, v15
	v_add_f32_e32 v75, v74, v15
	v_mov_b32_e32 v74, v72
	v_pk_add_f32 v[72:73], v[68:69], v[72:73] neg_lo:[0,1] neg_hi:[0,1]
	v_pk_add_f32 v[76:77], v[68:69], v[74:75]
	v_mov_b32_e32 v71, v68
	v_mov_b32_e32 v73, v77
	v_pk_add_f32 v[78:79], v[70:71], v[72:73] neg_lo:[0,1] neg_hi:[0,1]
	v_pk_add_f32 v[70:71], v[70:71], v[72:73]
	v_mov_b32_e32 v74, v75
	v_pk_add_f32 v[72:73], v[70:71], v[68:69] op_sel:[1,0] op_sel_hi:[0,1] neg_lo:[0,1] neg_hi:[0,1]
	v_pk_add_f32 v[80:81], v[76:77], v[72:73] op_sel_hi:[1,0] neg_lo:[0,1] neg_hi:[0,1]
	v_mov_b32_e32 v76, v77
	v_mov_b32_e32 v77, v71
	v_pk_mov_b32 v[72:73], v[68:69], v[72:73] op_sel:[1,0]
	v_mov_b32_e32 v75, v68
	v_pk_add_f32 v[72:73], v[76:77], v[72:73] neg_lo:[0,1] neg_hi:[0,1]
	v_mov_b32_e32 v80, v78
	v_pk_add_f32 v[68:69], v[74:75], v[72:73] neg_lo:[0,1] neg_hi:[0,1]
	v_mov_b32_e32 v79, v71
	v_pk_add_f32 v[72:73], v[80:81], v[68:69]
	s_nop 0
	v_pk_add_f32 v[74:75], v[72:73], v[72:73] op_sel:[0,1] op_sel_hi:[1,0]
	s_nop 0
	v_pk_add_f32 v[70:71], v[70:71], v[74:75] op_sel:[1,0] op_sel_hi:[0,1]
	v_mov_b32_e32 v73, v70
	v_pk_add_f32 v[76:77], v[72:73], v[78:79] neg_lo:[0,1] neg_hi:[0,1]
	v_mov_b32_e32 v69, v74
	v_sub_f32_e32 v15, v72, v76
	v_pk_add_f32 v[68:69], v[68:69], v[76:77] neg_lo:[0,1] neg_hi:[0,1]
	v_sub_f32_e32 v15, v78, v15
	v_add_f32_e32 v15, v68, v15
	v_add_f32_e32 v15, v15, v69
	;; [unrolled: 1-line block ×3, first 2 shown]
	v_cndmask_b32_e32 v15, v65, v15, vcc
	v_cmp_lt_f32_e64 vcc, |v67|, s69
	s_nop 1
	v_cndmask_b32_e32 v15, v15, v67, vcc
	v_add_f32_e32 v15, v17, v15
.LBB503_145:                            ;   in Loop: Header=BB503_133 Depth=1
	s_or_b64 exec, exec, s[38:39]
	v_bfe_u32 v17, v15, 16, 1
	v_add3_u32 v17, v15, v17, s70
	v_cmp_o_f32_e32 vcc, v15, v15
	s_nop 1
	v_cndmask_b32_sdwa v15, v66, v17, vcc dst_sel:DWORD dst_unused:UNUSED_PAD src0_sel:DWORD src1_sel:WORD_1
	v_and_b32_e32 v17, 0xffff, v15
.LBB503_146:                            ;   in Loop: Header=BB503_133 Depth=1
	s_or_b64 exec, exec, s[58:59]
	s_waitcnt lgkmcnt(0)
	ds_bpermute_b32 v67, v54, v17
	v_cmp_le_u32_e32 vcc, v55, v16
	s_and_saveexec_b64 s[58:59], vcc
	s_cbranch_execz .LBB503_150
; %bb.147:                              ;   in Loop: Header=BB503_133 Depth=1
	s_waitcnt lgkmcnt(0)
	v_lshlrev_b32_e32 v15, 16, v67
	v_lshlrev_b32_e32 v17, 16, v17
	v_max_f32_e32 v68, v17, v17
	v_max_f32_e32 v69, v15, v15
	v_min_f32_e32 v67, v69, v68
	v_cmp_u_f32_e32 vcc, v15, v15
	v_max_f32_e32 v68, v69, v68
	v_cmp_u_f32_e64 s[38:39], v17, v17
	v_cndmask_b32_e32 v67, v67, v15, vcc
	v_cndmask_b32_e32 v68, v68, v15, vcc
	v_cndmask_b32_e64 v67, v67, v17, s[38:39]
	v_cndmask_b32_e64 v17, v68, v17, s[38:39]
	v_cmp_neq_f32_e32 vcc, v67, v17
	v_cmp_class_f32_e64 s[38:39], v67, s62
	s_or_b64 s[72:73], vcc, s[38:39]
	s_and_saveexec_b64 s[38:39], s[72:73]
	s_cbranch_execz .LBB503_149
; %bb.148:                              ;   in Loop: Header=BB503_133 Depth=1
	v_sub_f32_e32 v15, v67, v17
	v_mul_f32_e32 v67, 0x3fb8aa3b, v15
	v_fma_f32 v68, v15, s63, -v67
	v_rndne_f32_e32 v69, v67
	v_fmac_f32_e32 v68, 0x32a5705f, v15
	v_sub_f32_e32 v67, v67, v69
	v_add_f32_e32 v67, v67, v68
	v_cvt_i32_f32_e32 v68, v69
	v_exp_f32_e32 v67, v67
	v_cmp_ngt_f32_e32 vcc, s64, v15
	v_ldexp_f32 v67, v67, v68
	s_nop 0
	v_cndmask_b32_e32 v67, 0, v67, vcc
	v_cmp_nlt_f32_e32 vcc, s65, v15
	s_nop 1
	v_cndmask_b32_e32 v67, v65, v67, vcc
	v_add_f32_e32 v15, 1.0, v67
	v_add_f32_e32 v68, -1.0, v15
	v_sub_f32_e32 v69, v68, v15
	v_add_f32_e32 v69, 1.0, v69
	v_sub_f32_e32 v68, v67, v68
	v_add_f32_e32 v70, v68, v69
	v_frexp_mant_f32_e32 v71, v15
	v_cvt_f64_f32_e32 v[68:69], v15
	v_frexp_exp_i32_f64_e32 v68, v[68:69]
	v_cmp_gt_f32_e32 vcc, s67, v71
	s_nop 1
	v_subbrev_co_u32_e32 v76, vcc, 0, v68, vcc
	v_sub_u32_e32 v68, 0, v76
	v_ldexp_f32 v15, v15, v68
	v_ldexp_f32 v68, v70, v68
	v_add_f32_e32 v70, -1.0, v15
	v_add_f32_e32 v69, 1.0, v70
	v_sub_f32_e32 v69, v15, v69
	v_add_f32_e32 v71, v68, v69
	v_add_f32_e32 v69, 1.0, v15
	v_add_f32_e32 v72, -1.0, v69
	v_sub_f32_e32 v15, v15, v72
	v_add_f32_e32 v15, v68, v15
	v_add_f32_e32 v77, v69, v15
	v_rcp_f32_e32 v78, v77
	v_sub_f32_e32 v68, v69, v77
	v_add_f32_e32 v69, v70, v71
	v_add_f32_e32 v15, v15, v68
	v_mul_f32_e32 v80, v69, v78
	v_sub_f32_e32 v68, v70, v69
	v_mul_f32_e32 v70, v77, v80
	v_fma_f32 v72, v80, v77, -v70
	v_fmac_f32_e32 v72, v80, v15
	v_add_f32_e32 v79, v71, v68
	v_add_f32_e32 v68, v70, v72
	v_sub_f32_e32 v71, v69, v68
	v_pk_add_f32 v[74:75], v[68:69], v[70:71] neg_lo:[0,1] neg_hi:[0,1]
	v_mov_b32_e32 v73, v68
	v_pk_add_f32 v[68:69], v[74:75], v[72:73] neg_lo:[0,1] neg_hi:[0,1]
	v_cmp_neq_f32_e32 vcc, s66, v67
	v_add_f32_e32 v69, v79, v69
	v_add_f32_e32 v68, v68, v69
	;; [unrolled: 1-line block ×3, first 2 shown]
	v_mul_f32_e32 v79, v78, v69
	v_mul_f32_e32 v70, v77, v79
	v_fma_f32 v72, v79, v77, -v70
	v_fmac_f32_e32 v72, v79, v15
	v_sub_f32_e32 v15, v71, v69
	v_add_f32_e32 v15, v68, v15
	v_add_f32_e32 v68, v70, v72
	v_sub_f32_e32 v71, v69, v68
	v_pk_add_f32 v[74:75], v[68:69], v[70:71] neg_lo:[0,1] neg_hi:[0,1]
	v_mov_b32_e32 v73, v68
	v_pk_add_f32 v[68:69], v[74:75], v[72:73] neg_lo:[0,1] neg_hi:[0,1]
	s_nop 0
	v_add_f32_e32 v15, v15, v69
	v_add_f32_e32 v15, v68, v15
	;; [unrolled: 1-line block ×4, first 2 shown]
	v_sub_f32_e32 v68, v69, v80
	v_mul_f32_e32 v15, v78, v15
	v_sub_f32_e32 v68, v79, v68
	v_add_f32_e32 v70, v68, v15
	v_add_f32_e32 v72, v69, v70
	v_cvt_f32_i32_e32 v68, v76
	v_mul_f32_e32 v73, v72, v72
	v_sub_f32_e32 v69, v72, v69
	v_fmamk_f32 v15, v73, 0x3e9b6dac, v63
	v_sub_f32_e32 v69, v70, v69
	v_fmaak_f32 v15, v73, v15, 0x3f2aaada
	v_ldexp_f32 v74, v69, 1
	v_mul_f32_e32 v69, v72, v73
	v_ldexp_f32 v71, v72, 1
	v_pk_mul_f32 v[72:73], v[68:69], v[14:15]
	s_nop 0
	v_fma_f32 v70, v68, s68, -v72
	v_fmac_f32_e32 v70, 0xb102e308, v68
	v_pk_add_f32 v[68:69], v[72:73], v[70:71]
	s_nop 0
	v_sub_f32_e32 v15, v69, v71
	v_sub_f32_e32 v15, v73, v15
	v_add_f32_e32 v75, v74, v15
	v_mov_b32_e32 v74, v72
	v_pk_add_f32 v[72:73], v[68:69], v[72:73] neg_lo:[0,1] neg_hi:[0,1]
	v_pk_add_f32 v[76:77], v[68:69], v[74:75]
	v_mov_b32_e32 v71, v68
	v_mov_b32_e32 v73, v77
	v_pk_add_f32 v[78:79], v[70:71], v[72:73] neg_lo:[0,1] neg_hi:[0,1]
	v_pk_add_f32 v[70:71], v[70:71], v[72:73]
	v_mov_b32_e32 v74, v75
	v_pk_add_f32 v[72:73], v[70:71], v[68:69] op_sel:[1,0] op_sel_hi:[0,1] neg_lo:[0,1] neg_hi:[0,1]
	v_pk_add_f32 v[80:81], v[76:77], v[72:73] op_sel_hi:[1,0] neg_lo:[0,1] neg_hi:[0,1]
	v_mov_b32_e32 v76, v77
	v_mov_b32_e32 v77, v71
	v_pk_mov_b32 v[72:73], v[68:69], v[72:73] op_sel:[1,0]
	v_mov_b32_e32 v75, v68
	v_pk_add_f32 v[72:73], v[76:77], v[72:73] neg_lo:[0,1] neg_hi:[0,1]
	v_mov_b32_e32 v80, v78
	v_pk_add_f32 v[68:69], v[74:75], v[72:73] neg_lo:[0,1] neg_hi:[0,1]
	v_mov_b32_e32 v79, v71
	v_pk_add_f32 v[72:73], v[80:81], v[68:69]
	s_nop 0
	v_pk_add_f32 v[74:75], v[72:73], v[72:73] op_sel:[0,1] op_sel_hi:[1,0]
	s_nop 0
	v_pk_add_f32 v[70:71], v[70:71], v[74:75] op_sel:[1,0] op_sel_hi:[0,1]
	v_mov_b32_e32 v73, v70
	v_pk_add_f32 v[76:77], v[72:73], v[78:79] neg_lo:[0,1] neg_hi:[0,1]
	v_mov_b32_e32 v69, v74
	v_sub_f32_e32 v15, v72, v76
	v_pk_add_f32 v[68:69], v[68:69], v[76:77] neg_lo:[0,1] neg_hi:[0,1]
	v_sub_f32_e32 v15, v78, v15
	v_add_f32_e32 v15, v68, v15
	v_add_f32_e32 v15, v15, v69
	;; [unrolled: 1-line block ×3, first 2 shown]
	v_cndmask_b32_e32 v15, v65, v15, vcc
	v_cmp_lt_f32_e64 vcc, |v67|, s69
	s_nop 1
	v_cndmask_b32_e32 v15, v15, v67, vcc
	v_add_f32_e32 v15, v17, v15
.LBB503_149:                            ;   in Loop: Header=BB503_133 Depth=1
	s_or_b64 exec, exec, s[38:39]
	v_bfe_u32 v17, v15, 16, 1
	v_add3_u32 v17, v15, v17, s70
	v_cmp_o_f32_e32 vcc, v15, v15
	s_nop 1
	v_cndmask_b32_sdwa v15, v66, v17, vcc dst_sel:DWORD dst_unused:UNUSED_PAD src0_sel:DWORD src1_sel:WORD_1
	v_and_b32_e32 v17, 0xffff, v15
.LBB503_150:                            ;   in Loop: Header=BB503_133 Depth=1
	s_or_b64 exec, exec, s[58:59]
	s_waitcnt lgkmcnt(0)
	ds_bpermute_b32 v67, v56, v17
	v_cmp_le_u32_e32 vcc, v57, v16
	s_and_saveexec_b64 s[58:59], vcc
	s_cbranch_execz .LBB503_154
; %bb.151:                              ;   in Loop: Header=BB503_133 Depth=1
	s_waitcnt lgkmcnt(0)
	v_lshlrev_b32_e32 v15, 16, v67
	v_lshlrev_b32_e32 v17, 16, v17
	v_max_f32_e32 v68, v17, v17
	v_max_f32_e32 v69, v15, v15
	v_min_f32_e32 v67, v69, v68
	v_cmp_u_f32_e32 vcc, v15, v15
	v_max_f32_e32 v68, v69, v68
	v_cmp_u_f32_e64 s[38:39], v17, v17
	v_cndmask_b32_e32 v67, v67, v15, vcc
	v_cndmask_b32_e32 v68, v68, v15, vcc
	v_cndmask_b32_e64 v67, v67, v17, s[38:39]
	v_cndmask_b32_e64 v17, v68, v17, s[38:39]
	v_cmp_neq_f32_e32 vcc, v67, v17
	v_cmp_class_f32_e64 s[38:39], v67, s62
	s_or_b64 s[72:73], vcc, s[38:39]
	s_and_saveexec_b64 s[38:39], s[72:73]
	s_cbranch_execz .LBB503_153
; %bb.152:                              ;   in Loop: Header=BB503_133 Depth=1
	v_sub_f32_e32 v15, v67, v17
	v_mul_f32_e32 v67, 0x3fb8aa3b, v15
	v_fma_f32 v68, v15, s63, -v67
	v_rndne_f32_e32 v69, v67
	v_fmac_f32_e32 v68, 0x32a5705f, v15
	v_sub_f32_e32 v67, v67, v69
	v_add_f32_e32 v67, v67, v68
	v_cvt_i32_f32_e32 v68, v69
	v_exp_f32_e32 v67, v67
	v_cmp_ngt_f32_e32 vcc, s64, v15
	v_ldexp_f32 v67, v67, v68
	s_nop 0
	v_cndmask_b32_e32 v67, 0, v67, vcc
	v_cmp_nlt_f32_e32 vcc, s65, v15
	s_nop 1
	v_cndmask_b32_e32 v67, v65, v67, vcc
	v_add_f32_e32 v15, 1.0, v67
	v_add_f32_e32 v68, -1.0, v15
	v_sub_f32_e32 v69, v68, v15
	v_add_f32_e32 v69, 1.0, v69
	v_sub_f32_e32 v68, v67, v68
	v_add_f32_e32 v70, v68, v69
	v_frexp_mant_f32_e32 v71, v15
	v_cvt_f64_f32_e32 v[68:69], v15
	v_frexp_exp_i32_f64_e32 v68, v[68:69]
	v_cmp_gt_f32_e32 vcc, s67, v71
	s_nop 1
	v_subbrev_co_u32_e32 v76, vcc, 0, v68, vcc
	v_sub_u32_e32 v68, 0, v76
	v_ldexp_f32 v15, v15, v68
	v_ldexp_f32 v68, v70, v68
	v_add_f32_e32 v70, -1.0, v15
	v_add_f32_e32 v69, 1.0, v70
	v_sub_f32_e32 v69, v15, v69
	v_add_f32_e32 v71, v68, v69
	v_add_f32_e32 v69, 1.0, v15
	v_add_f32_e32 v72, -1.0, v69
	v_sub_f32_e32 v15, v15, v72
	v_add_f32_e32 v15, v68, v15
	v_add_f32_e32 v77, v69, v15
	v_rcp_f32_e32 v78, v77
	v_sub_f32_e32 v68, v69, v77
	v_add_f32_e32 v69, v70, v71
	v_add_f32_e32 v15, v15, v68
	v_mul_f32_e32 v80, v69, v78
	v_sub_f32_e32 v68, v70, v69
	v_mul_f32_e32 v70, v77, v80
	v_fma_f32 v72, v80, v77, -v70
	v_fmac_f32_e32 v72, v80, v15
	v_add_f32_e32 v79, v71, v68
	v_add_f32_e32 v68, v70, v72
	v_sub_f32_e32 v71, v69, v68
	v_pk_add_f32 v[74:75], v[68:69], v[70:71] neg_lo:[0,1] neg_hi:[0,1]
	v_mov_b32_e32 v73, v68
	v_pk_add_f32 v[68:69], v[74:75], v[72:73] neg_lo:[0,1] neg_hi:[0,1]
	v_cmp_neq_f32_e32 vcc, s66, v67
	v_add_f32_e32 v69, v79, v69
	v_add_f32_e32 v68, v68, v69
	;; [unrolled: 1-line block ×3, first 2 shown]
	v_mul_f32_e32 v79, v78, v69
	v_mul_f32_e32 v70, v77, v79
	v_fma_f32 v72, v79, v77, -v70
	v_fmac_f32_e32 v72, v79, v15
	v_sub_f32_e32 v15, v71, v69
	v_add_f32_e32 v15, v68, v15
	v_add_f32_e32 v68, v70, v72
	v_sub_f32_e32 v71, v69, v68
	v_pk_add_f32 v[74:75], v[68:69], v[70:71] neg_lo:[0,1] neg_hi:[0,1]
	v_mov_b32_e32 v73, v68
	v_pk_add_f32 v[68:69], v[74:75], v[72:73] neg_lo:[0,1] neg_hi:[0,1]
	s_nop 0
	v_add_f32_e32 v15, v15, v69
	v_add_f32_e32 v15, v68, v15
	;; [unrolled: 1-line block ×4, first 2 shown]
	v_sub_f32_e32 v68, v69, v80
	v_mul_f32_e32 v15, v78, v15
	v_sub_f32_e32 v68, v79, v68
	v_add_f32_e32 v70, v68, v15
	v_add_f32_e32 v72, v69, v70
	v_cvt_f32_i32_e32 v68, v76
	v_mul_f32_e32 v73, v72, v72
	v_sub_f32_e32 v69, v72, v69
	v_fmamk_f32 v15, v73, 0x3e9b6dac, v63
	v_sub_f32_e32 v69, v70, v69
	v_fmaak_f32 v15, v73, v15, 0x3f2aaada
	v_ldexp_f32 v74, v69, 1
	v_mul_f32_e32 v69, v72, v73
	v_ldexp_f32 v71, v72, 1
	v_pk_mul_f32 v[72:73], v[68:69], v[14:15]
	s_nop 0
	v_fma_f32 v70, v68, s68, -v72
	v_fmac_f32_e32 v70, 0xb102e308, v68
	v_pk_add_f32 v[68:69], v[72:73], v[70:71]
	s_nop 0
	v_sub_f32_e32 v15, v69, v71
	v_sub_f32_e32 v15, v73, v15
	v_add_f32_e32 v75, v74, v15
	v_mov_b32_e32 v74, v72
	v_pk_add_f32 v[72:73], v[68:69], v[72:73] neg_lo:[0,1] neg_hi:[0,1]
	v_pk_add_f32 v[76:77], v[68:69], v[74:75]
	v_mov_b32_e32 v71, v68
	v_mov_b32_e32 v73, v77
	v_pk_add_f32 v[78:79], v[70:71], v[72:73] neg_lo:[0,1] neg_hi:[0,1]
	v_pk_add_f32 v[70:71], v[70:71], v[72:73]
	v_mov_b32_e32 v74, v75
	v_pk_add_f32 v[72:73], v[70:71], v[68:69] op_sel:[1,0] op_sel_hi:[0,1] neg_lo:[0,1] neg_hi:[0,1]
	v_pk_add_f32 v[80:81], v[76:77], v[72:73] op_sel_hi:[1,0] neg_lo:[0,1] neg_hi:[0,1]
	v_mov_b32_e32 v76, v77
	v_mov_b32_e32 v77, v71
	v_pk_mov_b32 v[72:73], v[68:69], v[72:73] op_sel:[1,0]
	v_mov_b32_e32 v75, v68
	v_pk_add_f32 v[72:73], v[76:77], v[72:73] neg_lo:[0,1] neg_hi:[0,1]
	v_mov_b32_e32 v80, v78
	v_pk_add_f32 v[68:69], v[74:75], v[72:73] neg_lo:[0,1] neg_hi:[0,1]
	v_mov_b32_e32 v79, v71
	v_pk_add_f32 v[72:73], v[80:81], v[68:69]
	s_nop 0
	v_pk_add_f32 v[74:75], v[72:73], v[72:73] op_sel:[0,1] op_sel_hi:[1,0]
	s_nop 0
	v_pk_add_f32 v[70:71], v[70:71], v[74:75] op_sel:[1,0] op_sel_hi:[0,1]
	v_mov_b32_e32 v73, v70
	v_pk_add_f32 v[76:77], v[72:73], v[78:79] neg_lo:[0,1] neg_hi:[0,1]
	v_mov_b32_e32 v69, v74
	v_sub_f32_e32 v15, v72, v76
	v_pk_add_f32 v[68:69], v[68:69], v[76:77] neg_lo:[0,1] neg_hi:[0,1]
	v_sub_f32_e32 v15, v78, v15
	v_add_f32_e32 v15, v68, v15
	v_add_f32_e32 v15, v15, v69
	;; [unrolled: 1-line block ×3, first 2 shown]
	v_cndmask_b32_e32 v15, v65, v15, vcc
	v_cmp_lt_f32_e64 vcc, |v67|, s69
	s_nop 1
	v_cndmask_b32_e32 v15, v15, v67, vcc
	v_add_f32_e32 v15, v17, v15
.LBB503_153:                            ;   in Loop: Header=BB503_133 Depth=1
	s_or_b64 exec, exec, s[38:39]
	v_bfe_u32 v17, v15, 16, 1
	v_add3_u32 v17, v15, v17, s70
	v_cmp_o_f32_e32 vcc, v15, v15
	s_nop 1
	v_cndmask_b32_sdwa v15, v66, v17, vcc dst_sel:DWORD dst_unused:UNUSED_PAD src0_sel:DWORD src1_sel:WORD_1
	v_and_b32_e32 v17, 0xffff, v15
.LBB503_154:                            ;   in Loop: Header=BB503_133 Depth=1
	s_or_b64 exec, exec, s[58:59]
	s_waitcnt lgkmcnt(0)
	ds_bpermute_b32 v67, v58, v17
	v_cmp_le_u32_e32 vcc, v59, v16
	s_and_saveexec_b64 s[58:59], vcc
	s_cbranch_execz .LBB503_158
; %bb.155:                              ;   in Loop: Header=BB503_133 Depth=1
	s_waitcnt lgkmcnt(0)
	v_lshlrev_b32_e32 v15, 16, v67
	v_lshlrev_b32_e32 v17, 16, v17
	v_max_f32_e32 v68, v17, v17
	v_max_f32_e32 v69, v15, v15
	v_min_f32_e32 v67, v69, v68
	v_cmp_u_f32_e32 vcc, v15, v15
	v_max_f32_e32 v68, v69, v68
	v_cmp_u_f32_e64 s[38:39], v17, v17
	v_cndmask_b32_e32 v67, v67, v15, vcc
	v_cndmask_b32_e32 v68, v68, v15, vcc
	v_cndmask_b32_e64 v67, v67, v17, s[38:39]
	v_cndmask_b32_e64 v17, v68, v17, s[38:39]
	v_cmp_neq_f32_e32 vcc, v67, v17
	v_cmp_class_f32_e64 s[38:39], v67, s62
	s_or_b64 s[72:73], vcc, s[38:39]
	s_and_saveexec_b64 s[38:39], s[72:73]
	s_cbranch_execz .LBB503_157
; %bb.156:                              ;   in Loop: Header=BB503_133 Depth=1
	v_sub_f32_e32 v15, v67, v17
	v_mul_f32_e32 v67, 0x3fb8aa3b, v15
	v_fma_f32 v68, v15, s63, -v67
	v_rndne_f32_e32 v69, v67
	v_fmac_f32_e32 v68, 0x32a5705f, v15
	v_sub_f32_e32 v67, v67, v69
	v_add_f32_e32 v67, v67, v68
	v_cvt_i32_f32_e32 v68, v69
	v_exp_f32_e32 v67, v67
	v_cmp_ngt_f32_e32 vcc, s64, v15
	v_ldexp_f32 v67, v67, v68
	s_nop 0
	v_cndmask_b32_e32 v67, 0, v67, vcc
	v_cmp_nlt_f32_e32 vcc, s65, v15
	s_nop 1
	v_cndmask_b32_e32 v67, v65, v67, vcc
	v_add_f32_e32 v15, 1.0, v67
	v_add_f32_e32 v68, -1.0, v15
	v_sub_f32_e32 v69, v68, v15
	v_add_f32_e32 v69, 1.0, v69
	v_sub_f32_e32 v68, v67, v68
	v_add_f32_e32 v70, v68, v69
	v_frexp_mant_f32_e32 v71, v15
	v_cvt_f64_f32_e32 v[68:69], v15
	v_frexp_exp_i32_f64_e32 v68, v[68:69]
	v_cmp_gt_f32_e32 vcc, s67, v71
	s_nop 1
	v_subbrev_co_u32_e32 v76, vcc, 0, v68, vcc
	v_sub_u32_e32 v68, 0, v76
	v_ldexp_f32 v15, v15, v68
	v_ldexp_f32 v68, v70, v68
	v_add_f32_e32 v70, -1.0, v15
	v_add_f32_e32 v69, 1.0, v70
	v_sub_f32_e32 v69, v15, v69
	v_add_f32_e32 v71, v68, v69
	v_add_f32_e32 v69, 1.0, v15
	v_add_f32_e32 v72, -1.0, v69
	v_sub_f32_e32 v15, v15, v72
	v_add_f32_e32 v15, v68, v15
	v_add_f32_e32 v77, v69, v15
	v_rcp_f32_e32 v78, v77
	v_sub_f32_e32 v68, v69, v77
	v_add_f32_e32 v69, v70, v71
	v_add_f32_e32 v15, v15, v68
	v_mul_f32_e32 v80, v69, v78
	v_sub_f32_e32 v68, v70, v69
	v_mul_f32_e32 v70, v77, v80
	v_fma_f32 v72, v80, v77, -v70
	v_fmac_f32_e32 v72, v80, v15
	v_add_f32_e32 v79, v71, v68
	v_add_f32_e32 v68, v70, v72
	v_sub_f32_e32 v71, v69, v68
	v_pk_add_f32 v[74:75], v[68:69], v[70:71] neg_lo:[0,1] neg_hi:[0,1]
	v_mov_b32_e32 v73, v68
	v_pk_add_f32 v[68:69], v[74:75], v[72:73] neg_lo:[0,1] neg_hi:[0,1]
	v_cmp_neq_f32_e32 vcc, s66, v67
	v_add_f32_e32 v69, v79, v69
	v_add_f32_e32 v68, v68, v69
	;; [unrolled: 1-line block ×3, first 2 shown]
	v_mul_f32_e32 v79, v78, v69
	v_mul_f32_e32 v70, v77, v79
	v_fma_f32 v72, v79, v77, -v70
	v_fmac_f32_e32 v72, v79, v15
	v_sub_f32_e32 v15, v71, v69
	v_add_f32_e32 v15, v68, v15
	v_add_f32_e32 v68, v70, v72
	v_sub_f32_e32 v71, v69, v68
	v_pk_add_f32 v[74:75], v[68:69], v[70:71] neg_lo:[0,1] neg_hi:[0,1]
	v_mov_b32_e32 v73, v68
	v_pk_add_f32 v[68:69], v[74:75], v[72:73] neg_lo:[0,1] neg_hi:[0,1]
	s_nop 0
	v_add_f32_e32 v15, v15, v69
	v_add_f32_e32 v15, v68, v15
	;; [unrolled: 1-line block ×4, first 2 shown]
	v_sub_f32_e32 v68, v69, v80
	v_mul_f32_e32 v15, v78, v15
	v_sub_f32_e32 v68, v79, v68
	v_add_f32_e32 v70, v68, v15
	v_add_f32_e32 v72, v69, v70
	v_cvt_f32_i32_e32 v68, v76
	v_mul_f32_e32 v73, v72, v72
	v_sub_f32_e32 v69, v72, v69
	v_fmamk_f32 v15, v73, 0x3e9b6dac, v63
	v_sub_f32_e32 v69, v70, v69
	v_fmaak_f32 v15, v73, v15, 0x3f2aaada
	v_ldexp_f32 v74, v69, 1
	v_mul_f32_e32 v69, v72, v73
	v_ldexp_f32 v71, v72, 1
	v_pk_mul_f32 v[72:73], v[68:69], v[14:15]
	s_nop 0
	v_fma_f32 v70, v68, s68, -v72
	v_fmac_f32_e32 v70, 0xb102e308, v68
	v_pk_add_f32 v[68:69], v[72:73], v[70:71]
	s_nop 0
	v_sub_f32_e32 v15, v69, v71
	v_sub_f32_e32 v15, v73, v15
	v_add_f32_e32 v75, v74, v15
	v_mov_b32_e32 v74, v72
	v_pk_add_f32 v[72:73], v[68:69], v[72:73] neg_lo:[0,1] neg_hi:[0,1]
	v_pk_add_f32 v[76:77], v[68:69], v[74:75]
	v_mov_b32_e32 v71, v68
	v_mov_b32_e32 v73, v77
	v_pk_add_f32 v[78:79], v[70:71], v[72:73] neg_lo:[0,1] neg_hi:[0,1]
	v_pk_add_f32 v[70:71], v[70:71], v[72:73]
	v_mov_b32_e32 v74, v75
	v_pk_add_f32 v[72:73], v[70:71], v[68:69] op_sel:[1,0] op_sel_hi:[0,1] neg_lo:[0,1] neg_hi:[0,1]
	v_pk_add_f32 v[80:81], v[76:77], v[72:73] op_sel_hi:[1,0] neg_lo:[0,1] neg_hi:[0,1]
	v_mov_b32_e32 v76, v77
	v_mov_b32_e32 v77, v71
	v_pk_mov_b32 v[72:73], v[68:69], v[72:73] op_sel:[1,0]
	v_mov_b32_e32 v75, v68
	v_pk_add_f32 v[72:73], v[76:77], v[72:73] neg_lo:[0,1] neg_hi:[0,1]
	v_mov_b32_e32 v80, v78
	v_pk_add_f32 v[68:69], v[74:75], v[72:73] neg_lo:[0,1] neg_hi:[0,1]
	v_mov_b32_e32 v79, v71
	v_pk_add_f32 v[72:73], v[80:81], v[68:69]
	s_nop 0
	v_pk_add_f32 v[74:75], v[72:73], v[72:73] op_sel:[0,1] op_sel_hi:[1,0]
	s_nop 0
	v_pk_add_f32 v[70:71], v[70:71], v[74:75] op_sel:[1,0] op_sel_hi:[0,1]
	v_mov_b32_e32 v73, v70
	v_pk_add_f32 v[76:77], v[72:73], v[78:79] neg_lo:[0,1] neg_hi:[0,1]
	v_mov_b32_e32 v69, v74
	v_sub_f32_e32 v15, v72, v76
	v_pk_add_f32 v[68:69], v[68:69], v[76:77] neg_lo:[0,1] neg_hi:[0,1]
	v_sub_f32_e32 v15, v78, v15
	v_add_f32_e32 v15, v68, v15
	v_add_f32_e32 v15, v15, v69
	;; [unrolled: 1-line block ×3, first 2 shown]
	v_cndmask_b32_e32 v15, v65, v15, vcc
	v_cmp_lt_f32_e64 vcc, |v67|, s69
	s_nop 1
	v_cndmask_b32_e32 v15, v15, v67, vcc
	v_add_f32_e32 v15, v17, v15
.LBB503_157:                            ;   in Loop: Header=BB503_133 Depth=1
	s_or_b64 exec, exec, s[38:39]
	v_bfe_u32 v17, v15, 16, 1
	v_add3_u32 v17, v15, v17, s70
	v_cmp_o_f32_e32 vcc, v15, v15
	s_nop 1
	v_cndmask_b32_sdwa v15, v66, v17, vcc dst_sel:DWORD dst_unused:UNUSED_PAD src0_sel:DWORD src1_sel:WORD_1
	v_and_b32_e32 v17, 0xffff, v15
.LBB503_158:                            ;   in Loop: Header=BB503_133 Depth=1
	s_or_b64 exec, exec, s[58:59]
	s_waitcnt lgkmcnt(0)
	ds_bpermute_b32 v67, v60, v17
	v_cmp_le_u32_e32 vcc, v61, v16
	s_and_saveexec_b64 s[58:59], vcc
	s_cbranch_execz .LBB503_162
; %bb.159:                              ;   in Loop: Header=BB503_133 Depth=1
	s_waitcnt lgkmcnt(0)
	v_lshlrev_b32_e32 v15, 16, v67
	v_lshlrev_b32_e32 v16, 16, v17
	v_max_f32_e32 v67, v16, v16
	v_max_f32_e32 v68, v15, v15
	v_min_f32_e32 v17, v68, v67
	v_cmp_u_f32_e32 vcc, v15, v15
	v_max_f32_e32 v67, v68, v67
	v_cmp_u_f32_e64 s[38:39], v16, v16
	v_cndmask_b32_e32 v17, v17, v15, vcc
	v_cndmask_b32_e32 v67, v67, v15, vcc
	v_cndmask_b32_e64 v17, v17, v16, s[38:39]
	v_cndmask_b32_e64 v16, v67, v16, s[38:39]
	v_cmp_neq_f32_e32 vcc, v17, v16
	v_cmp_class_f32_e64 s[38:39], v17, s62
	s_or_b64 s[72:73], vcc, s[38:39]
	s_and_saveexec_b64 s[38:39], s[72:73]
	s_cbranch_execz .LBB503_161
; %bb.160:                              ;   in Loop: Header=BB503_133 Depth=1
	v_sub_f32_e32 v15, v17, v16
	v_mul_f32_e32 v17, 0x3fb8aa3b, v15
	v_fma_f32 v67, v15, s63, -v17
	v_rndne_f32_e32 v68, v17
	v_fmac_f32_e32 v67, 0x32a5705f, v15
	v_sub_f32_e32 v17, v17, v68
	v_add_f32_e32 v17, v17, v67
	v_cvt_i32_f32_e32 v67, v68
	v_exp_f32_e32 v17, v17
	v_cmp_ngt_f32_e32 vcc, s64, v15
	v_ldexp_f32 v17, v17, v67
	s_nop 0
	v_cndmask_b32_e32 v17, 0, v17, vcc
	v_cmp_nlt_f32_e32 vcc, s65, v15
	s_nop 1
	v_cndmask_b32_e32 v17, v65, v17, vcc
	v_add_f32_e32 v15, 1.0, v17
	v_add_f32_e32 v67, -1.0, v15
	v_sub_f32_e32 v68, v67, v15
	v_add_f32_e32 v68, 1.0, v68
	v_sub_f32_e32 v67, v17, v67
	v_add_f32_e32 v67, v67, v68
	v_frexp_mant_f32_e32 v70, v15
	v_cvt_f64_f32_e32 v[68:69], v15
	v_frexp_exp_i32_f64_e32 v68, v[68:69]
	v_cmp_gt_f32_e32 vcc, s67, v70
	s_nop 1
	v_subbrev_co_u32_e32 v76, vcc, 0, v68, vcc
	v_sub_u32_e32 v68, 0, v76
	v_ldexp_f32 v15, v15, v68
	v_ldexp_f32 v67, v67, v68
	v_add_f32_e32 v68, -1.0, v15
	v_add_f32_e32 v69, 1.0, v68
	v_sub_f32_e32 v69, v15, v69
	v_add_f32_e32 v70, v67, v69
	v_add_f32_e32 v69, 1.0, v15
	v_add_f32_e32 v71, -1.0, v69
	v_sub_f32_e32 v15, v15, v71
	v_add_f32_e32 v15, v67, v15
	v_add_f32_e32 v67, v69, v15
	v_rcp_f32_e32 v77, v67
	v_sub_f32_e32 v69, v69, v67
	v_add_f32_e32 v15, v15, v69
	v_add_f32_e32 v69, v68, v70
	v_sub_f32_e32 v68, v68, v69
	v_mul_f32_e32 v79, v69, v77
	v_add_f32_e32 v78, v70, v68
	v_mul_f32_e32 v70, v67, v79
	v_fma_f32 v72, v79, v67, -v70
	v_fmac_f32_e32 v72, v79, v15
	v_add_f32_e32 v68, v70, v72
	v_sub_f32_e32 v71, v69, v68
	v_pk_add_f32 v[74:75], v[68:69], v[70:71] neg_lo:[0,1] neg_hi:[0,1]
	v_mov_b32_e32 v73, v68
	v_pk_add_f32 v[68:69], v[74:75], v[72:73] neg_lo:[0,1] neg_hi:[0,1]
	v_cmp_neq_f32_e32 vcc, s66, v17
	v_add_f32_e32 v69, v78, v69
	v_add_f32_e32 v68, v68, v69
	;; [unrolled: 1-line block ×3, first 2 shown]
	v_mul_f32_e32 v78, v77, v69
	v_mul_f32_e32 v70, v67, v78
	v_fma_f32 v72, v78, v67, -v70
	v_fmac_f32_e32 v72, v78, v15
	v_sub_f32_e32 v15, v71, v69
	v_add_f32_e32 v15, v68, v15
	v_add_f32_e32 v68, v70, v72
	v_sub_f32_e32 v71, v69, v68
	v_pk_add_f32 v[74:75], v[68:69], v[70:71] neg_lo:[0,1] neg_hi:[0,1]
	v_mov_b32_e32 v73, v68
	v_pk_add_f32 v[68:69], v[74:75], v[72:73] neg_lo:[0,1] neg_hi:[0,1]
	v_add_f32_e32 v67, v79, v78
	v_add_f32_e32 v15, v15, v69
	;; [unrolled: 1-line block ×4, first 2 shown]
	v_sub_f32_e32 v68, v67, v79
	v_mul_f32_e32 v15, v77, v15
	v_sub_f32_e32 v68, v78, v68
	v_add_f32_e32 v69, v68, v15
	v_add_f32_e32 v70, v67, v69
	v_cvt_f32_i32_e32 v68, v76
	v_mul_f32_e32 v72, v70, v70
	v_fmamk_f32 v15, v72, 0x3e9b6dac, v63
	v_sub_f32_e32 v67, v70, v67
	v_fmaak_f32 v15, v72, v15, 0x3f2aaada
	v_sub_f32_e32 v67, v69, v67
	v_mul_f32_e32 v69, v70, v72
	v_pk_mul_f32 v[72:73], v[68:69], v[14:15]
	v_ldexp_f32 v71, v70, 1
	v_fma_f32 v70, v68, s68, -v72
	v_fmac_f32_e32 v70, 0xb102e308, v68
	v_pk_add_f32 v[68:69], v[72:73], v[70:71]
	v_ldexp_f32 v67, v67, 1
	v_sub_f32_e32 v15, v69, v71
	v_sub_f32_e32 v15, v73, v15
	v_add_f32_e32 v75, v67, v15
	v_mov_b32_e32 v74, v72
	v_pk_add_f32 v[72:73], v[68:69], v[72:73] neg_lo:[0,1] neg_hi:[0,1]
	v_pk_add_f32 v[76:77], v[68:69], v[74:75]
	v_mov_b32_e32 v71, v68
	v_mov_b32_e32 v73, v77
	v_pk_add_f32 v[78:79], v[70:71], v[72:73] neg_lo:[0,1] neg_hi:[0,1]
	v_pk_add_f32 v[70:71], v[70:71], v[72:73]
	v_mov_b32_e32 v74, v75
	v_pk_add_f32 v[72:73], v[70:71], v[68:69] op_sel:[1,0] op_sel_hi:[0,1] neg_lo:[0,1] neg_hi:[0,1]
	v_pk_add_f32 v[80:81], v[76:77], v[72:73] op_sel_hi:[1,0] neg_lo:[0,1] neg_hi:[0,1]
	v_mov_b32_e32 v76, v77
	v_mov_b32_e32 v77, v71
	v_pk_mov_b32 v[72:73], v[68:69], v[72:73] op_sel:[1,0]
	v_mov_b32_e32 v75, v68
	v_pk_add_f32 v[72:73], v[76:77], v[72:73] neg_lo:[0,1] neg_hi:[0,1]
	v_mov_b32_e32 v80, v78
	v_pk_add_f32 v[68:69], v[74:75], v[72:73] neg_lo:[0,1] neg_hi:[0,1]
	v_mov_b32_e32 v79, v71
	v_pk_add_f32 v[72:73], v[80:81], v[68:69]
	s_nop 0
	v_pk_add_f32 v[74:75], v[72:73], v[72:73] op_sel:[0,1] op_sel_hi:[1,0]
	s_nop 0
	v_pk_add_f32 v[70:71], v[70:71], v[74:75] op_sel:[1,0] op_sel_hi:[0,1]
	v_mov_b32_e32 v73, v70
	v_pk_add_f32 v[76:77], v[72:73], v[78:79] neg_lo:[0,1] neg_hi:[0,1]
	v_mov_b32_e32 v69, v74
	v_sub_f32_e32 v15, v72, v76
	v_pk_add_f32 v[68:69], v[68:69], v[76:77] neg_lo:[0,1] neg_hi:[0,1]
	v_sub_f32_e32 v15, v78, v15
	v_add_f32_e32 v15, v68, v15
	v_add_f32_e32 v15, v15, v69
	;; [unrolled: 1-line block ×3, first 2 shown]
	v_cndmask_b32_e32 v15, v65, v15, vcc
	v_cmp_lt_f32_e64 vcc, |v17|, s69
	s_nop 1
	v_cndmask_b32_e32 v15, v15, v17, vcc
	v_add_f32_e32 v15, v16, v15
.LBB503_161:                            ;   in Loop: Header=BB503_133 Depth=1
	s_or_b64 exec, exec, s[38:39]
	v_bfe_u32 v16, v15, 16, 1
	v_add3_u32 v16, v15, v16, s70
	v_cmp_o_f32_e32 vcc, v15, v15
	s_nop 1
	v_cndmask_b32_sdwa v15, v66, v16, vcc dst_sel:DWORD dst_unused:UNUSED_PAD src0_sel:DWORD src1_sel:WORD_1
.LBB503_162:                            ;   in Loop: Header=BB503_133 Depth=1
	s_or_b64 exec, exec, s[58:59]
	v_lshlrev_b32_e32 v15, 16, v15
	v_lshlrev_b32_e32 v16, 16, v62
	s_waitcnt lgkmcnt(0)
	v_max_f32_e32 v67, v16, v16
	v_max_f32_e32 v68, v15, v15
	v_min_f32_e32 v17, v68, v67
	v_cmp_u_f32_e32 vcc, v15, v15
	v_max_f32_e32 v67, v68, v67
	v_cmp_u_f32_e64 s[38:39], v16, v16
	v_cndmask_b32_e32 v17, v17, v15, vcc
	v_cndmask_b32_e32 v67, v67, v15, vcc
	v_cndmask_b32_e64 v17, v17, v16, s[38:39]
	v_cndmask_b32_e64 v16, v67, v16, s[38:39]
	v_cmp_neq_f32_e32 vcc, v17, v16
	v_cmp_class_f32_e64 s[38:39], v17, s62
	s_or_b64 s[58:59], vcc, s[38:39]
	s_and_saveexec_b64 s[38:39], s[58:59]
	s_cbranch_execz .LBB503_131
; %bb.163:                              ;   in Loop: Header=BB503_133 Depth=1
	v_sub_f32_e32 v15, v17, v16
	v_mul_f32_e32 v17, 0x3fb8aa3b, v15
	v_fma_f32 v67, v15, s63, -v17
	v_rndne_f32_e32 v68, v17
	v_fmac_f32_e32 v67, 0x32a5705f, v15
	v_sub_f32_e32 v17, v17, v68
	v_add_f32_e32 v17, v17, v67
	v_cvt_i32_f32_e32 v67, v68
	v_exp_f32_e32 v17, v17
	v_cmp_ngt_f32_e32 vcc, s64, v15
	v_ldexp_f32 v17, v17, v67
	s_nop 0
	v_cndmask_b32_e32 v17, 0, v17, vcc
	v_cmp_nlt_f32_e32 vcc, s65, v15
	s_nop 1
	v_cndmask_b32_e32 v17, v65, v17, vcc
	v_add_f32_e32 v15, 1.0, v17
	v_add_f32_e32 v67, -1.0, v15
	v_sub_f32_e32 v68, v67, v15
	v_add_f32_e32 v68, 1.0, v68
	v_sub_f32_e32 v67, v17, v67
	v_add_f32_e32 v67, v67, v68
	v_frexp_mant_f32_e32 v70, v15
	v_cvt_f64_f32_e32 v[68:69], v15
	v_frexp_exp_i32_f64_e32 v68, v[68:69]
	v_cmp_gt_f32_e32 vcc, s67, v70
	s_nop 1
	v_subbrev_co_u32_e32 v76, vcc, 0, v68, vcc
	v_sub_u32_e32 v68, 0, v76
	v_ldexp_f32 v15, v15, v68
	v_ldexp_f32 v67, v67, v68
	v_add_f32_e32 v68, -1.0, v15
	v_add_f32_e32 v69, 1.0, v68
	v_sub_f32_e32 v69, v15, v69
	v_add_f32_e32 v70, v67, v69
	v_add_f32_e32 v69, 1.0, v15
	v_add_f32_e32 v71, -1.0, v69
	v_sub_f32_e32 v15, v15, v71
	v_add_f32_e32 v15, v67, v15
	v_add_f32_e32 v67, v69, v15
	v_rcp_f32_e32 v77, v67
	v_sub_f32_e32 v69, v69, v67
	v_add_f32_e32 v15, v15, v69
	v_add_f32_e32 v69, v68, v70
	v_sub_f32_e32 v68, v68, v69
	v_mul_f32_e32 v79, v69, v77
	v_add_f32_e32 v78, v70, v68
	v_mul_f32_e32 v70, v67, v79
	v_fma_f32 v72, v79, v67, -v70
	v_fmac_f32_e32 v72, v79, v15
	v_add_f32_e32 v68, v70, v72
	v_sub_f32_e32 v71, v69, v68
	v_pk_add_f32 v[74:75], v[68:69], v[70:71] neg_lo:[0,1] neg_hi:[0,1]
	v_mov_b32_e32 v73, v68
	v_pk_add_f32 v[68:69], v[74:75], v[72:73] neg_lo:[0,1] neg_hi:[0,1]
	v_cmp_neq_f32_e32 vcc, s66, v17
	v_add_f32_e32 v69, v78, v69
	v_add_f32_e32 v68, v68, v69
	;; [unrolled: 1-line block ×3, first 2 shown]
	v_mul_f32_e32 v78, v77, v69
	v_mul_f32_e32 v70, v67, v78
	v_fma_f32 v72, v78, v67, -v70
	v_fmac_f32_e32 v72, v78, v15
	v_sub_f32_e32 v15, v71, v69
	v_add_f32_e32 v15, v68, v15
	v_add_f32_e32 v68, v70, v72
	v_sub_f32_e32 v71, v69, v68
	v_pk_add_f32 v[74:75], v[68:69], v[70:71] neg_lo:[0,1] neg_hi:[0,1]
	v_mov_b32_e32 v73, v68
	v_pk_add_f32 v[68:69], v[74:75], v[72:73] neg_lo:[0,1] neg_hi:[0,1]
	v_add_f32_e32 v67, v79, v78
	v_add_f32_e32 v15, v15, v69
	;; [unrolled: 1-line block ×4, first 2 shown]
	v_sub_f32_e32 v68, v67, v79
	v_mul_f32_e32 v15, v77, v15
	v_sub_f32_e32 v68, v78, v68
	v_add_f32_e32 v69, v68, v15
	v_add_f32_e32 v70, v67, v69
	v_cvt_f32_i32_e32 v68, v76
	v_mul_f32_e32 v72, v70, v70
	v_fmamk_f32 v15, v72, 0x3e9b6dac, v63
	v_sub_f32_e32 v67, v70, v67
	v_fmaak_f32 v15, v72, v15, 0x3f2aaada
	v_sub_f32_e32 v67, v69, v67
	v_mul_f32_e32 v69, v70, v72
	v_pk_mul_f32 v[72:73], v[68:69], v[14:15]
	v_ldexp_f32 v71, v70, 1
	v_fma_f32 v70, v68, s68, -v72
	v_fmac_f32_e32 v70, 0xb102e308, v68
	v_pk_add_f32 v[68:69], v[72:73], v[70:71]
	v_ldexp_f32 v67, v67, 1
	v_sub_f32_e32 v15, v69, v71
	v_sub_f32_e32 v15, v73, v15
	v_add_f32_e32 v75, v67, v15
	v_mov_b32_e32 v74, v72
	v_pk_add_f32 v[72:73], v[68:69], v[72:73] neg_lo:[0,1] neg_hi:[0,1]
	v_pk_add_f32 v[76:77], v[68:69], v[74:75]
	v_mov_b32_e32 v71, v68
	v_mov_b32_e32 v73, v77
	v_pk_add_f32 v[78:79], v[70:71], v[72:73] neg_lo:[0,1] neg_hi:[0,1]
	v_pk_add_f32 v[70:71], v[70:71], v[72:73]
	v_mov_b32_e32 v74, v75
	v_pk_add_f32 v[72:73], v[70:71], v[68:69] op_sel:[1,0] op_sel_hi:[0,1] neg_lo:[0,1] neg_hi:[0,1]
	v_pk_add_f32 v[80:81], v[76:77], v[72:73] op_sel_hi:[1,0] neg_lo:[0,1] neg_hi:[0,1]
	v_mov_b32_e32 v76, v77
	v_mov_b32_e32 v77, v71
	v_pk_mov_b32 v[72:73], v[68:69], v[72:73] op_sel:[1,0]
	v_mov_b32_e32 v75, v68
	v_pk_add_f32 v[72:73], v[76:77], v[72:73] neg_lo:[0,1] neg_hi:[0,1]
	v_mov_b32_e32 v80, v78
	v_pk_add_f32 v[68:69], v[74:75], v[72:73] neg_lo:[0,1] neg_hi:[0,1]
	v_mov_b32_e32 v79, v71
	v_pk_add_f32 v[72:73], v[80:81], v[68:69]
	s_nop 0
	v_pk_add_f32 v[74:75], v[72:73], v[72:73] op_sel:[0,1] op_sel_hi:[1,0]
	s_nop 0
	v_pk_add_f32 v[70:71], v[70:71], v[74:75] op_sel:[1,0] op_sel_hi:[0,1]
	v_mov_b32_e32 v73, v70
	v_pk_add_f32 v[76:77], v[72:73], v[78:79] neg_lo:[0,1] neg_hi:[0,1]
	v_mov_b32_e32 v69, v74
	v_sub_f32_e32 v15, v72, v76
	v_pk_add_f32 v[68:69], v[68:69], v[76:77] neg_lo:[0,1] neg_hi:[0,1]
	v_sub_f32_e32 v15, v78, v15
	v_add_f32_e32 v15, v68, v15
	v_add_f32_e32 v15, v15, v69
	;; [unrolled: 1-line block ×3, first 2 shown]
	v_cndmask_b32_e32 v15, v65, v15, vcc
	v_cmp_lt_f32_e64 vcc, |v17|, s69
	s_nop 1
	v_cndmask_b32_e32 v15, v15, v17, vcc
	v_add_f32_e32 v15, v16, v15
	s_branch .LBB503_131
.LBB503_164:
                                        ; implicit-def: $vgpr10
                                        ; implicit-def: $vgpr11
                                        ; implicit-def: $vgpr12
                                        ; implicit-def: $vgpr13
                                        ; implicit-def: $vgpr14
                                        ; implicit-def: $vgpr15
                                        ; implicit-def: $vgpr16
                                        ; implicit-def: $vgpr17
                                        ; implicit-def: $vgpr18
                                        ; implicit-def: $vgpr19
                                        ; implicit-def: $vgpr20
                                        ; implicit-def: $vgpr21
                                        ; implicit-def: $vgpr22
                                        ; implicit-def: $vgpr23
	s_cbranch_execnz .LBB503_204
	s_branch .LBB503_303
.LBB503_165:
	s_and_saveexec_b64 s[58:59], s[36:37]
	s_cbranch_execz .LBB503_169
; %bb.166:
	v_lshlrev_b32_e32 v11, 16, v62
	v_lshlrev_b32_e32 v10, 16, v48
	v_max_f32_e32 v13, v10, v10
	v_max_f32_e32 v14, v11, v11
	v_min_f32_e32 v12, v14, v13
	v_cmp_u_f32_e32 vcc, v11, v11
	v_max_f32_e32 v13, v14, v13
	v_cmp_u_f32_e64 s[38:39], v10, v10
	v_cndmask_b32_e32 v12, v12, v11, vcc
	v_cndmask_b32_e32 v13, v13, v11, vcc
	v_cndmask_b32_e64 v12, v12, v10, s[38:39]
	v_cndmask_b32_e64 v10, v13, v10, s[38:39]
	s_movk_i32 s38, 0x1f8
	v_cmp_neq_f32_e32 vcc, v12, v10
	v_cmp_class_f32_e64 s[38:39], v12, s38
	s_or_b64 s[62:63], vcc, s[38:39]
	s_and_saveexec_b64 s[38:39], s[62:63]
	s_cbranch_execz .LBB503_168
; %bb.167:
	v_sub_f32_e32 v11, v12, v10
	s_mov_b32 s62, 0x3fb8aa3b
	v_mul_f32_e32 v12, 0x3fb8aa3b, v11
	v_fma_f32 v13, v11, s62, -v12
	v_rndne_f32_e32 v14, v12
	v_fmamk_f32 v13, v11, 0x32a5705f, v13
	v_sub_f32_e32 v12, v12, v14
	v_add_f32_e32 v12, v12, v13
	v_exp_f32_e32 v12, v12
	v_cvt_i32_f32_e32 v13, v14
	s_mov_b32 s62, 0xc2ce8ed0
	v_cmp_ngt_f32_e32 vcc, s62, v11
	s_mov_b32 s62, 0x42b17218
	v_ldexp_f32 v12, v12, v13
	v_cndmask_b32_e32 v12, 0, v12, vcc
	v_mov_b32_e32 v56, 0x7f800000
	v_cmp_nlt_f32_e32 vcc, s62, v11
	s_mov_b32 s62, 0x3f2aaaab
	s_mov_b32 s63, 0x7f800000
	v_cndmask_b32_e32 v11, v56, v12, vcc
	v_add_f32_e32 v14, 1.0, v11
	v_add_f32_e32 v12, -1.0, v14
	v_sub_f32_e32 v13, v12, v14
	v_add_f32_e32 v13, 1.0, v13
	v_sub_f32_e32 v12, v11, v12
	v_add_f32_e32 v15, v12, v13
	v_frexp_mant_f32_e32 v16, v14
	v_cvt_f64_f32_e32 v[12:13], v14
	v_frexp_exp_i32_f64_e32 v12, v[12:13]
	v_cmp_gt_f32_e32 vcc, s62, v16
	s_mov_b32 s62, 0x3f317218
	s_nop 0
	v_subbrev_co_u32_e32 v50, vcc, 0, v12, vcc
	v_sub_u32_e32 v12, 0, v50
	v_ldexp_f32 v13, v14, v12
	v_add_f32_e32 v14, -1.0, v13
	v_add_f32_e32 v16, 1.0, v13
	v_ldexp_f32 v12, v15, v12
	v_add_f32_e32 v15, 1.0, v14
	v_add_f32_e32 v17, -1.0, v16
	v_sub_f32_e32 v15, v13, v15
	v_sub_f32_e32 v13, v13, v17
	v_add_f32_e32 v15, v12, v15
	v_add_f32_e32 v12, v12, v13
	;; [unrolled: 1-line block ×3, first 2 shown]
	v_rcp_f32_e32 v53, v51
	v_sub_f32_e32 v13, v16, v51
	v_add_f32_e32 v52, v12, v13
	v_add_f32_e32 v13, v14, v15
	v_mul_f32_e32 v55, v13, v53
	v_sub_f32_e32 v12, v14, v13
	v_mul_f32_e32 v14, v51, v55
	v_fma_f32 v16, v55, v51, -v14
	v_fmac_f32_e32 v16, v55, v52
	v_add_f32_e32 v54, v15, v12
	v_add_f32_e32 v12, v14, v16
	v_sub_f32_e32 v15, v13, v12
	v_pk_add_f32 v[48:49], v[12:13], v[14:15] neg_lo:[0,1] neg_hi:[0,1]
	v_mov_b32_e32 v17, v12
	v_pk_add_f32 v[12:13], v[48:49], v[16:17] neg_lo:[0,1] neg_hi:[0,1]
	v_cmp_neq_f32_e32 vcc, s63, v11
	v_add_f32_e32 v13, v54, v13
	v_add_f32_e32 v12, v12, v13
	;; [unrolled: 1-line block ×3, first 2 shown]
	v_mul_f32_e32 v54, v53, v13
	v_mul_f32_e32 v14, v51, v54
	v_fma_f32 v16, v54, v51, -v14
	v_fmac_f32_e32 v16, v54, v52
	v_sub_f32_e32 v15, v15, v13
	v_add_f32_e32 v51, v12, v15
	v_add_f32_e32 v12, v14, v16
	v_sub_f32_e32 v15, v13, v12
	v_pk_add_f32 v[48:49], v[12:13], v[14:15] neg_lo:[0,1] neg_hi:[0,1]
	v_mov_b32_e32 v17, v12
	v_pk_add_f32 v[12:13], v[48:49], v[16:17] neg_lo:[0,1] neg_hi:[0,1]
	v_cvt_f32_i32_e32 v14, v50
	v_add_f32_e32 v13, v51, v13
	v_add_f32_e32 v12, v12, v13
	;; [unrolled: 1-line block ×4, first 2 shown]
	v_sub_f32_e32 v13, v15, v55
	v_mul_f32_e32 v12, v53, v12
	v_sub_f32_e32 v13, v54, v13
	v_add_f32_e32 v12, v13, v12
	v_add_f32_e32 v16, v15, v12
	v_mul_f32_e32 v48, v16, v16
	v_mov_b32_e32 v13, 0x3ecc95a3
	v_sub_f32_e32 v15, v16, v15
	v_fmac_f32_e32 v13, 0x3e9b6dac, v48
	v_sub_f32_e32 v12, v12, v15
	v_fmaak_f32 v13, v48, v13, 0x3f2aaada
	v_ldexp_f32 v49, v12, 1
	v_mul_f32_e32 v15, v16, v48
	v_mov_b32_e32 v12, 0x3f317218
	v_pk_mul_f32 v[12:13], v[14:15], v[12:13]
	v_ldexp_f32 v17, v16, 1
	v_fma_f32 v15, v14, s62, -v12
	v_fmamk_f32 v16, v14, 0xb102e308, v15
	v_pk_add_f32 v[14:15], v[12:13], v[16:17]
	v_mov_b32_e32 v48, v12
	v_sub_f32_e32 v17, v15, v17
	v_sub_f32_e32 v17, v13, v17
	v_add_f32_e32 v49, v49, v17
	v_pk_add_f32 v[12:13], v[14:15], v[12:13] neg_lo:[0,1] neg_hi:[0,1]
	v_pk_add_f32 v[50:51], v[14:15], v[48:49]
	v_mov_b32_e32 v17, v14
	v_mov_b32_e32 v13, v51
	v_pk_add_f32 v[52:53], v[16:17], v[12:13] neg_lo:[0,1] neg_hi:[0,1]
	v_pk_add_f32 v[12:13], v[16:17], v[12:13]
	v_mov_b32_e32 v48, v49
	v_pk_add_f32 v[16:17], v[12:13], v[14:15] op_sel:[1,0] op_sel_hi:[0,1] neg_lo:[0,1] neg_hi:[0,1]
	v_pk_add_f32 v[54:55], v[50:51], v[16:17] op_sel_hi:[1,0] neg_lo:[0,1] neg_hi:[0,1]
	v_mov_b32_e32 v50, v51
	v_mov_b32_e32 v51, v13
	v_pk_mov_b32 v[16:17], v[14:15], v[16:17] op_sel:[1,0]
	v_mov_b32_e32 v49, v14
	v_pk_add_f32 v[16:17], v[50:51], v[16:17] neg_lo:[0,1] neg_hi:[0,1]
	v_mov_b32_e32 v54, v52
	v_pk_add_f32 v[14:15], v[48:49], v[16:17] neg_lo:[0,1] neg_hi:[0,1]
	v_mov_b32_e32 v53, v13
	v_pk_add_f32 v[16:17], v[54:55], v[14:15]
	s_mov_b32 s62, 0x33800000
	v_pk_add_f32 v[48:49], v[16:17], v[16:17] op_sel:[0,1] op_sel_hi:[1,0]
	s_nop 0
	v_pk_add_f32 v[12:13], v[12:13], v[48:49] op_sel:[1,0] op_sel_hi:[0,1]
	v_mov_b32_e32 v17, v12
	v_pk_add_f32 v[50:51], v[16:17], v[52:53] neg_lo:[0,1] neg_hi:[0,1]
	v_mov_b32_e32 v15, v48
	v_sub_f32_e32 v13, v16, v50
	v_pk_add_f32 v[14:15], v[14:15], v[50:51] neg_lo:[0,1] neg_hi:[0,1]
	v_sub_f32_e32 v13, v52, v13
	v_add_f32_e32 v13, v14, v13
	v_add_f32_e32 v13, v13, v15
	;; [unrolled: 1-line block ×3, first 2 shown]
	v_cndmask_b32_e32 v12, v56, v12, vcc
	v_cmp_lt_f32_e64 vcc, |v11|, s62
	s_nop 1
	v_cndmask_b32_e32 v11, v12, v11, vcc
	v_add_f32_e32 v11, v10, v11
.LBB503_168:
	s_or_b64 exec, exec, s[38:39]
	v_bfe_u32 v10, v11, 16, 1
	s_movk_i32 s38, 0x7fff
	v_add3_u32 v10, v11, v10, s38
	s_add_i32 s38, s61, 64
	s_mov_b32 s39, 0
	s_lshl_b64 s[38:39], s[38:39], 2
	s_mov_b32 s61, 0x20000
	s_add_u32 s38, s56, s38
	v_or_b32_sdwa v10, v10, s61 dst_sel:DWORD dst_unused:UNUSED_PAD src0_sel:WORD_1 src1_sel:DWORD
	v_mov_b32_e32 v13, 0x27fc0
	v_cmp_o_f32_e32 vcc, v11, v11
	s_addc_u32 s39, s57, s39
	v_mov_b32_e32 v12, 0
	v_cndmask_b32_e32 v10, v13, v10, vcc
	global_store_dword v12, v10, s[38:39] sc1
.LBB503_169:
	s_or_b64 exec, exec, s[58:59]
	s_and_b64 exec, exec, s[4:5]
; %bb.170:
	v_mov_b32_e32 v10, 0
	ds_write_b16 v10, v62 offset:2
.LBB503_171:
	s_or_b64 exec, exec, s[54:55]
	v_mov_b32_e32 v10, 0
	s_waitcnt lgkmcnt(0)
	s_barrier
	ds_read_u16 v10, v10 offset:2
	s_and_saveexec_b64 s[38:39], s[2:3]
	s_cbranch_execz .LBB503_175
; %bb.172:
	s_mov_b64 vcc, s[36:37]
	v_cndmask_b32_sdwa v12, v47, v46, vcc dst_sel:WORD_1 dst_unused:UNUSED_PAD src0_sel:DWORD src1_sel:DWORD
	s_nop 0
	v_max_f32_e32 v11, v12, v12
	v_min_f32_e32 v13, v11, v45
	v_cmp_u_f32_e32 vcc, v12, v12
	v_max_f32_e32 v11, v11, v45
	s_nop 0
	v_cndmask_b32_e32 v13, v13, v12, vcc
	v_cndmask_b32_e32 v11, v11, v12, vcc
	v_cndmask_b32_e64 v13, v13, v44, s[34:35]
	v_cndmask_b32_e64 v11, v11, v44, s[34:35]
	s_movk_i32 s34, 0x1f8
	v_cmp_neq_f32_e32 vcc, v13, v11
	v_cmp_class_f32_e64 s[34:35], v13, s34
	s_or_b64 s[36:37], vcc, s[34:35]
	s_and_saveexec_b64 s[34:35], s[36:37]
	s_cbranch_execz .LBB503_174
; %bb.173:
	v_sub_f32_e32 v12, v13, v11
	s_mov_b32 s36, 0x3fb8aa3b
	v_mul_f32_e32 v13, 0x3fb8aa3b, v12
	v_fma_f32 v14, v12, s36, -v13
	v_rndne_f32_e32 v15, v13
	v_fmamk_f32 v14, v12, 0x32a5705f, v14
	v_sub_f32_e32 v13, v13, v15
	v_add_f32_e32 v13, v13, v14
	v_exp_f32_e32 v13, v13
	v_cvt_i32_f32_e32 v14, v15
	s_mov_b32 s36, 0xc2ce8ed0
	v_cmp_ngt_f32_e32 vcc, s36, v12
	s_mov_b32 s36, 0x42b17218
	v_ldexp_f32 v13, v13, v14
	v_cndmask_b32_e32 v13, 0, v13, vcc
	v_mov_b32_e32 v52, 0x7f800000
	v_cmp_nlt_f32_e32 vcc, s36, v12
	s_mov_b32 s36, 0x3f2aaaab
	s_mov_b32 s37, 0x7f800000
	v_cndmask_b32_e32 v53, v52, v13, vcc
	v_add_f32_e32 v14, 1.0, v53
	v_add_f32_e32 v12, -1.0, v14
	v_sub_f32_e32 v13, v12, v14
	v_add_f32_e32 v13, 1.0, v13
	v_sub_f32_e32 v12, v53, v12
	v_add_f32_e32 v15, v12, v13
	v_frexp_mant_f32_e32 v16, v14
	v_cvt_f64_f32_e32 v[12:13], v14
	v_frexp_exp_i32_f64_e32 v12, v[12:13]
	v_cmp_gt_f32_e32 vcc, s36, v16
	s_mov_b32 s36, 0x3f317218
	s_nop 0
	v_subbrev_co_u32_e32 v46, vcc, 0, v12, vcc
	v_sub_u32_e32 v12, 0, v46
	v_ldexp_f32 v13, v14, v12
	v_add_f32_e32 v14, -1.0, v13
	v_add_f32_e32 v16, 1.0, v13
	v_ldexp_f32 v12, v15, v12
	v_add_f32_e32 v15, 1.0, v14
	v_add_f32_e32 v17, -1.0, v16
	v_sub_f32_e32 v15, v13, v15
	v_sub_f32_e32 v13, v13, v17
	v_add_f32_e32 v15, v12, v15
	v_add_f32_e32 v12, v12, v13
	v_add_f32_e32 v47, v16, v12
	v_rcp_f32_e32 v49, v47
	v_sub_f32_e32 v13, v16, v47
	v_add_f32_e32 v48, v12, v13
	v_add_f32_e32 v13, v14, v15
	v_mul_f32_e32 v51, v13, v49
	v_sub_f32_e32 v12, v14, v13
	v_mul_f32_e32 v14, v47, v51
	v_fma_f32 v16, v51, v47, -v14
	v_fmac_f32_e32 v16, v51, v48
	v_add_f32_e32 v50, v15, v12
	v_add_f32_e32 v12, v14, v16
	v_sub_f32_e32 v15, v13, v12
	v_pk_add_f32 v[44:45], v[12:13], v[14:15] neg_lo:[0,1] neg_hi:[0,1]
	v_mov_b32_e32 v17, v12
	v_pk_add_f32 v[12:13], v[44:45], v[16:17] neg_lo:[0,1] neg_hi:[0,1]
	v_cmp_neq_f32_e32 vcc, s37, v53
	v_add_f32_e32 v13, v50, v13
	v_add_f32_e32 v12, v12, v13
	;; [unrolled: 1-line block ×3, first 2 shown]
	v_mul_f32_e32 v50, v49, v13
	v_mul_f32_e32 v14, v47, v50
	v_fma_f32 v16, v50, v47, -v14
	v_fmac_f32_e32 v16, v50, v48
	v_sub_f32_e32 v15, v15, v13
	v_add_f32_e32 v47, v12, v15
	v_add_f32_e32 v12, v14, v16
	v_sub_f32_e32 v15, v13, v12
	v_pk_add_f32 v[44:45], v[12:13], v[14:15] neg_lo:[0,1] neg_hi:[0,1]
	v_mov_b32_e32 v17, v12
	v_pk_add_f32 v[12:13], v[44:45], v[16:17] neg_lo:[0,1] neg_hi:[0,1]
	v_cvt_f32_i32_e32 v14, v46
	v_add_f32_e32 v13, v47, v13
	v_add_f32_e32 v12, v12, v13
	;; [unrolled: 1-line block ×4, first 2 shown]
	v_sub_f32_e32 v13, v15, v51
	v_mul_f32_e32 v12, v49, v12
	v_sub_f32_e32 v13, v50, v13
	v_add_f32_e32 v12, v13, v12
	v_add_f32_e32 v16, v15, v12
	v_mul_f32_e32 v44, v16, v16
	v_mov_b32_e32 v13, 0x3ecc95a3
	v_sub_f32_e32 v15, v16, v15
	v_fmac_f32_e32 v13, 0x3e9b6dac, v44
	v_sub_f32_e32 v12, v12, v15
	v_fmaak_f32 v13, v44, v13, 0x3f2aaada
	v_ldexp_f32 v45, v12, 1
	v_mul_f32_e32 v15, v16, v44
	v_mov_b32_e32 v12, 0x3f317218
	v_pk_mul_f32 v[12:13], v[14:15], v[12:13]
	v_ldexp_f32 v17, v16, 1
	v_fma_f32 v15, v14, s36, -v12
	v_fmamk_f32 v16, v14, 0xb102e308, v15
	v_pk_add_f32 v[14:15], v[12:13], v[16:17]
	v_mov_b32_e32 v44, v12
	v_sub_f32_e32 v17, v15, v17
	v_sub_f32_e32 v17, v13, v17
	v_add_f32_e32 v45, v45, v17
	v_pk_add_f32 v[12:13], v[14:15], v[12:13] neg_lo:[0,1] neg_hi:[0,1]
	v_pk_add_f32 v[46:47], v[14:15], v[44:45]
	v_mov_b32_e32 v17, v14
	v_mov_b32_e32 v13, v47
	v_pk_add_f32 v[48:49], v[16:17], v[12:13] neg_lo:[0,1] neg_hi:[0,1]
	v_pk_add_f32 v[12:13], v[16:17], v[12:13]
	v_mov_b32_e32 v44, v45
	v_pk_add_f32 v[16:17], v[12:13], v[14:15] op_sel:[1,0] op_sel_hi:[0,1] neg_lo:[0,1] neg_hi:[0,1]
	v_pk_add_f32 v[50:51], v[46:47], v[16:17] op_sel_hi:[1,0] neg_lo:[0,1] neg_hi:[0,1]
	v_mov_b32_e32 v46, v47
	v_mov_b32_e32 v47, v13
	v_pk_mov_b32 v[16:17], v[14:15], v[16:17] op_sel:[1,0]
	v_mov_b32_e32 v45, v14
	v_pk_add_f32 v[16:17], v[46:47], v[16:17] neg_lo:[0,1] neg_hi:[0,1]
	v_mov_b32_e32 v50, v48
	v_pk_add_f32 v[14:15], v[44:45], v[16:17] neg_lo:[0,1] neg_hi:[0,1]
	v_mov_b32_e32 v49, v13
	v_pk_add_f32 v[16:17], v[50:51], v[14:15]
	s_mov_b32 s36, 0x33800000
	v_pk_add_f32 v[44:45], v[16:17], v[16:17] op_sel:[0,1] op_sel_hi:[1,0]
	s_nop 0
	v_pk_add_f32 v[12:13], v[12:13], v[44:45] op_sel:[1,0] op_sel_hi:[0,1]
	v_mov_b32_e32 v17, v12
	v_pk_add_f32 v[46:47], v[16:17], v[48:49] neg_lo:[0,1] neg_hi:[0,1]
	v_mov_b32_e32 v15, v44
	v_sub_f32_e32 v13, v16, v46
	v_pk_add_f32 v[14:15], v[14:15], v[46:47] neg_lo:[0,1] neg_hi:[0,1]
	v_sub_f32_e32 v13, v48, v13
	v_add_f32_e32 v13, v14, v13
	v_add_f32_e32 v13, v13, v15
	;; [unrolled: 1-line block ×3, first 2 shown]
	v_cndmask_b32_e32 v12, v52, v12, vcc
	v_cmp_lt_f32_e64 vcc, |v53|, s36
	s_nop 1
	v_cndmask_b32_e32 v12, v12, v53, vcc
	v_add_f32_e32 v12, v11, v12
.LBB503_174:
	s_or_b64 exec, exec, s[34:35]
	v_bfe_u32 v11, v12, 16, 1
	s_movk_i32 s34, 0x7fff
	v_add3_u32 v11, v12, v11, s34
	v_and_b32_e32 v11, 0xffff0000, v11
	v_mov_b32_e32 v13, 0x7fc00000
	v_cmp_o_f32_e32 vcc, v12, v12
	s_nop 1
	v_cndmask_b32_e32 v44, v13, v11, vcc
.LBB503_175:
	s_or_b64 exec, exec, s[38:39]
	s_waitcnt lgkmcnt(0)
	v_lshlrev_b32_e32 v11, 16, v10
	v_max_f32_e32 v10, v44, v44
	v_max_f32_e32 v13, v11, v11
	v_min_f32_e32 v12, v13, v10
	v_cmp_u_f32_e32 vcc, v11, v11
	v_max_f32_e32 v10, v13, v10
	v_cmp_u_f32_e64 s[34:35], v44, v44
	v_cndmask_b32_e32 v12, v12, v11, vcc
	v_cndmask_b32_e32 v10, v10, v11, vcc
	v_cndmask_b32_e64 v12, v12, v44, s[34:35]
	v_cndmask_b32_e64 v10, v10, v44, s[34:35]
	s_movk_i32 s36, 0x1f8
	v_cmp_neq_f32_e32 vcc, v12, v10
	v_cmp_class_f32_e64 s[34:35], v12, s36
	s_or_b64 s[38:39], vcc, s[34:35]
	s_and_saveexec_b64 s[34:35], s[38:39]
	s_cbranch_execz .LBB503_177
; %bb.176:
	v_sub_f32_e32 v11, v12, v10
	s_mov_b32 s37, 0x3fb8aa3b
	v_mul_f32_e32 v12, 0x3fb8aa3b, v11
	v_fma_f32 v13, v11, s37, -v12
	v_rndne_f32_e32 v14, v12
	v_fmamk_f32 v13, v11, 0x32a5705f, v13
	v_sub_f32_e32 v12, v12, v14
	v_add_f32_e32 v12, v12, v13
	v_exp_f32_e32 v12, v12
	v_cvt_i32_f32_e32 v13, v14
	s_mov_b32 s37, 0xc2ce8ed0
	v_cmp_ngt_f32_e32 vcc, s37, v11
	s_mov_b32 s37, 0x42b17218
	v_ldexp_f32 v12, v12, v13
	v_cndmask_b32_e32 v12, 0, v12, vcc
	v_mov_b32_e32 v52, 0x7f800000
	v_cmp_nlt_f32_e32 vcc, s37, v11
	s_mov_b32 s37, 0x3f2aaaab
	s_mov_b32 s38, 0x7f800000
	v_cndmask_b32_e32 v11, v52, v12, vcc
	v_add_f32_e32 v14, 1.0, v11
	v_add_f32_e32 v12, -1.0, v14
	v_sub_f32_e32 v13, v12, v14
	v_add_f32_e32 v13, 1.0, v13
	v_sub_f32_e32 v12, v11, v12
	v_add_f32_e32 v15, v12, v13
	v_frexp_mant_f32_e32 v16, v14
	v_cvt_f64_f32_e32 v[12:13], v14
	v_frexp_exp_i32_f64_e32 v12, v[12:13]
	v_cmp_gt_f32_e32 vcc, s37, v16
	s_mov_b32 s37, 0x3f317218
	s_nop 0
	v_subbrev_co_u32_e32 v46, vcc, 0, v12, vcc
	v_sub_u32_e32 v12, 0, v46
	v_ldexp_f32 v13, v14, v12
	v_add_f32_e32 v14, -1.0, v13
	v_add_f32_e32 v16, 1.0, v13
	v_ldexp_f32 v12, v15, v12
	v_add_f32_e32 v15, 1.0, v14
	v_add_f32_e32 v17, -1.0, v16
	v_sub_f32_e32 v15, v13, v15
	v_sub_f32_e32 v13, v13, v17
	v_add_f32_e32 v15, v12, v15
	v_add_f32_e32 v12, v12, v13
	v_add_f32_e32 v47, v16, v12
	v_rcp_f32_e32 v49, v47
	v_sub_f32_e32 v13, v16, v47
	v_add_f32_e32 v48, v12, v13
	v_add_f32_e32 v13, v14, v15
	v_mul_f32_e32 v51, v13, v49
	v_sub_f32_e32 v12, v14, v13
	v_mul_f32_e32 v14, v47, v51
	v_fma_f32 v16, v51, v47, -v14
	v_fmac_f32_e32 v16, v51, v48
	v_add_f32_e32 v50, v15, v12
	v_add_f32_e32 v12, v14, v16
	v_sub_f32_e32 v15, v13, v12
	v_pk_add_f32 v[44:45], v[12:13], v[14:15] neg_lo:[0,1] neg_hi:[0,1]
	v_mov_b32_e32 v17, v12
	v_pk_add_f32 v[12:13], v[44:45], v[16:17] neg_lo:[0,1] neg_hi:[0,1]
	v_cmp_neq_f32_e32 vcc, s38, v11
	v_add_f32_e32 v13, v50, v13
	v_add_f32_e32 v12, v12, v13
	;; [unrolled: 1-line block ×3, first 2 shown]
	v_mul_f32_e32 v50, v49, v13
	v_mul_f32_e32 v14, v47, v50
	v_fma_f32 v16, v50, v47, -v14
	v_fmac_f32_e32 v16, v50, v48
	v_sub_f32_e32 v15, v15, v13
	v_add_f32_e32 v47, v12, v15
	v_add_f32_e32 v12, v14, v16
	v_sub_f32_e32 v15, v13, v12
	v_pk_add_f32 v[44:45], v[12:13], v[14:15] neg_lo:[0,1] neg_hi:[0,1]
	v_mov_b32_e32 v17, v12
	v_pk_add_f32 v[12:13], v[44:45], v[16:17] neg_lo:[0,1] neg_hi:[0,1]
	v_cvt_f32_i32_e32 v14, v46
	v_add_f32_e32 v13, v47, v13
	v_add_f32_e32 v12, v12, v13
	;; [unrolled: 1-line block ×4, first 2 shown]
	v_sub_f32_e32 v13, v15, v51
	v_mul_f32_e32 v12, v49, v12
	v_sub_f32_e32 v13, v50, v13
	v_add_f32_e32 v12, v13, v12
	v_add_f32_e32 v16, v15, v12
	v_mul_f32_e32 v44, v16, v16
	v_mov_b32_e32 v13, 0x3ecc95a3
	v_sub_f32_e32 v15, v16, v15
	v_fmac_f32_e32 v13, 0x3e9b6dac, v44
	v_sub_f32_e32 v12, v12, v15
	v_fmaak_f32 v13, v44, v13, 0x3f2aaada
	v_ldexp_f32 v45, v12, 1
	v_mul_f32_e32 v15, v16, v44
	v_mov_b32_e32 v12, 0x3f317218
	v_pk_mul_f32 v[12:13], v[14:15], v[12:13]
	v_ldexp_f32 v17, v16, 1
	v_fma_f32 v15, v14, s37, -v12
	v_fmamk_f32 v16, v14, 0xb102e308, v15
	v_pk_add_f32 v[14:15], v[12:13], v[16:17]
	v_mov_b32_e32 v44, v12
	v_sub_f32_e32 v17, v15, v17
	v_sub_f32_e32 v17, v13, v17
	v_add_f32_e32 v45, v45, v17
	v_pk_add_f32 v[12:13], v[14:15], v[12:13] neg_lo:[0,1] neg_hi:[0,1]
	v_pk_add_f32 v[46:47], v[14:15], v[44:45]
	v_mov_b32_e32 v17, v14
	v_mov_b32_e32 v13, v47
	v_pk_add_f32 v[48:49], v[16:17], v[12:13] neg_lo:[0,1] neg_hi:[0,1]
	v_pk_add_f32 v[12:13], v[16:17], v[12:13]
	v_mov_b32_e32 v44, v45
	v_pk_add_f32 v[16:17], v[12:13], v[14:15] op_sel:[1,0] op_sel_hi:[0,1] neg_lo:[0,1] neg_hi:[0,1]
	v_pk_add_f32 v[50:51], v[46:47], v[16:17] op_sel_hi:[1,0] neg_lo:[0,1] neg_hi:[0,1]
	v_mov_b32_e32 v46, v47
	v_mov_b32_e32 v47, v13
	v_pk_mov_b32 v[16:17], v[14:15], v[16:17] op_sel:[1,0]
	v_mov_b32_e32 v45, v14
	v_pk_add_f32 v[16:17], v[46:47], v[16:17] neg_lo:[0,1] neg_hi:[0,1]
	v_mov_b32_e32 v50, v48
	v_pk_add_f32 v[14:15], v[44:45], v[16:17] neg_lo:[0,1] neg_hi:[0,1]
	v_mov_b32_e32 v49, v13
	v_pk_add_f32 v[16:17], v[50:51], v[14:15]
	s_mov_b32 s37, 0x33800000
	v_pk_add_f32 v[44:45], v[16:17], v[16:17] op_sel:[0,1] op_sel_hi:[1,0]
	s_nop 0
	v_pk_add_f32 v[12:13], v[12:13], v[44:45] op_sel:[1,0] op_sel_hi:[0,1]
	v_mov_b32_e32 v17, v12
	v_pk_add_f32 v[46:47], v[16:17], v[48:49] neg_lo:[0,1] neg_hi:[0,1]
	v_mov_b32_e32 v15, v44
	v_sub_f32_e32 v13, v16, v46
	v_pk_add_f32 v[14:15], v[14:15], v[46:47] neg_lo:[0,1] neg_hi:[0,1]
	v_sub_f32_e32 v13, v48, v13
	v_add_f32_e32 v13, v14, v13
	v_add_f32_e32 v13, v13, v15
	;; [unrolled: 1-line block ×3, first 2 shown]
	v_cndmask_b32_e32 v12, v52, v12, vcc
	v_cmp_lt_f32_e64 vcc, |v11|, s37
	s_nop 1
	v_cndmask_b32_e32 v11, v12, v11, vcc
	v_add_f32_e32 v11, v10, v11
.LBB503_177:
	s_or_b64 exec, exec, s[34:35]
	v_bfe_u32 v10, v11, 16, 1
	s_movk_i32 s34, 0x7fff
	v_add3_u32 v10, v11, v10, s34
	v_cmp_o_f32_e32 vcc, v11, v11
	v_mov_b32_e32 v11, 0x7fc0
	s_nop 0
	v_cndmask_b32_sdwa v10, v11, v10, vcc dst_sel:DWORD dst_unused:UNUSED_PAD src0_sel:DWORD src1_sel:WORD_1
	v_lshlrev_b32_e32 v13, 16, v10
	v_max_f32_e32 v12, v13, v13
	v_min_f32_e32 v14, v12, v19
	v_cmp_u_f32_e32 vcc, v13, v13
	v_max_f32_e32 v12, v12, v19
	s_nop 0
	v_cndmask_b32_e32 v14, v14, v13, vcc
	v_cndmask_b32_e32 v12, v12, v13, vcc
	v_cndmask_b32_e64 v14, v14, v18, s[6:7]
	v_cndmask_b32_e64 v12, v12, v18, s[6:7]
	v_cmp_neq_f32_e32 vcc, v14, v12
	v_cmp_class_f32_e64 s[6:7], v14, s36
	s_or_b64 s[36:37], vcc, s[6:7]
	s_and_saveexec_b64 s[6:7], s[36:37]
	s_cbranch_execz .LBB503_179
; %bb.178:
	v_sub_f32_e32 v13, v14, v12
	s_mov_b32 s35, 0x3fb8aa3b
	v_mul_f32_e32 v14, 0x3fb8aa3b, v13
	v_fma_f32 v15, v13, s35, -v14
	v_rndne_f32_e32 v16, v14
	v_fmamk_f32 v15, v13, 0x32a5705f, v15
	v_sub_f32_e32 v14, v14, v16
	v_add_f32_e32 v14, v14, v15
	v_exp_f32_e32 v14, v14
	v_cvt_i32_f32_e32 v15, v16
	s_mov_b32 s35, 0xc2ce8ed0
	v_cmp_ngt_f32_e32 vcc, s35, v13
	s_mov_b32 s35, 0x42b17218
	v_ldexp_f32 v14, v14, v15
	v_cndmask_b32_e32 v14, 0, v14, vcc
	v_mov_b32_e32 v52, 0x7f800000
	v_cmp_nlt_f32_e32 vcc, s35, v13
	s_mov_b32 s35, 0x3f2aaaab
	s_mov_b32 s36, 0x7f800000
	v_cndmask_b32_e32 v13, v52, v14, vcc
	v_add_f32_e32 v16, 1.0, v13
	v_add_f32_e32 v14, -1.0, v16
	v_sub_f32_e32 v15, v14, v16
	v_add_f32_e32 v15, 1.0, v15
	v_sub_f32_e32 v14, v13, v14
	v_add_f32_e32 v17, v14, v15
	v_frexp_mant_f32_e32 v18, v16
	v_cvt_f64_f32_e32 v[14:15], v16
	v_frexp_exp_i32_f64_e32 v14, v[14:15]
	v_cmp_gt_f32_e32 vcc, s35, v18
	s_mov_b32 s35, 0x3f317218
	s_nop 0
	v_subbrev_co_u32_e32 v46, vcc, 0, v14, vcc
	v_sub_u32_e32 v14, 0, v46
	v_ldexp_f32 v15, v16, v14
	v_add_f32_e32 v16, -1.0, v15
	v_add_f32_e32 v18, 1.0, v15
	v_ldexp_f32 v14, v17, v14
	v_add_f32_e32 v17, 1.0, v16
	v_add_f32_e32 v19, -1.0, v18
	v_sub_f32_e32 v17, v15, v17
	v_sub_f32_e32 v15, v15, v19
	v_add_f32_e32 v17, v14, v17
	v_add_f32_e32 v14, v14, v15
	;; [unrolled: 1-line block ×3, first 2 shown]
	v_rcp_f32_e32 v49, v47
	v_sub_f32_e32 v15, v18, v47
	v_add_f32_e32 v48, v14, v15
	v_add_f32_e32 v15, v16, v17
	v_mul_f32_e32 v51, v15, v49
	v_sub_f32_e32 v14, v16, v15
	v_mul_f32_e32 v16, v47, v51
	v_fma_f32 v18, v51, v47, -v16
	v_fmac_f32_e32 v18, v51, v48
	v_add_f32_e32 v50, v17, v14
	v_add_f32_e32 v14, v16, v18
	v_sub_f32_e32 v17, v15, v14
	v_pk_add_f32 v[44:45], v[14:15], v[16:17] neg_lo:[0,1] neg_hi:[0,1]
	v_mov_b32_e32 v19, v14
	v_pk_add_f32 v[14:15], v[44:45], v[18:19] neg_lo:[0,1] neg_hi:[0,1]
	v_cmp_neq_f32_e32 vcc, s36, v13
	v_add_f32_e32 v15, v50, v15
	v_add_f32_e32 v14, v14, v15
	;; [unrolled: 1-line block ×3, first 2 shown]
	v_mul_f32_e32 v50, v49, v15
	v_mul_f32_e32 v16, v47, v50
	v_fma_f32 v18, v50, v47, -v16
	v_fmac_f32_e32 v18, v50, v48
	v_sub_f32_e32 v17, v17, v15
	v_add_f32_e32 v47, v14, v17
	v_add_f32_e32 v14, v16, v18
	v_sub_f32_e32 v17, v15, v14
	v_pk_add_f32 v[44:45], v[14:15], v[16:17] neg_lo:[0,1] neg_hi:[0,1]
	v_mov_b32_e32 v19, v14
	v_pk_add_f32 v[14:15], v[44:45], v[18:19] neg_lo:[0,1] neg_hi:[0,1]
	v_cvt_f32_i32_e32 v16, v46
	v_add_f32_e32 v15, v47, v15
	v_add_f32_e32 v14, v14, v15
	;; [unrolled: 1-line block ×4, first 2 shown]
	v_sub_f32_e32 v15, v17, v51
	v_mul_f32_e32 v14, v49, v14
	v_sub_f32_e32 v15, v50, v15
	v_add_f32_e32 v14, v15, v14
	v_add_f32_e32 v18, v17, v14
	v_mul_f32_e32 v44, v18, v18
	v_mov_b32_e32 v15, 0x3ecc95a3
	v_sub_f32_e32 v17, v18, v17
	v_fmac_f32_e32 v15, 0x3e9b6dac, v44
	v_sub_f32_e32 v14, v14, v17
	v_fmaak_f32 v15, v44, v15, 0x3f2aaada
	v_ldexp_f32 v45, v14, 1
	v_mul_f32_e32 v17, v18, v44
	v_mov_b32_e32 v14, 0x3f317218
	v_pk_mul_f32 v[14:15], v[16:17], v[14:15]
	v_ldexp_f32 v19, v18, 1
	v_fma_f32 v17, v16, s35, -v14
	v_fmamk_f32 v18, v16, 0xb102e308, v17
	v_pk_add_f32 v[16:17], v[14:15], v[18:19]
	v_mov_b32_e32 v44, v14
	v_sub_f32_e32 v19, v17, v19
	v_sub_f32_e32 v19, v15, v19
	v_add_f32_e32 v45, v45, v19
	v_pk_add_f32 v[14:15], v[16:17], v[14:15] neg_lo:[0,1] neg_hi:[0,1]
	v_pk_add_f32 v[46:47], v[16:17], v[44:45]
	v_mov_b32_e32 v19, v16
	v_mov_b32_e32 v15, v47
	v_pk_add_f32 v[48:49], v[18:19], v[14:15] neg_lo:[0,1] neg_hi:[0,1]
	v_pk_add_f32 v[14:15], v[18:19], v[14:15]
	v_mov_b32_e32 v44, v45
	v_pk_add_f32 v[18:19], v[14:15], v[16:17] op_sel:[1,0] op_sel_hi:[0,1] neg_lo:[0,1] neg_hi:[0,1]
	v_pk_add_f32 v[50:51], v[46:47], v[18:19] op_sel_hi:[1,0] neg_lo:[0,1] neg_hi:[0,1]
	v_mov_b32_e32 v46, v47
	v_mov_b32_e32 v47, v15
	v_pk_mov_b32 v[18:19], v[16:17], v[18:19] op_sel:[1,0]
	v_mov_b32_e32 v45, v16
	v_pk_add_f32 v[18:19], v[46:47], v[18:19] neg_lo:[0,1] neg_hi:[0,1]
	v_mov_b32_e32 v50, v48
	v_pk_add_f32 v[16:17], v[44:45], v[18:19] neg_lo:[0,1] neg_hi:[0,1]
	v_mov_b32_e32 v49, v15
	v_pk_add_f32 v[18:19], v[50:51], v[16:17]
	s_mov_b32 s35, 0x33800000
	v_pk_add_f32 v[44:45], v[18:19], v[18:19] op_sel:[0,1] op_sel_hi:[1,0]
	s_nop 0
	v_pk_add_f32 v[14:15], v[14:15], v[44:45] op_sel:[1,0] op_sel_hi:[0,1]
	v_mov_b32_e32 v19, v14
	v_pk_add_f32 v[46:47], v[18:19], v[48:49] neg_lo:[0,1] neg_hi:[0,1]
	v_mov_b32_e32 v17, v44
	v_sub_f32_e32 v15, v18, v46
	v_pk_add_f32 v[16:17], v[16:17], v[46:47] neg_lo:[0,1] neg_hi:[0,1]
	v_sub_f32_e32 v15, v48, v15
	v_add_f32_e32 v15, v16, v15
	v_add_f32_e32 v15, v15, v17
	;; [unrolled: 1-line block ×3, first 2 shown]
	v_cndmask_b32_e32 v14, v52, v14, vcc
	v_cmp_lt_f32_e64 vcc, |v13|, s35
	s_nop 1
	v_cndmask_b32_e32 v13, v14, v13, vcc
	v_add_f32_e32 v13, v12, v13
.LBB503_179:
	s_or_b64 exec, exec, s[6:7]
	v_bfe_u32 v12, v13, 16, 1
	v_add3_u32 v12, v13, v12, s34
	v_cmp_o_f32_e32 vcc, v13, v13
	s_nop 1
	v_cndmask_b32_sdwa v11, v11, v12, vcc dst_sel:DWORD dst_unused:UNUSED_PAD src0_sel:DWORD src1_sel:WORD_1
	v_lshlrev_b32_e32 v13, 16, v11
	v_max_f32_e32 v12, v13, v13
	v_min_f32_e32 v14, v12, v22
	v_cmp_u_f32_e32 vcc, v13, v13
	v_max_f32_e32 v12, v12, v22
	s_nop 0
	v_cndmask_b32_e32 v14, v14, v13, vcc
	v_cndmask_b32_e32 v12, v12, v13, vcc
	v_cndmask_b32_e64 v14, v14, v20, s[8:9]
	v_cndmask_b32_e64 v12, v12, v20, s[8:9]
	s_movk_i32 s8, 0x1f8
	v_cmp_neq_f32_e32 vcc, v14, v12
	v_cmp_class_f32_e64 s[6:7], v14, s8
	s_or_b64 s[34:35], vcc, s[6:7]
	s_and_saveexec_b64 s[6:7], s[34:35]
	s_cbranch_execz .LBB503_181
; %bb.180:
	v_sub_f32_e32 v13, v14, v12
	s_mov_b32 s9, 0x3fb8aa3b
	v_mul_f32_e32 v14, 0x3fb8aa3b, v13
	v_fma_f32 v15, v13, s9, -v14
	v_rndne_f32_e32 v16, v14
	v_fmamk_f32 v15, v13, 0x32a5705f, v15
	v_sub_f32_e32 v14, v14, v16
	v_add_f32_e32 v14, v14, v15
	v_exp_f32_e32 v14, v14
	v_cvt_i32_f32_e32 v15, v16
	s_mov_b32 s9, 0xc2ce8ed0
	v_cmp_ngt_f32_e32 vcc, s9, v13
	s_mov_b32 s9, 0x42b17218
	v_ldexp_f32 v14, v14, v15
	v_cndmask_b32_e32 v14, 0, v14, vcc
	v_mov_b32_e32 v20, 0x7f800000
	v_cmp_nlt_f32_e32 vcc, s9, v13
	s_mov_b32 s9, 0x3f2aaaab
	s_mov_b32 s34, 0x7f800000
	v_cndmask_b32_e32 v13, v20, v14, vcc
	v_add_f32_e32 v16, 1.0, v13
	v_add_f32_e32 v14, -1.0, v16
	v_sub_f32_e32 v15, v14, v16
	v_add_f32_e32 v15, 1.0, v15
	v_sub_f32_e32 v14, v13, v14
	v_add_f32_e32 v17, v14, v15
	v_frexp_mant_f32_e32 v18, v16
	v_cvt_f64_f32_e32 v[14:15], v16
	v_frexp_exp_i32_f64_e32 v14, v[14:15]
	v_cmp_gt_f32_e32 vcc, s9, v18
	s_mov_b32 s9, 0x3f317218
	s_nop 0
	v_subbrev_co_u32_e32 v22, vcc, 0, v14, vcc
	v_sub_u32_e32 v14, 0, v22
	v_ldexp_f32 v15, v16, v14
	v_add_f32_e32 v16, -1.0, v15
	v_add_f32_e32 v18, 1.0, v15
	v_ldexp_f32 v14, v17, v14
	v_add_f32_e32 v17, 1.0, v16
	v_add_f32_e32 v19, -1.0, v18
	v_sub_f32_e32 v17, v15, v17
	v_sub_f32_e32 v15, v15, v19
	v_add_f32_e32 v17, v14, v17
	v_add_f32_e32 v14, v14, v15
	;; [unrolled: 1-line block ×3, first 2 shown]
	v_rcp_f32_e32 v48, v46
	v_sub_f32_e32 v15, v18, v46
	v_add_f32_e32 v47, v14, v15
	v_add_f32_e32 v15, v16, v17
	v_mul_f32_e32 v50, v15, v48
	v_sub_f32_e32 v14, v16, v15
	v_mul_f32_e32 v16, v46, v50
	v_fma_f32 v18, v50, v46, -v16
	v_fmac_f32_e32 v18, v50, v47
	v_add_f32_e32 v49, v17, v14
	v_add_f32_e32 v14, v16, v18
	v_sub_f32_e32 v17, v15, v14
	v_pk_add_f32 v[44:45], v[14:15], v[16:17] neg_lo:[0,1] neg_hi:[0,1]
	v_mov_b32_e32 v19, v14
	v_pk_add_f32 v[14:15], v[44:45], v[18:19] neg_lo:[0,1] neg_hi:[0,1]
	v_cmp_neq_f32_e32 vcc, s34, v13
	v_add_f32_e32 v15, v49, v15
	v_add_f32_e32 v14, v14, v15
	;; [unrolled: 1-line block ×3, first 2 shown]
	v_mul_f32_e32 v49, v48, v15
	v_mul_f32_e32 v16, v46, v49
	v_fma_f32 v18, v49, v46, -v16
	v_fmac_f32_e32 v18, v49, v47
	v_sub_f32_e32 v17, v17, v15
	v_add_f32_e32 v46, v14, v17
	v_add_f32_e32 v14, v16, v18
	v_sub_f32_e32 v17, v15, v14
	v_pk_add_f32 v[44:45], v[14:15], v[16:17] neg_lo:[0,1] neg_hi:[0,1]
	v_mov_b32_e32 v19, v14
	v_pk_add_f32 v[14:15], v[44:45], v[18:19] neg_lo:[0,1] neg_hi:[0,1]
	v_cvt_f32_i32_e32 v16, v22
	v_add_f32_e32 v15, v46, v15
	v_add_f32_e32 v14, v14, v15
	;; [unrolled: 1-line block ×4, first 2 shown]
	v_sub_f32_e32 v15, v17, v50
	v_mul_f32_e32 v14, v48, v14
	v_sub_f32_e32 v15, v49, v15
	v_add_f32_e32 v14, v15, v14
	v_add_f32_e32 v18, v17, v14
	v_mul_f32_e32 v44, v18, v18
	v_mov_b32_e32 v15, 0x3ecc95a3
	v_sub_f32_e32 v17, v18, v17
	v_fmac_f32_e32 v15, 0x3e9b6dac, v44
	v_sub_f32_e32 v14, v14, v17
	v_fmaak_f32 v15, v44, v15, 0x3f2aaada
	v_ldexp_f32 v22, v14, 1
	v_mul_f32_e32 v17, v18, v44
	v_mov_b32_e32 v14, 0x3f317218
	v_pk_mul_f32 v[14:15], v[16:17], v[14:15]
	v_ldexp_f32 v19, v18, 1
	v_fma_f32 v17, v16, s9, -v14
	v_fmamk_f32 v18, v16, 0xb102e308, v17
	v_pk_add_f32 v[16:17], v[14:15], v[18:19]
	v_mov_b32_e32 v44, v14
	v_sub_f32_e32 v19, v17, v19
	v_sub_f32_e32 v19, v15, v19
	v_add_f32_e32 v45, v22, v19
	v_pk_add_f32 v[14:15], v[16:17], v[14:15] neg_lo:[0,1] neg_hi:[0,1]
	v_pk_add_f32 v[46:47], v[16:17], v[44:45]
	v_mov_b32_e32 v19, v16
	v_mov_b32_e32 v15, v47
	v_pk_add_f32 v[48:49], v[18:19], v[14:15] neg_lo:[0,1] neg_hi:[0,1]
	v_pk_add_f32 v[14:15], v[18:19], v[14:15]
	v_mov_b32_e32 v44, v45
	v_pk_add_f32 v[18:19], v[14:15], v[16:17] op_sel:[1,0] op_sel_hi:[0,1] neg_lo:[0,1] neg_hi:[0,1]
	v_pk_add_f32 v[50:51], v[46:47], v[18:19] op_sel_hi:[1,0] neg_lo:[0,1] neg_hi:[0,1]
	v_mov_b32_e32 v46, v47
	v_mov_b32_e32 v47, v15
	v_pk_mov_b32 v[18:19], v[16:17], v[18:19] op_sel:[1,0]
	v_mov_b32_e32 v45, v16
	v_pk_add_f32 v[18:19], v[46:47], v[18:19] neg_lo:[0,1] neg_hi:[0,1]
	v_mov_b32_e32 v50, v48
	v_pk_add_f32 v[16:17], v[44:45], v[18:19] neg_lo:[0,1] neg_hi:[0,1]
	v_mov_b32_e32 v49, v15
	v_pk_add_f32 v[18:19], v[50:51], v[16:17]
	s_mov_b32 s9, 0x33800000
	v_pk_add_f32 v[44:45], v[18:19], v[18:19] op_sel:[0,1] op_sel_hi:[1,0]
	s_nop 0
	v_pk_add_f32 v[14:15], v[14:15], v[44:45] op_sel:[1,0] op_sel_hi:[0,1]
	v_mov_b32_e32 v19, v14
	v_pk_add_f32 v[46:47], v[18:19], v[48:49] neg_lo:[0,1] neg_hi:[0,1]
	v_mov_b32_e32 v17, v44
	v_sub_f32_e32 v15, v18, v46
	v_pk_add_f32 v[16:17], v[16:17], v[46:47] neg_lo:[0,1] neg_hi:[0,1]
	v_sub_f32_e32 v15, v48, v15
	v_add_f32_e32 v15, v16, v15
	v_add_f32_e32 v15, v15, v17
	;; [unrolled: 1-line block ×3, first 2 shown]
	v_cndmask_b32_e32 v14, v20, v14, vcc
	v_cmp_lt_f32_e64 vcc, |v13|, s9
	s_nop 1
	v_cndmask_b32_e32 v13, v14, v13, vcc
	v_add_f32_e32 v13, v12, v13
.LBB503_181:
	s_or_b64 exec, exec, s[6:7]
	v_bfe_u32 v12, v13, 16, 1
	s_movk_i32 s9, 0x7fff
	v_add3_u32 v12, v13, v12, s9
	v_cmp_o_f32_e32 vcc, v13, v13
	v_mov_b32_e32 v13, 0x7fc0
	s_nop 0
	v_cndmask_b32_sdwa v12, v13, v12, vcc dst_sel:DWORD dst_unused:UNUSED_PAD src0_sel:DWORD src1_sel:WORD_1
	v_lshlrev_b32_e32 v15, 16, v12
	v_max_f32_e32 v14, v15, v15
	v_min_f32_e32 v16, v14, v23
	v_cmp_u_f32_e32 vcc, v15, v15
	v_max_f32_e32 v14, v14, v23
	s_nop 0
	v_cndmask_b32_e32 v16, v16, v15, vcc
	v_cndmask_b32_e32 v14, v14, v15, vcc
	v_cndmask_b32_e64 v16, v16, v21, s[10:11]
	v_cndmask_b32_e64 v14, v14, v21, s[10:11]
	v_cmp_neq_f32_e32 vcc, v16, v14
	v_cmp_class_f32_e64 s[6:7], v16, s8
	s_or_b64 s[10:11], vcc, s[6:7]
	s_and_saveexec_b64 s[6:7], s[10:11]
	s_cbranch_execz .LBB503_183
; %bb.182:
	v_sub_f32_e32 v15, v16, v14
	s_mov_b32 s8, 0x3fb8aa3b
	v_mul_f32_e32 v16, 0x3fb8aa3b, v15
	v_fma_f32 v17, v15, s8, -v16
	v_rndne_f32_e32 v18, v16
	v_fmamk_f32 v17, v15, 0x32a5705f, v17
	v_sub_f32_e32 v16, v16, v18
	v_add_f32_e32 v16, v16, v17
	v_exp_f32_e32 v16, v16
	v_cvt_i32_f32_e32 v17, v18
	s_mov_b32 s8, 0xc2ce8ed0
	v_cmp_ngt_f32_e32 vcc, s8, v15
	s_mov_b32 s8, 0x42b17218
	v_ldexp_f32 v16, v16, v17
	v_cndmask_b32_e32 v16, 0, v16, vcc
	v_mov_b32_e32 v50, 0x7f800000
	v_cmp_nlt_f32_e32 vcc, s8, v15
	s_mov_b32 s8, 0x3f2aaaab
	s_mov_b32 s10, 0x7f800000
	v_cndmask_b32_e32 v15, v50, v16, vcc
	v_add_f32_e32 v18, 1.0, v15
	v_add_f32_e32 v16, -1.0, v18
	v_sub_f32_e32 v17, v16, v18
	v_add_f32_e32 v17, 1.0, v17
	v_sub_f32_e32 v16, v15, v16
	v_add_f32_e32 v19, v16, v17
	v_frexp_mant_f32_e32 v20, v18
	v_cvt_f64_f32_e32 v[16:17], v18
	v_frexp_exp_i32_f64_e32 v16, v[16:17]
	v_cmp_gt_f32_e32 vcc, s8, v20
	s_mov_b32 s8, 0x3f317218
	s_nop 0
	v_subbrev_co_u32_e32 v44, vcc, 0, v16, vcc
	v_sub_u32_e32 v16, 0, v44
	v_ldexp_f32 v17, v18, v16
	v_add_f32_e32 v18, -1.0, v17
	v_add_f32_e32 v20, 1.0, v17
	v_ldexp_f32 v16, v19, v16
	v_add_f32_e32 v19, 1.0, v18
	v_add_f32_e32 v21, -1.0, v20
	v_sub_f32_e32 v19, v17, v19
	v_sub_f32_e32 v17, v17, v21
	v_add_f32_e32 v19, v16, v19
	v_add_f32_e32 v16, v16, v17
	;; [unrolled: 1-line block ×3, first 2 shown]
	v_rcp_f32_e32 v47, v45
	v_sub_f32_e32 v17, v20, v45
	v_add_f32_e32 v46, v16, v17
	v_add_f32_e32 v17, v18, v19
	v_mul_f32_e32 v49, v17, v47
	v_sub_f32_e32 v16, v18, v17
	v_mul_f32_e32 v18, v45, v49
	v_fma_f32 v20, v49, v45, -v18
	v_fmac_f32_e32 v20, v49, v46
	v_add_f32_e32 v48, v19, v16
	v_add_f32_e32 v16, v18, v20
	v_sub_f32_e32 v19, v17, v16
	v_pk_add_f32 v[22:23], v[16:17], v[18:19] neg_lo:[0,1] neg_hi:[0,1]
	v_mov_b32_e32 v21, v16
	v_pk_add_f32 v[16:17], v[22:23], v[20:21] neg_lo:[0,1] neg_hi:[0,1]
	v_cmp_neq_f32_e32 vcc, s10, v15
	v_add_f32_e32 v17, v48, v17
	v_add_f32_e32 v16, v16, v17
	;; [unrolled: 1-line block ×3, first 2 shown]
	v_mul_f32_e32 v48, v47, v17
	v_mul_f32_e32 v18, v45, v48
	v_fma_f32 v20, v48, v45, -v18
	v_fmac_f32_e32 v20, v48, v46
	v_sub_f32_e32 v19, v19, v17
	v_add_f32_e32 v45, v16, v19
	v_add_f32_e32 v16, v18, v20
	v_sub_f32_e32 v19, v17, v16
	v_pk_add_f32 v[22:23], v[16:17], v[18:19] neg_lo:[0,1] neg_hi:[0,1]
	v_mov_b32_e32 v21, v16
	v_pk_add_f32 v[16:17], v[22:23], v[20:21] neg_lo:[0,1] neg_hi:[0,1]
	v_cvt_f32_i32_e32 v18, v44
	v_add_f32_e32 v17, v45, v17
	v_add_f32_e32 v16, v16, v17
	;; [unrolled: 1-line block ×4, first 2 shown]
	v_sub_f32_e32 v17, v19, v49
	v_mul_f32_e32 v16, v47, v16
	v_sub_f32_e32 v17, v48, v17
	v_add_f32_e32 v16, v17, v16
	v_add_f32_e32 v20, v19, v16
	v_mul_f32_e32 v22, v20, v20
	v_mov_b32_e32 v17, 0x3ecc95a3
	v_sub_f32_e32 v19, v20, v19
	v_fmac_f32_e32 v17, 0x3e9b6dac, v22
	v_sub_f32_e32 v16, v16, v19
	v_fmaak_f32 v17, v22, v17, 0x3f2aaada
	v_ldexp_f32 v23, v16, 1
	v_mul_f32_e32 v19, v20, v22
	v_mov_b32_e32 v16, 0x3f317218
	v_pk_mul_f32 v[16:17], v[18:19], v[16:17]
	v_ldexp_f32 v21, v20, 1
	v_fma_f32 v19, v18, s8, -v16
	v_fmamk_f32 v20, v18, 0xb102e308, v19
	v_pk_add_f32 v[18:19], v[16:17], v[20:21]
	v_mov_b32_e32 v22, v16
	v_sub_f32_e32 v21, v19, v21
	v_sub_f32_e32 v21, v17, v21
	v_add_f32_e32 v23, v23, v21
	v_pk_add_f32 v[16:17], v[18:19], v[16:17] neg_lo:[0,1] neg_hi:[0,1]
	v_pk_add_f32 v[44:45], v[18:19], v[22:23]
	v_mov_b32_e32 v21, v18
	v_mov_b32_e32 v17, v45
	v_pk_add_f32 v[46:47], v[20:21], v[16:17] neg_lo:[0,1] neg_hi:[0,1]
	v_pk_add_f32 v[16:17], v[20:21], v[16:17]
	v_mov_b32_e32 v22, v23
	v_pk_add_f32 v[20:21], v[16:17], v[18:19] op_sel:[1,0] op_sel_hi:[0,1] neg_lo:[0,1] neg_hi:[0,1]
	v_pk_add_f32 v[48:49], v[44:45], v[20:21] op_sel_hi:[1,0] neg_lo:[0,1] neg_hi:[0,1]
	v_mov_b32_e32 v44, v45
	v_mov_b32_e32 v45, v17
	v_pk_mov_b32 v[20:21], v[18:19], v[20:21] op_sel:[1,0]
	v_mov_b32_e32 v23, v18
	v_pk_add_f32 v[20:21], v[44:45], v[20:21] neg_lo:[0,1] neg_hi:[0,1]
	v_mov_b32_e32 v48, v46
	v_pk_add_f32 v[18:19], v[22:23], v[20:21] neg_lo:[0,1] neg_hi:[0,1]
	v_mov_b32_e32 v47, v17
	v_pk_add_f32 v[20:21], v[48:49], v[18:19]
	s_mov_b32 s8, 0x33800000
	v_pk_add_f32 v[22:23], v[20:21], v[20:21] op_sel:[0,1] op_sel_hi:[1,0]
	s_nop 0
	v_pk_add_f32 v[16:17], v[16:17], v[22:23] op_sel:[1,0] op_sel_hi:[0,1]
	v_mov_b32_e32 v21, v16
	v_pk_add_f32 v[44:45], v[20:21], v[46:47] neg_lo:[0,1] neg_hi:[0,1]
	v_mov_b32_e32 v19, v22
	v_sub_f32_e32 v17, v20, v44
	v_pk_add_f32 v[18:19], v[18:19], v[44:45] neg_lo:[0,1] neg_hi:[0,1]
	v_sub_f32_e32 v17, v46, v17
	v_add_f32_e32 v17, v18, v17
	v_add_f32_e32 v17, v17, v19
	v_add_f32_e32 v16, v16, v17
	v_cndmask_b32_e32 v16, v50, v16, vcc
	v_cmp_lt_f32_e64 vcc, |v15|, s8
	s_nop 1
	v_cndmask_b32_e32 v15, v16, v15, vcc
	v_add_f32_e32 v15, v14, v15
.LBB503_183:
	s_or_b64 exec, exec, s[6:7]
	v_bfe_u32 v14, v15, 16, 1
	v_add3_u32 v14, v15, v14, s9
	v_cmp_o_f32_e32 vcc, v15, v15
	s_movk_i32 s8, 0x1f8
	s_nop 0
	v_cndmask_b32_sdwa v13, v13, v14, vcc dst_sel:DWORD dst_unused:UNUSED_PAD src0_sel:DWORD src1_sel:WORD_1
	v_lshlrev_b32_e32 v15, 16, v13
	v_max_f32_e32 v14, v15, v15
	v_min_f32_e32 v16, v14, v26
	v_cmp_u_f32_e32 vcc, v15, v15
	v_max_f32_e32 v14, v14, v26
	s_nop 0
	v_cndmask_b32_e32 v16, v16, v15, vcc
	v_cndmask_b32_e32 v14, v14, v15, vcc
	v_cndmask_b32_e64 v16, v16, v24, s[12:13]
	v_cndmask_b32_e64 v14, v14, v24, s[12:13]
	v_cmp_neq_f32_e32 vcc, v16, v14
	v_cmp_class_f32_e64 s[6:7], v16, s8
	s_or_b64 s[10:11], vcc, s[6:7]
	s_and_saveexec_b64 s[6:7], s[10:11]
	s_cbranch_execz .LBB503_185
; %bb.184:
	v_sub_f32_e32 v15, v16, v14
	s_mov_b32 s9, 0x3fb8aa3b
	v_mul_f32_e32 v16, 0x3fb8aa3b, v15
	v_fma_f32 v17, v15, s9, -v16
	v_rndne_f32_e32 v18, v16
	v_fmamk_f32 v17, v15, 0x32a5705f, v17
	v_sub_f32_e32 v16, v16, v18
	v_add_f32_e32 v16, v16, v17
	v_exp_f32_e32 v16, v16
	v_cvt_i32_f32_e32 v17, v18
	s_mov_b32 s9, 0xc2ce8ed0
	v_cmp_ngt_f32_e32 vcc, s9, v15
	s_mov_b32 s9, 0x42b17218
	v_ldexp_f32 v16, v16, v17
	v_cndmask_b32_e32 v16, 0, v16, vcc
	v_mov_b32_e32 v24, 0x7f800000
	v_cmp_nlt_f32_e32 vcc, s9, v15
	s_mov_b32 s9, 0x3f2aaaab
	s_mov_b32 s10, 0x7f800000
	v_cndmask_b32_e32 v15, v24, v16, vcc
	v_add_f32_e32 v18, 1.0, v15
	v_add_f32_e32 v16, -1.0, v18
	v_sub_f32_e32 v17, v16, v18
	v_add_f32_e32 v17, 1.0, v17
	v_sub_f32_e32 v16, v15, v16
	v_add_f32_e32 v19, v16, v17
	v_frexp_mant_f32_e32 v20, v18
	v_cvt_f64_f32_e32 v[16:17], v18
	v_frexp_exp_i32_f64_e32 v16, v[16:17]
	v_cmp_gt_f32_e32 vcc, s9, v20
	s_mov_b32 s9, 0x3f317218
	s_nop 0
	v_subbrev_co_u32_e32 v26, vcc, 0, v16, vcc
	v_sub_u32_e32 v16, 0, v26
	v_ldexp_f32 v17, v18, v16
	v_add_f32_e32 v18, -1.0, v17
	v_add_f32_e32 v20, 1.0, v17
	v_ldexp_f32 v16, v19, v16
	v_add_f32_e32 v19, 1.0, v18
	v_add_f32_e32 v21, -1.0, v20
	v_sub_f32_e32 v19, v17, v19
	v_sub_f32_e32 v17, v17, v21
	v_add_f32_e32 v19, v16, v19
	v_add_f32_e32 v16, v16, v17
	v_add_f32_e32 v44, v20, v16
	v_rcp_f32_e32 v46, v44
	v_sub_f32_e32 v17, v20, v44
	v_add_f32_e32 v45, v16, v17
	v_add_f32_e32 v17, v18, v19
	v_mul_f32_e32 v48, v17, v46
	v_sub_f32_e32 v16, v18, v17
	v_mul_f32_e32 v18, v44, v48
	v_fma_f32 v20, v48, v44, -v18
	v_fmac_f32_e32 v20, v48, v45
	v_add_f32_e32 v47, v19, v16
	v_add_f32_e32 v16, v18, v20
	v_sub_f32_e32 v19, v17, v16
	v_pk_add_f32 v[22:23], v[16:17], v[18:19] neg_lo:[0,1] neg_hi:[0,1]
	v_mov_b32_e32 v21, v16
	v_pk_add_f32 v[16:17], v[22:23], v[20:21] neg_lo:[0,1] neg_hi:[0,1]
	v_cmp_neq_f32_e32 vcc, s10, v15
	v_add_f32_e32 v17, v47, v17
	v_add_f32_e32 v16, v16, v17
	;; [unrolled: 1-line block ×3, first 2 shown]
	v_mul_f32_e32 v47, v46, v17
	v_mul_f32_e32 v18, v44, v47
	v_fma_f32 v20, v47, v44, -v18
	v_fmac_f32_e32 v20, v47, v45
	v_sub_f32_e32 v19, v19, v17
	v_add_f32_e32 v44, v16, v19
	v_add_f32_e32 v16, v18, v20
	v_sub_f32_e32 v19, v17, v16
	v_pk_add_f32 v[22:23], v[16:17], v[18:19] neg_lo:[0,1] neg_hi:[0,1]
	v_mov_b32_e32 v21, v16
	v_pk_add_f32 v[16:17], v[22:23], v[20:21] neg_lo:[0,1] neg_hi:[0,1]
	v_cvt_f32_i32_e32 v18, v26
	v_add_f32_e32 v17, v44, v17
	v_add_f32_e32 v16, v16, v17
	;; [unrolled: 1-line block ×4, first 2 shown]
	v_sub_f32_e32 v17, v19, v48
	v_mul_f32_e32 v16, v46, v16
	v_sub_f32_e32 v17, v47, v17
	v_add_f32_e32 v16, v17, v16
	v_add_f32_e32 v20, v19, v16
	v_mul_f32_e32 v22, v20, v20
	v_mov_b32_e32 v17, 0x3ecc95a3
	v_sub_f32_e32 v19, v20, v19
	v_fmac_f32_e32 v17, 0x3e9b6dac, v22
	v_sub_f32_e32 v16, v16, v19
	v_fmaak_f32 v17, v22, v17, 0x3f2aaada
	v_ldexp_f32 v23, v16, 1
	v_mul_f32_e32 v19, v20, v22
	v_mov_b32_e32 v16, 0x3f317218
	v_pk_mul_f32 v[16:17], v[18:19], v[16:17]
	v_ldexp_f32 v21, v20, 1
	v_fma_f32 v19, v18, s9, -v16
	v_fmamk_f32 v20, v18, 0xb102e308, v19
	v_pk_add_f32 v[18:19], v[16:17], v[20:21]
	v_mov_b32_e32 v22, v16
	v_sub_f32_e32 v21, v19, v21
	v_sub_f32_e32 v21, v17, v21
	v_add_f32_e32 v23, v23, v21
	v_pk_add_f32 v[16:17], v[18:19], v[16:17] neg_lo:[0,1] neg_hi:[0,1]
	v_pk_add_f32 v[44:45], v[18:19], v[22:23]
	v_mov_b32_e32 v21, v18
	v_mov_b32_e32 v17, v45
	v_pk_add_f32 v[46:47], v[20:21], v[16:17] neg_lo:[0,1] neg_hi:[0,1]
	v_pk_add_f32 v[16:17], v[20:21], v[16:17]
	v_mov_b32_e32 v22, v23
	v_pk_add_f32 v[20:21], v[16:17], v[18:19] op_sel:[1,0] op_sel_hi:[0,1] neg_lo:[0,1] neg_hi:[0,1]
	v_pk_add_f32 v[48:49], v[44:45], v[20:21] op_sel_hi:[1,0] neg_lo:[0,1] neg_hi:[0,1]
	v_mov_b32_e32 v44, v45
	v_mov_b32_e32 v45, v17
	v_pk_mov_b32 v[20:21], v[18:19], v[20:21] op_sel:[1,0]
	v_mov_b32_e32 v23, v18
	v_pk_add_f32 v[20:21], v[44:45], v[20:21] neg_lo:[0,1] neg_hi:[0,1]
	v_mov_b32_e32 v48, v46
	v_pk_add_f32 v[18:19], v[22:23], v[20:21] neg_lo:[0,1] neg_hi:[0,1]
	v_mov_b32_e32 v47, v17
	v_pk_add_f32 v[20:21], v[48:49], v[18:19]
	s_mov_b32 s9, 0x33800000
	v_pk_add_f32 v[22:23], v[20:21], v[20:21] op_sel:[0,1] op_sel_hi:[1,0]
	s_nop 0
	v_pk_add_f32 v[16:17], v[16:17], v[22:23] op_sel:[1,0] op_sel_hi:[0,1]
	v_mov_b32_e32 v21, v16
	v_pk_add_f32 v[44:45], v[20:21], v[46:47] neg_lo:[0,1] neg_hi:[0,1]
	v_mov_b32_e32 v19, v22
	v_sub_f32_e32 v17, v20, v44
	v_pk_add_f32 v[18:19], v[18:19], v[44:45] neg_lo:[0,1] neg_hi:[0,1]
	v_sub_f32_e32 v17, v46, v17
	v_add_f32_e32 v17, v18, v17
	v_add_f32_e32 v17, v17, v19
	;; [unrolled: 1-line block ×3, first 2 shown]
	v_cndmask_b32_e32 v16, v24, v16, vcc
	v_cmp_lt_f32_e64 vcc, |v15|, s9
	s_nop 1
	v_cndmask_b32_e32 v15, v16, v15, vcc
	v_add_f32_e32 v15, v14, v15
.LBB503_185:
	s_or_b64 exec, exec, s[6:7]
	v_bfe_u32 v14, v15, 16, 1
	s_movk_i32 s9, 0x7fff
	v_add3_u32 v14, v15, v14, s9
	v_cmp_o_f32_e32 vcc, v15, v15
	v_mov_b32_e32 v15, 0x7fc0
	s_nop 0
	v_cndmask_b32_sdwa v14, v15, v14, vcc dst_sel:DWORD dst_unused:UNUSED_PAD src0_sel:DWORD src1_sel:WORD_1
	v_lshlrev_b32_e32 v17, 16, v14
	v_max_f32_e32 v16, v17, v17
	v_min_f32_e32 v18, v16, v27
	v_cmp_u_f32_e32 vcc, v17, v17
	v_max_f32_e32 v16, v16, v27
	s_nop 0
	v_cndmask_b32_e32 v18, v18, v17, vcc
	v_cndmask_b32_e32 v16, v16, v17, vcc
	v_cndmask_b32_e64 v18, v18, v25, s[14:15]
	v_cndmask_b32_e64 v16, v16, v25, s[14:15]
	v_cmp_neq_f32_e32 vcc, v18, v16
	v_cmp_class_f32_e64 s[6:7], v18, s8
	s_or_b64 s[10:11], vcc, s[6:7]
	s_and_saveexec_b64 s[6:7], s[10:11]
	s_cbranch_execz .LBB503_187
; %bb.186:
	v_sub_f32_e32 v17, v18, v16
	s_mov_b32 s8, 0x3fb8aa3b
	v_mul_f32_e32 v18, 0x3fb8aa3b, v17
	v_fma_f32 v19, v17, s8, -v18
	v_rndne_f32_e32 v20, v18
	v_fmamk_f32 v19, v17, 0x32a5705f, v19
	v_sub_f32_e32 v18, v18, v20
	v_add_f32_e32 v18, v18, v19
	v_exp_f32_e32 v18, v18
	v_cvt_i32_f32_e32 v19, v20
	s_mov_b32 s8, 0xc2ce8ed0
	v_cmp_ngt_f32_e32 vcc, s8, v17
	s_mov_b32 s8, 0x42b17218
	v_ldexp_f32 v18, v18, v19
	v_cndmask_b32_e32 v18, 0, v18, vcc
	v_mov_b32_e32 v48, 0x7f800000
	v_cmp_nlt_f32_e32 vcc, s8, v17
	s_mov_b32 s8, 0x3f2aaaab
	s_mov_b32 s10, 0x7f800000
	v_cndmask_b32_e32 v17, v48, v18, vcc
	v_add_f32_e32 v20, 1.0, v17
	v_add_f32_e32 v18, -1.0, v20
	v_sub_f32_e32 v19, v18, v20
	v_add_f32_e32 v19, 1.0, v19
	v_sub_f32_e32 v18, v17, v18
	v_add_f32_e32 v21, v18, v19
	v_frexp_mant_f32_e32 v22, v20
	v_cvt_f64_f32_e32 v[18:19], v20
	v_frexp_exp_i32_f64_e32 v18, v[18:19]
	v_cmp_gt_f32_e32 vcc, s8, v22
	s_mov_b32 s8, 0x3f317218
	s_nop 0
	v_subbrev_co_u32_e32 v26, vcc, 0, v18, vcc
	v_sub_u32_e32 v18, 0, v26
	v_ldexp_f32 v19, v20, v18
	v_add_f32_e32 v20, -1.0, v19
	v_add_f32_e32 v22, 1.0, v19
	v_ldexp_f32 v18, v21, v18
	v_add_f32_e32 v21, 1.0, v20
	v_add_f32_e32 v23, -1.0, v22
	v_sub_f32_e32 v21, v19, v21
	v_sub_f32_e32 v19, v19, v23
	v_add_f32_e32 v21, v18, v21
	v_add_f32_e32 v18, v18, v19
	;; [unrolled: 1-line block ×3, first 2 shown]
	v_rcp_f32_e32 v45, v27
	v_sub_f32_e32 v19, v22, v27
	v_add_f32_e32 v44, v18, v19
	v_add_f32_e32 v19, v20, v21
	v_mul_f32_e32 v47, v19, v45
	v_sub_f32_e32 v18, v20, v19
	v_mul_f32_e32 v20, v27, v47
	v_fma_f32 v22, v47, v27, -v20
	v_fmac_f32_e32 v22, v47, v44
	v_add_f32_e32 v46, v21, v18
	v_add_f32_e32 v18, v20, v22
	v_sub_f32_e32 v21, v19, v18
	v_pk_add_f32 v[24:25], v[18:19], v[20:21] neg_lo:[0,1] neg_hi:[0,1]
	v_mov_b32_e32 v23, v18
	v_pk_add_f32 v[18:19], v[24:25], v[22:23] neg_lo:[0,1] neg_hi:[0,1]
	v_cmp_neq_f32_e32 vcc, s10, v17
	v_add_f32_e32 v19, v46, v19
	v_add_f32_e32 v18, v18, v19
	;; [unrolled: 1-line block ×3, first 2 shown]
	v_mul_f32_e32 v46, v45, v19
	v_mul_f32_e32 v20, v27, v46
	v_fma_f32 v22, v46, v27, -v20
	v_fmac_f32_e32 v22, v46, v44
	v_sub_f32_e32 v21, v21, v19
	v_add_f32_e32 v27, v18, v21
	v_add_f32_e32 v18, v20, v22
	v_sub_f32_e32 v21, v19, v18
	v_pk_add_f32 v[24:25], v[18:19], v[20:21] neg_lo:[0,1] neg_hi:[0,1]
	v_mov_b32_e32 v23, v18
	v_pk_add_f32 v[18:19], v[24:25], v[22:23] neg_lo:[0,1] neg_hi:[0,1]
	v_cvt_f32_i32_e32 v20, v26
	v_add_f32_e32 v19, v27, v19
	v_add_f32_e32 v18, v18, v19
	;; [unrolled: 1-line block ×4, first 2 shown]
	v_sub_f32_e32 v19, v21, v47
	v_mul_f32_e32 v18, v45, v18
	v_sub_f32_e32 v19, v46, v19
	v_add_f32_e32 v18, v19, v18
	v_add_f32_e32 v22, v21, v18
	v_mul_f32_e32 v24, v22, v22
	v_mov_b32_e32 v19, 0x3ecc95a3
	v_sub_f32_e32 v21, v22, v21
	v_fmac_f32_e32 v19, 0x3e9b6dac, v24
	v_sub_f32_e32 v18, v18, v21
	v_fmaak_f32 v19, v24, v19, 0x3f2aaada
	v_ldexp_f32 v25, v18, 1
	v_mul_f32_e32 v21, v22, v24
	v_mov_b32_e32 v18, 0x3f317218
	v_pk_mul_f32 v[18:19], v[20:21], v[18:19]
	v_ldexp_f32 v23, v22, 1
	v_fma_f32 v21, v20, s8, -v18
	v_fmamk_f32 v22, v20, 0xb102e308, v21
	v_pk_add_f32 v[20:21], v[18:19], v[22:23]
	v_mov_b32_e32 v24, v18
	v_sub_f32_e32 v23, v21, v23
	v_sub_f32_e32 v23, v19, v23
	v_add_f32_e32 v25, v25, v23
	v_pk_add_f32 v[18:19], v[20:21], v[18:19] neg_lo:[0,1] neg_hi:[0,1]
	v_pk_add_f32 v[26:27], v[20:21], v[24:25]
	v_mov_b32_e32 v23, v20
	v_mov_b32_e32 v19, v27
	v_pk_add_f32 v[44:45], v[22:23], v[18:19] neg_lo:[0,1] neg_hi:[0,1]
	v_pk_add_f32 v[18:19], v[22:23], v[18:19]
	v_mov_b32_e32 v24, v25
	v_pk_add_f32 v[22:23], v[18:19], v[20:21] op_sel:[1,0] op_sel_hi:[0,1] neg_lo:[0,1] neg_hi:[0,1]
	v_pk_add_f32 v[46:47], v[26:27], v[22:23] op_sel_hi:[1,0] neg_lo:[0,1] neg_hi:[0,1]
	v_mov_b32_e32 v26, v27
	v_mov_b32_e32 v27, v19
	v_pk_mov_b32 v[22:23], v[20:21], v[22:23] op_sel:[1,0]
	v_mov_b32_e32 v25, v20
	v_pk_add_f32 v[22:23], v[26:27], v[22:23] neg_lo:[0,1] neg_hi:[0,1]
	v_mov_b32_e32 v46, v44
	v_pk_add_f32 v[20:21], v[24:25], v[22:23] neg_lo:[0,1] neg_hi:[0,1]
	v_mov_b32_e32 v45, v19
	v_pk_add_f32 v[22:23], v[46:47], v[20:21]
	s_mov_b32 s8, 0x33800000
	v_pk_add_f32 v[24:25], v[22:23], v[22:23] op_sel:[0,1] op_sel_hi:[1,0]
	s_nop 0
	v_pk_add_f32 v[18:19], v[18:19], v[24:25] op_sel:[1,0] op_sel_hi:[0,1]
	v_mov_b32_e32 v23, v18
	v_pk_add_f32 v[26:27], v[22:23], v[44:45] neg_lo:[0,1] neg_hi:[0,1]
	v_mov_b32_e32 v21, v24
	v_sub_f32_e32 v19, v22, v26
	v_pk_add_f32 v[20:21], v[20:21], v[26:27] neg_lo:[0,1] neg_hi:[0,1]
	v_sub_f32_e32 v19, v44, v19
	v_add_f32_e32 v19, v20, v19
	v_add_f32_e32 v19, v19, v21
	;; [unrolled: 1-line block ×3, first 2 shown]
	v_cndmask_b32_e32 v18, v48, v18, vcc
	v_cmp_lt_f32_e64 vcc, |v17|, s8
	s_nop 1
	v_cndmask_b32_e32 v17, v18, v17, vcc
	v_add_f32_e32 v17, v16, v17
.LBB503_187:
	s_or_b64 exec, exec, s[6:7]
	v_bfe_u32 v16, v17, 16, 1
	v_add3_u32 v16, v17, v16, s9
	v_cmp_o_f32_e32 vcc, v17, v17
	s_movk_i32 s8, 0x1f8
	s_nop 0
	v_cndmask_b32_sdwa v15, v15, v16, vcc dst_sel:DWORD dst_unused:UNUSED_PAD src0_sel:DWORD src1_sel:WORD_1
	v_lshlrev_b32_e32 v17, 16, v15
	v_max_f32_e32 v16, v17, v17
	v_min_f32_e32 v18, v16, v30
	v_cmp_u_f32_e32 vcc, v17, v17
	v_max_f32_e32 v16, v16, v30
	s_nop 0
	v_cndmask_b32_e32 v18, v18, v17, vcc
	v_cndmask_b32_e32 v16, v16, v17, vcc
	v_cndmask_b32_e64 v18, v18, v28, s[16:17]
	v_cndmask_b32_e64 v16, v16, v28, s[16:17]
	v_cmp_neq_f32_e32 vcc, v18, v16
	v_cmp_class_f32_e64 s[6:7], v18, s8
	s_or_b64 s[10:11], vcc, s[6:7]
	s_and_saveexec_b64 s[6:7], s[10:11]
	s_cbranch_execz .LBB503_189
; %bb.188:
	v_sub_f32_e32 v17, v18, v16
	s_mov_b32 s9, 0x3fb8aa3b
	v_mul_f32_e32 v18, 0x3fb8aa3b, v17
	v_fma_f32 v19, v17, s9, -v18
	v_rndne_f32_e32 v20, v18
	v_fmamk_f32 v19, v17, 0x32a5705f, v19
	v_sub_f32_e32 v18, v18, v20
	v_add_f32_e32 v18, v18, v19
	v_exp_f32_e32 v18, v18
	v_cvt_i32_f32_e32 v19, v20
	s_mov_b32 s9, 0xc2ce8ed0
	v_cmp_ngt_f32_e32 vcc, s9, v17
	s_mov_b32 s9, 0x42b17218
	v_ldexp_f32 v18, v18, v19
	v_cndmask_b32_e32 v18, 0, v18, vcc
	v_mov_b32_e32 v28, 0x7f800000
	v_cmp_nlt_f32_e32 vcc, s9, v17
	s_mov_b32 s9, 0x3f2aaaab
	s_mov_b32 s10, 0x7f800000
	v_cndmask_b32_e32 v17, v28, v18, vcc
	v_add_f32_e32 v20, 1.0, v17
	v_add_f32_e32 v18, -1.0, v20
	v_sub_f32_e32 v19, v18, v20
	v_add_f32_e32 v19, 1.0, v19
	v_sub_f32_e32 v18, v17, v18
	v_add_f32_e32 v21, v18, v19
	v_frexp_mant_f32_e32 v22, v20
	v_cvt_f64_f32_e32 v[18:19], v20
	v_frexp_exp_i32_f64_e32 v18, v[18:19]
	v_cmp_gt_f32_e32 vcc, s9, v22
	s_mov_b32 s9, 0x3f317218
	s_nop 0
	v_subbrev_co_u32_e32 v26, vcc, 0, v18, vcc
	v_sub_u32_e32 v18, 0, v26
	v_ldexp_f32 v19, v20, v18
	v_add_f32_e32 v20, -1.0, v19
	v_add_f32_e32 v22, 1.0, v19
	v_ldexp_f32 v18, v21, v18
	v_add_f32_e32 v21, 1.0, v20
	v_add_f32_e32 v23, -1.0, v22
	v_sub_f32_e32 v21, v19, v21
	v_sub_f32_e32 v19, v19, v23
	v_add_f32_e32 v21, v18, v21
	v_add_f32_e32 v18, v18, v19
	;; [unrolled: 1-line block ×3, first 2 shown]
	v_rcp_f32_e32 v44, v27
	v_sub_f32_e32 v19, v22, v27
	v_add_f32_e32 v30, v18, v19
	v_add_f32_e32 v19, v20, v21
	v_mul_f32_e32 v46, v19, v44
	v_sub_f32_e32 v18, v20, v19
	v_mul_f32_e32 v20, v27, v46
	v_fma_f32 v22, v46, v27, -v20
	v_fmac_f32_e32 v22, v46, v30
	v_add_f32_e32 v45, v21, v18
	v_add_f32_e32 v18, v20, v22
	v_sub_f32_e32 v21, v19, v18
	v_pk_add_f32 v[24:25], v[18:19], v[20:21] neg_lo:[0,1] neg_hi:[0,1]
	v_mov_b32_e32 v23, v18
	v_pk_add_f32 v[18:19], v[24:25], v[22:23] neg_lo:[0,1] neg_hi:[0,1]
	v_cmp_neq_f32_e32 vcc, s10, v17
	v_add_f32_e32 v19, v45, v19
	v_add_f32_e32 v18, v18, v19
	;; [unrolled: 1-line block ×3, first 2 shown]
	v_mul_f32_e32 v45, v44, v19
	v_mul_f32_e32 v20, v27, v45
	v_fma_f32 v22, v45, v27, -v20
	v_fmac_f32_e32 v22, v45, v30
	v_sub_f32_e32 v21, v21, v19
	v_add_f32_e32 v27, v18, v21
	v_add_f32_e32 v18, v20, v22
	v_sub_f32_e32 v21, v19, v18
	v_pk_add_f32 v[24:25], v[18:19], v[20:21] neg_lo:[0,1] neg_hi:[0,1]
	v_mov_b32_e32 v23, v18
	v_pk_add_f32 v[18:19], v[24:25], v[22:23] neg_lo:[0,1] neg_hi:[0,1]
	v_cvt_f32_i32_e32 v20, v26
	v_add_f32_e32 v19, v27, v19
	v_add_f32_e32 v18, v18, v19
	;; [unrolled: 1-line block ×4, first 2 shown]
	v_sub_f32_e32 v19, v21, v46
	v_mul_f32_e32 v18, v44, v18
	v_sub_f32_e32 v19, v45, v19
	v_add_f32_e32 v18, v19, v18
	v_add_f32_e32 v22, v21, v18
	v_mul_f32_e32 v24, v22, v22
	v_mov_b32_e32 v19, 0x3ecc95a3
	v_sub_f32_e32 v21, v22, v21
	v_fmac_f32_e32 v19, 0x3e9b6dac, v24
	v_sub_f32_e32 v18, v18, v21
	v_fmaak_f32 v19, v24, v19, 0x3f2aaada
	v_ldexp_f32 v25, v18, 1
	v_mul_f32_e32 v21, v22, v24
	v_mov_b32_e32 v18, 0x3f317218
	v_pk_mul_f32 v[18:19], v[20:21], v[18:19]
	v_ldexp_f32 v23, v22, 1
	v_fma_f32 v21, v20, s9, -v18
	v_fmamk_f32 v22, v20, 0xb102e308, v21
	v_pk_add_f32 v[20:21], v[18:19], v[22:23]
	v_mov_b32_e32 v24, v18
	v_sub_f32_e32 v23, v21, v23
	v_sub_f32_e32 v23, v19, v23
	v_add_f32_e32 v25, v25, v23
	v_pk_add_f32 v[18:19], v[20:21], v[18:19] neg_lo:[0,1] neg_hi:[0,1]
	v_pk_add_f32 v[26:27], v[20:21], v[24:25]
	v_mov_b32_e32 v23, v20
	v_mov_b32_e32 v19, v27
	v_pk_add_f32 v[44:45], v[22:23], v[18:19] neg_lo:[0,1] neg_hi:[0,1]
	v_pk_add_f32 v[18:19], v[22:23], v[18:19]
	v_mov_b32_e32 v24, v25
	v_pk_add_f32 v[22:23], v[18:19], v[20:21] op_sel:[1,0] op_sel_hi:[0,1] neg_lo:[0,1] neg_hi:[0,1]
	v_pk_add_f32 v[46:47], v[26:27], v[22:23] op_sel_hi:[1,0] neg_lo:[0,1] neg_hi:[0,1]
	v_mov_b32_e32 v26, v27
	v_mov_b32_e32 v27, v19
	v_pk_mov_b32 v[22:23], v[20:21], v[22:23] op_sel:[1,0]
	v_mov_b32_e32 v25, v20
	v_pk_add_f32 v[22:23], v[26:27], v[22:23] neg_lo:[0,1] neg_hi:[0,1]
	v_mov_b32_e32 v46, v44
	v_pk_add_f32 v[20:21], v[24:25], v[22:23] neg_lo:[0,1] neg_hi:[0,1]
	v_mov_b32_e32 v45, v19
	v_pk_add_f32 v[22:23], v[46:47], v[20:21]
	s_mov_b32 s9, 0x33800000
	v_pk_add_f32 v[24:25], v[22:23], v[22:23] op_sel:[0,1] op_sel_hi:[1,0]
	s_nop 0
	v_pk_add_f32 v[18:19], v[18:19], v[24:25] op_sel:[1,0] op_sel_hi:[0,1]
	v_mov_b32_e32 v23, v18
	v_pk_add_f32 v[26:27], v[22:23], v[44:45] neg_lo:[0,1] neg_hi:[0,1]
	v_mov_b32_e32 v21, v24
	v_sub_f32_e32 v19, v22, v26
	v_pk_add_f32 v[20:21], v[20:21], v[26:27] neg_lo:[0,1] neg_hi:[0,1]
	v_sub_f32_e32 v19, v44, v19
	v_add_f32_e32 v19, v20, v19
	v_add_f32_e32 v19, v19, v21
	;; [unrolled: 1-line block ×3, first 2 shown]
	v_cndmask_b32_e32 v18, v28, v18, vcc
	v_cmp_lt_f32_e64 vcc, |v17|, s9
	s_nop 1
	v_cndmask_b32_e32 v17, v18, v17, vcc
	v_add_f32_e32 v17, v16, v17
.LBB503_189:
	s_or_b64 exec, exec, s[6:7]
	v_bfe_u32 v16, v17, 16, 1
	s_movk_i32 s9, 0x7fff
	v_add3_u32 v16, v17, v16, s9
	v_cmp_o_f32_e32 vcc, v17, v17
	v_mov_b32_e32 v17, 0x7fc0
	s_nop 0
	v_cndmask_b32_sdwa v16, v17, v16, vcc dst_sel:DWORD dst_unused:UNUSED_PAD src0_sel:DWORD src1_sel:WORD_1
	v_lshlrev_b32_e32 v19, 16, v16
	v_max_f32_e32 v18, v19, v19
	v_min_f32_e32 v20, v18, v31
	v_cmp_u_f32_e32 vcc, v19, v19
	v_max_f32_e32 v18, v18, v31
	s_nop 0
	v_cndmask_b32_e32 v20, v20, v19, vcc
	v_cndmask_b32_e32 v18, v18, v19, vcc
	v_cndmask_b32_e64 v20, v20, v29, s[18:19]
	v_cndmask_b32_e64 v18, v18, v29, s[18:19]
	v_cmp_neq_f32_e32 vcc, v20, v18
	v_cmp_class_f32_e64 s[6:7], v20, s8
	s_or_b64 s[10:11], vcc, s[6:7]
	s_and_saveexec_b64 s[6:7], s[10:11]
	s_cbranch_execz .LBB503_191
; %bb.190:
	v_sub_f32_e32 v19, v20, v18
	s_mov_b32 s8, 0x3fb8aa3b
	v_mul_f32_e32 v20, 0x3fb8aa3b, v19
	v_fma_f32 v21, v19, s8, -v20
	v_rndne_f32_e32 v22, v20
	v_fmamk_f32 v21, v19, 0x32a5705f, v21
	v_sub_f32_e32 v20, v20, v22
	v_add_f32_e32 v20, v20, v21
	v_exp_f32_e32 v20, v20
	v_cvt_i32_f32_e32 v21, v22
	s_mov_b32 s8, 0xc2ce8ed0
	v_cmp_ngt_f32_e32 vcc, s8, v19
	s_mov_b32 s8, 0x42b17218
	v_ldexp_f32 v20, v20, v21
	v_cndmask_b32_e32 v20, 0, v20, vcc
	v_mov_b32_e32 v46, 0x7f800000
	v_cmp_nlt_f32_e32 vcc, s8, v19
	s_mov_b32 s8, 0x3f2aaaab
	s_mov_b32 s10, 0x7f800000
	v_cndmask_b32_e32 v19, v46, v20, vcc
	v_add_f32_e32 v22, 1.0, v19
	v_add_f32_e32 v20, -1.0, v22
	v_sub_f32_e32 v21, v20, v22
	v_add_f32_e32 v21, 1.0, v21
	v_sub_f32_e32 v20, v19, v20
	v_add_f32_e32 v23, v20, v21
	v_frexp_mant_f32_e32 v24, v22
	v_cvt_f64_f32_e32 v[20:21], v22
	v_frexp_exp_i32_f64_e32 v20, v[20:21]
	v_cmp_gt_f32_e32 vcc, s8, v24
	s_mov_b32 s8, 0x3f317218
	s_nop 0
	v_subbrev_co_u32_e32 v28, vcc, 0, v20, vcc
	v_sub_u32_e32 v20, 0, v28
	v_ldexp_f32 v21, v22, v20
	v_add_f32_e32 v22, -1.0, v21
	v_add_f32_e32 v24, 1.0, v21
	v_ldexp_f32 v20, v23, v20
	v_add_f32_e32 v23, 1.0, v22
	v_add_f32_e32 v25, -1.0, v24
	v_sub_f32_e32 v23, v21, v23
	v_sub_f32_e32 v21, v21, v25
	v_add_f32_e32 v23, v20, v23
	v_add_f32_e32 v20, v20, v21
	;; [unrolled: 1-line block ×3, first 2 shown]
	v_rcp_f32_e32 v31, v29
	v_sub_f32_e32 v21, v24, v29
	v_add_f32_e32 v30, v20, v21
	v_add_f32_e32 v21, v22, v23
	v_mul_f32_e32 v45, v21, v31
	v_sub_f32_e32 v20, v22, v21
	v_mul_f32_e32 v22, v29, v45
	v_fma_f32 v24, v45, v29, -v22
	v_fmac_f32_e32 v24, v45, v30
	v_add_f32_e32 v44, v23, v20
	v_add_f32_e32 v20, v22, v24
	v_sub_f32_e32 v23, v21, v20
	v_pk_add_f32 v[26:27], v[20:21], v[22:23] neg_lo:[0,1] neg_hi:[0,1]
	v_mov_b32_e32 v25, v20
	v_pk_add_f32 v[20:21], v[26:27], v[24:25] neg_lo:[0,1] neg_hi:[0,1]
	v_cmp_neq_f32_e32 vcc, s10, v19
	v_add_f32_e32 v21, v44, v21
	v_add_f32_e32 v20, v20, v21
	;; [unrolled: 1-line block ×3, first 2 shown]
	v_mul_f32_e32 v44, v31, v21
	v_mul_f32_e32 v22, v29, v44
	v_fma_f32 v24, v44, v29, -v22
	v_fmac_f32_e32 v24, v44, v30
	v_sub_f32_e32 v23, v23, v21
	v_add_f32_e32 v29, v20, v23
	v_add_f32_e32 v20, v22, v24
	v_sub_f32_e32 v23, v21, v20
	v_pk_add_f32 v[26:27], v[20:21], v[22:23] neg_lo:[0,1] neg_hi:[0,1]
	v_mov_b32_e32 v25, v20
	v_pk_add_f32 v[20:21], v[26:27], v[24:25] neg_lo:[0,1] neg_hi:[0,1]
	v_cvt_f32_i32_e32 v22, v28
	v_add_f32_e32 v21, v29, v21
	v_add_f32_e32 v20, v20, v21
	;; [unrolled: 1-line block ×4, first 2 shown]
	v_sub_f32_e32 v21, v23, v45
	v_mul_f32_e32 v20, v31, v20
	v_sub_f32_e32 v21, v44, v21
	v_add_f32_e32 v20, v21, v20
	v_add_f32_e32 v24, v23, v20
	v_mul_f32_e32 v26, v24, v24
	v_mov_b32_e32 v21, 0x3ecc95a3
	v_sub_f32_e32 v23, v24, v23
	v_fmac_f32_e32 v21, 0x3e9b6dac, v26
	v_sub_f32_e32 v20, v20, v23
	v_fmaak_f32 v21, v26, v21, 0x3f2aaada
	v_ldexp_f32 v27, v20, 1
	v_mul_f32_e32 v23, v24, v26
	v_mov_b32_e32 v20, 0x3f317218
	v_pk_mul_f32 v[20:21], v[22:23], v[20:21]
	v_ldexp_f32 v25, v24, 1
	v_fma_f32 v23, v22, s8, -v20
	v_fmamk_f32 v24, v22, 0xb102e308, v23
	v_pk_add_f32 v[22:23], v[20:21], v[24:25]
	v_mov_b32_e32 v26, v20
	v_sub_f32_e32 v25, v23, v25
	v_sub_f32_e32 v25, v21, v25
	v_add_f32_e32 v27, v27, v25
	v_pk_add_f32 v[20:21], v[22:23], v[20:21] neg_lo:[0,1] neg_hi:[0,1]
	v_pk_add_f32 v[28:29], v[22:23], v[26:27]
	v_mov_b32_e32 v25, v22
	v_mov_b32_e32 v21, v29
	v_pk_add_f32 v[30:31], v[24:25], v[20:21] neg_lo:[0,1] neg_hi:[0,1]
	v_pk_add_f32 v[20:21], v[24:25], v[20:21]
	v_mov_b32_e32 v26, v27
	v_pk_add_f32 v[24:25], v[20:21], v[22:23] op_sel:[1,0] op_sel_hi:[0,1] neg_lo:[0,1] neg_hi:[0,1]
	v_pk_add_f32 v[44:45], v[28:29], v[24:25] op_sel_hi:[1,0] neg_lo:[0,1] neg_hi:[0,1]
	v_mov_b32_e32 v28, v29
	v_mov_b32_e32 v29, v21
	v_pk_mov_b32 v[24:25], v[22:23], v[24:25] op_sel:[1,0]
	v_mov_b32_e32 v27, v22
	v_pk_add_f32 v[24:25], v[28:29], v[24:25] neg_lo:[0,1] neg_hi:[0,1]
	v_mov_b32_e32 v44, v30
	v_pk_add_f32 v[22:23], v[26:27], v[24:25] neg_lo:[0,1] neg_hi:[0,1]
	v_mov_b32_e32 v31, v21
	v_pk_add_f32 v[24:25], v[44:45], v[22:23]
	s_mov_b32 s8, 0x33800000
	v_pk_add_f32 v[26:27], v[24:25], v[24:25] op_sel:[0,1] op_sel_hi:[1,0]
	s_nop 0
	v_pk_add_f32 v[20:21], v[20:21], v[26:27] op_sel:[1,0] op_sel_hi:[0,1]
	v_mov_b32_e32 v25, v20
	v_pk_add_f32 v[28:29], v[24:25], v[30:31] neg_lo:[0,1] neg_hi:[0,1]
	v_mov_b32_e32 v23, v26
	v_sub_f32_e32 v21, v24, v28
	v_pk_add_f32 v[22:23], v[22:23], v[28:29] neg_lo:[0,1] neg_hi:[0,1]
	v_sub_f32_e32 v21, v30, v21
	v_add_f32_e32 v21, v22, v21
	v_add_f32_e32 v21, v21, v23
	;; [unrolled: 1-line block ×3, first 2 shown]
	v_cndmask_b32_e32 v20, v46, v20, vcc
	v_cmp_lt_f32_e64 vcc, |v19|, s8
	s_nop 1
	v_cndmask_b32_e32 v19, v20, v19, vcc
	v_add_f32_e32 v19, v18, v19
.LBB503_191:
	s_or_b64 exec, exec, s[6:7]
	v_bfe_u32 v18, v19, 16, 1
	v_add3_u32 v18, v19, v18, s9
	v_cmp_o_f32_e32 vcc, v19, v19
	s_movk_i32 s8, 0x1f8
	s_nop 0
	v_cndmask_b32_sdwa v17, v17, v18, vcc dst_sel:DWORD dst_unused:UNUSED_PAD src0_sel:DWORD src1_sel:WORD_1
	v_lshlrev_b32_e32 v19, 16, v17
	v_max_f32_e32 v18, v19, v19
	v_min_f32_e32 v20, v18, v34
	v_cmp_u_f32_e32 vcc, v19, v19
	v_max_f32_e32 v18, v18, v34
	s_nop 0
	v_cndmask_b32_e32 v20, v20, v19, vcc
	v_cndmask_b32_e32 v18, v18, v19, vcc
	v_cndmask_b32_e64 v20, v20, v32, s[20:21]
	v_cndmask_b32_e64 v18, v18, v32, s[20:21]
	v_cmp_neq_f32_e32 vcc, v20, v18
	v_cmp_class_f32_e64 s[6:7], v20, s8
	s_or_b64 s[10:11], vcc, s[6:7]
	s_and_saveexec_b64 s[6:7], s[10:11]
	s_cbranch_execz .LBB503_193
; %bb.192:
	v_sub_f32_e32 v19, v20, v18
	s_mov_b32 s9, 0x3fb8aa3b
	v_mul_f32_e32 v20, 0x3fb8aa3b, v19
	v_fma_f32 v21, v19, s9, -v20
	v_rndne_f32_e32 v22, v20
	v_fmamk_f32 v21, v19, 0x32a5705f, v21
	v_sub_f32_e32 v20, v20, v22
	v_add_f32_e32 v20, v20, v21
	v_exp_f32_e32 v20, v20
	v_cvt_i32_f32_e32 v21, v22
	s_mov_b32 s9, 0xc2ce8ed0
	v_cmp_ngt_f32_e32 vcc, s9, v19
	s_mov_b32 s9, 0x42b17218
	v_ldexp_f32 v20, v20, v21
	v_cndmask_b32_e32 v20, 0, v20, vcc
	v_mov_b32_e32 v32, 0x7f800000
	v_cmp_nlt_f32_e32 vcc, s9, v19
	s_mov_b32 s9, 0x3f2aaaab
	s_mov_b32 s10, 0x7f800000
	v_cndmask_b32_e32 v19, v32, v20, vcc
	v_add_f32_e32 v22, 1.0, v19
	v_add_f32_e32 v20, -1.0, v22
	v_sub_f32_e32 v21, v20, v22
	v_add_f32_e32 v21, 1.0, v21
	v_sub_f32_e32 v20, v19, v20
	v_add_f32_e32 v23, v20, v21
	v_frexp_mant_f32_e32 v24, v22
	v_cvt_f64_f32_e32 v[20:21], v22
	v_frexp_exp_i32_f64_e32 v20, v[20:21]
	v_cmp_gt_f32_e32 vcc, s9, v24
	s_mov_b32 s9, 0x3f317218
	s_nop 0
	v_subbrev_co_u32_e32 v28, vcc, 0, v20, vcc
	v_sub_u32_e32 v20, 0, v28
	v_ldexp_f32 v21, v22, v20
	v_add_f32_e32 v22, -1.0, v21
	v_add_f32_e32 v24, 1.0, v21
	v_ldexp_f32 v20, v23, v20
	v_add_f32_e32 v23, 1.0, v22
	v_add_f32_e32 v25, -1.0, v24
	v_sub_f32_e32 v23, v21, v23
	v_sub_f32_e32 v21, v21, v25
	v_add_f32_e32 v23, v20, v23
	v_add_f32_e32 v20, v20, v21
	;; [unrolled: 1-line block ×3, first 2 shown]
	v_rcp_f32_e32 v31, v29
	v_sub_f32_e32 v21, v24, v29
	v_add_f32_e32 v30, v20, v21
	v_add_f32_e32 v21, v22, v23
	v_mul_f32_e32 v44, v21, v31
	v_sub_f32_e32 v20, v22, v21
	v_mul_f32_e32 v22, v29, v44
	v_fma_f32 v24, v44, v29, -v22
	v_fmac_f32_e32 v24, v44, v30
	v_add_f32_e32 v34, v23, v20
	v_add_f32_e32 v20, v22, v24
	v_sub_f32_e32 v23, v21, v20
	v_pk_add_f32 v[26:27], v[20:21], v[22:23] neg_lo:[0,1] neg_hi:[0,1]
	v_mov_b32_e32 v25, v20
	v_pk_add_f32 v[20:21], v[26:27], v[24:25] neg_lo:[0,1] neg_hi:[0,1]
	v_cmp_neq_f32_e32 vcc, s10, v19
	v_add_f32_e32 v21, v34, v21
	v_add_f32_e32 v20, v20, v21
	;; [unrolled: 1-line block ×3, first 2 shown]
	v_mul_f32_e32 v34, v31, v21
	v_mul_f32_e32 v22, v29, v34
	v_fma_f32 v24, v34, v29, -v22
	v_fmac_f32_e32 v24, v34, v30
	v_sub_f32_e32 v23, v23, v21
	v_add_f32_e32 v29, v20, v23
	v_add_f32_e32 v20, v22, v24
	v_sub_f32_e32 v23, v21, v20
	v_pk_add_f32 v[26:27], v[20:21], v[22:23] neg_lo:[0,1] neg_hi:[0,1]
	v_mov_b32_e32 v25, v20
	v_pk_add_f32 v[20:21], v[26:27], v[24:25] neg_lo:[0,1] neg_hi:[0,1]
	v_cvt_f32_i32_e32 v22, v28
	v_add_f32_e32 v21, v29, v21
	v_add_f32_e32 v20, v20, v21
	;; [unrolled: 1-line block ×4, first 2 shown]
	v_sub_f32_e32 v21, v23, v44
	v_mul_f32_e32 v20, v31, v20
	v_sub_f32_e32 v21, v34, v21
	v_add_f32_e32 v20, v21, v20
	v_add_f32_e32 v24, v23, v20
	v_mul_f32_e32 v26, v24, v24
	v_mov_b32_e32 v21, 0x3ecc95a3
	v_sub_f32_e32 v23, v24, v23
	v_fmac_f32_e32 v21, 0x3e9b6dac, v26
	v_sub_f32_e32 v20, v20, v23
	v_fmaak_f32 v21, v26, v21, 0x3f2aaada
	v_ldexp_f32 v27, v20, 1
	v_mul_f32_e32 v23, v24, v26
	v_mov_b32_e32 v20, 0x3f317218
	v_pk_mul_f32 v[20:21], v[22:23], v[20:21]
	v_ldexp_f32 v25, v24, 1
	v_fma_f32 v23, v22, s9, -v20
	v_fmamk_f32 v24, v22, 0xb102e308, v23
	v_pk_add_f32 v[22:23], v[20:21], v[24:25]
	v_mov_b32_e32 v26, v20
	v_sub_f32_e32 v25, v23, v25
	v_sub_f32_e32 v25, v21, v25
	v_add_f32_e32 v27, v27, v25
	v_pk_add_f32 v[20:21], v[22:23], v[20:21] neg_lo:[0,1] neg_hi:[0,1]
	v_pk_add_f32 v[28:29], v[22:23], v[26:27]
	v_mov_b32_e32 v25, v22
	v_mov_b32_e32 v21, v29
	v_pk_add_f32 v[30:31], v[24:25], v[20:21] neg_lo:[0,1] neg_hi:[0,1]
	v_pk_add_f32 v[20:21], v[24:25], v[20:21]
	v_mov_b32_e32 v26, v27
	v_pk_add_f32 v[24:25], v[20:21], v[22:23] op_sel:[1,0] op_sel_hi:[0,1] neg_lo:[0,1] neg_hi:[0,1]
	v_pk_add_f32 v[44:45], v[28:29], v[24:25] op_sel_hi:[1,0] neg_lo:[0,1] neg_hi:[0,1]
	v_mov_b32_e32 v28, v29
	v_mov_b32_e32 v29, v21
	v_pk_mov_b32 v[24:25], v[22:23], v[24:25] op_sel:[1,0]
	v_mov_b32_e32 v27, v22
	v_pk_add_f32 v[24:25], v[28:29], v[24:25] neg_lo:[0,1] neg_hi:[0,1]
	v_mov_b32_e32 v44, v30
	v_pk_add_f32 v[22:23], v[26:27], v[24:25] neg_lo:[0,1] neg_hi:[0,1]
	v_mov_b32_e32 v31, v21
	v_pk_add_f32 v[24:25], v[44:45], v[22:23]
	s_mov_b32 s9, 0x33800000
	v_pk_add_f32 v[26:27], v[24:25], v[24:25] op_sel:[0,1] op_sel_hi:[1,0]
	s_nop 0
	v_pk_add_f32 v[20:21], v[20:21], v[26:27] op_sel:[1,0] op_sel_hi:[0,1]
	v_mov_b32_e32 v25, v20
	v_pk_add_f32 v[28:29], v[24:25], v[30:31] neg_lo:[0,1] neg_hi:[0,1]
	v_mov_b32_e32 v23, v26
	v_sub_f32_e32 v21, v24, v28
	v_pk_add_f32 v[22:23], v[22:23], v[28:29] neg_lo:[0,1] neg_hi:[0,1]
	v_sub_f32_e32 v21, v30, v21
	v_add_f32_e32 v21, v22, v21
	v_add_f32_e32 v21, v21, v23
	;; [unrolled: 1-line block ×3, first 2 shown]
	v_cndmask_b32_e32 v20, v32, v20, vcc
	v_cmp_lt_f32_e64 vcc, |v19|, s9
	s_nop 1
	v_cndmask_b32_e32 v19, v20, v19, vcc
	v_add_f32_e32 v19, v18, v19
.LBB503_193:
	s_or_b64 exec, exec, s[6:7]
	v_bfe_u32 v18, v19, 16, 1
	s_movk_i32 s9, 0x7fff
	v_add3_u32 v18, v19, v18, s9
	v_cmp_o_f32_e32 vcc, v19, v19
	v_mov_b32_e32 v19, 0x7fc0
	s_nop 0
	v_cndmask_b32_sdwa v18, v19, v18, vcc dst_sel:DWORD dst_unused:UNUSED_PAD src0_sel:DWORD src1_sel:WORD_1
	v_lshlrev_b32_e32 v21, 16, v18
	v_max_f32_e32 v20, v21, v21
	v_min_f32_e32 v22, v20, v35
	v_cmp_u_f32_e32 vcc, v21, v21
	v_max_f32_e32 v20, v20, v35
	s_nop 0
	v_cndmask_b32_e32 v22, v22, v21, vcc
	v_cndmask_b32_e32 v20, v20, v21, vcc
	v_cndmask_b32_e64 v22, v22, v33, s[22:23]
	v_cndmask_b32_e64 v20, v20, v33, s[22:23]
	v_cmp_neq_f32_e32 vcc, v22, v20
	v_cmp_class_f32_e64 s[6:7], v22, s8
	s_or_b64 s[10:11], vcc, s[6:7]
	s_and_saveexec_b64 s[6:7], s[10:11]
	s_cbranch_execz .LBB503_195
; %bb.194:
	v_sub_f32_e32 v21, v22, v20
	s_mov_b32 s8, 0x3fb8aa3b
	v_mul_f32_e32 v22, 0x3fb8aa3b, v21
	v_fma_f32 v23, v21, s8, -v22
	v_rndne_f32_e32 v24, v22
	v_fmamk_f32 v23, v21, 0x32a5705f, v23
	v_sub_f32_e32 v22, v22, v24
	v_add_f32_e32 v22, v22, v23
	v_exp_f32_e32 v22, v22
	v_cvt_i32_f32_e32 v23, v24
	s_mov_b32 s8, 0xc2ce8ed0
	v_cmp_ngt_f32_e32 vcc, s8, v21
	s_mov_b32 s8, 0x42b17218
	v_ldexp_f32 v22, v22, v23
	v_cndmask_b32_e32 v22, 0, v22, vcc
	v_mov_b32_e32 v44, 0x7f800000
	v_cmp_nlt_f32_e32 vcc, s8, v21
	s_mov_b32 s8, 0x3f2aaaab
	s_mov_b32 s10, 0x7f800000
	v_cndmask_b32_e32 v21, v44, v22, vcc
	v_add_f32_e32 v24, 1.0, v21
	v_add_f32_e32 v22, -1.0, v24
	v_sub_f32_e32 v23, v22, v24
	v_add_f32_e32 v23, 1.0, v23
	v_sub_f32_e32 v22, v21, v22
	v_add_f32_e32 v25, v22, v23
	v_frexp_mant_f32_e32 v26, v24
	v_cvt_f64_f32_e32 v[22:23], v24
	v_frexp_exp_i32_f64_e32 v22, v[22:23]
	v_cmp_gt_f32_e32 vcc, s8, v26
	s_mov_b32 s8, 0x3f317218
	s_nop 0
	v_subbrev_co_u32_e32 v30, vcc, 0, v22, vcc
	v_sub_u32_e32 v22, 0, v30
	v_ldexp_f32 v23, v24, v22
	v_add_f32_e32 v24, -1.0, v23
	v_add_f32_e32 v26, 1.0, v23
	v_ldexp_f32 v22, v25, v22
	v_add_f32_e32 v25, 1.0, v24
	v_add_f32_e32 v27, -1.0, v26
	v_sub_f32_e32 v25, v23, v25
	v_sub_f32_e32 v23, v23, v27
	v_add_f32_e32 v25, v22, v25
	v_add_f32_e32 v22, v22, v23
	v_add_f32_e32 v31, v26, v22
	v_rcp_f32_e32 v33, v31
	v_sub_f32_e32 v23, v26, v31
	v_add_f32_e32 v32, v22, v23
	v_add_f32_e32 v23, v24, v25
	v_mul_f32_e32 v35, v23, v33
	v_sub_f32_e32 v22, v24, v23
	v_mul_f32_e32 v24, v31, v35
	v_fma_f32 v26, v35, v31, -v24
	v_fmac_f32_e32 v26, v35, v32
	v_add_f32_e32 v34, v25, v22
	v_add_f32_e32 v22, v24, v26
	v_sub_f32_e32 v25, v23, v22
	v_pk_add_f32 v[28:29], v[22:23], v[24:25] neg_lo:[0,1] neg_hi:[0,1]
	v_mov_b32_e32 v27, v22
	v_pk_add_f32 v[22:23], v[28:29], v[26:27] neg_lo:[0,1] neg_hi:[0,1]
	v_cmp_neq_f32_e32 vcc, s10, v21
	v_add_f32_e32 v23, v34, v23
	v_add_f32_e32 v22, v22, v23
	;; [unrolled: 1-line block ×3, first 2 shown]
	v_mul_f32_e32 v34, v33, v23
	v_mul_f32_e32 v24, v31, v34
	v_fma_f32 v26, v34, v31, -v24
	v_fmac_f32_e32 v26, v34, v32
	v_sub_f32_e32 v25, v25, v23
	v_add_f32_e32 v31, v22, v25
	v_add_f32_e32 v22, v24, v26
	v_sub_f32_e32 v25, v23, v22
	v_pk_add_f32 v[28:29], v[22:23], v[24:25] neg_lo:[0,1] neg_hi:[0,1]
	v_mov_b32_e32 v27, v22
	v_pk_add_f32 v[22:23], v[28:29], v[26:27] neg_lo:[0,1] neg_hi:[0,1]
	v_cvt_f32_i32_e32 v24, v30
	v_add_f32_e32 v23, v31, v23
	v_add_f32_e32 v22, v22, v23
	;; [unrolled: 1-line block ×4, first 2 shown]
	v_sub_f32_e32 v23, v25, v35
	v_mul_f32_e32 v22, v33, v22
	v_sub_f32_e32 v23, v34, v23
	v_add_f32_e32 v22, v23, v22
	v_add_f32_e32 v26, v25, v22
	v_mul_f32_e32 v28, v26, v26
	v_mov_b32_e32 v23, 0x3ecc95a3
	v_sub_f32_e32 v25, v26, v25
	v_fmac_f32_e32 v23, 0x3e9b6dac, v28
	v_sub_f32_e32 v22, v22, v25
	v_fmaak_f32 v23, v28, v23, 0x3f2aaada
	v_ldexp_f32 v29, v22, 1
	v_mul_f32_e32 v25, v26, v28
	v_mov_b32_e32 v22, 0x3f317218
	v_pk_mul_f32 v[22:23], v[24:25], v[22:23]
	v_ldexp_f32 v27, v26, 1
	v_fma_f32 v25, v24, s8, -v22
	v_fmamk_f32 v26, v24, 0xb102e308, v25
	v_pk_add_f32 v[24:25], v[22:23], v[26:27]
	v_mov_b32_e32 v28, v22
	v_sub_f32_e32 v27, v25, v27
	v_sub_f32_e32 v27, v23, v27
	v_add_f32_e32 v29, v29, v27
	v_pk_add_f32 v[22:23], v[24:25], v[22:23] neg_lo:[0,1] neg_hi:[0,1]
	v_pk_add_f32 v[30:31], v[24:25], v[28:29]
	v_mov_b32_e32 v27, v24
	v_mov_b32_e32 v23, v31
	v_pk_add_f32 v[32:33], v[26:27], v[22:23] neg_lo:[0,1] neg_hi:[0,1]
	v_pk_add_f32 v[22:23], v[26:27], v[22:23]
	v_mov_b32_e32 v28, v29
	v_pk_add_f32 v[26:27], v[22:23], v[24:25] op_sel:[1,0] op_sel_hi:[0,1] neg_lo:[0,1] neg_hi:[0,1]
	v_pk_add_f32 v[34:35], v[30:31], v[26:27] op_sel_hi:[1,0] neg_lo:[0,1] neg_hi:[0,1]
	v_mov_b32_e32 v30, v31
	v_mov_b32_e32 v31, v23
	v_pk_mov_b32 v[26:27], v[24:25], v[26:27] op_sel:[1,0]
	v_mov_b32_e32 v29, v24
	v_pk_add_f32 v[26:27], v[30:31], v[26:27] neg_lo:[0,1] neg_hi:[0,1]
	v_mov_b32_e32 v34, v32
	v_pk_add_f32 v[24:25], v[28:29], v[26:27] neg_lo:[0,1] neg_hi:[0,1]
	v_mov_b32_e32 v33, v23
	v_pk_add_f32 v[26:27], v[34:35], v[24:25]
	s_mov_b32 s8, 0x33800000
	v_pk_add_f32 v[28:29], v[26:27], v[26:27] op_sel:[0,1] op_sel_hi:[1,0]
	s_nop 0
	v_pk_add_f32 v[22:23], v[22:23], v[28:29] op_sel:[1,0] op_sel_hi:[0,1]
	v_mov_b32_e32 v27, v22
	v_pk_add_f32 v[30:31], v[26:27], v[32:33] neg_lo:[0,1] neg_hi:[0,1]
	v_mov_b32_e32 v25, v28
	v_sub_f32_e32 v23, v26, v30
	v_pk_add_f32 v[24:25], v[24:25], v[30:31] neg_lo:[0,1] neg_hi:[0,1]
	v_sub_f32_e32 v23, v32, v23
	v_add_f32_e32 v23, v24, v23
	v_add_f32_e32 v23, v23, v25
	;; [unrolled: 1-line block ×3, first 2 shown]
	v_cndmask_b32_e32 v22, v44, v22, vcc
	v_cmp_lt_f32_e64 vcc, |v21|, s8
	s_nop 1
	v_cndmask_b32_e32 v21, v22, v21, vcc
	v_add_f32_e32 v21, v20, v21
.LBB503_195:
	s_or_b64 exec, exec, s[6:7]
	v_bfe_u32 v20, v21, 16, 1
	v_add3_u32 v20, v21, v20, s9
	v_cmp_o_f32_e32 vcc, v21, v21
	s_movk_i32 s8, 0x1f8
	s_nop 0
	v_cndmask_b32_sdwa v19, v19, v20, vcc dst_sel:DWORD dst_unused:UNUSED_PAD src0_sel:DWORD src1_sel:WORD_1
	v_lshlrev_b32_e32 v21, 16, v19
	v_max_f32_e32 v20, v21, v21
	v_min_f32_e32 v22, v20, v38
	v_cmp_u_f32_e32 vcc, v21, v21
	v_max_f32_e32 v20, v20, v38
	s_nop 0
	v_cndmask_b32_e32 v22, v22, v21, vcc
	v_cndmask_b32_e32 v20, v20, v21, vcc
	v_cndmask_b32_e64 v22, v22, v36, s[24:25]
	v_cndmask_b32_e64 v20, v20, v36, s[24:25]
	v_cmp_neq_f32_e32 vcc, v22, v20
	v_cmp_class_f32_e64 s[6:7], v22, s8
	s_or_b64 s[10:11], vcc, s[6:7]
	s_and_saveexec_b64 s[6:7], s[10:11]
	s_cbranch_execz .LBB503_197
; %bb.196:
	v_sub_f32_e32 v21, v22, v20
	s_mov_b32 s9, 0x3fb8aa3b
	v_mul_f32_e32 v22, 0x3fb8aa3b, v21
	v_fma_f32 v23, v21, s9, -v22
	v_rndne_f32_e32 v24, v22
	v_fmamk_f32 v23, v21, 0x32a5705f, v23
	v_sub_f32_e32 v22, v22, v24
	v_add_f32_e32 v22, v22, v23
	v_exp_f32_e32 v22, v22
	v_cvt_i32_f32_e32 v23, v24
	s_mov_b32 s9, 0xc2ce8ed0
	v_cmp_ngt_f32_e32 vcc, s9, v21
	s_mov_b32 s9, 0x42b17218
	v_ldexp_f32 v22, v22, v23
	v_cndmask_b32_e32 v22, 0, v22, vcc
	v_mov_b32_e32 v36, 0x7f800000
	v_cmp_nlt_f32_e32 vcc, s9, v21
	s_mov_b32 s9, 0x3f2aaaab
	s_mov_b32 s10, 0x7f800000
	v_cndmask_b32_e32 v21, v36, v22, vcc
	v_add_f32_e32 v24, 1.0, v21
	v_add_f32_e32 v22, -1.0, v24
	v_sub_f32_e32 v23, v22, v24
	v_add_f32_e32 v23, 1.0, v23
	v_sub_f32_e32 v22, v21, v22
	v_add_f32_e32 v25, v22, v23
	v_frexp_mant_f32_e32 v26, v24
	v_cvt_f64_f32_e32 v[22:23], v24
	v_frexp_exp_i32_f64_e32 v22, v[22:23]
	v_cmp_gt_f32_e32 vcc, s9, v26
	s_mov_b32 s9, 0x3f317218
	s_nop 0
	v_subbrev_co_u32_e32 v30, vcc, 0, v22, vcc
	v_sub_u32_e32 v22, 0, v30
	v_ldexp_f32 v23, v24, v22
	v_add_f32_e32 v24, -1.0, v23
	v_add_f32_e32 v26, 1.0, v23
	v_ldexp_f32 v22, v25, v22
	v_add_f32_e32 v25, 1.0, v24
	v_add_f32_e32 v27, -1.0, v26
	v_sub_f32_e32 v25, v23, v25
	v_sub_f32_e32 v23, v23, v27
	v_add_f32_e32 v25, v22, v25
	v_add_f32_e32 v22, v22, v23
	;; [unrolled: 1-line block ×3, first 2 shown]
	v_rcp_f32_e32 v33, v31
	v_sub_f32_e32 v23, v26, v31
	v_add_f32_e32 v32, v22, v23
	v_add_f32_e32 v23, v24, v25
	v_mul_f32_e32 v35, v23, v33
	v_sub_f32_e32 v22, v24, v23
	v_mul_f32_e32 v24, v31, v35
	v_fma_f32 v26, v35, v31, -v24
	v_fmac_f32_e32 v26, v35, v32
	v_add_f32_e32 v34, v25, v22
	v_add_f32_e32 v22, v24, v26
	v_sub_f32_e32 v25, v23, v22
	v_pk_add_f32 v[28:29], v[22:23], v[24:25] neg_lo:[0,1] neg_hi:[0,1]
	v_mov_b32_e32 v27, v22
	v_pk_add_f32 v[22:23], v[28:29], v[26:27] neg_lo:[0,1] neg_hi:[0,1]
	v_cmp_neq_f32_e32 vcc, s10, v21
	v_add_f32_e32 v23, v34, v23
	v_add_f32_e32 v22, v22, v23
	;; [unrolled: 1-line block ×3, first 2 shown]
	v_mul_f32_e32 v34, v33, v23
	v_mul_f32_e32 v24, v31, v34
	v_fma_f32 v26, v34, v31, -v24
	v_fmac_f32_e32 v26, v34, v32
	v_sub_f32_e32 v25, v25, v23
	v_add_f32_e32 v31, v22, v25
	v_add_f32_e32 v22, v24, v26
	v_sub_f32_e32 v25, v23, v22
	v_pk_add_f32 v[28:29], v[22:23], v[24:25] neg_lo:[0,1] neg_hi:[0,1]
	v_mov_b32_e32 v27, v22
	v_pk_add_f32 v[22:23], v[28:29], v[26:27] neg_lo:[0,1] neg_hi:[0,1]
	v_cvt_f32_i32_e32 v24, v30
	v_add_f32_e32 v23, v31, v23
	v_add_f32_e32 v22, v22, v23
	;; [unrolled: 1-line block ×4, first 2 shown]
	v_sub_f32_e32 v23, v25, v35
	v_mul_f32_e32 v22, v33, v22
	v_sub_f32_e32 v23, v34, v23
	v_add_f32_e32 v22, v23, v22
	v_add_f32_e32 v26, v25, v22
	v_mul_f32_e32 v28, v26, v26
	v_mov_b32_e32 v23, 0x3ecc95a3
	v_sub_f32_e32 v25, v26, v25
	v_fmac_f32_e32 v23, 0x3e9b6dac, v28
	v_sub_f32_e32 v22, v22, v25
	v_fmaak_f32 v23, v28, v23, 0x3f2aaada
	v_ldexp_f32 v29, v22, 1
	v_mul_f32_e32 v25, v26, v28
	v_mov_b32_e32 v22, 0x3f317218
	v_pk_mul_f32 v[22:23], v[24:25], v[22:23]
	v_ldexp_f32 v27, v26, 1
	v_fma_f32 v25, v24, s9, -v22
	v_fmamk_f32 v26, v24, 0xb102e308, v25
	v_pk_add_f32 v[24:25], v[22:23], v[26:27]
	v_mov_b32_e32 v28, v22
	v_sub_f32_e32 v27, v25, v27
	v_sub_f32_e32 v27, v23, v27
	v_add_f32_e32 v29, v29, v27
	v_pk_add_f32 v[22:23], v[24:25], v[22:23] neg_lo:[0,1] neg_hi:[0,1]
	v_pk_add_f32 v[30:31], v[24:25], v[28:29]
	v_mov_b32_e32 v27, v24
	v_mov_b32_e32 v23, v31
	v_pk_add_f32 v[32:33], v[26:27], v[22:23] neg_lo:[0,1] neg_hi:[0,1]
	v_pk_add_f32 v[22:23], v[26:27], v[22:23]
	v_mov_b32_e32 v28, v29
	v_pk_add_f32 v[26:27], v[22:23], v[24:25] op_sel:[1,0] op_sel_hi:[0,1] neg_lo:[0,1] neg_hi:[0,1]
	v_pk_add_f32 v[34:35], v[30:31], v[26:27] op_sel_hi:[1,0] neg_lo:[0,1] neg_hi:[0,1]
	v_mov_b32_e32 v30, v31
	v_mov_b32_e32 v31, v23
	v_pk_mov_b32 v[26:27], v[24:25], v[26:27] op_sel:[1,0]
	v_mov_b32_e32 v29, v24
	v_pk_add_f32 v[26:27], v[30:31], v[26:27] neg_lo:[0,1] neg_hi:[0,1]
	v_mov_b32_e32 v34, v32
	v_pk_add_f32 v[24:25], v[28:29], v[26:27] neg_lo:[0,1] neg_hi:[0,1]
	v_mov_b32_e32 v33, v23
	v_pk_add_f32 v[26:27], v[34:35], v[24:25]
	s_mov_b32 s9, 0x33800000
	v_pk_add_f32 v[28:29], v[26:27], v[26:27] op_sel:[0,1] op_sel_hi:[1,0]
	s_nop 0
	v_pk_add_f32 v[22:23], v[22:23], v[28:29] op_sel:[1,0] op_sel_hi:[0,1]
	v_mov_b32_e32 v27, v22
	v_pk_add_f32 v[30:31], v[26:27], v[32:33] neg_lo:[0,1] neg_hi:[0,1]
	v_mov_b32_e32 v25, v28
	v_sub_f32_e32 v23, v26, v30
	v_pk_add_f32 v[24:25], v[24:25], v[30:31] neg_lo:[0,1] neg_hi:[0,1]
	v_sub_f32_e32 v23, v32, v23
	v_add_f32_e32 v23, v24, v23
	v_add_f32_e32 v23, v23, v25
	;; [unrolled: 1-line block ×3, first 2 shown]
	v_cndmask_b32_e32 v22, v36, v22, vcc
	v_cmp_lt_f32_e64 vcc, |v21|, s9
	s_nop 1
	v_cndmask_b32_e32 v21, v22, v21, vcc
	v_add_f32_e32 v21, v20, v21
.LBB503_197:
	s_or_b64 exec, exec, s[6:7]
	v_bfe_u32 v20, v21, 16, 1
	s_movk_i32 s9, 0x7fff
	v_add3_u32 v20, v21, v20, s9
	v_cmp_o_f32_e32 vcc, v21, v21
	v_mov_b32_e32 v21, 0x7fc0
	s_nop 0
	v_cndmask_b32_sdwa v20, v21, v20, vcc dst_sel:DWORD dst_unused:UNUSED_PAD src0_sel:DWORD src1_sel:WORD_1
	v_lshlrev_b32_e32 v23, 16, v20
	v_max_f32_e32 v22, v23, v23
	v_min_f32_e32 v24, v22, v39
	v_cmp_u_f32_e32 vcc, v23, v23
	v_max_f32_e32 v22, v22, v39
	s_nop 0
	v_cndmask_b32_e32 v24, v24, v23, vcc
	v_cndmask_b32_e32 v22, v22, v23, vcc
	v_cndmask_b32_e64 v24, v24, v37, s[26:27]
	v_cndmask_b32_e64 v22, v22, v37, s[26:27]
	v_cmp_neq_f32_e32 vcc, v24, v22
	v_cmp_class_f32_e64 s[6:7], v24, s8
	s_or_b64 s[10:11], vcc, s[6:7]
	s_and_saveexec_b64 s[6:7], s[10:11]
	s_cbranch_execz .LBB503_199
; %bb.198:
	v_sub_f32_e32 v23, v24, v22
	s_mov_b32 s8, 0x3fb8aa3b
	v_mul_f32_e32 v24, 0x3fb8aa3b, v23
	v_fma_f32 v25, v23, s8, -v24
	v_rndne_f32_e32 v26, v24
	v_fmamk_f32 v25, v23, 0x32a5705f, v25
	v_sub_f32_e32 v24, v24, v26
	v_add_f32_e32 v24, v24, v25
	v_exp_f32_e32 v24, v24
	v_cvt_i32_f32_e32 v25, v26
	s_mov_b32 s8, 0xc2ce8ed0
	v_cmp_ngt_f32_e32 vcc, s8, v23
	s_mov_b32 s8, 0x42b17218
	v_ldexp_f32 v24, v24, v25
	v_cndmask_b32_e32 v24, 0, v24, vcc
	v_mov_b32_e32 v38, 0x7f800000
	v_cmp_nlt_f32_e32 vcc, s8, v23
	s_mov_b32 s8, 0x3f2aaaab
	s_mov_b32 s10, 0x7f800000
	v_cndmask_b32_e32 v23, v38, v24, vcc
	v_add_f32_e32 v26, 1.0, v23
	v_add_f32_e32 v24, -1.0, v26
	v_sub_f32_e32 v25, v24, v26
	v_add_f32_e32 v25, 1.0, v25
	v_sub_f32_e32 v24, v23, v24
	v_add_f32_e32 v27, v24, v25
	v_frexp_mant_f32_e32 v28, v26
	v_cvt_f64_f32_e32 v[24:25], v26
	v_frexp_exp_i32_f64_e32 v24, v[24:25]
	v_cmp_gt_f32_e32 vcc, s8, v28
	s_mov_b32 s8, 0x3f317218
	s_nop 0
	v_subbrev_co_u32_e32 v32, vcc, 0, v24, vcc
	v_sub_u32_e32 v24, 0, v32
	v_ldexp_f32 v25, v26, v24
	v_add_f32_e32 v26, -1.0, v25
	v_add_f32_e32 v28, 1.0, v25
	v_ldexp_f32 v24, v27, v24
	v_add_f32_e32 v27, 1.0, v26
	v_add_f32_e32 v29, -1.0, v28
	v_sub_f32_e32 v27, v25, v27
	v_sub_f32_e32 v25, v25, v29
	v_add_f32_e32 v27, v24, v27
	v_add_f32_e32 v24, v24, v25
	;; [unrolled: 1-line block ×3, first 2 shown]
	v_rcp_f32_e32 v35, v33
	v_sub_f32_e32 v25, v28, v33
	v_add_f32_e32 v34, v24, v25
	v_add_f32_e32 v25, v26, v27
	v_mul_f32_e32 v37, v25, v35
	v_sub_f32_e32 v24, v26, v25
	v_mul_f32_e32 v26, v33, v37
	v_fma_f32 v28, v37, v33, -v26
	v_fmac_f32_e32 v28, v37, v34
	v_add_f32_e32 v36, v27, v24
	v_add_f32_e32 v24, v26, v28
	v_sub_f32_e32 v27, v25, v24
	v_pk_add_f32 v[30:31], v[24:25], v[26:27] neg_lo:[0,1] neg_hi:[0,1]
	v_mov_b32_e32 v29, v24
	v_pk_add_f32 v[24:25], v[30:31], v[28:29] neg_lo:[0,1] neg_hi:[0,1]
	v_cmp_neq_f32_e32 vcc, s10, v23
	v_add_f32_e32 v25, v36, v25
	v_add_f32_e32 v24, v24, v25
	;; [unrolled: 1-line block ×3, first 2 shown]
	v_mul_f32_e32 v36, v35, v25
	v_mul_f32_e32 v26, v33, v36
	v_fma_f32 v28, v36, v33, -v26
	v_fmac_f32_e32 v28, v36, v34
	v_sub_f32_e32 v27, v27, v25
	v_add_f32_e32 v33, v24, v27
	v_add_f32_e32 v24, v26, v28
	v_sub_f32_e32 v27, v25, v24
	v_pk_add_f32 v[30:31], v[24:25], v[26:27] neg_lo:[0,1] neg_hi:[0,1]
	v_mov_b32_e32 v29, v24
	v_pk_add_f32 v[24:25], v[30:31], v[28:29] neg_lo:[0,1] neg_hi:[0,1]
	v_cvt_f32_i32_e32 v26, v32
	v_add_f32_e32 v25, v33, v25
	v_add_f32_e32 v24, v24, v25
	;; [unrolled: 1-line block ×4, first 2 shown]
	v_sub_f32_e32 v25, v27, v37
	v_mul_f32_e32 v24, v35, v24
	v_sub_f32_e32 v25, v36, v25
	v_add_f32_e32 v24, v25, v24
	v_add_f32_e32 v28, v27, v24
	v_mul_f32_e32 v30, v28, v28
	v_mov_b32_e32 v25, 0x3ecc95a3
	v_sub_f32_e32 v27, v28, v27
	v_fmac_f32_e32 v25, 0x3e9b6dac, v30
	v_sub_f32_e32 v24, v24, v27
	v_fmaak_f32 v25, v30, v25, 0x3f2aaada
	v_ldexp_f32 v31, v24, 1
	v_mul_f32_e32 v27, v28, v30
	v_mov_b32_e32 v24, 0x3f317218
	v_pk_mul_f32 v[24:25], v[26:27], v[24:25]
	v_ldexp_f32 v29, v28, 1
	v_fma_f32 v27, v26, s8, -v24
	v_fmamk_f32 v28, v26, 0xb102e308, v27
	v_pk_add_f32 v[26:27], v[24:25], v[28:29]
	v_mov_b32_e32 v30, v24
	v_sub_f32_e32 v29, v27, v29
	v_sub_f32_e32 v29, v25, v29
	v_add_f32_e32 v31, v31, v29
	v_pk_add_f32 v[24:25], v[26:27], v[24:25] neg_lo:[0,1] neg_hi:[0,1]
	v_pk_add_f32 v[32:33], v[26:27], v[30:31]
	v_mov_b32_e32 v29, v26
	v_mov_b32_e32 v25, v33
	v_pk_add_f32 v[34:35], v[28:29], v[24:25] neg_lo:[0,1] neg_hi:[0,1]
	v_pk_add_f32 v[24:25], v[28:29], v[24:25]
	v_mov_b32_e32 v30, v31
	v_pk_add_f32 v[28:29], v[24:25], v[26:27] op_sel:[1,0] op_sel_hi:[0,1] neg_lo:[0,1] neg_hi:[0,1]
	v_pk_add_f32 v[36:37], v[32:33], v[28:29] op_sel_hi:[1,0] neg_lo:[0,1] neg_hi:[0,1]
	v_mov_b32_e32 v32, v33
	v_mov_b32_e32 v33, v25
	v_pk_mov_b32 v[28:29], v[26:27], v[28:29] op_sel:[1,0]
	v_mov_b32_e32 v31, v26
	v_pk_add_f32 v[28:29], v[32:33], v[28:29] neg_lo:[0,1] neg_hi:[0,1]
	v_mov_b32_e32 v36, v34
	v_pk_add_f32 v[26:27], v[30:31], v[28:29] neg_lo:[0,1] neg_hi:[0,1]
	v_mov_b32_e32 v35, v25
	v_pk_add_f32 v[28:29], v[36:37], v[26:27]
	s_mov_b32 s8, 0x33800000
	v_pk_add_f32 v[30:31], v[28:29], v[28:29] op_sel:[0,1] op_sel_hi:[1,0]
	s_nop 0
	v_pk_add_f32 v[24:25], v[24:25], v[30:31] op_sel:[1,0] op_sel_hi:[0,1]
	v_mov_b32_e32 v29, v24
	v_pk_add_f32 v[32:33], v[28:29], v[34:35] neg_lo:[0,1] neg_hi:[0,1]
	v_mov_b32_e32 v27, v30
	v_sub_f32_e32 v25, v28, v32
	v_pk_add_f32 v[26:27], v[26:27], v[32:33] neg_lo:[0,1] neg_hi:[0,1]
	v_sub_f32_e32 v25, v34, v25
	v_add_f32_e32 v25, v26, v25
	v_add_f32_e32 v25, v25, v27
	;; [unrolled: 1-line block ×3, first 2 shown]
	v_cndmask_b32_e32 v24, v38, v24, vcc
	v_cmp_lt_f32_e64 vcc, |v23|, s8
	s_nop 1
	v_cndmask_b32_e32 v23, v24, v23, vcc
	v_add_f32_e32 v23, v22, v23
.LBB503_199:
	s_or_b64 exec, exec, s[6:7]
	v_bfe_u32 v22, v23, 16, 1
	v_add3_u32 v22, v23, v22, s9
	v_cmp_o_f32_e32 vcc, v23, v23
	s_movk_i32 s8, 0x1f8
	s_nop 0
	v_cndmask_b32_sdwa v21, v21, v22, vcc dst_sel:DWORD dst_unused:UNUSED_PAD src0_sel:DWORD src1_sel:WORD_1
	v_lshlrev_b32_e32 v23, 16, v21
	v_max_f32_e32 v22, v23, v23
	v_min_f32_e32 v24, v22, v42
	v_cmp_u_f32_e32 vcc, v23, v23
	v_max_f32_e32 v22, v22, v42
	s_nop 0
	v_cndmask_b32_e32 v24, v24, v23, vcc
	v_cndmask_b32_e32 v22, v22, v23, vcc
	v_cndmask_b32_e64 v24, v24, v40, s[28:29]
	v_cndmask_b32_e64 v22, v22, v40, s[28:29]
	v_cmp_neq_f32_e32 vcc, v24, v22
	v_cmp_class_f32_e64 s[6:7], v24, s8
	s_or_b64 s[10:11], vcc, s[6:7]
	s_and_saveexec_b64 s[6:7], s[10:11]
	s_cbranch_execz .LBB503_201
; %bb.200:
	v_sub_f32_e32 v23, v24, v22
	s_mov_b32 s9, 0x3fb8aa3b
	v_mul_f32_e32 v24, 0x3fb8aa3b, v23
	v_fma_f32 v25, v23, s9, -v24
	v_rndne_f32_e32 v26, v24
	v_fmamk_f32 v25, v23, 0x32a5705f, v25
	v_sub_f32_e32 v24, v24, v26
	v_add_f32_e32 v24, v24, v25
	v_exp_f32_e32 v24, v24
	v_cvt_i32_f32_e32 v25, v26
	s_mov_b32 s9, 0xc2ce8ed0
	v_cmp_ngt_f32_e32 vcc, s9, v23
	s_mov_b32 s9, 0x42b17218
	v_ldexp_f32 v24, v24, v25
	v_cndmask_b32_e32 v24, 0, v24, vcc
	v_mov_b32_e32 v38, 0x7f800000
	v_cmp_nlt_f32_e32 vcc, s9, v23
	s_mov_b32 s9, 0x3f2aaaab
	s_mov_b32 s10, 0x7f800000
	v_cndmask_b32_e32 v23, v38, v24, vcc
	v_add_f32_e32 v26, 1.0, v23
	v_add_f32_e32 v24, -1.0, v26
	v_sub_f32_e32 v25, v24, v26
	v_add_f32_e32 v25, 1.0, v25
	v_sub_f32_e32 v24, v23, v24
	v_add_f32_e32 v27, v24, v25
	v_frexp_mant_f32_e32 v28, v26
	v_cvt_f64_f32_e32 v[24:25], v26
	v_frexp_exp_i32_f64_e32 v24, v[24:25]
	v_cmp_gt_f32_e32 vcc, s9, v28
	s_mov_b32 s9, 0x3f317218
	s_nop 0
	v_subbrev_co_u32_e32 v32, vcc, 0, v24, vcc
	v_sub_u32_e32 v24, 0, v32
	v_ldexp_f32 v25, v26, v24
	v_add_f32_e32 v26, -1.0, v25
	v_add_f32_e32 v28, 1.0, v25
	v_ldexp_f32 v24, v27, v24
	v_add_f32_e32 v27, 1.0, v26
	v_add_f32_e32 v29, -1.0, v28
	v_sub_f32_e32 v27, v25, v27
	v_sub_f32_e32 v25, v25, v29
	v_add_f32_e32 v27, v24, v27
	v_add_f32_e32 v24, v24, v25
	;; [unrolled: 1-line block ×3, first 2 shown]
	v_rcp_f32_e32 v35, v33
	v_sub_f32_e32 v25, v28, v33
	v_add_f32_e32 v34, v24, v25
	v_add_f32_e32 v25, v26, v27
	v_mul_f32_e32 v37, v25, v35
	v_sub_f32_e32 v24, v26, v25
	v_mul_f32_e32 v26, v33, v37
	v_fma_f32 v28, v37, v33, -v26
	v_fmac_f32_e32 v28, v37, v34
	v_add_f32_e32 v36, v27, v24
	v_add_f32_e32 v24, v26, v28
	v_sub_f32_e32 v27, v25, v24
	v_pk_add_f32 v[30:31], v[24:25], v[26:27] neg_lo:[0,1] neg_hi:[0,1]
	v_mov_b32_e32 v29, v24
	v_pk_add_f32 v[24:25], v[30:31], v[28:29] neg_lo:[0,1] neg_hi:[0,1]
	v_cmp_neq_f32_e32 vcc, s10, v23
	v_add_f32_e32 v25, v36, v25
	v_add_f32_e32 v24, v24, v25
	;; [unrolled: 1-line block ×3, first 2 shown]
	v_mul_f32_e32 v36, v35, v25
	v_mul_f32_e32 v26, v33, v36
	v_fma_f32 v28, v36, v33, -v26
	v_fmac_f32_e32 v28, v36, v34
	v_sub_f32_e32 v27, v27, v25
	v_add_f32_e32 v33, v24, v27
	v_add_f32_e32 v24, v26, v28
	v_sub_f32_e32 v27, v25, v24
	v_pk_add_f32 v[30:31], v[24:25], v[26:27] neg_lo:[0,1] neg_hi:[0,1]
	v_mov_b32_e32 v29, v24
	v_pk_add_f32 v[24:25], v[30:31], v[28:29] neg_lo:[0,1] neg_hi:[0,1]
	v_cvt_f32_i32_e32 v26, v32
	v_add_f32_e32 v25, v33, v25
	v_add_f32_e32 v24, v24, v25
	;; [unrolled: 1-line block ×4, first 2 shown]
	v_sub_f32_e32 v25, v27, v37
	v_mul_f32_e32 v24, v35, v24
	v_sub_f32_e32 v25, v36, v25
	v_add_f32_e32 v24, v25, v24
	v_add_f32_e32 v28, v27, v24
	v_mul_f32_e32 v30, v28, v28
	v_mov_b32_e32 v25, 0x3ecc95a3
	v_sub_f32_e32 v27, v28, v27
	v_fmac_f32_e32 v25, 0x3e9b6dac, v30
	v_sub_f32_e32 v24, v24, v27
	v_fmaak_f32 v25, v30, v25, 0x3f2aaada
	v_ldexp_f32 v31, v24, 1
	v_mul_f32_e32 v27, v28, v30
	v_mov_b32_e32 v24, 0x3f317218
	v_pk_mul_f32 v[24:25], v[26:27], v[24:25]
	v_ldexp_f32 v29, v28, 1
	v_fma_f32 v27, v26, s9, -v24
	v_fmamk_f32 v28, v26, 0xb102e308, v27
	v_pk_add_f32 v[26:27], v[24:25], v[28:29]
	v_mov_b32_e32 v30, v24
	v_sub_f32_e32 v29, v27, v29
	v_sub_f32_e32 v29, v25, v29
	v_add_f32_e32 v31, v31, v29
	v_pk_add_f32 v[24:25], v[26:27], v[24:25] neg_lo:[0,1] neg_hi:[0,1]
	v_pk_add_f32 v[32:33], v[26:27], v[30:31]
	v_mov_b32_e32 v29, v26
	v_mov_b32_e32 v25, v33
	v_pk_add_f32 v[34:35], v[28:29], v[24:25] neg_lo:[0,1] neg_hi:[0,1]
	v_pk_add_f32 v[24:25], v[28:29], v[24:25]
	v_mov_b32_e32 v30, v31
	v_pk_add_f32 v[28:29], v[24:25], v[26:27] op_sel:[1,0] op_sel_hi:[0,1] neg_lo:[0,1] neg_hi:[0,1]
	v_pk_add_f32 v[36:37], v[32:33], v[28:29] op_sel_hi:[1,0] neg_lo:[0,1] neg_hi:[0,1]
	v_mov_b32_e32 v32, v33
	v_mov_b32_e32 v33, v25
	v_pk_mov_b32 v[28:29], v[26:27], v[28:29] op_sel:[1,0]
	v_mov_b32_e32 v31, v26
	v_pk_add_f32 v[28:29], v[32:33], v[28:29] neg_lo:[0,1] neg_hi:[0,1]
	v_mov_b32_e32 v36, v34
	v_pk_add_f32 v[26:27], v[30:31], v[28:29] neg_lo:[0,1] neg_hi:[0,1]
	v_mov_b32_e32 v35, v25
	v_pk_add_f32 v[28:29], v[36:37], v[26:27]
	s_mov_b32 s9, 0x33800000
	v_pk_add_f32 v[30:31], v[28:29], v[28:29] op_sel:[0,1] op_sel_hi:[1,0]
	s_nop 0
	v_pk_add_f32 v[24:25], v[24:25], v[30:31] op_sel:[1,0] op_sel_hi:[0,1]
	v_mov_b32_e32 v29, v24
	v_pk_add_f32 v[32:33], v[28:29], v[34:35] neg_lo:[0,1] neg_hi:[0,1]
	v_mov_b32_e32 v27, v30
	v_sub_f32_e32 v25, v28, v32
	v_pk_add_f32 v[26:27], v[26:27], v[32:33] neg_lo:[0,1] neg_hi:[0,1]
	v_sub_f32_e32 v25, v34, v25
	v_add_f32_e32 v25, v26, v25
	v_add_f32_e32 v25, v25, v27
	v_add_f32_e32 v24, v24, v25
	v_cndmask_b32_e32 v24, v38, v24, vcc
	v_cmp_lt_f32_e64 vcc, |v23|, s9
	s_nop 1
	v_cndmask_b32_e32 v23, v24, v23, vcc
	v_add_f32_e32 v23, v22, v23
.LBB503_201:
	s_or_b64 exec, exec, s[6:7]
	v_bfe_u32 v22, v23, 16, 1
	s_movk_i32 s9, 0x7fff
	v_add3_u32 v22, v23, v22, s9
	v_cmp_o_f32_e32 vcc, v23, v23
	v_mov_b32_e32 v23, 0x7fc0
	s_nop 0
	v_cndmask_b32_sdwa v22, v23, v22, vcc dst_sel:DWORD dst_unused:UNUSED_PAD src0_sel:DWORD src1_sel:WORD_1
	v_lshlrev_b32_e32 v25, 16, v22
	v_max_f32_e32 v24, v25, v25
	v_min_f32_e32 v26, v24, v43
	v_cmp_u_f32_e32 vcc, v25, v25
	v_max_f32_e32 v24, v24, v43
	s_nop 0
	v_cndmask_b32_e32 v26, v26, v25, vcc
	v_cndmask_b32_e32 v24, v24, v25, vcc
	v_cndmask_b32_e64 v26, v26, v41, s[30:31]
	v_cndmask_b32_e64 v24, v24, v41, s[30:31]
	v_cmp_neq_f32_e32 vcc, v26, v24
	v_cmp_class_f32_e64 s[6:7], v26, s8
	s_or_b64 s[10:11], vcc, s[6:7]
	s_and_saveexec_b64 s[6:7], s[10:11]
	s_cbranch_execz .LBB503_203
; %bb.202:
	v_sub_f32_e32 v25, v26, v24
	s_mov_b32 s8, 0x3fb8aa3b
	v_mul_f32_e32 v26, 0x3fb8aa3b, v25
	v_fma_f32 v27, v25, s8, -v26
	v_rndne_f32_e32 v28, v26
	v_fmamk_f32 v27, v25, 0x32a5705f, v27
	v_sub_f32_e32 v26, v26, v28
	v_add_f32_e32 v26, v26, v27
	v_exp_f32_e32 v26, v26
	v_cvt_i32_f32_e32 v27, v28
	s_mov_b32 s8, 0xc2ce8ed0
	v_cmp_ngt_f32_e32 vcc, s8, v25
	s_mov_b32 s8, 0x42b17218
	v_ldexp_f32 v26, v26, v27
	v_cndmask_b32_e32 v26, 0, v26, vcc
	v_mov_b32_e32 v40, 0x7f800000
	v_cmp_nlt_f32_e32 vcc, s8, v25
	s_mov_b32 s8, 0x3f2aaaab
	s_mov_b32 s10, 0x7f800000
	v_cndmask_b32_e32 v25, v40, v26, vcc
	v_add_f32_e32 v28, 1.0, v25
	v_add_f32_e32 v26, -1.0, v28
	v_sub_f32_e32 v27, v26, v28
	v_add_f32_e32 v27, 1.0, v27
	v_sub_f32_e32 v26, v25, v26
	v_add_f32_e32 v29, v26, v27
	v_frexp_mant_f32_e32 v30, v28
	v_cvt_f64_f32_e32 v[26:27], v28
	v_frexp_exp_i32_f64_e32 v26, v[26:27]
	v_cmp_gt_f32_e32 vcc, s8, v30
	s_mov_b32 s8, 0x3f317218
	s_nop 0
	v_subbrev_co_u32_e32 v34, vcc, 0, v26, vcc
	v_sub_u32_e32 v26, 0, v34
	v_ldexp_f32 v27, v28, v26
	v_add_f32_e32 v28, -1.0, v27
	v_add_f32_e32 v30, 1.0, v27
	v_ldexp_f32 v26, v29, v26
	v_add_f32_e32 v29, 1.0, v28
	v_add_f32_e32 v31, -1.0, v30
	v_sub_f32_e32 v29, v27, v29
	v_sub_f32_e32 v27, v27, v31
	v_add_f32_e32 v29, v26, v29
	v_add_f32_e32 v26, v26, v27
	;; [unrolled: 1-line block ×3, first 2 shown]
	v_rcp_f32_e32 v37, v35
	v_sub_f32_e32 v27, v30, v35
	v_add_f32_e32 v36, v26, v27
	v_add_f32_e32 v27, v28, v29
	v_mul_f32_e32 v39, v27, v37
	v_sub_f32_e32 v26, v28, v27
	v_mul_f32_e32 v28, v35, v39
	v_fma_f32 v30, v39, v35, -v28
	v_fmac_f32_e32 v30, v39, v36
	v_add_f32_e32 v38, v29, v26
	v_add_f32_e32 v26, v28, v30
	v_sub_f32_e32 v29, v27, v26
	v_pk_add_f32 v[32:33], v[26:27], v[28:29] neg_lo:[0,1] neg_hi:[0,1]
	v_mov_b32_e32 v31, v26
	v_pk_add_f32 v[26:27], v[32:33], v[30:31] neg_lo:[0,1] neg_hi:[0,1]
	v_cmp_neq_f32_e32 vcc, s10, v25
	v_add_f32_e32 v27, v38, v27
	v_add_f32_e32 v26, v26, v27
	v_add_f32_e32 v27, v29, v26
	v_mul_f32_e32 v38, v37, v27
	v_mul_f32_e32 v28, v35, v38
	v_fma_f32 v30, v38, v35, -v28
	v_fmac_f32_e32 v30, v38, v36
	v_sub_f32_e32 v29, v29, v27
	v_add_f32_e32 v35, v26, v29
	v_add_f32_e32 v26, v28, v30
	v_sub_f32_e32 v29, v27, v26
	v_pk_add_f32 v[32:33], v[26:27], v[28:29] neg_lo:[0,1] neg_hi:[0,1]
	v_mov_b32_e32 v31, v26
	v_pk_add_f32 v[26:27], v[32:33], v[30:31] neg_lo:[0,1] neg_hi:[0,1]
	v_cvt_f32_i32_e32 v28, v34
	v_add_f32_e32 v27, v35, v27
	v_add_f32_e32 v26, v26, v27
	v_add_f32_e32 v26, v29, v26
	v_add_f32_e32 v29, v39, v38
	v_sub_f32_e32 v27, v29, v39
	v_mul_f32_e32 v26, v37, v26
	v_sub_f32_e32 v27, v38, v27
	v_add_f32_e32 v26, v27, v26
	v_add_f32_e32 v30, v29, v26
	v_mul_f32_e32 v32, v30, v30
	v_mov_b32_e32 v27, 0x3ecc95a3
	v_sub_f32_e32 v29, v30, v29
	v_fmac_f32_e32 v27, 0x3e9b6dac, v32
	v_sub_f32_e32 v26, v26, v29
	v_fmaak_f32 v27, v32, v27, 0x3f2aaada
	v_ldexp_f32 v33, v26, 1
	v_mul_f32_e32 v29, v30, v32
	v_mov_b32_e32 v26, 0x3f317218
	v_pk_mul_f32 v[26:27], v[28:29], v[26:27]
	v_ldexp_f32 v31, v30, 1
	v_fma_f32 v29, v28, s8, -v26
	v_fmamk_f32 v30, v28, 0xb102e308, v29
	v_pk_add_f32 v[28:29], v[26:27], v[30:31]
	v_mov_b32_e32 v32, v26
	v_sub_f32_e32 v31, v29, v31
	v_sub_f32_e32 v31, v27, v31
	v_add_f32_e32 v33, v33, v31
	v_pk_add_f32 v[26:27], v[28:29], v[26:27] neg_lo:[0,1] neg_hi:[0,1]
	v_pk_add_f32 v[34:35], v[28:29], v[32:33]
	v_mov_b32_e32 v31, v28
	v_mov_b32_e32 v27, v35
	v_pk_add_f32 v[36:37], v[30:31], v[26:27] neg_lo:[0,1] neg_hi:[0,1]
	v_pk_add_f32 v[26:27], v[30:31], v[26:27]
	v_mov_b32_e32 v32, v33
	v_pk_add_f32 v[30:31], v[26:27], v[28:29] op_sel:[1,0] op_sel_hi:[0,1] neg_lo:[0,1] neg_hi:[0,1]
	v_pk_add_f32 v[38:39], v[34:35], v[30:31] op_sel_hi:[1,0] neg_lo:[0,1] neg_hi:[0,1]
	v_mov_b32_e32 v34, v35
	v_mov_b32_e32 v35, v27
	v_pk_mov_b32 v[30:31], v[28:29], v[30:31] op_sel:[1,0]
	v_mov_b32_e32 v33, v28
	v_pk_add_f32 v[30:31], v[34:35], v[30:31] neg_lo:[0,1] neg_hi:[0,1]
	v_mov_b32_e32 v38, v36
	v_pk_add_f32 v[28:29], v[32:33], v[30:31] neg_lo:[0,1] neg_hi:[0,1]
	v_mov_b32_e32 v37, v27
	v_pk_add_f32 v[30:31], v[38:39], v[28:29]
	s_mov_b32 s8, 0x33800000
	v_pk_add_f32 v[32:33], v[30:31], v[30:31] op_sel:[0,1] op_sel_hi:[1,0]
	s_nop 0
	v_pk_add_f32 v[26:27], v[26:27], v[32:33] op_sel:[1,0] op_sel_hi:[0,1]
	v_mov_b32_e32 v31, v26
	v_pk_add_f32 v[34:35], v[30:31], v[36:37] neg_lo:[0,1] neg_hi:[0,1]
	v_mov_b32_e32 v29, v32
	v_sub_f32_e32 v27, v30, v34
	v_pk_add_f32 v[28:29], v[28:29], v[34:35] neg_lo:[0,1] neg_hi:[0,1]
	v_sub_f32_e32 v27, v36, v27
	v_add_f32_e32 v27, v28, v27
	v_add_f32_e32 v27, v27, v29
	;; [unrolled: 1-line block ×3, first 2 shown]
	v_cndmask_b32_e32 v26, v40, v26, vcc
	v_cmp_lt_f32_e64 vcc, |v25|, s8
	s_nop 1
	v_cndmask_b32_e32 v25, v26, v25, vcc
	v_add_f32_e32 v25, v24, v25
.LBB503_203:
	s_or_b64 exec, exec, s[6:7]
	v_bfe_u32 v24, v25, 16, 1
	v_add3_u32 v24, v25, v24, s9
	v_cmp_o_f32_e32 vcc, v25, v25
	s_nop 1
	v_cndmask_b32_sdwa v23, v23, v24, vcc dst_sel:DWORD dst_unused:UNUSED_PAD src0_sel:DWORD src1_sel:WORD_1
	s_branch .LBB503_303
.LBB503_204:
	s_cmp_lg_u64 s[44:45], 0
	s_cselect_b64 s[6:7], -1, 0
	s_and_b64 s[6:7], s[4:5], s[6:7]
	v_mov_b32_e32 v10, v8
	s_and_saveexec_b64 s[4:5], s[6:7]
	s_cbranch_execz .LBB503_208
; %bb.205:
	v_mov_b32_e32 v10, 0
	global_load_ushort v10, v10, s[40:41]
	v_lshlrev_b32_e32 v13, 16, v8
	v_max_f32_e32 v12, v13, v13
	s_movk_i32 s6, 0x1f8
	s_waitcnt vmcnt(0)
	v_lshlrev_b32_e32 v11, 16, v10
	v_max_f32_e32 v10, v11, v11
	v_min_f32_e32 v14, v10, v12
	v_max_f32_e32 v10, v10, v12
	v_cmp_u_f32_e32 vcc, v11, v11
	s_nop 1
	v_cndmask_b32_e32 v12, v14, v11, vcc
	v_cndmask_b32_e32 v10, v10, v11, vcc
	v_cmp_u_f32_e32 vcc, v13, v13
	s_nop 1
	v_cndmask_b32_e32 v12, v12, v13, vcc
	v_cndmask_b32_e32 v10, v10, v13, vcc
	v_cmp_neq_f32_e32 vcc, v12, v10
	v_cmp_class_f32_e64 s[6:7], v12, s6
	s_or_b64 s[8:9], vcc, s[6:7]
	s_and_saveexec_b64 s[6:7], s[8:9]
	s_cbranch_execz .LBB503_207
; %bb.206:
	v_sub_f32_e32 v11, v12, v10
	s_mov_b32 s8, 0x3fb8aa3b
	v_mul_f32_e32 v12, 0x3fb8aa3b, v11
	v_fma_f32 v13, v11, s8, -v12
	v_rndne_f32_e32 v14, v12
	v_fmamk_f32 v13, v11, 0x32a5705f, v13
	v_sub_f32_e32 v12, v12, v14
	v_add_f32_e32 v12, v12, v13
	v_exp_f32_e32 v12, v12
	v_cvt_i32_f32_e32 v13, v14
	s_mov_b32 s8, 0xc2ce8ed0
	v_cmp_ngt_f32_e32 vcc, s8, v11
	s_mov_b32 s8, 0x42b17218
	v_ldexp_f32 v12, v12, v13
	v_cndmask_b32_e32 v12, 0, v12, vcc
	v_mov_b32_e32 v26, 0x7f800000
	v_cmp_nlt_f32_e32 vcc, s8, v11
	s_mov_b32 s8, 0x3f2aaaab
	s_mov_b32 s9, 0x7f800000
	v_cndmask_b32_e32 v11, v26, v12, vcc
	v_add_f32_e32 v14, 1.0, v11
	v_add_f32_e32 v12, -1.0, v14
	v_sub_f32_e32 v13, v12, v14
	v_add_f32_e32 v13, 1.0, v13
	v_sub_f32_e32 v12, v11, v12
	v_add_f32_e32 v15, v12, v13
	v_frexp_mant_f32_e32 v16, v14
	v_cvt_f64_f32_e32 v[12:13], v14
	v_frexp_exp_i32_f64_e32 v12, v[12:13]
	v_cmp_gt_f32_e32 vcc, s8, v16
	s_mov_b32 s8, 0x3f317218
	s_nop 0
	v_subbrev_co_u32_e32 v20, vcc, 0, v12, vcc
	v_sub_u32_e32 v12, 0, v20
	v_ldexp_f32 v13, v14, v12
	v_add_f32_e32 v14, -1.0, v13
	v_add_f32_e32 v16, 1.0, v13
	v_ldexp_f32 v12, v15, v12
	v_add_f32_e32 v15, 1.0, v14
	v_add_f32_e32 v17, -1.0, v16
	v_sub_f32_e32 v15, v13, v15
	v_sub_f32_e32 v13, v13, v17
	v_add_f32_e32 v15, v12, v15
	v_add_f32_e32 v12, v12, v13
	;; [unrolled: 1-line block ×3, first 2 shown]
	v_rcp_f32_e32 v23, v21
	v_sub_f32_e32 v13, v16, v21
	v_add_f32_e32 v22, v12, v13
	v_add_f32_e32 v13, v14, v15
	v_mul_f32_e32 v25, v13, v23
	v_sub_f32_e32 v12, v14, v13
	v_mul_f32_e32 v14, v21, v25
	v_fma_f32 v16, v25, v21, -v14
	v_fmac_f32_e32 v16, v25, v22
	v_add_f32_e32 v24, v15, v12
	v_add_f32_e32 v12, v14, v16
	v_sub_f32_e32 v15, v13, v12
	v_pk_add_f32 v[18:19], v[12:13], v[14:15] neg_lo:[0,1] neg_hi:[0,1]
	v_mov_b32_e32 v17, v12
	v_pk_add_f32 v[12:13], v[18:19], v[16:17] neg_lo:[0,1] neg_hi:[0,1]
	v_cmp_neq_f32_e32 vcc, s9, v11
	v_add_f32_e32 v13, v24, v13
	v_add_f32_e32 v12, v12, v13
	;; [unrolled: 1-line block ×3, first 2 shown]
	v_mul_f32_e32 v24, v23, v13
	v_mul_f32_e32 v14, v21, v24
	v_fma_f32 v16, v24, v21, -v14
	v_fmac_f32_e32 v16, v24, v22
	v_sub_f32_e32 v15, v15, v13
	v_add_f32_e32 v21, v12, v15
	v_add_f32_e32 v12, v14, v16
	v_sub_f32_e32 v15, v13, v12
	v_pk_add_f32 v[18:19], v[12:13], v[14:15] neg_lo:[0,1] neg_hi:[0,1]
	v_mov_b32_e32 v17, v12
	v_pk_add_f32 v[12:13], v[18:19], v[16:17] neg_lo:[0,1] neg_hi:[0,1]
	v_cvt_f32_i32_e32 v14, v20
	v_add_f32_e32 v13, v21, v13
	v_add_f32_e32 v12, v12, v13
	;; [unrolled: 1-line block ×4, first 2 shown]
	v_sub_f32_e32 v13, v15, v25
	v_mul_f32_e32 v12, v23, v12
	v_sub_f32_e32 v13, v24, v13
	v_add_f32_e32 v12, v13, v12
	v_add_f32_e32 v16, v15, v12
	v_mul_f32_e32 v18, v16, v16
	v_mov_b32_e32 v13, 0x3ecc95a3
	v_sub_f32_e32 v15, v16, v15
	v_fmac_f32_e32 v13, 0x3e9b6dac, v18
	v_sub_f32_e32 v12, v12, v15
	v_fmaak_f32 v13, v18, v13, 0x3f2aaada
	v_ldexp_f32 v19, v12, 1
	v_mul_f32_e32 v15, v16, v18
	v_mov_b32_e32 v12, 0x3f317218
	v_pk_mul_f32 v[12:13], v[14:15], v[12:13]
	v_ldexp_f32 v17, v16, 1
	v_fma_f32 v15, v14, s8, -v12
	v_fmamk_f32 v16, v14, 0xb102e308, v15
	v_pk_add_f32 v[14:15], v[12:13], v[16:17]
	v_mov_b32_e32 v18, v12
	v_sub_f32_e32 v17, v15, v17
	v_sub_f32_e32 v17, v13, v17
	v_add_f32_e32 v19, v19, v17
	v_pk_add_f32 v[12:13], v[14:15], v[12:13] neg_lo:[0,1] neg_hi:[0,1]
	v_pk_add_f32 v[20:21], v[14:15], v[18:19]
	v_mov_b32_e32 v17, v14
	v_mov_b32_e32 v13, v21
	v_pk_add_f32 v[22:23], v[16:17], v[12:13] neg_lo:[0,1] neg_hi:[0,1]
	v_pk_add_f32 v[12:13], v[16:17], v[12:13]
	v_mov_b32_e32 v18, v19
	v_pk_add_f32 v[16:17], v[12:13], v[14:15] op_sel:[1,0] op_sel_hi:[0,1] neg_lo:[0,1] neg_hi:[0,1]
	v_pk_add_f32 v[24:25], v[20:21], v[16:17] op_sel_hi:[1,0] neg_lo:[0,1] neg_hi:[0,1]
	v_mov_b32_e32 v20, v21
	v_mov_b32_e32 v21, v13
	v_pk_mov_b32 v[16:17], v[14:15], v[16:17] op_sel:[1,0]
	v_mov_b32_e32 v19, v14
	v_pk_add_f32 v[16:17], v[20:21], v[16:17] neg_lo:[0,1] neg_hi:[0,1]
	v_mov_b32_e32 v24, v22
	v_pk_add_f32 v[14:15], v[18:19], v[16:17] neg_lo:[0,1] neg_hi:[0,1]
	v_mov_b32_e32 v23, v13
	v_pk_add_f32 v[16:17], v[24:25], v[14:15]
	s_mov_b32 s8, 0x33800000
	v_pk_add_f32 v[18:19], v[16:17], v[16:17] op_sel:[0,1] op_sel_hi:[1,0]
	s_nop 0
	v_pk_add_f32 v[12:13], v[12:13], v[18:19] op_sel:[1,0] op_sel_hi:[0,1]
	v_mov_b32_e32 v17, v12
	v_pk_add_f32 v[20:21], v[16:17], v[22:23] neg_lo:[0,1] neg_hi:[0,1]
	v_mov_b32_e32 v15, v18
	v_sub_f32_e32 v13, v16, v20
	v_pk_add_f32 v[14:15], v[14:15], v[20:21] neg_lo:[0,1] neg_hi:[0,1]
	v_sub_f32_e32 v13, v22, v13
	v_add_f32_e32 v13, v14, v13
	v_add_f32_e32 v13, v13, v15
	;; [unrolled: 1-line block ×3, first 2 shown]
	v_cndmask_b32_e32 v12, v26, v12, vcc
	v_cmp_lt_f32_e64 vcc, |v11|, s8
	s_nop 1
	v_cndmask_b32_e32 v11, v12, v11, vcc
	v_add_f32_e32 v11, v10, v11
.LBB503_207:
	s_or_b64 exec, exec, s[6:7]
	v_bfe_u32 v10, v11, 16, 1
	s_movk_i32 s6, 0x7fff
	v_add3_u32 v10, v11, v10, s6
	v_cmp_o_f32_e32 vcc, v11, v11
	v_mov_b32_e32 v11, 0x7fc0
	s_nop 0
	v_cndmask_b32_sdwa v10, v11, v10, vcc dst_sel:DWORD dst_unused:UNUSED_PAD src0_sel:DWORD src1_sel:WORD_1
.LBB503_208:
	s_or_b64 exec, exec, s[4:5]
	v_mov_b32_e32 v12, 16
	v_lshlrev_b32_e32 v30, 16, v10
	v_lshlrev_b32_sdwa v8, v12, v8 dst_sel:DWORD dst_unused:UNUSED_PAD src0_sel:DWORD src1_sel:WORD_1
	v_max_f32_e32 v11, v8, v8
	v_max_f32_e32 v32, v30, v30
	v_min_f32_e32 v31, v32, v11
	v_cmp_u_f32_e64 s[30:31], v30, v30
	v_cmp_u_f32_e64 s[4:5], v8, v8
	v_max_f32_e32 v33, v32, v11
	v_cndmask_b32_e64 v13, v31, v30, s[30:31]
	v_cndmask_b32_e64 v14, v13, v8, s[4:5]
	;; [unrolled: 1-line block ×4, first 2 shown]
	s_movk_i32 s8, 0x1f8
	v_cmp_neq_f32_e32 vcc, v14, v13
	v_cmp_class_f32_e64 s[6:7], v14, s8
	s_or_b64 s[10:11], vcc, s[6:7]
	v_mov_b32_e32 v15, v30
	s_and_saveexec_b64 s[6:7], s[10:11]
	s_cbranch_execz .LBB503_210
; %bb.209:
	v_sub_f32_e32 v14, v14, v13
	s_mov_b32 s9, 0x3fb8aa3b
	v_mul_f32_e32 v15, 0x3fb8aa3b, v14
	v_fma_f32 v16, v14, s9, -v15
	v_rndne_f32_e32 v17, v15
	v_fmamk_f32 v16, v14, 0x32a5705f, v16
	v_sub_f32_e32 v15, v15, v17
	v_add_f32_e32 v15, v15, v16
	v_exp_f32_e32 v15, v15
	v_cvt_i32_f32_e32 v16, v17
	s_mov_b32 s9, 0xc2ce8ed0
	v_cmp_ngt_f32_e32 vcc, s9, v14
	s_mov_b32 s9, 0x42b17218
	v_ldexp_f32 v15, v15, v16
	v_cndmask_b32_e32 v15, 0, v15, vcc
	v_mov_b32_e32 v28, 0x7f800000
	v_cmp_nlt_f32_e32 vcc, s9, v14
	s_mov_b32 s9, 0x3f2aaaab
	s_mov_b32 s10, 0x7f800000
	v_cndmask_b32_e32 v29, v28, v15, vcc
	v_add_f32_e32 v16, 1.0, v29
	v_add_f32_e32 v14, -1.0, v16
	v_sub_f32_e32 v15, v14, v16
	v_add_f32_e32 v15, 1.0, v15
	v_sub_f32_e32 v14, v29, v14
	v_add_f32_e32 v17, v14, v15
	v_frexp_mant_f32_e32 v18, v16
	v_cvt_f64_f32_e32 v[14:15], v16
	v_frexp_exp_i32_f64_e32 v14, v[14:15]
	v_cmp_gt_f32_e32 vcc, s9, v18
	s_mov_b32 s9, 0x3f317218
	s_nop 0
	v_subbrev_co_u32_e32 v22, vcc, 0, v14, vcc
	v_sub_u32_e32 v14, 0, v22
	v_ldexp_f32 v15, v16, v14
	v_add_f32_e32 v16, -1.0, v15
	v_add_f32_e32 v18, 1.0, v15
	v_ldexp_f32 v14, v17, v14
	v_add_f32_e32 v17, 1.0, v16
	v_add_f32_e32 v19, -1.0, v18
	v_sub_f32_e32 v17, v15, v17
	v_sub_f32_e32 v15, v15, v19
	v_add_f32_e32 v17, v14, v17
	v_add_f32_e32 v14, v14, v15
	;; [unrolled: 1-line block ×3, first 2 shown]
	v_rcp_f32_e32 v25, v23
	v_sub_f32_e32 v15, v18, v23
	v_add_f32_e32 v24, v14, v15
	v_add_f32_e32 v15, v16, v17
	v_mul_f32_e32 v27, v15, v25
	v_sub_f32_e32 v14, v16, v15
	v_mul_f32_e32 v16, v23, v27
	v_fma_f32 v18, v27, v23, -v16
	v_fmac_f32_e32 v18, v27, v24
	v_add_f32_e32 v26, v17, v14
	v_add_f32_e32 v14, v16, v18
	v_sub_f32_e32 v17, v15, v14
	v_pk_add_f32 v[20:21], v[14:15], v[16:17] neg_lo:[0,1] neg_hi:[0,1]
	v_mov_b32_e32 v19, v14
	v_pk_add_f32 v[14:15], v[20:21], v[18:19] neg_lo:[0,1] neg_hi:[0,1]
	v_cmp_neq_f32_e32 vcc, s10, v29
	v_add_f32_e32 v15, v26, v15
	v_add_f32_e32 v14, v14, v15
	;; [unrolled: 1-line block ×3, first 2 shown]
	v_mul_f32_e32 v26, v25, v15
	v_mul_f32_e32 v16, v23, v26
	v_fma_f32 v18, v26, v23, -v16
	v_fmac_f32_e32 v18, v26, v24
	v_sub_f32_e32 v17, v17, v15
	v_add_f32_e32 v23, v14, v17
	v_add_f32_e32 v14, v16, v18
	v_sub_f32_e32 v17, v15, v14
	v_pk_add_f32 v[20:21], v[14:15], v[16:17] neg_lo:[0,1] neg_hi:[0,1]
	v_mov_b32_e32 v19, v14
	v_pk_add_f32 v[14:15], v[20:21], v[18:19] neg_lo:[0,1] neg_hi:[0,1]
	v_cvt_f32_i32_e32 v16, v22
	v_add_f32_e32 v15, v23, v15
	v_add_f32_e32 v14, v14, v15
	;; [unrolled: 1-line block ×4, first 2 shown]
	v_sub_f32_e32 v15, v17, v27
	v_mul_f32_e32 v14, v25, v14
	v_sub_f32_e32 v15, v26, v15
	v_add_f32_e32 v14, v15, v14
	v_add_f32_e32 v18, v17, v14
	v_mul_f32_e32 v20, v18, v18
	v_mov_b32_e32 v15, 0x3ecc95a3
	v_sub_f32_e32 v17, v18, v17
	v_fmac_f32_e32 v15, 0x3e9b6dac, v20
	v_sub_f32_e32 v14, v14, v17
	v_fmaak_f32 v15, v20, v15, 0x3f2aaada
	v_ldexp_f32 v21, v14, 1
	v_mul_f32_e32 v17, v18, v20
	v_mov_b32_e32 v14, 0x3f317218
	v_pk_mul_f32 v[14:15], v[16:17], v[14:15]
	v_ldexp_f32 v19, v18, 1
	v_fma_f32 v17, v16, s9, -v14
	v_fmamk_f32 v18, v16, 0xb102e308, v17
	v_pk_add_f32 v[16:17], v[14:15], v[18:19]
	v_mov_b32_e32 v20, v14
	v_sub_f32_e32 v19, v17, v19
	v_sub_f32_e32 v19, v15, v19
	v_add_f32_e32 v21, v21, v19
	v_pk_add_f32 v[14:15], v[16:17], v[14:15] neg_lo:[0,1] neg_hi:[0,1]
	v_pk_add_f32 v[22:23], v[16:17], v[20:21]
	v_mov_b32_e32 v19, v16
	v_mov_b32_e32 v15, v23
	v_pk_add_f32 v[24:25], v[18:19], v[14:15] neg_lo:[0,1] neg_hi:[0,1]
	v_pk_add_f32 v[14:15], v[18:19], v[14:15]
	v_mov_b32_e32 v20, v21
	v_pk_add_f32 v[18:19], v[14:15], v[16:17] op_sel:[1,0] op_sel_hi:[0,1] neg_lo:[0,1] neg_hi:[0,1]
	v_pk_add_f32 v[26:27], v[22:23], v[18:19] op_sel_hi:[1,0] neg_lo:[0,1] neg_hi:[0,1]
	v_mov_b32_e32 v22, v23
	v_mov_b32_e32 v23, v15
	v_pk_mov_b32 v[18:19], v[16:17], v[18:19] op_sel:[1,0]
	v_mov_b32_e32 v21, v16
	v_pk_add_f32 v[18:19], v[22:23], v[18:19] neg_lo:[0,1] neg_hi:[0,1]
	v_mov_b32_e32 v26, v24
	v_pk_add_f32 v[16:17], v[20:21], v[18:19] neg_lo:[0,1] neg_hi:[0,1]
	v_mov_b32_e32 v25, v15
	v_pk_add_f32 v[18:19], v[26:27], v[16:17]
	s_mov_b32 s9, 0x33800000
	v_pk_add_f32 v[20:21], v[18:19], v[18:19] op_sel:[0,1] op_sel_hi:[1,0]
	s_nop 0
	v_pk_add_f32 v[14:15], v[14:15], v[20:21] op_sel:[1,0] op_sel_hi:[0,1]
	v_mov_b32_e32 v19, v14
	v_pk_add_f32 v[22:23], v[18:19], v[24:25] neg_lo:[0,1] neg_hi:[0,1]
	v_mov_b32_e32 v17, v20
	v_sub_f32_e32 v15, v18, v22
	v_pk_add_f32 v[16:17], v[16:17], v[22:23] neg_lo:[0,1] neg_hi:[0,1]
	v_sub_f32_e32 v15, v24, v15
	v_add_f32_e32 v15, v16, v15
	v_add_f32_e32 v15, v15, v17
	;; [unrolled: 1-line block ×3, first 2 shown]
	v_cndmask_b32_e32 v14, v28, v14, vcc
	v_cmp_lt_f32_e64 vcc, |v29|, s9
	s_nop 1
	v_cndmask_b32_e32 v14, v14, v29, vcc
	v_add_f32_e32 v15, v13, v14
.LBB503_210:
	s_or_b64 exec, exec, s[6:7]
	v_bfe_u32 v13, v15, 16, 1
	s_movk_i32 s10, 0x7fff
	v_add3_u32 v13, v15, v13, s10
	v_and_b32_e32 v13, 0xffff0000, v13
	v_mov_b32_e32 v14, 0x7fc00000
	v_cmp_o_f32_e32 vcc, v15, v15
	v_lshlrev_b32_sdwa v12, v12, v9 dst_sel:DWORD dst_unused:UNUSED_PAD src0_sel:DWORD src1_sel:WORD_0
	v_cmp_u_f32_e64 s[6:7], v12, v12
	v_cndmask_b32_e32 v16, v14, v13, vcc
	v_max_f32_e32 v15, v16, v16
	v_max_f32_e32 v13, v12, v12
	v_min_f32_e32 v17, v15, v13
	v_cmp_u_f32_e32 vcc, v16, v16
	v_max_f32_e32 v15, v15, v13
	s_nop 0
	v_cndmask_b32_e32 v17, v17, v16, vcc
	v_cndmask_b32_e32 v15, v15, v16, vcc
	v_cndmask_b32_e64 v17, v17, v12, s[6:7]
	v_cndmask_b32_e64 v15, v15, v12, s[6:7]
	v_cmp_neq_f32_e32 vcc, v17, v15
	v_cmp_class_f32_e64 s[8:9], v17, s8
	s_or_b64 s[12:13], vcc, s[8:9]
	s_and_saveexec_b64 s[8:9], s[12:13]
	s_cbranch_execz .LBB503_212
; %bb.211:
	v_sub_f32_e32 v16, v17, v15
	s_mov_b32 s11, 0x3fb8aa3b
	v_mul_f32_e32 v17, 0x3fb8aa3b, v16
	v_fma_f32 v18, v16, s11, -v17
	v_rndne_f32_e32 v19, v17
	v_fmamk_f32 v18, v16, 0x32a5705f, v18
	v_sub_f32_e32 v17, v17, v19
	v_add_f32_e32 v17, v17, v18
	v_exp_f32_e32 v17, v17
	v_cvt_i32_f32_e32 v18, v19
	s_mov_b32 s11, 0xc2ce8ed0
	v_cmp_ngt_f32_e32 vcc, s11, v16
	s_mov_b32 s11, 0x42b17218
	v_ldexp_f32 v17, v17, v18
	v_cndmask_b32_e32 v17, 0, v17, vcc
	v_mov_b32_e32 v34, 0x7f800000
	v_cmp_nlt_f32_e32 vcc, s11, v16
	s_mov_b32 s11, 0x3f2aaaab
	s_mov_b32 s12, 0x7f800000
	v_cndmask_b32_e32 v35, v34, v17, vcc
	v_add_f32_e32 v18, 1.0, v35
	v_add_f32_e32 v16, -1.0, v18
	v_sub_f32_e32 v17, v16, v18
	v_add_f32_e32 v17, 1.0, v17
	v_sub_f32_e32 v16, v35, v16
	v_add_f32_e32 v19, v16, v17
	v_frexp_mant_f32_e32 v20, v18
	v_cvt_f64_f32_e32 v[16:17], v18
	v_frexp_exp_i32_f64_e32 v16, v[16:17]
	v_cmp_gt_f32_e32 vcc, s11, v20
	s_mov_b32 s11, 0x3f317218
	s_nop 0
	v_subbrev_co_u32_e32 v24, vcc, 0, v16, vcc
	v_sub_u32_e32 v16, 0, v24
	v_ldexp_f32 v17, v18, v16
	v_add_f32_e32 v18, -1.0, v17
	v_add_f32_e32 v20, 1.0, v17
	v_ldexp_f32 v16, v19, v16
	v_add_f32_e32 v19, 1.0, v18
	v_add_f32_e32 v21, -1.0, v20
	v_sub_f32_e32 v19, v17, v19
	v_sub_f32_e32 v17, v17, v21
	v_add_f32_e32 v19, v16, v19
	v_add_f32_e32 v16, v16, v17
	;; [unrolled: 1-line block ×3, first 2 shown]
	v_rcp_f32_e32 v27, v25
	v_sub_f32_e32 v17, v20, v25
	v_add_f32_e32 v26, v16, v17
	v_add_f32_e32 v17, v18, v19
	v_mul_f32_e32 v29, v17, v27
	v_sub_f32_e32 v16, v18, v17
	v_mul_f32_e32 v18, v25, v29
	v_fma_f32 v20, v29, v25, -v18
	v_fmac_f32_e32 v20, v29, v26
	v_add_f32_e32 v28, v19, v16
	v_add_f32_e32 v16, v18, v20
	v_sub_f32_e32 v19, v17, v16
	v_pk_add_f32 v[22:23], v[16:17], v[18:19] neg_lo:[0,1] neg_hi:[0,1]
	v_mov_b32_e32 v21, v16
	v_pk_add_f32 v[16:17], v[22:23], v[20:21] neg_lo:[0,1] neg_hi:[0,1]
	v_cmp_neq_f32_e32 vcc, s12, v35
	v_add_f32_e32 v17, v28, v17
	v_add_f32_e32 v16, v16, v17
	;; [unrolled: 1-line block ×3, first 2 shown]
	v_mul_f32_e32 v28, v27, v17
	v_mul_f32_e32 v18, v25, v28
	v_fma_f32 v20, v28, v25, -v18
	v_fmac_f32_e32 v20, v28, v26
	v_sub_f32_e32 v19, v19, v17
	v_add_f32_e32 v25, v16, v19
	v_add_f32_e32 v16, v18, v20
	v_sub_f32_e32 v19, v17, v16
	v_pk_add_f32 v[22:23], v[16:17], v[18:19] neg_lo:[0,1] neg_hi:[0,1]
	v_mov_b32_e32 v21, v16
	v_pk_add_f32 v[16:17], v[22:23], v[20:21] neg_lo:[0,1] neg_hi:[0,1]
	v_cvt_f32_i32_e32 v18, v24
	v_add_f32_e32 v17, v25, v17
	v_add_f32_e32 v16, v16, v17
	;; [unrolled: 1-line block ×4, first 2 shown]
	v_sub_f32_e32 v17, v19, v29
	v_mul_f32_e32 v16, v27, v16
	v_sub_f32_e32 v17, v28, v17
	v_add_f32_e32 v16, v17, v16
	v_add_f32_e32 v20, v19, v16
	v_mul_f32_e32 v22, v20, v20
	v_mov_b32_e32 v17, 0x3ecc95a3
	v_sub_f32_e32 v19, v20, v19
	v_fmac_f32_e32 v17, 0x3e9b6dac, v22
	v_sub_f32_e32 v16, v16, v19
	v_fmaak_f32 v17, v22, v17, 0x3f2aaada
	v_ldexp_f32 v23, v16, 1
	v_mul_f32_e32 v19, v20, v22
	v_mov_b32_e32 v16, 0x3f317218
	v_pk_mul_f32 v[16:17], v[18:19], v[16:17]
	v_ldexp_f32 v21, v20, 1
	v_fma_f32 v19, v18, s11, -v16
	v_fmamk_f32 v20, v18, 0xb102e308, v19
	v_pk_add_f32 v[18:19], v[16:17], v[20:21]
	v_mov_b32_e32 v22, v16
	v_sub_f32_e32 v21, v19, v21
	v_sub_f32_e32 v21, v17, v21
	v_add_f32_e32 v23, v23, v21
	v_pk_add_f32 v[16:17], v[18:19], v[16:17] neg_lo:[0,1] neg_hi:[0,1]
	v_pk_add_f32 v[24:25], v[18:19], v[22:23]
	v_mov_b32_e32 v21, v18
	v_mov_b32_e32 v17, v25
	v_pk_add_f32 v[26:27], v[20:21], v[16:17] neg_lo:[0,1] neg_hi:[0,1]
	v_pk_add_f32 v[16:17], v[20:21], v[16:17]
	v_mov_b32_e32 v22, v23
	v_pk_add_f32 v[20:21], v[16:17], v[18:19] op_sel:[1,0] op_sel_hi:[0,1] neg_lo:[0,1] neg_hi:[0,1]
	v_pk_add_f32 v[28:29], v[24:25], v[20:21] op_sel_hi:[1,0] neg_lo:[0,1] neg_hi:[0,1]
	v_mov_b32_e32 v24, v25
	v_mov_b32_e32 v25, v17
	v_pk_mov_b32 v[20:21], v[18:19], v[20:21] op_sel:[1,0]
	v_mov_b32_e32 v23, v18
	v_pk_add_f32 v[20:21], v[24:25], v[20:21] neg_lo:[0,1] neg_hi:[0,1]
	v_mov_b32_e32 v28, v26
	v_pk_add_f32 v[18:19], v[22:23], v[20:21] neg_lo:[0,1] neg_hi:[0,1]
	v_mov_b32_e32 v27, v17
	v_pk_add_f32 v[20:21], v[28:29], v[18:19]
	s_mov_b32 s11, 0x33800000
	v_pk_add_f32 v[22:23], v[20:21], v[20:21] op_sel:[0,1] op_sel_hi:[1,0]
	s_nop 0
	v_pk_add_f32 v[16:17], v[16:17], v[22:23] op_sel:[1,0] op_sel_hi:[0,1]
	v_mov_b32_e32 v21, v16
	v_pk_add_f32 v[24:25], v[20:21], v[26:27] neg_lo:[0,1] neg_hi:[0,1]
	v_mov_b32_e32 v19, v22
	v_sub_f32_e32 v17, v20, v24
	v_pk_add_f32 v[18:19], v[18:19], v[24:25] neg_lo:[0,1] neg_hi:[0,1]
	v_sub_f32_e32 v17, v26, v17
	v_add_f32_e32 v17, v18, v17
	v_add_f32_e32 v17, v17, v19
	v_add_f32_e32 v16, v16, v17
	v_cndmask_b32_e32 v16, v34, v16, vcc
	v_cmp_lt_f32_e64 vcc, |v35|, s11
	s_nop 1
	v_cndmask_b32_e32 v16, v16, v35, vcc
	v_add_f32_e32 v16, v15, v16
.LBB503_212:
	s_or_b64 exec, exec, s[8:9]
	v_bfe_u32 v15, v16, 16, 1
	v_add3_u32 v15, v16, v15, s10
	v_and_b32_e32 v15, 0xffff0000, v15
	v_cmp_o_f32_e32 vcc, v16, v16
	s_movk_i32 s12, 0x1f8
	s_nop 0
	v_cndmask_b32_e32 v18, v14, v15, vcc
	v_mov_b32_e32 v14, 16
	v_lshlrev_b32_sdwa v9, v14, v9 dst_sel:DWORD dst_unused:UNUSED_PAD src0_sel:DWORD src1_sel:WORD_1
	v_max_f32_e32 v16, v18, v18
	v_max_f32_e32 v15, v9, v9
	v_min_f32_e32 v17, v16, v15
	v_cmp_u_f32_e32 vcc, v18, v18
	v_max_f32_e32 v16, v16, v15
	v_cmp_u_f32_e64 s[8:9], v9, v9
	v_cndmask_b32_e32 v17, v17, v18, vcc
	v_cndmask_b32_e32 v16, v16, v18, vcc
	v_cndmask_b32_e64 v17, v17, v9, s[8:9]
	v_cndmask_b32_e64 v16, v16, v9, s[8:9]
	v_cmp_neq_f32_e32 vcc, v17, v16
	v_cmp_class_f32_e64 s[10:11], v17, s12
	s_or_b64 s[14:15], vcc, s[10:11]
	s_and_saveexec_b64 s[10:11], s[14:15]
	s_cbranch_execz .LBB503_214
; %bb.213:
	v_sub_f32_e32 v17, v17, v16
	s_mov_b32 s13, 0x3fb8aa3b
	v_mul_f32_e32 v18, 0x3fb8aa3b, v17
	v_fma_f32 v19, v17, s13, -v18
	v_rndne_f32_e32 v20, v18
	v_fmamk_f32 v19, v17, 0x32a5705f, v19
	v_sub_f32_e32 v18, v18, v20
	v_add_f32_e32 v18, v18, v19
	v_exp_f32_e32 v18, v18
	v_cvt_i32_f32_e32 v19, v20
	s_mov_b32 s13, 0xc2ce8ed0
	v_cmp_ngt_f32_e32 vcc, s13, v17
	s_mov_b32 s13, 0x42b17218
	v_ldexp_f32 v18, v18, v19
	v_cndmask_b32_e32 v18, 0, v18, vcc
	v_mov_b32_e32 v36, 0x7f800000
	v_cmp_nlt_f32_e32 vcc, s13, v17
	s_mov_b32 s13, 0x3f2aaaab
	s_mov_b32 s14, 0x7f800000
	v_cndmask_b32_e32 v17, v36, v18, vcc
	v_add_f32_e32 v20, 1.0, v17
	v_add_f32_e32 v18, -1.0, v20
	v_sub_f32_e32 v19, v18, v20
	v_add_f32_e32 v19, 1.0, v19
	v_sub_f32_e32 v18, v17, v18
	v_add_f32_e32 v21, v18, v19
	v_frexp_mant_f32_e32 v22, v20
	v_cvt_f64_f32_e32 v[18:19], v20
	v_frexp_exp_i32_f64_e32 v18, v[18:19]
	v_cmp_gt_f32_e32 vcc, s13, v22
	s_mov_b32 s13, 0x3f317218
	s_nop 0
	v_subbrev_co_u32_e32 v26, vcc, 0, v18, vcc
	v_sub_u32_e32 v18, 0, v26
	v_ldexp_f32 v19, v20, v18
	v_add_f32_e32 v20, -1.0, v19
	v_add_f32_e32 v22, 1.0, v19
	v_ldexp_f32 v18, v21, v18
	v_add_f32_e32 v21, 1.0, v20
	v_add_f32_e32 v23, -1.0, v22
	v_sub_f32_e32 v21, v19, v21
	v_sub_f32_e32 v19, v19, v23
	v_add_f32_e32 v21, v18, v21
	v_add_f32_e32 v18, v18, v19
	;; [unrolled: 1-line block ×3, first 2 shown]
	v_rcp_f32_e32 v29, v27
	v_sub_f32_e32 v19, v22, v27
	v_add_f32_e32 v28, v18, v19
	v_add_f32_e32 v19, v20, v21
	v_mul_f32_e32 v35, v19, v29
	v_sub_f32_e32 v18, v20, v19
	v_mul_f32_e32 v20, v27, v35
	v_fma_f32 v22, v35, v27, -v20
	v_fmac_f32_e32 v22, v35, v28
	v_add_f32_e32 v34, v21, v18
	v_add_f32_e32 v18, v20, v22
	v_sub_f32_e32 v21, v19, v18
	v_pk_add_f32 v[24:25], v[18:19], v[20:21] neg_lo:[0,1] neg_hi:[0,1]
	v_mov_b32_e32 v23, v18
	v_pk_add_f32 v[18:19], v[24:25], v[22:23] neg_lo:[0,1] neg_hi:[0,1]
	v_cmp_neq_f32_e32 vcc, s14, v17
	v_add_f32_e32 v19, v34, v19
	v_add_f32_e32 v18, v18, v19
	;; [unrolled: 1-line block ×3, first 2 shown]
	v_mul_f32_e32 v34, v29, v19
	v_mul_f32_e32 v20, v27, v34
	v_fma_f32 v22, v34, v27, -v20
	v_fmac_f32_e32 v22, v34, v28
	v_sub_f32_e32 v21, v21, v19
	v_add_f32_e32 v27, v18, v21
	v_add_f32_e32 v18, v20, v22
	v_sub_f32_e32 v21, v19, v18
	v_pk_add_f32 v[24:25], v[18:19], v[20:21] neg_lo:[0,1] neg_hi:[0,1]
	v_mov_b32_e32 v23, v18
	v_pk_add_f32 v[18:19], v[24:25], v[22:23] neg_lo:[0,1] neg_hi:[0,1]
	v_cvt_f32_i32_e32 v20, v26
	v_add_f32_e32 v19, v27, v19
	v_add_f32_e32 v18, v18, v19
	;; [unrolled: 1-line block ×4, first 2 shown]
	v_sub_f32_e32 v19, v21, v35
	v_mul_f32_e32 v18, v29, v18
	v_sub_f32_e32 v19, v34, v19
	v_add_f32_e32 v18, v19, v18
	v_add_f32_e32 v22, v21, v18
	v_mul_f32_e32 v24, v22, v22
	v_mov_b32_e32 v19, 0x3ecc95a3
	v_sub_f32_e32 v21, v22, v21
	v_fmac_f32_e32 v19, 0x3e9b6dac, v24
	v_sub_f32_e32 v18, v18, v21
	v_fmaak_f32 v19, v24, v19, 0x3f2aaada
	v_ldexp_f32 v25, v18, 1
	v_mul_f32_e32 v21, v22, v24
	v_mov_b32_e32 v18, 0x3f317218
	v_pk_mul_f32 v[18:19], v[20:21], v[18:19]
	v_ldexp_f32 v23, v22, 1
	v_fma_f32 v21, v20, s13, -v18
	v_fmamk_f32 v22, v20, 0xb102e308, v21
	v_pk_add_f32 v[20:21], v[18:19], v[22:23]
	v_mov_b32_e32 v24, v18
	v_sub_f32_e32 v23, v21, v23
	v_sub_f32_e32 v23, v19, v23
	v_add_f32_e32 v25, v25, v23
	v_pk_add_f32 v[18:19], v[20:21], v[18:19] neg_lo:[0,1] neg_hi:[0,1]
	v_pk_add_f32 v[26:27], v[20:21], v[24:25]
	v_mov_b32_e32 v23, v20
	v_mov_b32_e32 v19, v27
	v_pk_add_f32 v[28:29], v[22:23], v[18:19] neg_lo:[0,1] neg_hi:[0,1]
	v_pk_add_f32 v[18:19], v[22:23], v[18:19]
	v_mov_b32_e32 v24, v25
	v_pk_add_f32 v[22:23], v[18:19], v[20:21] op_sel:[1,0] op_sel_hi:[0,1] neg_lo:[0,1] neg_hi:[0,1]
	v_pk_add_f32 v[34:35], v[26:27], v[22:23] op_sel_hi:[1,0] neg_lo:[0,1] neg_hi:[0,1]
	v_mov_b32_e32 v26, v27
	v_mov_b32_e32 v27, v19
	v_pk_mov_b32 v[22:23], v[20:21], v[22:23] op_sel:[1,0]
	v_mov_b32_e32 v25, v20
	v_pk_add_f32 v[22:23], v[26:27], v[22:23] neg_lo:[0,1] neg_hi:[0,1]
	v_mov_b32_e32 v34, v28
	v_pk_add_f32 v[20:21], v[24:25], v[22:23] neg_lo:[0,1] neg_hi:[0,1]
	v_mov_b32_e32 v29, v19
	v_pk_add_f32 v[22:23], v[34:35], v[20:21]
	s_mov_b32 s13, 0x33800000
	v_pk_add_f32 v[24:25], v[22:23], v[22:23] op_sel:[0,1] op_sel_hi:[1,0]
	s_nop 0
	v_pk_add_f32 v[18:19], v[18:19], v[24:25] op_sel:[1,0] op_sel_hi:[0,1]
	v_mov_b32_e32 v23, v18
	v_pk_add_f32 v[26:27], v[22:23], v[28:29] neg_lo:[0,1] neg_hi:[0,1]
	v_mov_b32_e32 v21, v24
	v_sub_f32_e32 v19, v22, v26
	v_pk_add_f32 v[20:21], v[20:21], v[26:27] neg_lo:[0,1] neg_hi:[0,1]
	v_sub_f32_e32 v19, v28, v19
	v_add_f32_e32 v19, v20, v19
	v_add_f32_e32 v19, v19, v21
	;; [unrolled: 1-line block ×3, first 2 shown]
	v_cndmask_b32_e32 v18, v36, v18, vcc
	v_cmp_lt_f32_e64 vcc, |v17|, s13
	s_nop 1
	v_cndmask_b32_e32 v17, v18, v17, vcc
	v_add_f32_e32 v18, v16, v17
.LBB503_214:
	s_or_b64 exec, exec, s[10:11]
	v_bfe_u32 v16, v18, 16, 1
	s_movk_i32 s14, 0x7fff
	v_add3_u32 v16, v18, v16, s14
	v_and_b32_e32 v16, 0xffff0000, v16
	v_mov_b32_e32 v17, 0x7fc00000
	v_cmp_o_f32_e32 vcc, v18, v18
	v_lshlrev_b32_sdwa v14, v14, v6 dst_sel:DWORD dst_unused:UNUSED_PAD src0_sel:DWORD src1_sel:WORD_0
	v_cmp_u_f32_e64 s[10:11], v14, v14
	v_cndmask_b32_e32 v19, v17, v16, vcc
	v_max_f32_e32 v18, v19, v19
	v_max_f32_e32 v16, v14, v14
	v_min_f32_e32 v20, v18, v16
	v_cmp_u_f32_e32 vcc, v19, v19
	v_max_f32_e32 v18, v18, v16
	s_nop 0
	v_cndmask_b32_e32 v20, v20, v19, vcc
	v_cndmask_b32_e32 v18, v18, v19, vcc
	v_cndmask_b32_e64 v20, v20, v14, s[10:11]
	v_cndmask_b32_e64 v18, v18, v14, s[10:11]
	v_cmp_neq_f32_e32 vcc, v20, v18
	v_cmp_class_f32_e64 s[12:13], v20, s12
	s_or_b64 s[16:17], vcc, s[12:13]
	s_and_saveexec_b64 s[12:13], s[16:17]
	s_cbranch_execz .LBB503_216
; %bb.215:
	v_sub_f32_e32 v19, v20, v18
	s_mov_b32 s15, 0x3fb8aa3b
	v_mul_f32_e32 v20, 0x3fb8aa3b, v19
	v_fma_f32 v21, v19, s15, -v20
	v_rndne_f32_e32 v22, v20
	v_fmamk_f32 v21, v19, 0x32a5705f, v21
	v_sub_f32_e32 v20, v20, v22
	v_add_f32_e32 v20, v20, v21
	v_exp_f32_e32 v20, v20
	v_cvt_i32_f32_e32 v21, v22
	s_mov_b32 s15, 0xc2ce8ed0
	v_cmp_ngt_f32_e32 vcc, s15, v19
	s_mov_b32 s15, 0x42b17218
	v_ldexp_f32 v20, v20, v21
	v_cndmask_b32_e32 v20, 0, v20, vcc
	v_mov_b32_e32 v38, 0x7f800000
	v_cmp_nlt_f32_e32 vcc, s15, v19
	s_mov_b32 s15, 0x3f2aaaab
	s_mov_b32 s16, 0x7f800000
	v_cndmask_b32_e32 v19, v38, v20, vcc
	v_add_f32_e32 v22, 1.0, v19
	v_add_f32_e32 v20, -1.0, v22
	v_sub_f32_e32 v21, v20, v22
	v_add_f32_e32 v21, 1.0, v21
	v_sub_f32_e32 v20, v19, v20
	v_add_f32_e32 v23, v20, v21
	v_frexp_mant_f32_e32 v24, v22
	v_cvt_f64_f32_e32 v[20:21], v22
	v_frexp_exp_i32_f64_e32 v20, v[20:21]
	v_cmp_gt_f32_e32 vcc, s15, v24
	s_mov_b32 s15, 0x3f317218
	s_nop 0
	v_subbrev_co_u32_e32 v28, vcc, 0, v20, vcc
	v_sub_u32_e32 v20, 0, v28
	v_ldexp_f32 v21, v22, v20
	v_add_f32_e32 v22, -1.0, v21
	v_add_f32_e32 v24, 1.0, v21
	v_ldexp_f32 v20, v23, v20
	v_add_f32_e32 v23, 1.0, v22
	v_add_f32_e32 v25, -1.0, v24
	v_sub_f32_e32 v23, v21, v23
	v_sub_f32_e32 v21, v21, v25
	v_add_f32_e32 v23, v20, v23
	v_add_f32_e32 v20, v20, v21
	;; [unrolled: 1-line block ×3, first 2 shown]
	v_rcp_f32_e32 v35, v29
	v_sub_f32_e32 v21, v24, v29
	v_add_f32_e32 v34, v20, v21
	v_add_f32_e32 v21, v22, v23
	v_mul_f32_e32 v37, v21, v35
	v_sub_f32_e32 v20, v22, v21
	v_mul_f32_e32 v22, v29, v37
	v_fma_f32 v24, v37, v29, -v22
	v_fmac_f32_e32 v24, v37, v34
	v_add_f32_e32 v36, v23, v20
	v_add_f32_e32 v20, v22, v24
	v_sub_f32_e32 v23, v21, v20
	v_pk_add_f32 v[26:27], v[20:21], v[22:23] neg_lo:[0,1] neg_hi:[0,1]
	v_mov_b32_e32 v25, v20
	v_pk_add_f32 v[20:21], v[26:27], v[24:25] neg_lo:[0,1] neg_hi:[0,1]
	v_cmp_neq_f32_e32 vcc, s16, v19
	v_add_f32_e32 v21, v36, v21
	v_add_f32_e32 v20, v20, v21
	v_add_f32_e32 v21, v23, v20
	v_mul_f32_e32 v36, v35, v21
	v_mul_f32_e32 v22, v29, v36
	v_fma_f32 v24, v36, v29, -v22
	v_fmac_f32_e32 v24, v36, v34
	v_sub_f32_e32 v23, v23, v21
	v_add_f32_e32 v29, v20, v23
	v_add_f32_e32 v20, v22, v24
	v_sub_f32_e32 v23, v21, v20
	v_pk_add_f32 v[26:27], v[20:21], v[22:23] neg_lo:[0,1] neg_hi:[0,1]
	v_mov_b32_e32 v25, v20
	v_pk_add_f32 v[20:21], v[26:27], v[24:25] neg_lo:[0,1] neg_hi:[0,1]
	v_cvt_f32_i32_e32 v22, v28
	v_add_f32_e32 v21, v29, v21
	v_add_f32_e32 v20, v20, v21
	;; [unrolled: 1-line block ×4, first 2 shown]
	v_sub_f32_e32 v21, v23, v37
	v_mul_f32_e32 v20, v35, v20
	v_sub_f32_e32 v21, v36, v21
	v_add_f32_e32 v20, v21, v20
	v_add_f32_e32 v24, v23, v20
	v_mul_f32_e32 v26, v24, v24
	v_mov_b32_e32 v21, 0x3ecc95a3
	v_sub_f32_e32 v23, v24, v23
	v_fmac_f32_e32 v21, 0x3e9b6dac, v26
	v_sub_f32_e32 v20, v20, v23
	v_fmaak_f32 v21, v26, v21, 0x3f2aaada
	v_ldexp_f32 v27, v20, 1
	v_mul_f32_e32 v23, v24, v26
	v_mov_b32_e32 v20, 0x3f317218
	v_pk_mul_f32 v[20:21], v[22:23], v[20:21]
	v_ldexp_f32 v25, v24, 1
	v_fma_f32 v23, v22, s15, -v20
	v_fmamk_f32 v24, v22, 0xb102e308, v23
	v_pk_add_f32 v[22:23], v[20:21], v[24:25]
	v_mov_b32_e32 v26, v20
	v_sub_f32_e32 v25, v23, v25
	v_sub_f32_e32 v25, v21, v25
	v_add_f32_e32 v27, v27, v25
	v_pk_add_f32 v[20:21], v[22:23], v[20:21] neg_lo:[0,1] neg_hi:[0,1]
	v_pk_add_f32 v[28:29], v[22:23], v[26:27]
	v_mov_b32_e32 v25, v22
	v_mov_b32_e32 v21, v29
	v_pk_add_f32 v[34:35], v[24:25], v[20:21] neg_lo:[0,1] neg_hi:[0,1]
	v_pk_add_f32 v[20:21], v[24:25], v[20:21]
	v_mov_b32_e32 v26, v27
	v_pk_add_f32 v[24:25], v[20:21], v[22:23] op_sel:[1,0] op_sel_hi:[0,1] neg_lo:[0,1] neg_hi:[0,1]
	v_pk_add_f32 v[36:37], v[28:29], v[24:25] op_sel_hi:[1,0] neg_lo:[0,1] neg_hi:[0,1]
	v_mov_b32_e32 v28, v29
	v_mov_b32_e32 v29, v21
	v_pk_mov_b32 v[24:25], v[22:23], v[24:25] op_sel:[1,0]
	v_mov_b32_e32 v27, v22
	v_pk_add_f32 v[24:25], v[28:29], v[24:25] neg_lo:[0,1] neg_hi:[0,1]
	v_mov_b32_e32 v36, v34
	v_pk_add_f32 v[22:23], v[26:27], v[24:25] neg_lo:[0,1] neg_hi:[0,1]
	v_mov_b32_e32 v35, v21
	v_pk_add_f32 v[24:25], v[36:37], v[22:23]
	s_mov_b32 s15, 0x33800000
	v_pk_add_f32 v[26:27], v[24:25], v[24:25] op_sel:[0,1] op_sel_hi:[1,0]
	s_nop 0
	v_pk_add_f32 v[20:21], v[20:21], v[26:27] op_sel:[1,0] op_sel_hi:[0,1]
	v_mov_b32_e32 v25, v20
	v_pk_add_f32 v[28:29], v[24:25], v[34:35] neg_lo:[0,1] neg_hi:[0,1]
	v_mov_b32_e32 v23, v26
	v_sub_f32_e32 v21, v24, v28
	v_pk_add_f32 v[22:23], v[22:23], v[28:29] neg_lo:[0,1] neg_hi:[0,1]
	v_sub_f32_e32 v21, v34, v21
	v_add_f32_e32 v21, v22, v21
	v_add_f32_e32 v21, v21, v23
	;; [unrolled: 1-line block ×3, first 2 shown]
	v_cndmask_b32_e32 v20, v38, v20, vcc
	v_cmp_lt_f32_e64 vcc, |v19|, s15
	s_nop 1
	v_cndmask_b32_e32 v19, v20, v19, vcc
	v_add_f32_e32 v19, v18, v19
.LBB503_216:
	s_or_b64 exec, exec, s[12:13]
	v_bfe_u32 v18, v19, 16, 1
	v_add3_u32 v18, v19, v18, s14
	v_and_b32_e32 v18, 0xffff0000, v18
	v_cmp_o_f32_e32 vcc, v19, v19
	s_movk_i32 s16, 0x1f8
	s_nop 0
	v_cndmask_b32_e32 v21, v17, v18, vcc
	v_mov_b32_e32 v17, 16
	v_lshlrev_b32_sdwa v6, v17, v6 dst_sel:DWORD dst_unused:UNUSED_PAD src0_sel:DWORD src1_sel:WORD_1
	v_max_f32_e32 v19, v21, v21
	v_max_f32_e32 v18, v6, v6
	v_min_f32_e32 v20, v19, v18
	v_cmp_u_f32_e32 vcc, v21, v21
	v_max_f32_e32 v19, v19, v18
	v_cmp_u_f32_e64 s[12:13], v6, v6
	v_cndmask_b32_e32 v20, v20, v21, vcc
	v_cndmask_b32_e32 v19, v19, v21, vcc
	v_cndmask_b32_e64 v20, v20, v6, s[12:13]
	v_cndmask_b32_e64 v19, v19, v6, s[12:13]
	v_cmp_neq_f32_e32 vcc, v20, v19
	v_cmp_class_f32_e64 s[14:15], v20, s16
	s_or_b64 s[18:19], vcc, s[14:15]
	s_and_saveexec_b64 s[14:15], s[18:19]
	s_cbranch_execz .LBB503_218
; %bb.217:
	v_sub_f32_e32 v20, v20, v19
	s_mov_b32 s17, 0x3fb8aa3b
	v_mul_f32_e32 v21, 0x3fb8aa3b, v20
	v_fma_f32 v22, v20, s17, -v21
	v_rndne_f32_e32 v23, v21
	v_fmamk_f32 v22, v20, 0x32a5705f, v22
	v_sub_f32_e32 v21, v21, v23
	v_add_f32_e32 v21, v21, v22
	v_exp_f32_e32 v21, v21
	v_cvt_i32_f32_e32 v22, v23
	s_mov_b32 s17, 0xc2ce8ed0
	v_cmp_ngt_f32_e32 vcc, s17, v20
	s_mov_b32 s17, 0x42b17218
	v_ldexp_f32 v21, v21, v22
	v_cndmask_b32_e32 v21, 0, v21, vcc
	v_mov_b32_e32 v38, 0x7f800000
	v_cmp_nlt_f32_e32 vcc, s17, v20
	s_mov_b32 s17, 0x3f2aaaab
	s_mov_b32 s18, 0x7f800000
	v_cndmask_b32_e32 v39, v38, v21, vcc
	v_add_f32_e32 v22, 1.0, v39
	v_add_f32_e32 v20, -1.0, v22
	v_sub_f32_e32 v21, v20, v22
	v_add_f32_e32 v21, 1.0, v21
	v_sub_f32_e32 v20, v39, v20
	v_add_f32_e32 v23, v20, v21
	v_frexp_mant_f32_e32 v24, v22
	v_cvt_f64_f32_e32 v[20:21], v22
	v_frexp_exp_i32_f64_e32 v20, v[20:21]
	v_cmp_gt_f32_e32 vcc, s17, v24
	s_mov_b32 s17, 0x3f317218
	s_nop 0
	v_subbrev_co_u32_e32 v28, vcc, 0, v20, vcc
	v_sub_u32_e32 v20, 0, v28
	v_ldexp_f32 v21, v22, v20
	v_add_f32_e32 v22, -1.0, v21
	v_add_f32_e32 v24, 1.0, v21
	v_ldexp_f32 v20, v23, v20
	v_add_f32_e32 v23, 1.0, v22
	v_add_f32_e32 v25, -1.0, v24
	v_sub_f32_e32 v23, v21, v23
	v_sub_f32_e32 v21, v21, v25
	v_add_f32_e32 v23, v20, v23
	v_add_f32_e32 v20, v20, v21
	;; [unrolled: 1-line block ×3, first 2 shown]
	v_rcp_f32_e32 v35, v29
	v_sub_f32_e32 v21, v24, v29
	v_add_f32_e32 v34, v20, v21
	v_add_f32_e32 v21, v22, v23
	v_mul_f32_e32 v37, v21, v35
	v_sub_f32_e32 v20, v22, v21
	v_mul_f32_e32 v22, v29, v37
	v_fma_f32 v24, v37, v29, -v22
	v_fmac_f32_e32 v24, v37, v34
	v_add_f32_e32 v36, v23, v20
	v_add_f32_e32 v20, v22, v24
	v_sub_f32_e32 v23, v21, v20
	v_pk_add_f32 v[26:27], v[20:21], v[22:23] neg_lo:[0,1] neg_hi:[0,1]
	v_mov_b32_e32 v25, v20
	v_pk_add_f32 v[20:21], v[26:27], v[24:25] neg_lo:[0,1] neg_hi:[0,1]
	v_cmp_neq_f32_e32 vcc, s18, v39
	v_add_f32_e32 v21, v36, v21
	v_add_f32_e32 v20, v20, v21
	;; [unrolled: 1-line block ×3, first 2 shown]
	v_mul_f32_e32 v36, v35, v21
	v_mul_f32_e32 v22, v29, v36
	v_fma_f32 v24, v36, v29, -v22
	v_fmac_f32_e32 v24, v36, v34
	v_sub_f32_e32 v23, v23, v21
	v_add_f32_e32 v29, v20, v23
	v_add_f32_e32 v20, v22, v24
	v_sub_f32_e32 v23, v21, v20
	v_pk_add_f32 v[26:27], v[20:21], v[22:23] neg_lo:[0,1] neg_hi:[0,1]
	v_mov_b32_e32 v25, v20
	v_pk_add_f32 v[20:21], v[26:27], v[24:25] neg_lo:[0,1] neg_hi:[0,1]
	v_cvt_f32_i32_e32 v22, v28
	v_add_f32_e32 v21, v29, v21
	v_add_f32_e32 v20, v20, v21
	;; [unrolled: 1-line block ×4, first 2 shown]
	v_sub_f32_e32 v21, v23, v37
	v_mul_f32_e32 v20, v35, v20
	v_sub_f32_e32 v21, v36, v21
	v_add_f32_e32 v20, v21, v20
	v_add_f32_e32 v24, v23, v20
	v_mul_f32_e32 v26, v24, v24
	v_mov_b32_e32 v21, 0x3ecc95a3
	v_sub_f32_e32 v23, v24, v23
	v_fmac_f32_e32 v21, 0x3e9b6dac, v26
	v_sub_f32_e32 v20, v20, v23
	v_fmaak_f32 v21, v26, v21, 0x3f2aaada
	v_ldexp_f32 v27, v20, 1
	v_mul_f32_e32 v23, v24, v26
	v_mov_b32_e32 v20, 0x3f317218
	v_pk_mul_f32 v[20:21], v[22:23], v[20:21]
	v_ldexp_f32 v25, v24, 1
	v_fma_f32 v23, v22, s17, -v20
	v_fmamk_f32 v24, v22, 0xb102e308, v23
	v_pk_add_f32 v[22:23], v[20:21], v[24:25]
	v_mov_b32_e32 v26, v20
	v_sub_f32_e32 v25, v23, v25
	v_sub_f32_e32 v25, v21, v25
	v_add_f32_e32 v27, v27, v25
	v_pk_add_f32 v[20:21], v[22:23], v[20:21] neg_lo:[0,1] neg_hi:[0,1]
	v_pk_add_f32 v[28:29], v[22:23], v[26:27]
	v_mov_b32_e32 v25, v22
	v_mov_b32_e32 v21, v29
	v_pk_add_f32 v[34:35], v[24:25], v[20:21] neg_lo:[0,1] neg_hi:[0,1]
	v_pk_add_f32 v[20:21], v[24:25], v[20:21]
	v_mov_b32_e32 v26, v27
	v_pk_add_f32 v[24:25], v[20:21], v[22:23] op_sel:[1,0] op_sel_hi:[0,1] neg_lo:[0,1] neg_hi:[0,1]
	v_pk_add_f32 v[36:37], v[28:29], v[24:25] op_sel_hi:[1,0] neg_lo:[0,1] neg_hi:[0,1]
	v_mov_b32_e32 v28, v29
	v_mov_b32_e32 v29, v21
	v_pk_mov_b32 v[24:25], v[22:23], v[24:25] op_sel:[1,0]
	v_mov_b32_e32 v27, v22
	v_pk_add_f32 v[24:25], v[28:29], v[24:25] neg_lo:[0,1] neg_hi:[0,1]
	v_mov_b32_e32 v36, v34
	v_pk_add_f32 v[22:23], v[26:27], v[24:25] neg_lo:[0,1] neg_hi:[0,1]
	v_mov_b32_e32 v35, v21
	v_pk_add_f32 v[24:25], v[36:37], v[22:23]
	s_mov_b32 s17, 0x33800000
	v_pk_add_f32 v[26:27], v[24:25], v[24:25] op_sel:[0,1] op_sel_hi:[1,0]
	s_nop 0
	v_pk_add_f32 v[20:21], v[20:21], v[26:27] op_sel:[1,0] op_sel_hi:[0,1]
	v_mov_b32_e32 v25, v20
	v_pk_add_f32 v[28:29], v[24:25], v[34:35] neg_lo:[0,1] neg_hi:[0,1]
	v_mov_b32_e32 v23, v26
	v_sub_f32_e32 v21, v24, v28
	v_pk_add_f32 v[22:23], v[22:23], v[28:29] neg_lo:[0,1] neg_hi:[0,1]
	v_sub_f32_e32 v21, v34, v21
	v_add_f32_e32 v21, v22, v21
	v_add_f32_e32 v21, v21, v23
	;; [unrolled: 1-line block ×3, first 2 shown]
	v_cndmask_b32_e32 v20, v38, v20, vcc
	v_cmp_lt_f32_e64 vcc, |v39|, s17
	s_nop 1
	v_cndmask_b32_e32 v20, v20, v39, vcc
	v_add_f32_e32 v21, v19, v20
.LBB503_218:
	s_or_b64 exec, exec, s[14:15]
	v_bfe_u32 v19, v21, 16, 1
	s_movk_i32 s18, 0x7fff
	v_add3_u32 v19, v21, v19, s18
	v_and_b32_e32 v19, 0xffff0000, v19
	v_mov_b32_e32 v20, 0x7fc00000
	v_cmp_o_f32_e32 vcc, v21, v21
	v_lshlrev_b32_sdwa v17, v17, v7 dst_sel:DWORD dst_unused:UNUSED_PAD src0_sel:DWORD src1_sel:WORD_0
	v_cmp_u_f32_e64 s[14:15], v17, v17
	v_cndmask_b32_e32 v22, v20, v19, vcc
	v_max_f32_e32 v21, v22, v22
	v_max_f32_e32 v19, v17, v17
	v_min_f32_e32 v23, v21, v19
	v_cmp_u_f32_e32 vcc, v22, v22
	v_max_f32_e32 v21, v21, v19
	s_nop 0
	v_cndmask_b32_e32 v23, v23, v22, vcc
	v_cndmask_b32_e32 v21, v21, v22, vcc
	v_cndmask_b32_e64 v23, v23, v17, s[14:15]
	v_cndmask_b32_e64 v21, v21, v17, s[14:15]
	v_cmp_neq_f32_e32 vcc, v23, v21
	v_cmp_class_f32_e64 s[16:17], v23, s16
	s_or_b64 s[20:21], vcc, s[16:17]
	s_and_saveexec_b64 s[16:17], s[20:21]
	s_cbranch_execz .LBB503_220
; %bb.219:
	v_sub_f32_e32 v22, v23, v21
	s_mov_b32 s19, 0x3fb8aa3b
	v_mul_f32_e32 v23, 0x3fb8aa3b, v22
	v_fma_f32 v24, v22, s19, -v23
	v_rndne_f32_e32 v25, v23
	v_fmamk_f32 v24, v22, 0x32a5705f, v24
	v_sub_f32_e32 v23, v23, v25
	v_add_f32_e32 v23, v23, v24
	v_exp_f32_e32 v23, v23
	v_cvt_i32_f32_e32 v24, v25
	s_mov_b32 s19, 0xc2ce8ed0
	v_cmp_ngt_f32_e32 vcc, s19, v22
	s_mov_b32 s19, 0x42b17218
	v_ldexp_f32 v23, v23, v24
	v_cndmask_b32_e32 v23, 0, v23, vcc
	v_mov_b32_e32 v40, 0x7f800000
	v_cmp_nlt_f32_e32 vcc, s19, v22
	s_mov_b32 s19, 0x3f2aaaab
	s_mov_b32 s20, 0x7f800000
	v_cndmask_b32_e32 v41, v40, v23, vcc
	v_add_f32_e32 v24, 1.0, v41
	v_add_f32_e32 v22, -1.0, v24
	v_sub_f32_e32 v23, v22, v24
	v_add_f32_e32 v23, 1.0, v23
	v_sub_f32_e32 v22, v41, v22
	v_add_f32_e32 v25, v22, v23
	v_frexp_mant_f32_e32 v26, v24
	v_cvt_f64_f32_e32 v[22:23], v24
	v_frexp_exp_i32_f64_e32 v22, v[22:23]
	v_cmp_gt_f32_e32 vcc, s19, v26
	s_mov_b32 s19, 0x3f317218
	s_nop 0
	v_subbrev_co_u32_e32 v34, vcc, 0, v22, vcc
	v_sub_u32_e32 v22, 0, v34
	v_ldexp_f32 v23, v24, v22
	v_add_f32_e32 v24, -1.0, v23
	v_add_f32_e32 v26, 1.0, v23
	v_ldexp_f32 v22, v25, v22
	v_add_f32_e32 v25, 1.0, v24
	v_add_f32_e32 v27, -1.0, v26
	v_sub_f32_e32 v25, v23, v25
	v_sub_f32_e32 v23, v23, v27
	v_add_f32_e32 v25, v22, v25
	v_add_f32_e32 v22, v22, v23
	;; [unrolled: 1-line block ×3, first 2 shown]
	v_rcp_f32_e32 v37, v35
	v_sub_f32_e32 v23, v26, v35
	v_add_f32_e32 v36, v22, v23
	v_add_f32_e32 v23, v24, v25
	v_mul_f32_e32 v39, v23, v37
	v_sub_f32_e32 v22, v24, v23
	v_mul_f32_e32 v24, v35, v39
	v_fma_f32 v26, v39, v35, -v24
	v_fmac_f32_e32 v26, v39, v36
	v_add_f32_e32 v38, v25, v22
	v_add_f32_e32 v22, v24, v26
	v_sub_f32_e32 v25, v23, v22
	v_pk_add_f32 v[28:29], v[22:23], v[24:25] neg_lo:[0,1] neg_hi:[0,1]
	v_mov_b32_e32 v27, v22
	v_pk_add_f32 v[22:23], v[28:29], v[26:27] neg_lo:[0,1] neg_hi:[0,1]
	v_cmp_neq_f32_e32 vcc, s20, v41
	v_add_f32_e32 v23, v38, v23
	v_add_f32_e32 v22, v22, v23
	;; [unrolled: 1-line block ×3, first 2 shown]
	v_mul_f32_e32 v38, v37, v23
	v_mul_f32_e32 v24, v35, v38
	v_fma_f32 v26, v38, v35, -v24
	v_fmac_f32_e32 v26, v38, v36
	v_sub_f32_e32 v25, v25, v23
	v_add_f32_e32 v35, v22, v25
	v_add_f32_e32 v22, v24, v26
	v_sub_f32_e32 v25, v23, v22
	v_pk_add_f32 v[28:29], v[22:23], v[24:25] neg_lo:[0,1] neg_hi:[0,1]
	v_mov_b32_e32 v27, v22
	v_pk_add_f32 v[22:23], v[28:29], v[26:27] neg_lo:[0,1] neg_hi:[0,1]
	v_cvt_f32_i32_e32 v24, v34
	v_add_f32_e32 v23, v35, v23
	v_add_f32_e32 v22, v22, v23
	;; [unrolled: 1-line block ×4, first 2 shown]
	v_sub_f32_e32 v23, v25, v39
	v_mul_f32_e32 v22, v37, v22
	v_sub_f32_e32 v23, v38, v23
	v_add_f32_e32 v22, v23, v22
	v_add_f32_e32 v26, v25, v22
	v_mul_f32_e32 v28, v26, v26
	v_mov_b32_e32 v23, 0x3ecc95a3
	v_sub_f32_e32 v25, v26, v25
	v_fmac_f32_e32 v23, 0x3e9b6dac, v28
	v_sub_f32_e32 v22, v22, v25
	v_fmaak_f32 v23, v28, v23, 0x3f2aaada
	v_ldexp_f32 v29, v22, 1
	v_mul_f32_e32 v25, v26, v28
	v_mov_b32_e32 v22, 0x3f317218
	v_pk_mul_f32 v[22:23], v[24:25], v[22:23]
	v_ldexp_f32 v27, v26, 1
	v_fma_f32 v25, v24, s19, -v22
	v_fmamk_f32 v26, v24, 0xb102e308, v25
	v_pk_add_f32 v[24:25], v[22:23], v[26:27]
	v_mov_b32_e32 v28, v22
	v_sub_f32_e32 v27, v25, v27
	v_sub_f32_e32 v27, v23, v27
	v_add_f32_e32 v29, v29, v27
	v_pk_add_f32 v[22:23], v[24:25], v[22:23] neg_lo:[0,1] neg_hi:[0,1]
	v_pk_add_f32 v[34:35], v[24:25], v[28:29]
	v_mov_b32_e32 v27, v24
	v_mov_b32_e32 v23, v35
	v_pk_add_f32 v[36:37], v[26:27], v[22:23] neg_lo:[0,1] neg_hi:[0,1]
	v_pk_add_f32 v[22:23], v[26:27], v[22:23]
	v_mov_b32_e32 v28, v29
	v_pk_add_f32 v[26:27], v[22:23], v[24:25] op_sel:[1,0] op_sel_hi:[0,1] neg_lo:[0,1] neg_hi:[0,1]
	v_pk_add_f32 v[38:39], v[34:35], v[26:27] op_sel_hi:[1,0] neg_lo:[0,1] neg_hi:[0,1]
	v_mov_b32_e32 v34, v35
	v_mov_b32_e32 v35, v23
	v_pk_mov_b32 v[26:27], v[24:25], v[26:27] op_sel:[1,0]
	v_mov_b32_e32 v29, v24
	v_pk_add_f32 v[26:27], v[34:35], v[26:27] neg_lo:[0,1] neg_hi:[0,1]
	v_mov_b32_e32 v38, v36
	v_pk_add_f32 v[24:25], v[28:29], v[26:27] neg_lo:[0,1] neg_hi:[0,1]
	v_mov_b32_e32 v37, v23
	v_pk_add_f32 v[26:27], v[38:39], v[24:25]
	s_mov_b32 s19, 0x33800000
	v_pk_add_f32 v[28:29], v[26:27], v[26:27] op_sel:[0,1] op_sel_hi:[1,0]
	s_nop 0
	v_pk_add_f32 v[22:23], v[22:23], v[28:29] op_sel:[1,0] op_sel_hi:[0,1]
	v_mov_b32_e32 v27, v22
	v_pk_add_f32 v[34:35], v[26:27], v[36:37] neg_lo:[0,1] neg_hi:[0,1]
	v_mov_b32_e32 v25, v28
	v_sub_f32_e32 v23, v26, v34
	v_pk_add_f32 v[24:25], v[24:25], v[34:35] neg_lo:[0,1] neg_hi:[0,1]
	v_sub_f32_e32 v23, v36, v23
	v_add_f32_e32 v23, v24, v23
	v_add_f32_e32 v23, v23, v25
	;; [unrolled: 1-line block ×3, first 2 shown]
	v_cndmask_b32_e32 v22, v40, v22, vcc
	v_cmp_lt_f32_e64 vcc, |v41|, s19
	s_nop 1
	v_cndmask_b32_e32 v22, v22, v41, vcc
	v_add_f32_e32 v22, v21, v22
.LBB503_220:
	s_or_b64 exec, exec, s[16:17]
	v_bfe_u32 v21, v22, 16, 1
	v_add3_u32 v21, v22, v21, s18
	v_and_b32_e32 v21, 0xffff0000, v21
	v_cmp_o_f32_e32 vcc, v22, v22
	s_movk_i32 s20, 0x1f8
	s_nop 0
	v_cndmask_b32_e32 v24, v20, v21, vcc
	v_mov_b32_e32 v20, 16
	v_lshlrev_b32_sdwa v7, v20, v7 dst_sel:DWORD dst_unused:UNUSED_PAD src0_sel:DWORD src1_sel:WORD_1
	v_max_f32_e32 v22, v24, v24
	v_max_f32_e32 v21, v7, v7
	v_min_f32_e32 v23, v22, v21
	v_cmp_u_f32_e32 vcc, v24, v24
	v_max_f32_e32 v22, v22, v21
	v_cmp_u_f32_e64 s[16:17], v7, v7
	v_cndmask_b32_e32 v23, v23, v24, vcc
	v_cndmask_b32_e32 v22, v22, v24, vcc
	v_cndmask_b32_e64 v23, v23, v7, s[16:17]
	v_cndmask_b32_e64 v22, v22, v7, s[16:17]
	v_cmp_neq_f32_e32 vcc, v23, v22
	v_cmp_class_f32_e64 s[18:19], v23, s20
	s_or_b64 s[22:23], vcc, s[18:19]
	s_and_saveexec_b64 s[18:19], s[22:23]
	s_cbranch_execz .LBB503_222
; %bb.221:
	v_sub_f32_e32 v23, v23, v22
	s_mov_b32 s21, 0x3fb8aa3b
	v_mul_f32_e32 v24, 0x3fb8aa3b, v23
	v_fma_f32 v25, v23, s21, -v24
	v_rndne_f32_e32 v26, v24
	v_fmamk_f32 v25, v23, 0x32a5705f, v25
	v_sub_f32_e32 v24, v24, v26
	v_add_f32_e32 v24, v24, v25
	v_exp_f32_e32 v24, v24
	v_cvt_i32_f32_e32 v25, v26
	s_mov_b32 s21, 0xc2ce8ed0
	v_cmp_ngt_f32_e32 vcc, s21, v23
	s_mov_b32 s21, 0x42b17218
	v_ldexp_f32 v24, v24, v25
	v_cndmask_b32_e32 v24, 0, v24, vcc
	v_mov_b32_e32 v42, 0x7f800000
	v_cmp_nlt_f32_e32 vcc, s21, v23
	s_mov_b32 s21, 0x3f2aaaab
	s_mov_b32 s22, 0x7f800000
	v_cndmask_b32_e32 v23, v42, v24, vcc
	v_add_f32_e32 v26, 1.0, v23
	v_add_f32_e32 v24, -1.0, v26
	v_sub_f32_e32 v25, v24, v26
	v_add_f32_e32 v25, 1.0, v25
	v_sub_f32_e32 v24, v23, v24
	v_add_f32_e32 v27, v24, v25
	v_frexp_mant_f32_e32 v28, v26
	v_cvt_f64_f32_e32 v[24:25], v26
	v_frexp_exp_i32_f64_e32 v24, v[24:25]
	v_cmp_gt_f32_e32 vcc, s21, v28
	s_mov_b32 s21, 0x3f317218
	s_nop 0
	v_subbrev_co_u32_e32 v36, vcc, 0, v24, vcc
	v_sub_u32_e32 v24, 0, v36
	v_ldexp_f32 v25, v26, v24
	v_add_f32_e32 v26, -1.0, v25
	v_add_f32_e32 v28, 1.0, v25
	v_ldexp_f32 v24, v27, v24
	v_add_f32_e32 v27, 1.0, v26
	v_add_f32_e32 v29, -1.0, v28
	v_sub_f32_e32 v27, v25, v27
	v_sub_f32_e32 v25, v25, v29
	v_add_f32_e32 v27, v24, v27
	v_add_f32_e32 v24, v24, v25
	;; [unrolled: 1-line block ×3, first 2 shown]
	v_rcp_f32_e32 v39, v37
	v_sub_f32_e32 v25, v28, v37
	v_add_f32_e32 v38, v24, v25
	v_add_f32_e32 v25, v26, v27
	v_mul_f32_e32 v41, v25, v39
	v_sub_f32_e32 v24, v26, v25
	v_mul_f32_e32 v26, v37, v41
	v_fma_f32 v28, v41, v37, -v26
	v_fmac_f32_e32 v28, v41, v38
	v_add_f32_e32 v40, v27, v24
	v_add_f32_e32 v24, v26, v28
	v_sub_f32_e32 v27, v25, v24
	v_pk_add_f32 v[34:35], v[24:25], v[26:27] neg_lo:[0,1] neg_hi:[0,1]
	v_mov_b32_e32 v29, v24
	v_pk_add_f32 v[24:25], v[34:35], v[28:29] neg_lo:[0,1] neg_hi:[0,1]
	v_cmp_neq_f32_e32 vcc, s22, v23
	v_add_f32_e32 v25, v40, v25
	v_add_f32_e32 v24, v24, v25
	;; [unrolled: 1-line block ×3, first 2 shown]
	v_mul_f32_e32 v40, v39, v25
	v_mul_f32_e32 v26, v37, v40
	v_fma_f32 v28, v40, v37, -v26
	v_fmac_f32_e32 v28, v40, v38
	v_sub_f32_e32 v27, v27, v25
	v_add_f32_e32 v37, v24, v27
	v_add_f32_e32 v24, v26, v28
	v_sub_f32_e32 v27, v25, v24
	v_pk_add_f32 v[34:35], v[24:25], v[26:27] neg_lo:[0,1] neg_hi:[0,1]
	v_mov_b32_e32 v29, v24
	v_pk_add_f32 v[24:25], v[34:35], v[28:29] neg_lo:[0,1] neg_hi:[0,1]
	v_cvt_f32_i32_e32 v26, v36
	v_add_f32_e32 v25, v37, v25
	v_add_f32_e32 v24, v24, v25
	;; [unrolled: 1-line block ×4, first 2 shown]
	v_sub_f32_e32 v25, v27, v41
	v_mul_f32_e32 v24, v39, v24
	v_sub_f32_e32 v25, v40, v25
	v_add_f32_e32 v24, v25, v24
	v_add_f32_e32 v28, v27, v24
	v_mul_f32_e32 v34, v28, v28
	v_mov_b32_e32 v25, 0x3ecc95a3
	v_sub_f32_e32 v27, v28, v27
	v_fmac_f32_e32 v25, 0x3e9b6dac, v34
	v_sub_f32_e32 v24, v24, v27
	v_fmaak_f32 v25, v34, v25, 0x3f2aaada
	v_ldexp_f32 v35, v24, 1
	v_mul_f32_e32 v27, v28, v34
	v_mov_b32_e32 v24, 0x3f317218
	v_pk_mul_f32 v[24:25], v[26:27], v[24:25]
	v_ldexp_f32 v29, v28, 1
	v_fma_f32 v27, v26, s21, -v24
	v_fmamk_f32 v28, v26, 0xb102e308, v27
	v_pk_add_f32 v[26:27], v[24:25], v[28:29]
	v_mov_b32_e32 v34, v24
	v_sub_f32_e32 v29, v27, v29
	v_sub_f32_e32 v29, v25, v29
	v_add_f32_e32 v35, v35, v29
	v_pk_add_f32 v[24:25], v[26:27], v[24:25] neg_lo:[0,1] neg_hi:[0,1]
	v_pk_add_f32 v[36:37], v[26:27], v[34:35]
	v_mov_b32_e32 v29, v26
	v_mov_b32_e32 v25, v37
	v_pk_add_f32 v[38:39], v[28:29], v[24:25] neg_lo:[0,1] neg_hi:[0,1]
	v_pk_add_f32 v[24:25], v[28:29], v[24:25]
	v_mov_b32_e32 v34, v35
	v_pk_add_f32 v[28:29], v[24:25], v[26:27] op_sel:[1,0] op_sel_hi:[0,1] neg_lo:[0,1] neg_hi:[0,1]
	v_pk_add_f32 v[40:41], v[36:37], v[28:29] op_sel_hi:[1,0] neg_lo:[0,1] neg_hi:[0,1]
	v_mov_b32_e32 v36, v37
	v_mov_b32_e32 v37, v25
	v_pk_mov_b32 v[28:29], v[26:27], v[28:29] op_sel:[1,0]
	v_mov_b32_e32 v35, v26
	v_pk_add_f32 v[28:29], v[36:37], v[28:29] neg_lo:[0,1] neg_hi:[0,1]
	v_mov_b32_e32 v40, v38
	v_pk_add_f32 v[26:27], v[34:35], v[28:29] neg_lo:[0,1] neg_hi:[0,1]
	v_mov_b32_e32 v39, v25
	v_pk_add_f32 v[28:29], v[40:41], v[26:27]
	s_mov_b32 s21, 0x33800000
	v_pk_add_f32 v[34:35], v[28:29], v[28:29] op_sel:[0,1] op_sel_hi:[1,0]
	s_nop 0
	v_pk_add_f32 v[24:25], v[24:25], v[34:35] op_sel:[1,0] op_sel_hi:[0,1]
	v_mov_b32_e32 v29, v24
	v_pk_add_f32 v[36:37], v[28:29], v[38:39] neg_lo:[0,1] neg_hi:[0,1]
	v_mov_b32_e32 v27, v34
	v_sub_f32_e32 v25, v28, v36
	v_pk_add_f32 v[26:27], v[26:27], v[36:37] neg_lo:[0,1] neg_hi:[0,1]
	v_sub_f32_e32 v25, v38, v25
	v_add_f32_e32 v25, v26, v25
	v_add_f32_e32 v25, v25, v27
	;; [unrolled: 1-line block ×3, first 2 shown]
	v_cndmask_b32_e32 v24, v42, v24, vcc
	v_cmp_lt_f32_e64 vcc, |v23|, s21
	s_nop 1
	v_cndmask_b32_e32 v23, v24, v23, vcc
	v_add_f32_e32 v24, v22, v23
.LBB503_222:
	s_or_b64 exec, exec, s[18:19]
	v_bfe_u32 v22, v24, 16, 1
	s_movk_i32 s22, 0x7fff
	v_add3_u32 v22, v24, v22, s22
	v_and_b32_e32 v22, 0xffff0000, v22
	v_mov_b32_e32 v23, 0x7fc00000
	v_cmp_o_f32_e32 vcc, v24, v24
	v_lshlrev_b32_sdwa v20, v20, v4 dst_sel:DWORD dst_unused:UNUSED_PAD src0_sel:DWORD src1_sel:WORD_0
	v_cmp_u_f32_e64 s[18:19], v20, v20
	v_cndmask_b32_e32 v25, v23, v22, vcc
	v_max_f32_e32 v24, v25, v25
	v_max_f32_e32 v22, v20, v20
	v_min_f32_e32 v26, v24, v22
	v_cmp_u_f32_e32 vcc, v25, v25
	v_max_f32_e32 v24, v24, v22
	s_nop 0
	v_cndmask_b32_e32 v26, v26, v25, vcc
	v_cndmask_b32_e32 v24, v24, v25, vcc
	v_cndmask_b32_e64 v26, v26, v20, s[18:19]
	v_cndmask_b32_e64 v24, v24, v20, s[18:19]
	v_cmp_neq_f32_e32 vcc, v26, v24
	v_cmp_class_f32_e64 s[20:21], v26, s20
	s_or_b64 s[24:25], vcc, s[20:21]
	s_and_saveexec_b64 s[20:21], s[24:25]
	s_cbranch_execz .LBB503_224
; %bb.223:
	v_sub_f32_e32 v25, v26, v24
	s_mov_b32 s23, 0x3fb8aa3b
	v_mul_f32_e32 v26, 0x3fb8aa3b, v25
	v_fma_f32 v27, v25, s23, -v26
	v_rndne_f32_e32 v28, v26
	v_fmamk_f32 v27, v25, 0x32a5705f, v27
	v_sub_f32_e32 v26, v26, v28
	v_add_f32_e32 v26, v26, v27
	v_exp_f32_e32 v26, v26
	v_cvt_i32_f32_e32 v27, v28
	s_mov_b32 s23, 0xc2ce8ed0
	v_cmp_ngt_f32_e32 vcc, s23, v25
	s_mov_b32 s23, 0x42b17218
	v_ldexp_f32 v26, v26, v27
	v_cndmask_b32_e32 v26, 0, v26, vcc
	v_mov_b32_e32 v44, 0x7f800000
	v_cmp_nlt_f32_e32 vcc, s23, v25
	s_mov_b32 s23, 0x3f2aaaab
	s_mov_b32 s24, 0x7f800000
	v_cndmask_b32_e32 v25, v44, v26, vcc
	v_add_f32_e32 v28, 1.0, v25
	v_add_f32_e32 v26, -1.0, v28
	v_sub_f32_e32 v27, v26, v28
	v_add_f32_e32 v27, 1.0, v27
	v_sub_f32_e32 v26, v25, v26
	v_add_f32_e32 v29, v26, v27
	v_frexp_mant_f32_e32 v34, v28
	v_cvt_f64_f32_e32 v[26:27], v28
	v_frexp_exp_i32_f64_e32 v26, v[26:27]
	v_cmp_gt_f32_e32 vcc, s23, v34
	s_mov_b32 s23, 0x3f317218
	s_nop 0
	v_subbrev_co_u32_e32 v38, vcc, 0, v26, vcc
	v_sub_u32_e32 v26, 0, v38
	v_ldexp_f32 v27, v28, v26
	v_add_f32_e32 v28, -1.0, v27
	v_add_f32_e32 v34, 1.0, v27
	v_ldexp_f32 v26, v29, v26
	v_add_f32_e32 v29, 1.0, v28
	v_add_f32_e32 v35, -1.0, v34
	v_sub_f32_e32 v29, v27, v29
	v_sub_f32_e32 v27, v27, v35
	v_add_f32_e32 v29, v26, v29
	v_add_f32_e32 v26, v26, v27
	;; [unrolled: 1-line block ×3, first 2 shown]
	v_rcp_f32_e32 v41, v39
	v_sub_f32_e32 v27, v34, v39
	v_add_f32_e32 v40, v26, v27
	v_add_f32_e32 v27, v28, v29
	v_mul_f32_e32 v43, v27, v41
	v_sub_f32_e32 v26, v28, v27
	v_mul_f32_e32 v28, v39, v43
	v_fma_f32 v34, v43, v39, -v28
	v_fmac_f32_e32 v34, v43, v40
	v_add_f32_e32 v42, v29, v26
	v_add_f32_e32 v26, v28, v34
	v_sub_f32_e32 v29, v27, v26
	v_pk_add_f32 v[36:37], v[26:27], v[28:29] neg_lo:[0,1] neg_hi:[0,1]
	v_mov_b32_e32 v35, v26
	v_pk_add_f32 v[26:27], v[36:37], v[34:35] neg_lo:[0,1] neg_hi:[0,1]
	v_cmp_neq_f32_e32 vcc, s24, v25
	v_add_f32_e32 v27, v42, v27
	v_add_f32_e32 v26, v26, v27
	;; [unrolled: 1-line block ×3, first 2 shown]
	v_mul_f32_e32 v42, v41, v27
	v_mul_f32_e32 v28, v39, v42
	v_fma_f32 v34, v42, v39, -v28
	v_fmac_f32_e32 v34, v42, v40
	v_sub_f32_e32 v29, v29, v27
	v_add_f32_e32 v39, v26, v29
	v_add_f32_e32 v26, v28, v34
	v_sub_f32_e32 v29, v27, v26
	v_pk_add_f32 v[36:37], v[26:27], v[28:29] neg_lo:[0,1] neg_hi:[0,1]
	v_mov_b32_e32 v35, v26
	v_pk_add_f32 v[26:27], v[36:37], v[34:35] neg_lo:[0,1] neg_hi:[0,1]
	v_cvt_f32_i32_e32 v28, v38
	v_add_f32_e32 v27, v39, v27
	v_add_f32_e32 v26, v26, v27
	;; [unrolled: 1-line block ×4, first 2 shown]
	v_sub_f32_e32 v27, v29, v43
	v_mul_f32_e32 v26, v41, v26
	v_sub_f32_e32 v27, v42, v27
	v_add_f32_e32 v26, v27, v26
	v_add_f32_e32 v34, v29, v26
	v_mul_f32_e32 v36, v34, v34
	v_mov_b32_e32 v27, 0x3ecc95a3
	v_sub_f32_e32 v29, v34, v29
	v_fmac_f32_e32 v27, 0x3e9b6dac, v36
	v_sub_f32_e32 v26, v26, v29
	v_fmaak_f32 v27, v36, v27, 0x3f2aaada
	v_ldexp_f32 v37, v26, 1
	v_mul_f32_e32 v29, v34, v36
	v_mov_b32_e32 v26, 0x3f317218
	v_pk_mul_f32 v[26:27], v[28:29], v[26:27]
	v_ldexp_f32 v35, v34, 1
	v_fma_f32 v29, v28, s23, -v26
	v_fmamk_f32 v34, v28, 0xb102e308, v29
	v_pk_add_f32 v[28:29], v[26:27], v[34:35]
	v_mov_b32_e32 v36, v26
	v_sub_f32_e32 v35, v29, v35
	v_sub_f32_e32 v35, v27, v35
	v_add_f32_e32 v37, v37, v35
	v_pk_add_f32 v[26:27], v[28:29], v[26:27] neg_lo:[0,1] neg_hi:[0,1]
	v_pk_add_f32 v[38:39], v[28:29], v[36:37]
	v_mov_b32_e32 v35, v28
	v_mov_b32_e32 v27, v39
	v_pk_add_f32 v[40:41], v[34:35], v[26:27] neg_lo:[0,1] neg_hi:[0,1]
	v_pk_add_f32 v[26:27], v[34:35], v[26:27]
	v_mov_b32_e32 v36, v37
	v_pk_add_f32 v[34:35], v[26:27], v[28:29] op_sel:[1,0] op_sel_hi:[0,1] neg_lo:[0,1] neg_hi:[0,1]
	v_pk_add_f32 v[42:43], v[38:39], v[34:35] op_sel_hi:[1,0] neg_lo:[0,1] neg_hi:[0,1]
	v_mov_b32_e32 v38, v39
	v_mov_b32_e32 v39, v27
	v_pk_mov_b32 v[34:35], v[28:29], v[34:35] op_sel:[1,0]
	v_mov_b32_e32 v37, v28
	v_pk_add_f32 v[34:35], v[38:39], v[34:35] neg_lo:[0,1] neg_hi:[0,1]
	v_mov_b32_e32 v42, v40
	v_pk_add_f32 v[28:29], v[36:37], v[34:35] neg_lo:[0,1] neg_hi:[0,1]
	v_mov_b32_e32 v41, v27
	v_pk_add_f32 v[34:35], v[42:43], v[28:29]
	s_mov_b32 s23, 0x33800000
	v_pk_add_f32 v[36:37], v[34:35], v[34:35] op_sel:[0,1] op_sel_hi:[1,0]
	s_nop 0
	v_pk_add_f32 v[26:27], v[26:27], v[36:37] op_sel:[1,0] op_sel_hi:[0,1]
	v_mov_b32_e32 v35, v26
	v_pk_add_f32 v[38:39], v[34:35], v[40:41] neg_lo:[0,1] neg_hi:[0,1]
	v_mov_b32_e32 v29, v36
	v_sub_f32_e32 v27, v34, v38
	v_pk_add_f32 v[28:29], v[28:29], v[38:39] neg_lo:[0,1] neg_hi:[0,1]
	v_sub_f32_e32 v27, v40, v27
	v_add_f32_e32 v27, v28, v27
	v_add_f32_e32 v27, v27, v29
	v_add_f32_e32 v26, v26, v27
	v_cndmask_b32_e32 v26, v44, v26, vcc
	v_cmp_lt_f32_e64 vcc, |v25|, s23
	s_nop 1
	v_cndmask_b32_e32 v25, v26, v25, vcc
	v_add_f32_e32 v25, v24, v25
.LBB503_224:
	s_or_b64 exec, exec, s[20:21]
	v_bfe_u32 v24, v25, 16, 1
	v_add3_u32 v24, v25, v24, s22
	v_and_b32_e32 v24, 0xffff0000, v24
	v_cmp_o_f32_e32 vcc, v25, v25
	s_movk_i32 s24, 0x1f8
	s_nop 0
	v_cndmask_b32_e32 v27, v23, v24, vcc
	v_mov_b32_e32 v23, 16
	v_lshlrev_b32_sdwa v4, v23, v4 dst_sel:DWORD dst_unused:UNUSED_PAD src0_sel:DWORD src1_sel:WORD_1
	v_max_f32_e32 v25, v27, v27
	v_max_f32_e32 v24, v4, v4
	v_min_f32_e32 v26, v25, v24
	v_cmp_u_f32_e32 vcc, v27, v27
	v_max_f32_e32 v25, v25, v24
	v_cmp_u_f32_e64 s[20:21], v4, v4
	v_cndmask_b32_e32 v26, v26, v27, vcc
	v_cndmask_b32_e32 v25, v25, v27, vcc
	v_cndmask_b32_e64 v26, v26, v4, s[20:21]
	v_cndmask_b32_e64 v25, v25, v4, s[20:21]
	v_cmp_neq_f32_e32 vcc, v26, v25
	v_cmp_class_f32_e64 s[22:23], v26, s24
	s_or_b64 s[26:27], vcc, s[22:23]
	s_and_saveexec_b64 s[22:23], s[26:27]
	s_cbranch_execz .LBB503_226
; %bb.225:
	v_sub_f32_e32 v26, v26, v25
	s_mov_b32 s25, 0x3fb8aa3b
	v_mul_f32_e32 v27, 0x3fb8aa3b, v26
	v_fma_f32 v28, v26, s25, -v27
	v_rndne_f32_e32 v29, v27
	v_fmamk_f32 v28, v26, 0x32a5705f, v28
	v_sub_f32_e32 v27, v27, v29
	v_add_f32_e32 v27, v27, v28
	v_exp_f32_e32 v27, v27
	v_cvt_i32_f32_e32 v28, v29
	s_mov_b32 s25, 0xc2ce8ed0
	v_cmp_ngt_f32_e32 vcc, s25, v26
	s_mov_b32 s25, 0x42b17218
	v_ldexp_f32 v27, v27, v28
	v_cndmask_b32_e32 v27, 0, v27, vcc
	v_mov_b32_e32 v44, 0x7f800000
	v_cmp_nlt_f32_e32 vcc, s25, v26
	s_mov_b32 s25, 0x3f2aaaab
	s_mov_b32 s26, 0x7f800000
	v_cndmask_b32_e32 v45, v44, v27, vcc
	v_add_f32_e32 v28, 1.0, v45
	v_add_f32_e32 v26, -1.0, v28
	v_sub_f32_e32 v27, v26, v28
	v_add_f32_e32 v27, 1.0, v27
	v_sub_f32_e32 v26, v45, v26
	v_add_f32_e32 v29, v26, v27
	v_frexp_mant_f32_e32 v34, v28
	v_cvt_f64_f32_e32 v[26:27], v28
	v_frexp_exp_i32_f64_e32 v26, v[26:27]
	v_cmp_gt_f32_e32 vcc, s25, v34
	s_mov_b32 s25, 0x3f317218
	s_nop 0
	v_subbrev_co_u32_e32 v38, vcc, 0, v26, vcc
	v_sub_u32_e32 v26, 0, v38
	v_ldexp_f32 v27, v28, v26
	v_add_f32_e32 v28, -1.0, v27
	v_add_f32_e32 v34, 1.0, v27
	v_ldexp_f32 v26, v29, v26
	v_add_f32_e32 v29, 1.0, v28
	v_add_f32_e32 v35, -1.0, v34
	v_sub_f32_e32 v29, v27, v29
	v_sub_f32_e32 v27, v27, v35
	v_add_f32_e32 v29, v26, v29
	v_add_f32_e32 v26, v26, v27
	;; [unrolled: 1-line block ×3, first 2 shown]
	v_rcp_f32_e32 v41, v39
	v_sub_f32_e32 v27, v34, v39
	v_add_f32_e32 v40, v26, v27
	v_add_f32_e32 v27, v28, v29
	v_mul_f32_e32 v43, v27, v41
	v_sub_f32_e32 v26, v28, v27
	v_mul_f32_e32 v28, v39, v43
	v_fma_f32 v34, v43, v39, -v28
	v_fmac_f32_e32 v34, v43, v40
	v_add_f32_e32 v42, v29, v26
	v_add_f32_e32 v26, v28, v34
	v_sub_f32_e32 v29, v27, v26
	v_pk_add_f32 v[36:37], v[26:27], v[28:29] neg_lo:[0,1] neg_hi:[0,1]
	v_mov_b32_e32 v35, v26
	v_pk_add_f32 v[26:27], v[36:37], v[34:35] neg_lo:[0,1] neg_hi:[0,1]
	v_cmp_neq_f32_e32 vcc, s26, v45
	v_add_f32_e32 v27, v42, v27
	v_add_f32_e32 v26, v26, v27
	;; [unrolled: 1-line block ×3, first 2 shown]
	v_mul_f32_e32 v42, v41, v27
	v_mul_f32_e32 v28, v39, v42
	v_fma_f32 v34, v42, v39, -v28
	v_fmac_f32_e32 v34, v42, v40
	v_sub_f32_e32 v29, v29, v27
	v_add_f32_e32 v39, v26, v29
	v_add_f32_e32 v26, v28, v34
	v_sub_f32_e32 v29, v27, v26
	v_pk_add_f32 v[36:37], v[26:27], v[28:29] neg_lo:[0,1] neg_hi:[0,1]
	v_mov_b32_e32 v35, v26
	v_pk_add_f32 v[26:27], v[36:37], v[34:35] neg_lo:[0,1] neg_hi:[0,1]
	v_cvt_f32_i32_e32 v28, v38
	v_add_f32_e32 v27, v39, v27
	v_add_f32_e32 v26, v26, v27
	;; [unrolled: 1-line block ×4, first 2 shown]
	v_sub_f32_e32 v27, v29, v43
	v_mul_f32_e32 v26, v41, v26
	v_sub_f32_e32 v27, v42, v27
	v_add_f32_e32 v26, v27, v26
	v_add_f32_e32 v34, v29, v26
	v_mul_f32_e32 v36, v34, v34
	v_mov_b32_e32 v27, 0x3ecc95a3
	v_sub_f32_e32 v29, v34, v29
	v_fmac_f32_e32 v27, 0x3e9b6dac, v36
	v_sub_f32_e32 v26, v26, v29
	v_fmaak_f32 v27, v36, v27, 0x3f2aaada
	v_ldexp_f32 v37, v26, 1
	v_mul_f32_e32 v29, v34, v36
	v_mov_b32_e32 v26, 0x3f317218
	v_pk_mul_f32 v[26:27], v[28:29], v[26:27]
	v_ldexp_f32 v35, v34, 1
	v_fma_f32 v29, v28, s25, -v26
	v_fmamk_f32 v34, v28, 0xb102e308, v29
	v_pk_add_f32 v[28:29], v[26:27], v[34:35]
	v_mov_b32_e32 v36, v26
	v_sub_f32_e32 v35, v29, v35
	v_sub_f32_e32 v35, v27, v35
	v_add_f32_e32 v37, v37, v35
	v_pk_add_f32 v[26:27], v[28:29], v[26:27] neg_lo:[0,1] neg_hi:[0,1]
	v_pk_add_f32 v[38:39], v[28:29], v[36:37]
	v_mov_b32_e32 v35, v28
	v_mov_b32_e32 v27, v39
	v_pk_add_f32 v[40:41], v[34:35], v[26:27] neg_lo:[0,1] neg_hi:[0,1]
	v_pk_add_f32 v[26:27], v[34:35], v[26:27]
	v_mov_b32_e32 v36, v37
	v_pk_add_f32 v[34:35], v[26:27], v[28:29] op_sel:[1,0] op_sel_hi:[0,1] neg_lo:[0,1] neg_hi:[0,1]
	v_pk_add_f32 v[42:43], v[38:39], v[34:35] op_sel_hi:[1,0] neg_lo:[0,1] neg_hi:[0,1]
	v_mov_b32_e32 v38, v39
	v_mov_b32_e32 v39, v27
	v_pk_mov_b32 v[34:35], v[28:29], v[34:35] op_sel:[1,0]
	v_mov_b32_e32 v37, v28
	v_pk_add_f32 v[34:35], v[38:39], v[34:35] neg_lo:[0,1] neg_hi:[0,1]
	v_mov_b32_e32 v42, v40
	v_pk_add_f32 v[28:29], v[36:37], v[34:35] neg_lo:[0,1] neg_hi:[0,1]
	v_mov_b32_e32 v41, v27
	v_pk_add_f32 v[34:35], v[42:43], v[28:29]
	s_mov_b32 s25, 0x33800000
	v_pk_add_f32 v[36:37], v[34:35], v[34:35] op_sel:[0,1] op_sel_hi:[1,0]
	s_nop 0
	v_pk_add_f32 v[26:27], v[26:27], v[36:37] op_sel:[1,0] op_sel_hi:[0,1]
	v_mov_b32_e32 v35, v26
	v_pk_add_f32 v[38:39], v[34:35], v[40:41] neg_lo:[0,1] neg_hi:[0,1]
	v_mov_b32_e32 v29, v36
	v_sub_f32_e32 v27, v34, v38
	v_pk_add_f32 v[28:29], v[28:29], v[38:39] neg_lo:[0,1] neg_hi:[0,1]
	v_sub_f32_e32 v27, v40, v27
	v_add_f32_e32 v27, v28, v27
	v_add_f32_e32 v27, v27, v29
	;; [unrolled: 1-line block ×3, first 2 shown]
	v_cndmask_b32_e32 v26, v44, v26, vcc
	v_cmp_lt_f32_e64 vcc, |v45|, s25
	s_nop 1
	v_cndmask_b32_e32 v26, v26, v45, vcc
	v_add_f32_e32 v27, v25, v26
.LBB503_226:
	s_or_b64 exec, exec, s[22:23]
	v_bfe_u32 v25, v27, 16, 1
	s_movk_i32 s26, 0x7fff
	v_add3_u32 v25, v27, v25, s26
	v_and_b32_e32 v25, 0xffff0000, v25
	v_mov_b32_e32 v26, 0x7fc00000
	v_cmp_o_f32_e32 vcc, v27, v27
	v_lshlrev_b32_sdwa v23, v23, v5 dst_sel:DWORD dst_unused:UNUSED_PAD src0_sel:DWORD src1_sel:WORD_0
	v_cmp_u_f32_e64 s[22:23], v23, v23
	v_cndmask_b32_e32 v28, v26, v25, vcc
	v_max_f32_e32 v27, v28, v28
	v_max_f32_e32 v25, v23, v23
	v_min_f32_e32 v29, v27, v25
	v_cmp_u_f32_e32 vcc, v28, v28
	v_max_f32_e32 v27, v27, v25
	s_nop 0
	v_cndmask_b32_e32 v29, v29, v28, vcc
	v_cndmask_b32_e32 v27, v27, v28, vcc
	v_cndmask_b32_e64 v29, v29, v23, s[22:23]
	v_cndmask_b32_e64 v27, v27, v23, s[22:23]
	v_cmp_neq_f32_e32 vcc, v29, v27
	v_cmp_class_f32_e64 s[24:25], v29, s24
	s_or_b64 s[28:29], vcc, s[24:25]
	s_and_saveexec_b64 s[24:25], s[28:29]
	s_cbranch_execz .LBB503_228
; %bb.227:
	v_sub_f32_e32 v28, v29, v27
	s_mov_b32 s27, 0x3fb8aa3b
	v_mul_f32_e32 v29, 0x3fb8aa3b, v28
	v_fma_f32 v34, v28, s27, -v29
	v_rndne_f32_e32 v35, v29
	v_fmamk_f32 v34, v28, 0x32a5705f, v34
	v_sub_f32_e32 v29, v29, v35
	v_add_f32_e32 v29, v29, v34
	v_exp_f32_e32 v29, v29
	v_cvt_i32_f32_e32 v34, v35
	s_mov_b32 s27, 0xc2ce8ed0
	v_cmp_ngt_f32_e32 vcc, s27, v28
	s_mov_b32 s27, 0x42b17218
	v_ldexp_f32 v29, v29, v34
	v_cndmask_b32_e32 v29, 0, v29, vcc
	v_mov_b32_e32 v46, 0x7f800000
	v_cmp_nlt_f32_e32 vcc, s27, v28
	s_mov_b32 s27, 0x3f2aaaab
	s_mov_b32 s28, 0x7f800000
	v_cndmask_b32_e32 v47, v46, v29, vcc
	v_add_f32_e32 v34, 1.0, v47
	v_add_f32_e32 v28, -1.0, v34
	v_sub_f32_e32 v29, v28, v34
	v_add_f32_e32 v29, 1.0, v29
	v_sub_f32_e32 v28, v47, v28
	v_add_f32_e32 v35, v28, v29
	v_frexp_mant_f32_e32 v36, v34
	v_cvt_f64_f32_e32 v[28:29], v34
	v_frexp_exp_i32_f64_e32 v28, v[28:29]
	v_cmp_gt_f32_e32 vcc, s27, v36
	s_mov_b32 s27, 0x3f317218
	s_nop 0
	v_subbrev_co_u32_e32 v40, vcc, 0, v28, vcc
	v_sub_u32_e32 v28, 0, v40
	v_ldexp_f32 v29, v34, v28
	v_add_f32_e32 v34, -1.0, v29
	v_add_f32_e32 v36, 1.0, v29
	v_ldexp_f32 v28, v35, v28
	v_add_f32_e32 v35, 1.0, v34
	v_add_f32_e32 v37, -1.0, v36
	v_sub_f32_e32 v35, v29, v35
	v_sub_f32_e32 v29, v29, v37
	v_add_f32_e32 v35, v28, v35
	v_add_f32_e32 v28, v28, v29
	;; [unrolled: 1-line block ×3, first 2 shown]
	v_rcp_f32_e32 v43, v41
	v_sub_f32_e32 v29, v36, v41
	v_add_f32_e32 v42, v28, v29
	v_add_f32_e32 v29, v34, v35
	v_mul_f32_e32 v45, v29, v43
	v_sub_f32_e32 v28, v34, v29
	v_mul_f32_e32 v34, v41, v45
	v_fma_f32 v36, v45, v41, -v34
	v_fmac_f32_e32 v36, v45, v42
	v_add_f32_e32 v44, v35, v28
	v_add_f32_e32 v28, v34, v36
	v_sub_f32_e32 v35, v29, v28
	v_pk_add_f32 v[38:39], v[28:29], v[34:35] neg_lo:[0,1] neg_hi:[0,1]
	v_mov_b32_e32 v37, v28
	v_pk_add_f32 v[28:29], v[38:39], v[36:37] neg_lo:[0,1] neg_hi:[0,1]
	v_cmp_neq_f32_e32 vcc, s28, v47
	v_add_f32_e32 v29, v44, v29
	v_add_f32_e32 v28, v28, v29
	;; [unrolled: 1-line block ×3, first 2 shown]
	v_mul_f32_e32 v44, v43, v29
	v_mul_f32_e32 v34, v41, v44
	v_fma_f32 v36, v44, v41, -v34
	v_fmac_f32_e32 v36, v44, v42
	v_sub_f32_e32 v35, v35, v29
	v_add_f32_e32 v41, v28, v35
	v_add_f32_e32 v28, v34, v36
	v_sub_f32_e32 v35, v29, v28
	v_pk_add_f32 v[38:39], v[28:29], v[34:35] neg_lo:[0,1] neg_hi:[0,1]
	v_mov_b32_e32 v37, v28
	v_pk_add_f32 v[28:29], v[38:39], v[36:37] neg_lo:[0,1] neg_hi:[0,1]
	v_cvt_f32_i32_e32 v34, v40
	v_add_f32_e32 v29, v41, v29
	v_add_f32_e32 v28, v28, v29
	v_add_f32_e32 v28, v35, v28
	v_add_f32_e32 v35, v45, v44
	v_sub_f32_e32 v29, v35, v45
	v_mul_f32_e32 v28, v43, v28
	v_sub_f32_e32 v29, v44, v29
	v_add_f32_e32 v28, v29, v28
	v_add_f32_e32 v36, v35, v28
	v_mul_f32_e32 v38, v36, v36
	v_mov_b32_e32 v29, 0x3ecc95a3
	v_sub_f32_e32 v35, v36, v35
	v_fmac_f32_e32 v29, 0x3e9b6dac, v38
	v_sub_f32_e32 v28, v28, v35
	v_fmaak_f32 v29, v38, v29, 0x3f2aaada
	v_ldexp_f32 v39, v28, 1
	v_mul_f32_e32 v35, v36, v38
	v_mov_b32_e32 v28, 0x3f317218
	v_pk_mul_f32 v[28:29], v[34:35], v[28:29]
	v_ldexp_f32 v37, v36, 1
	v_fma_f32 v35, v34, s27, -v28
	v_fmamk_f32 v36, v34, 0xb102e308, v35
	v_pk_add_f32 v[34:35], v[28:29], v[36:37]
	v_mov_b32_e32 v38, v28
	v_sub_f32_e32 v37, v35, v37
	v_sub_f32_e32 v37, v29, v37
	v_add_f32_e32 v39, v39, v37
	v_pk_add_f32 v[28:29], v[34:35], v[28:29] neg_lo:[0,1] neg_hi:[0,1]
	v_pk_add_f32 v[40:41], v[34:35], v[38:39]
	v_mov_b32_e32 v37, v34
	v_mov_b32_e32 v29, v41
	v_pk_add_f32 v[42:43], v[36:37], v[28:29] neg_lo:[0,1] neg_hi:[0,1]
	v_pk_add_f32 v[28:29], v[36:37], v[28:29]
	v_mov_b32_e32 v38, v39
	v_pk_add_f32 v[36:37], v[28:29], v[34:35] op_sel:[1,0] op_sel_hi:[0,1] neg_lo:[0,1] neg_hi:[0,1]
	v_pk_add_f32 v[44:45], v[40:41], v[36:37] op_sel_hi:[1,0] neg_lo:[0,1] neg_hi:[0,1]
	v_mov_b32_e32 v40, v41
	v_mov_b32_e32 v41, v29
	v_pk_mov_b32 v[36:37], v[34:35], v[36:37] op_sel:[1,0]
	v_mov_b32_e32 v39, v34
	v_pk_add_f32 v[36:37], v[40:41], v[36:37] neg_lo:[0,1] neg_hi:[0,1]
	v_mov_b32_e32 v44, v42
	v_pk_add_f32 v[34:35], v[38:39], v[36:37] neg_lo:[0,1] neg_hi:[0,1]
	v_mov_b32_e32 v43, v29
	v_pk_add_f32 v[36:37], v[44:45], v[34:35]
	s_mov_b32 s27, 0x33800000
	v_pk_add_f32 v[38:39], v[36:37], v[36:37] op_sel:[0,1] op_sel_hi:[1,0]
	s_nop 0
	v_pk_add_f32 v[28:29], v[28:29], v[38:39] op_sel:[1,0] op_sel_hi:[0,1]
	v_mov_b32_e32 v37, v28
	v_pk_add_f32 v[40:41], v[36:37], v[42:43] neg_lo:[0,1] neg_hi:[0,1]
	v_mov_b32_e32 v35, v38
	v_sub_f32_e32 v29, v36, v40
	v_pk_add_f32 v[34:35], v[34:35], v[40:41] neg_lo:[0,1] neg_hi:[0,1]
	v_sub_f32_e32 v29, v42, v29
	v_add_f32_e32 v29, v34, v29
	v_add_f32_e32 v29, v29, v35
	;; [unrolled: 1-line block ×3, first 2 shown]
	v_cndmask_b32_e32 v28, v46, v28, vcc
	v_cmp_lt_f32_e64 vcc, |v47|, s27
	s_nop 1
	v_cndmask_b32_e32 v28, v28, v47, vcc
	v_add_f32_e32 v28, v27, v28
.LBB503_228:
	s_or_b64 exec, exec, s[24:25]
	v_bfe_u32 v27, v28, 16, 1
	v_add3_u32 v27, v28, v27, s26
	v_and_b32_e32 v27, 0xffff0000, v27
	v_cmp_o_f32_e32 vcc, v28, v28
	s_movk_i32 s28, 0x1f8
	s_nop 0
	v_cndmask_b32_e32 v34, v26, v27, vcc
	v_mov_b32_e32 v26, 16
	v_lshlrev_b32_sdwa v5, v26, v5 dst_sel:DWORD dst_unused:UNUSED_PAD src0_sel:DWORD src1_sel:WORD_1
	v_max_f32_e32 v28, v34, v34
	v_max_f32_e32 v27, v5, v5
	v_min_f32_e32 v29, v28, v27
	v_cmp_u_f32_e32 vcc, v34, v34
	v_max_f32_e32 v28, v28, v27
	v_cmp_u_f32_e64 s[24:25], v5, v5
	v_cndmask_b32_e32 v29, v29, v34, vcc
	v_cndmask_b32_e32 v28, v28, v34, vcc
	v_cndmask_b32_e64 v29, v29, v5, s[24:25]
	v_cndmask_b32_e64 v28, v28, v5, s[24:25]
	v_cmp_neq_f32_e32 vcc, v29, v28
	v_cmp_class_f32_e64 s[26:27], v29, s28
	s_or_b64 s[34:35], vcc, s[26:27]
	s_and_saveexec_b64 s[26:27], s[34:35]
	s_cbranch_execz .LBB503_230
; %bb.229:
	v_sub_f32_e32 v29, v29, v28
	s_mov_b32 s29, 0x3fb8aa3b
	v_mul_f32_e32 v34, 0x3fb8aa3b, v29
	v_fma_f32 v35, v29, s29, -v34
	v_rndne_f32_e32 v36, v34
	v_fmamk_f32 v35, v29, 0x32a5705f, v35
	v_sub_f32_e32 v34, v34, v36
	v_add_f32_e32 v34, v34, v35
	v_exp_f32_e32 v34, v34
	v_cvt_i32_f32_e32 v35, v36
	s_mov_b32 s29, 0xc2ce8ed0
	v_cmp_ngt_f32_e32 vcc, s29, v29
	s_mov_b32 s29, 0x42b17218
	v_ldexp_f32 v34, v34, v35
	v_cndmask_b32_e32 v34, 0, v34, vcc
	v_mov_b32_e32 v48, 0x7f800000
	v_cmp_nlt_f32_e32 vcc, s29, v29
	s_mov_b32 s29, 0x3f2aaaab
	s_mov_b32 s34, 0x7f800000
	v_cndmask_b32_e32 v29, v48, v34, vcc
	v_add_f32_e32 v36, 1.0, v29
	v_add_f32_e32 v34, -1.0, v36
	v_sub_f32_e32 v35, v34, v36
	v_add_f32_e32 v35, 1.0, v35
	v_sub_f32_e32 v34, v29, v34
	v_add_f32_e32 v37, v34, v35
	v_frexp_mant_f32_e32 v38, v36
	v_cvt_f64_f32_e32 v[34:35], v36
	v_frexp_exp_i32_f64_e32 v34, v[34:35]
	v_cmp_gt_f32_e32 vcc, s29, v38
	s_mov_b32 s29, 0x3f317218
	s_nop 0
	v_subbrev_co_u32_e32 v42, vcc, 0, v34, vcc
	v_sub_u32_e32 v34, 0, v42
	v_ldexp_f32 v35, v36, v34
	v_add_f32_e32 v36, -1.0, v35
	v_add_f32_e32 v38, 1.0, v35
	v_ldexp_f32 v34, v37, v34
	v_add_f32_e32 v37, 1.0, v36
	v_add_f32_e32 v39, -1.0, v38
	v_sub_f32_e32 v37, v35, v37
	v_sub_f32_e32 v35, v35, v39
	v_add_f32_e32 v37, v34, v37
	v_add_f32_e32 v34, v34, v35
	;; [unrolled: 1-line block ×3, first 2 shown]
	v_rcp_f32_e32 v45, v43
	v_sub_f32_e32 v35, v38, v43
	v_add_f32_e32 v44, v34, v35
	v_add_f32_e32 v35, v36, v37
	v_mul_f32_e32 v47, v35, v45
	v_sub_f32_e32 v34, v36, v35
	v_mul_f32_e32 v36, v43, v47
	v_fma_f32 v38, v47, v43, -v36
	v_fmac_f32_e32 v38, v47, v44
	v_add_f32_e32 v46, v37, v34
	v_add_f32_e32 v34, v36, v38
	v_sub_f32_e32 v37, v35, v34
	v_pk_add_f32 v[40:41], v[34:35], v[36:37] neg_lo:[0,1] neg_hi:[0,1]
	v_mov_b32_e32 v39, v34
	v_pk_add_f32 v[34:35], v[40:41], v[38:39] neg_lo:[0,1] neg_hi:[0,1]
	v_cmp_neq_f32_e32 vcc, s34, v29
	v_add_f32_e32 v35, v46, v35
	v_add_f32_e32 v34, v34, v35
	;; [unrolled: 1-line block ×3, first 2 shown]
	v_mul_f32_e32 v46, v45, v35
	v_mul_f32_e32 v36, v43, v46
	v_fma_f32 v38, v46, v43, -v36
	v_fmac_f32_e32 v38, v46, v44
	v_sub_f32_e32 v37, v37, v35
	v_add_f32_e32 v43, v34, v37
	v_add_f32_e32 v34, v36, v38
	v_sub_f32_e32 v37, v35, v34
	v_pk_add_f32 v[40:41], v[34:35], v[36:37] neg_lo:[0,1] neg_hi:[0,1]
	v_mov_b32_e32 v39, v34
	v_pk_add_f32 v[34:35], v[40:41], v[38:39] neg_lo:[0,1] neg_hi:[0,1]
	v_cvt_f32_i32_e32 v36, v42
	v_add_f32_e32 v35, v43, v35
	v_add_f32_e32 v34, v34, v35
	;; [unrolled: 1-line block ×4, first 2 shown]
	v_sub_f32_e32 v35, v37, v47
	v_mul_f32_e32 v34, v45, v34
	v_sub_f32_e32 v35, v46, v35
	v_add_f32_e32 v34, v35, v34
	v_add_f32_e32 v38, v37, v34
	v_mul_f32_e32 v40, v38, v38
	v_mov_b32_e32 v35, 0x3ecc95a3
	v_sub_f32_e32 v37, v38, v37
	v_fmac_f32_e32 v35, 0x3e9b6dac, v40
	v_sub_f32_e32 v34, v34, v37
	v_fmaak_f32 v35, v40, v35, 0x3f2aaada
	v_ldexp_f32 v41, v34, 1
	v_mul_f32_e32 v37, v38, v40
	v_mov_b32_e32 v34, 0x3f317218
	v_pk_mul_f32 v[34:35], v[36:37], v[34:35]
	v_ldexp_f32 v39, v38, 1
	v_fma_f32 v37, v36, s29, -v34
	v_fmamk_f32 v38, v36, 0xb102e308, v37
	v_pk_add_f32 v[36:37], v[34:35], v[38:39]
	v_mov_b32_e32 v40, v34
	v_sub_f32_e32 v39, v37, v39
	v_sub_f32_e32 v39, v35, v39
	v_add_f32_e32 v41, v41, v39
	v_pk_add_f32 v[34:35], v[36:37], v[34:35] neg_lo:[0,1] neg_hi:[0,1]
	v_pk_add_f32 v[42:43], v[36:37], v[40:41]
	v_mov_b32_e32 v39, v36
	v_mov_b32_e32 v35, v43
	v_pk_add_f32 v[44:45], v[38:39], v[34:35] neg_lo:[0,1] neg_hi:[0,1]
	v_pk_add_f32 v[34:35], v[38:39], v[34:35]
	v_mov_b32_e32 v40, v41
	v_pk_add_f32 v[38:39], v[34:35], v[36:37] op_sel:[1,0] op_sel_hi:[0,1] neg_lo:[0,1] neg_hi:[0,1]
	v_pk_add_f32 v[46:47], v[42:43], v[38:39] op_sel_hi:[1,0] neg_lo:[0,1] neg_hi:[0,1]
	v_mov_b32_e32 v42, v43
	v_mov_b32_e32 v43, v35
	v_pk_mov_b32 v[38:39], v[36:37], v[38:39] op_sel:[1,0]
	v_mov_b32_e32 v41, v36
	v_pk_add_f32 v[38:39], v[42:43], v[38:39] neg_lo:[0,1] neg_hi:[0,1]
	v_mov_b32_e32 v46, v44
	v_pk_add_f32 v[36:37], v[40:41], v[38:39] neg_lo:[0,1] neg_hi:[0,1]
	v_mov_b32_e32 v45, v35
	v_pk_add_f32 v[38:39], v[46:47], v[36:37]
	s_mov_b32 s29, 0x33800000
	v_pk_add_f32 v[40:41], v[38:39], v[38:39] op_sel:[0,1] op_sel_hi:[1,0]
	s_nop 0
	v_pk_add_f32 v[34:35], v[34:35], v[40:41] op_sel:[1,0] op_sel_hi:[0,1]
	v_mov_b32_e32 v39, v34
	v_pk_add_f32 v[42:43], v[38:39], v[44:45] neg_lo:[0,1] neg_hi:[0,1]
	v_mov_b32_e32 v37, v40
	v_sub_f32_e32 v35, v38, v42
	v_pk_add_f32 v[36:37], v[36:37], v[42:43] neg_lo:[0,1] neg_hi:[0,1]
	v_sub_f32_e32 v35, v44, v35
	v_add_f32_e32 v35, v36, v35
	v_add_f32_e32 v35, v35, v37
	;; [unrolled: 1-line block ×3, first 2 shown]
	v_cndmask_b32_e32 v34, v48, v34, vcc
	v_cmp_lt_f32_e64 vcc, |v29|, s29
	s_nop 1
	v_cndmask_b32_e32 v29, v34, v29, vcc
	v_add_f32_e32 v34, v28, v29
.LBB503_230:
	s_or_b64 exec, exec, s[26:27]
	v_bfe_u32 v28, v34, 16, 1
	s_movk_i32 s34, 0x7fff
	v_add3_u32 v28, v34, v28, s34
	v_and_b32_e32 v28, 0xffff0000, v28
	v_mov_b32_e32 v29, 0x7fc00000
	v_cmp_o_f32_e32 vcc, v34, v34
	v_lshlrev_b32_sdwa v26, v26, v3 dst_sel:DWORD dst_unused:UNUSED_PAD src0_sel:DWORD src1_sel:WORD_0
	v_cmp_u_f32_e64 s[26:27], v26, v26
	v_cndmask_b32_e32 v35, v29, v28, vcc
	v_max_f32_e32 v34, v35, v35
	v_max_f32_e32 v28, v26, v26
	v_min_f32_e32 v36, v34, v28
	v_cmp_u_f32_e32 vcc, v35, v35
	v_max_f32_e32 v34, v34, v28
	s_nop 0
	v_cndmask_b32_e32 v36, v36, v35, vcc
	v_cndmask_b32_e32 v34, v34, v35, vcc
	v_cndmask_b32_e64 v36, v36, v26, s[26:27]
	v_cndmask_b32_e64 v34, v34, v26, s[26:27]
	v_cmp_neq_f32_e32 vcc, v36, v34
	v_cmp_class_f32_e64 s[28:29], v36, s28
	s_or_b64 s[36:37], vcc, s[28:29]
	s_and_saveexec_b64 s[28:29], s[36:37]
	s_cbranch_execz .LBB503_232
; %bb.231:
	v_sub_f32_e32 v35, v36, v34
	s_mov_b32 s35, 0x3fb8aa3b
	v_mul_f32_e32 v36, 0x3fb8aa3b, v35
	v_fma_f32 v37, v35, s35, -v36
	v_rndne_f32_e32 v38, v36
	v_fmamk_f32 v37, v35, 0x32a5705f, v37
	v_sub_f32_e32 v36, v36, v38
	v_add_f32_e32 v36, v36, v37
	v_exp_f32_e32 v36, v36
	v_cvt_i32_f32_e32 v37, v38
	s_mov_b32 s35, 0xc2ce8ed0
	v_cmp_ngt_f32_e32 vcc, s35, v35
	s_mov_b32 s35, 0x42b17218
	v_ldexp_f32 v36, v36, v37
	v_cndmask_b32_e32 v36, 0, v36, vcc
	v_mov_b32_e32 v50, 0x7f800000
	v_cmp_nlt_f32_e32 vcc, s35, v35
	s_mov_b32 s35, 0x3f2aaaab
	s_mov_b32 s36, 0x7f800000
	v_cndmask_b32_e32 v35, v50, v36, vcc
	v_add_f32_e32 v38, 1.0, v35
	v_add_f32_e32 v36, -1.0, v38
	v_sub_f32_e32 v37, v36, v38
	v_add_f32_e32 v37, 1.0, v37
	v_sub_f32_e32 v36, v35, v36
	v_add_f32_e32 v39, v36, v37
	v_frexp_mant_f32_e32 v40, v38
	v_cvt_f64_f32_e32 v[36:37], v38
	v_frexp_exp_i32_f64_e32 v36, v[36:37]
	v_cmp_gt_f32_e32 vcc, s35, v40
	s_mov_b32 s35, 0x3f317218
	s_nop 0
	v_subbrev_co_u32_e32 v44, vcc, 0, v36, vcc
	v_sub_u32_e32 v36, 0, v44
	v_ldexp_f32 v37, v38, v36
	v_add_f32_e32 v38, -1.0, v37
	v_add_f32_e32 v40, 1.0, v37
	v_ldexp_f32 v36, v39, v36
	v_add_f32_e32 v39, 1.0, v38
	v_add_f32_e32 v41, -1.0, v40
	v_sub_f32_e32 v39, v37, v39
	v_sub_f32_e32 v37, v37, v41
	v_add_f32_e32 v39, v36, v39
	v_add_f32_e32 v36, v36, v37
	;; [unrolled: 1-line block ×3, first 2 shown]
	v_rcp_f32_e32 v47, v45
	v_sub_f32_e32 v37, v40, v45
	v_add_f32_e32 v46, v36, v37
	v_add_f32_e32 v37, v38, v39
	v_mul_f32_e32 v49, v37, v47
	v_sub_f32_e32 v36, v38, v37
	v_mul_f32_e32 v38, v45, v49
	v_fma_f32 v40, v49, v45, -v38
	v_fmac_f32_e32 v40, v49, v46
	v_add_f32_e32 v48, v39, v36
	v_add_f32_e32 v36, v38, v40
	v_sub_f32_e32 v39, v37, v36
	v_pk_add_f32 v[42:43], v[36:37], v[38:39] neg_lo:[0,1] neg_hi:[0,1]
	v_mov_b32_e32 v41, v36
	v_pk_add_f32 v[36:37], v[42:43], v[40:41] neg_lo:[0,1] neg_hi:[0,1]
	v_cmp_neq_f32_e32 vcc, s36, v35
	v_add_f32_e32 v37, v48, v37
	v_add_f32_e32 v36, v36, v37
	;; [unrolled: 1-line block ×3, first 2 shown]
	v_mul_f32_e32 v48, v47, v37
	v_mul_f32_e32 v38, v45, v48
	v_fma_f32 v40, v48, v45, -v38
	v_fmac_f32_e32 v40, v48, v46
	v_sub_f32_e32 v39, v39, v37
	v_add_f32_e32 v45, v36, v39
	v_add_f32_e32 v36, v38, v40
	v_sub_f32_e32 v39, v37, v36
	v_pk_add_f32 v[42:43], v[36:37], v[38:39] neg_lo:[0,1] neg_hi:[0,1]
	v_mov_b32_e32 v41, v36
	v_pk_add_f32 v[36:37], v[42:43], v[40:41] neg_lo:[0,1] neg_hi:[0,1]
	v_cvt_f32_i32_e32 v38, v44
	v_add_f32_e32 v37, v45, v37
	v_add_f32_e32 v36, v36, v37
	;; [unrolled: 1-line block ×4, first 2 shown]
	v_sub_f32_e32 v37, v39, v49
	v_mul_f32_e32 v36, v47, v36
	v_sub_f32_e32 v37, v48, v37
	v_add_f32_e32 v36, v37, v36
	v_add_f32_e32 v40, v39, v36
	v_mul_f32_e32 v42, v40, v40
	v_mov_b32_e32 v37, 0x3ecc95a3
	v_sub_f32_e32 v39, v40, v39
	v_fmac_f32_e32 v37, 0x3e9b6dac, v42
	v_sub_f32_e32 v36, v36, v39
	v_fmaak_f32 v37, v42, v37, 0x3f2aaada
	v_ldexp_f32 v43, v36, 1
	v_mul_f32_e32 v39, v40, v42
	v_mov_b32_e32 v36, 0x3f317218
	v_pk_mul_f32 v[36:37], v[38:39], v[36:37]
	v_ldexp_f32 v41, v40, 1
	v_fma_f32 v39, v38, s35, -v36
	v_fmamk_f32 v40, v38, 0xb102e308, v39
	v_pk_add_f32 v[38:39], v[36:37], v[40:41]
	v_mov_b32_e32 v42, v36
	v_sub_f32_e32 v41, v39, v41
	v_sub_f32_e32 v41, v37, v41
	v_add_f32_e32 v43, v43, v41
	v_pk_add_f32 v[36:37], v[38:39], v[36:37] neg_lo:[0,1] neg_hi:[0,1]
	v_pk_add_f32 v[44:45], v[38:39], v[42:43]
	v_mov_b32_e32 v41, v38
	v_mov_b32_e32 v37, v45
	v_pk_add_f32 v[46:47], v[40:41], v[36:37] neg_lo:[0,1] neg_hi:[0,1]
	v_pk_add_f32 v[36:37], v[40:41], v[36:37]
	v_mov_b32_e32 v42, v43
	v_pk_add_f32 v[40:41], v[36:37], v[38:39] op_sel:[1,0] op_sel_hi:[0,1] neg_lo:[0,1] neg_hi:[0,1]
	v_pk_add_f32 v[48:49], v[44:45], v[40:41] op_sel_hi:[1,0] neg_lo:[0,1] neg_hi:[0,1]
	v_mov_b32_e32 v44, v45
	v_mov_b32_e32 v45, v37
	v_pk_mov_b32 v[40:41], v[38:39], v[40:41] op_sel:[1,0]
	v_mov_b32_e32 v43, v38
	v_pk_add_f32 v[40:41], v[44:45], v[40:41] neg_lo:[0,1] neg_hi:[0,1]
	v_mov_b32_e32 v48, v46
	v_pk_add_f32 v[38:39], v[42:43], v[40:41] neg_lo:[0,1] neg_hi:[0,1]
	v_mov_b32_e32 v47, v37
	v_pk_add_f32 v[40:41], v[48:49], v[38:39]
	s_mov_b32 s35, 0x33800000
	v_pk_add_f32 v[42:43], v[40:41], v[40:41] op_sel:[0,1] op_sel_hi:[1,0]
	s_nop 0
	v_pk_add_f32 v[36:37], v[36:37], v[42:43] op_sel:[1,0] op_sel_hi:[0,1]
	v_mov_b32_e32 v41, v36
	v_pk_add_f32 v[44:45], v[40:41], v[46:47] neg_lo:[0,1] neg_hi:[0,1]
	v_mov_b32_e32 v39, v42
	v_sub_f32_e32 v37, v40, v44
	v_pk_add_f32 v[38:39], v[38:39], v[44:45] neg_lo:[0,1] neg_hi:[0,1]
	v_sub_f32_e32 v37, v46, v37
	v_add_f32_e32 v37, v38, v37
	v_add_f32_e32 v37, v37, v39
	;; [unrolled: 1-line block ×3, first 2 shown]
	v_cndmask_b32_e32 v36, v50, v36, vcc
	v_cmp_lt_f32_e64 vcc, |v35|, s35
	s_nop 1
	v_cndmask_b32_e32 v35, v36, v35, vcc
	v_add_f32_e32 v35, v34, v35
.LBB503_232:
	s_or_b64 exec, exec, s[28:29]
	v_bfe_u32 v34, v35, 16, 1
	v_add3_u32 v34, v35, v34, s34
	v_and_b32_e32 v34, 0xffff0000, v34
	v_cmp_o_f32_e32 vcc, v35, v35
	s_movk_i32 s34, 0x1f8
	s_nop 0
	v_cndmask_b32_e32 v35, v29, v34, vcc
	v_mov_b32_e32 v29, 16
	v_lshlrev_b32_sdwa v3, v29, v3 dst_sel:DWORD dst_unused:UNUSED_PAD src0_sel:DWORD src1_sel:WORD_1
	v_max_f32_e32 v34, v35, v35
	v_max_f32_e32 v29, v3, v3
	v_min_f32_e32 v36, v34, v29
	v_cmp_u_f32_e32 vcc, v35, v35
	v_max_f32_e32 v34, v34, v29
	v_cmp_u_f32_e64 s[28:29], v3, v3
	v_cndmask_b32_e32 v36, v36, v35, vcc
	v_cndmask_b32_e32 v34, v34, v35, vcc
	v_cndmask_b32_e64 v36, v36, v3, s[28:29]
	v_cndmask_b32_e64 v34, v34, v3, s[28:29]
	v_cmp_neq_f32_e32 vcc, v36, v34
	v_cmp_class_f32_e64 s[34:35], v36, s34
	s_or_b64 s[36:37], vcc, s[34:35]
	s_and_saveexec_b64 s[34:35], s[36:37]
	s_cbranch_execz .LBB503_234
; %bb.233:
	v_sub_f32_e32 v35, v36, v34
	s_mov_b32 s36, 0x3fb8aa3b
	v_mul_f32_e32 v36, 0x3fb8aa3b, v35
	v_fma_f32 v37, v35, s36, -v36
	v_rndne_f32_e32 v38, v36
	v_fmamk_f32 v37, v35, 0x32a5705f, v37
	v_sub_f32_e32 v36, v36, v38
	v_add_f32_e32 v36, v36, v37
	v_exp_f32_e32 v36, v36
	v_cvt_i32_f32_e32 v37, v38
	s_mov_b32 s36, 0xc2ce8ed0
	v_cmp_ngt_f32_e32 vcc, s36, v35
	s_mov_b32 s36, 0x42b17218
	v_ldexp_f32 v36, v36, v37
	v_cndmask_b32_e32 v36, 0, v36, vcc
	v_mov_b32_e32 v50, 0x7f800000
	v_cmp_nlt_f32_e32 vcc, s36, v35
	s_mov_b32 s36, 0x3f2aaaab
	s_mov_b32 s37, 0x7f800000
	v_cndmask_b32_e32 v35, v50, v36, vcc
	v_add_f32_e32 v38, 1.0, v35
	v_add_f32_e32 v36, -1.0, v38
	v_sub_f32_e32 v37, v36, v38
	v_add_f32_e32 v37, 1.0, v37
	v_sub_f32_e32 v36, v35, v36
	v_add_f32_e32 v39, v36, v37
	v_frexp_mant_f32_e32 v40, v38
	v_cvt_f64_f32_e32 v[36:37], v38
	v_frexp_exp_i32_f64_e32 v36, v[36:37]
	v_cmp_gt_f32_e32 vcc, s36, v40
	s_mov_b32 s36, 0x3f317218
	s_nop 0
	v_subbrev_co_u32_e32 v44, vcc, 0, v36, vcc
	v_sub_u32_e32 v36, 0, v44
	v_ldexp_f32 v37, v38, v36
	v_add_f32_e32 v38, -1.0, v37
	v_add_f32_e32 v40, 1.0, v37
	v_ldexp_f32 v36, v39, v36
	v_add_f32_e32 v39, 1.0, v38
	v_add_f32_e32 v41, -1.0, v40
	v_sub_f32_e32 v39, v37, v39
	v_sub_f32_e32 v37, v37, v41
	v_add_f32_e32 v39, v36, v39
	v_add_f32_e32 v36, v36, v37
	;; [unrolled: 1-line block ×3, first 2 shown]
	v_rcp_f32_e32 v47, v45
	v_sub_f32_e32 v37, v40, v45
	v_add_f32_e32 v46, v36, v37
	v_add_f32_e32 v37, v38, v39
	v_mul_f32_e32 v49, v37, v47
	v_sub_f32_e32 v36, v38, v37
	v_mul_f32_e32 v38, v45, v49
	v_fma_f32 v40, v49, v45, -v38
	v_fmac_f32_e32 v40, v49, v46
	v_add_f32_e32 v48, v39, v36
	v_add_f32_e32 v36, v38, v40
	v_sub_f32_e32 v39, v37, v36
	v_pk_add_f32 v[42:43], v[36:37], v[38:39] neg_lo:[0,1] neg_hi:[0,1]
	v_mov_b32_e32 v41, v36
	v_pk_add_f32 v[36:37], v[42:43], v[40:41] neg_lo:[0,1] neg_hi:[0,1]
	v_cmp_neq_f32_e32 vcc, s37, v35
	v_add_f32_e32 v37, v48, v37
	v_add_f32_e32 v36, v36, v37
	v_add_f32_e32 v37, v39, v36
	v_mul_f32_e32 v48, v47, v37
	v_mul_f32_e32 v38, v45, v48
	v_fma_f32 v40, v48, v45, -v38
	v_fmac_f32_e32 v40, v48, v46
	v_sub_f32_e32 v39, v39, v37
	v_add_f32_e32 v45, v36, v39
	v_add_f32_e32 v36, v38, v40
	v_sub_f32_e32 v39, v37, v36
	v_pk_add_f32 v[42:43], v[36:37], v[38:39] neg_lo:[0,1] neg_hi:[0,1]
	v_mov_b32_e32 v41, v36
	v_pk_add_f32 v[36:37], v[42:43], v[40:41] neg_lo:[0,1] neg_hi:[0,1]
	v_cvt_f32_i32_e32 v38, v44
	v_add_f32_e32 v37, v45, v37
	v_add_f32_e32 v36, v36, v37
	;; [unrolled: 1-line block ×4, first 2 shown]
	v_sub_f32_e32 v37, v39, v49
	v_mul_f32_e32 v36, v47, v36
	v_sub_f32_e32 v37, v48, v37
	v_add_f32_e32 v36, v37, v36
	v_add_f32_e32 v40, v39, v36
	v_mul_f32_e32 v42, v40, v40
	v_mov_b32_e32 v37, 0x3ecc95a3
	v_sub_f32_e32 v39, v40, v39
	v_fmac_f32_e32 v37, 0x3e9b6dac, v42
	v_sub_f32_e32 v36, v36, v39
	v_fmaak_f32 v37, v42, v37, 0x3f2aaada
	v_ldexp_f32 v43, v36, 1
	v_mul_f32_e32 v39, v40, v42
	v_mov_b32_e32 v36, 0x3f317218
	v_pk_mul_f32 v[36:37], v[38:39], v[36:37]
	v_ldexp_f32 v41, v40, 1
	v_fma_f32 v39, v38, s36, -v36
	v_fmamk_f32 v40, v38, 0xb102e308, v39
	v_pk_add_f32 v[38:39], v[36:37], v[40:41]
	v_mov_b32_e32 v42, v36
	v_sub_f32_e32 v41, v39, v41
	v_sub_f32_e32 v41, v37, v41
	v_add_f32_e32 v43, v43, v41
	v_pk_add_f32 v[36:37], v[38:39], v[36:37] neg_lo:[0,1] neg_hi:[0,1]
	v_pk_add_f32 v[44:45], v[38:39], v[42:43]
	v_mov_b32_e32 v41, v38
	v_mov_b32_e32 v37, v45
	v_pk_add_f32 v[46:47], v[40:41], v[36:37] neg_lo:[0,1] neg_hi:[0,1]
	v_pk_add_f32 v[36:37], v[40:41], v[36:37]
	v_mov_b32_e32 v42, v43
	v_pk_add_f32 v[40:41], v[36:37], v[38:39] op_sel:[1,0] op_sel_hi:[0,1] neg_lo:[0,1] neg_hi:[0,1]
	v_pk_add_f32 v[48:49], v[44:45], v[40:41] op_sel_hi:[1,0] neg_lo:[0,1] neg_hi:[0,1]
	v_mov_b32_e32 v44, v45
	v_mov_b32_e32 v45, v37
	v_pk_mov_b32 v[40:41], v[38:39], v[40:41] op_sel:[1,0]
	v_mov_b32_e32 v43, v38
	v_pk_add_f32 v[40:41], v[44:45], v[40:41] neg_lo:[0,1] neg_hi:[0,1]
	v_mov_b32_e32 v48, v46
	v_pk_add_f32 v[38:39], v[42:43], v[40:41] neg_lo:[0,1] neg_hi:[0,1]
	v_mov_b32_e32 v47, v37
	v_pk_add_f32 v[40:41], v[48:49], v[38:39]
	s_mov_b32 s36, 0x33800000
	v_pk_add_f32 v[42:43], v[40:41], v[40:41] op_sel:[0,1] op_sel_hi:[1,0]
	s_nop 0
	v_pk_add_f32 v[36:37], v[36:37], v[42:43] op_sel:[1,0] op_sel_hi:[0,1]
	v_mov_b32_e32 v41, v36
	v_pk_add_f32 v[44:45], v[40:41], v[46:47] neg_lo:[0,1] neg_hi:[0,1]
	v_mov_b32_e32 v39, v42
	v_sub_f32_e32 v37, v40, v44
	v_pk_add_f32 v[38:39], v[38:39], v[44:45] neg_lo:[0,1] neg_hi:[0,1]
	v_sub_f32_e32 v37, v46, v37
	v_add_f32_e32 v37, v38, v37
	v_add_f32_e32 v37, v37, v39
	v_add_f32_e32 v36, v36, v37
	v_cndmask_b32_e32 v36, v50, v36, vcc
	v_cmp_lt_f32_e64 vcc, |v35|, s36
	s_nop 1
	v_cndmask_b32_e32 v35, v36, v35, vcc
	v_add_f32_e32 v35, v34, v35
.LBB503_234:
	s_or_b64 exec, exec, s[34:35]
	v_bfe_u32 v34, v35, 16, 1
	s_movk_i32 s34, 0x7fff
	v_add3_u32 v34, v35, v34, s34
	v_cmp_o_f32_e32 vcc, v35, v35
	v_mov_b32_e32 v35, 0x7fc0
	s_nop 0
	v_cndmask_b32_sdwa v36, v35, v34, vcc dst_sel:DWORD dst_unused:UNUSED_PAD src0_sel:DWORD src1_sel:WORD_1
	v_mbcnt_lo_u32_b32 v34, -1, 0
	v_mbcnt_hi_u32_b32 v34, -1, v34
	v_and_b32_e32 v35, 15, v34
	v_and_b32_e32 v37, 0xffff, v36
	v_cmp_ne_u32_e32 vcc, 0, v35
	s_nop 0
	v_mov_b32_dpp v38, v37 row_shr:1 row_mask:0xf bank_mask:0xf
	s_and_saveexec_b64 s[36:37], vcc
	s_cbranch_execz .LBB503_238
; %bb.235:
	v_lshlrev_b32_e32 v38, 16, v38
	v_lshlrev_b32_e32 v36, 16, v37
	v_max_f32_e32 v39, v36, v36
	v_max_f32_e32 v40, v38, v38
	v_min_f32_e32 v37, v40, v39
	v_cmp_u_f32_e32 vcc, v38, v38
	v_max_f32_e32 v39, v40, v39
	v_cmp_u_f32_e64 s[34:35], v36, v36
	v_cndmask_b32_e32 v37, v37, v38, vcc
	v_cndmask_b32_e32 v39, v39, v38, vcc
	v_cndmask_b32_e64 v37, v37, v36, s[34:35]
	v_cndmask_b32_e64 v36, v39, v36, s[34:35]
	s_movk_i32 s34, 0x1f8
	v_cmp_neq_f32_e32 vcc, v37, v36
	v_cmp_class_f32_e64 s[34:35], v37, s34
	s_or_b64 s[38:39], vcc, s[34:35]
	s_and_saveexec_b64 s[34:35], s[38:39]
	s_cbranch_execz .LBB503_237
; %bb.236:
	v_sub_f32_e32 v37, v37, v36
	s_mov_b32 s38, 0x3fb8aa3b
	v_mul_f32_e32 v38, 0x3fb8aa3b, v37
	v_fma_f32 v39, v37, s38, -v38
	v_rndne_f32_e32 v40, v38
	v_fmamk_f32 v39, v37, 0x32a5705f, v39
	v_sub_f32_e32 v38, v38, v40
	v_add_f32_e32 v38, v38, v39
	v_exp_f32_e32 v38, v38
	v_cvt_i32_f32_e32 v39, v40
	s_mov_b32 s38, 0xc2ce8ed0
	v_cmp_ngt_f32_e32 vcc, s38, v37
	s_mov_b32 s38, 0x42b17218
	v_ldexp_f32 v38, v38, v39
	v_cndmask_b32_e32 v38, 0, v38, vcc
	v_mov_b32_e32 v52, 0x7f800000
	v_cmp_nlt_f32_e32 vcc, s38, v37
	s_mov_b32 s38, 0x3f2aaaab
	s_mov_b32 s39, 0x7f800000
	v_cndmask_b32_e32 v37, v52, v38, vcc
	v_add_f32_e32 v40, 1.0, v37
	v_add_f32_e32 v38, -1.0, v40
	v_sub_f32_e32 v39, v38, v40
	v_add_f32_e32 v39, 1.0, v39
	v_sub_f32_e32 v38, v37, v38
	v_add_f32_e32 v41, v38, v39
	v_frexp_mant_f32_e32 v42, v40
	v_cvt_f64_f32_e32 v[38:39], v40
	v_frexp_exp_i32_f64_e32 v38, v[38:39]
	v_cmp_gt_f32_e32 vcc, s38, v42
	s_mov_b32 s38, 0x3f317218
	s_nop 0
	v_subbrev_co_u32_e32 v46, vcc, 0, v38, vcc
	v_sub_u32_e32 v38, 0, v46
	v_ldexp_f32 v39, v40, v38
	v_add_f32_e32 v40, -1.0, v39
	v_add_f32_e32 v42, 1.0, v39
	v_ldexp_f32 v38, v41, v38
	v_add_f32_e32 v41, 1.0, v40
	v_add_f32_e32 v43, -1.0, v42
	v_sub_f32_e32 v41, v39, v41
	v_sub_f32_e32 v39, v39, v43
	v_add_f32_e32 v41, v38, v41
	v_add_f32_e32 v38, v38, v39
	;; [unrolled: 1-line block ×3, first 2 shown]
	v_rcp_f32_e32 v49, v47
	v_sub_f32_e32 v39, v42, v47
	v_add_f32_e32 v48, v38, v39
	v_add_f32_e32 v39, v40, v41
	v_mul_f32_e32 v51, v39, v49
	v_sub_f32_e32 v38, v40, v39
	v_mul_f32_e32 v40, v47, v51
	v_fma_f32 v42, v51, v47, -v40
	v_fmac_f32_e32 v42, v51, v48
	v_add_f32_e32 v50, v41, v38
	v_add_f32_e32 v38, v40, v42
	v_sub_f32_e32 v41, v39, v38
	v_pk_add_f32 v[44:45], v[38:39], v[40:41] neg_lo:[0,1] neg_hi:[0,1]
	v_mov_b32_e32 v43, v38
	v_pk_add_f32 v[38:39], v[44:45], v[42:43] neg_lo:[0,1] neg_hi:[0,1]
	v_cmp_neq_f32_e32 vcc, s39, v37
	v_add_f32_e32 v39, v50, v39
	v_add_f32_e32 v38, v38, v39
	;; [unrolled: 1-line block ×3, first 2 shown]
	v_mul_f32_e32 v50, v49, v39
	v_mul_f32_e32 v40, v47, v50
	v_fma_f32 v42, v50, v47, -v40
	v_fmac_f32_e32 v42, v50, v48
	v_sub_f32_e32 v41, v41, v39
	v_add_f32_e32 v47, v38, v41
	v_add_f32_e32 v38, v40, v42
	v_sub_f32_e32 v41, v39, v38
	v_pk_add_f32 v[44:45], v[38:39], v[40:41] neg_lo:[0,1] neg_hi:[0,1]
	v_mov_b32_e32 v43, v38
	v_pk_add_f32 v[38:39], v[44:45], v[42:43] neg_lo:[0,1] neg_hi:[0,1]
	v_cvt_f32_i32_e32 v40, v46
	v_add_f32_e32 v39, v47, v39
	v_add_f32_e32 v38, v38, v39
	;; [unrolled: 1-line block ×4, first 2 shown]
	v_sub_f32_e32 v39, v41, v51
	v_mul_f32_e32 v38, v49, v38
	v_sub_f32_e32 v39, v50, v39
	v_add_f32_e32 v38, v39, v38
	v_add_f32_e32 v42, v41, v38
	v_mul_f32_e32 v44, v42, v42
	v_mov_b32_e32 v39, 0x3ecc95a3
	v_sub_f32_e32 v41, v42, v41
	v_fmac_f32_e32 v39, 0x3e9b6dac, v44
	v_sub_f32_e32 v38, v38, v41
	v_fmaak_f32 v39, v44, v39, 0x3f2aaada
	v_ldexp_f32 v45, v38, 1
	v_mul_f32_e32 v41, v42, v44
	v_mov_b32_e32 v38, 0x3f317218
	v_pk_mul_f32 v[38:39], v[40:41], v[38:39]
	v_ldexp_f32 v43, v42, 1
	v_fma_f32 v41, v40, s38, -v38
	v_fmamk_f32 v42, v40, 0xb102e308, v41
	v_pk_add_f32 v[40:41], v[38:39], v[42:43]
	v_mov_b32_e32 v44, v38
	v_sub_f32_e32 v43, v41, v43
	v_sub_f32_e32 v43, v39, v43
	v_add_f32_e32 v45, v45, v43
	v_pk_add_f32 v[38:39], v[40:41], v[38:39] neg_lo:[0,1] neg_hi:[0,1]
	v_pk_add_f32 v[46:47], v[40:41], v[44:45]
	v_mov_b32_e32 v43, v40
	v_mov_b32_e32 v39, v47
	v_pk_add_f32 v[48:49], v[42:43], v[38:39] neg_lo:[0,1] neg_hi:[0,1]
	v_pk_add_f32 v[38:39], v[42:43], v[38:39]
	v_mov_b32_e32 v44, v45
	v_pk_add_f32 v[42:43], v[38:39], v[40:41] op_sel:[1,0] op_sel_hi:[0,1] neg_lo:[0,1] neg_hi:[0,1]
	v_pk_add_f32 v[50:51], v[46:47], v[42:43] op_sel_hi:[1,0] neg_lo:[0,1] neg_hi:[0,1]
	v_mov_b32_e32 v46, v47
	v_mov_b32_e32 v47, v39
	v_pk_mov_b32 v[42:43], v[40:41], v[42:43] op_sel:[1,0]
	v_mov_b32_e32 v45, v40
	v_pk_add_f32 v[42:43], v[46:47], v[42:43] neg_lo:[0,1] neg_hi:[0,1]
	v_mov_b32_e32 v50, v48
	v_pk_add_f32 v[40:41], v[44:45], v[42:43] neg_lo:[0,1] neg_hi:[0,1]
	v_mov_b32_e32 v49, v39
	v_pk_add_f32 v[42:43], v[50:51], v[40:41]
	s_mov_b32 s38, 0x33800000
	v_pk_add_f32 v[44:45], v[42:43], v[42:43] op_sel:[0,1] op_sel_hi:[1,0]
	s_nop 0
	v_pk_add_f32 v[38:39], v[38:39], v[44:45] op_sel:[1,0] op_sel_hi:[0,1]
	v_mov_b32_e32 v43, v38
	v_pk_add_f32 v[46:47], v[42:43], v[48:49] neg_lo:[0,1] neg_hi:[0,1]
	v_mov_b32_e32 v41, v44
	v_sub_f32_e32 v39, v42, v46
	v_pk_add_f32 v[40:41], v[40:41], v[46:47] neg_lo:[0,1] neg_hi:[0,1]
	v_sub_f32_e32 v39, v48, v39
	v_add_f32_e32 v39, v40, v39
	v_add_f32_e32 v39, v39, v41
	;; [unrolled: 1-line block ×3, first 2 shown]
	v_cndmask_b32_e32 v38, v52, v38, vcc
	v_cmp_lt_f32_e64 vcc, |v37|, s38
	s_nop 1
	v_cndmask_b32_e32 v37, v38, v37, vcc
	v_add_f32_e32 v38, v36, v37
.LBB503_237:
	s_or_b64 exec, exec, s[34:35]
	v_bfe_u32 v36, v38, 16, 1
	s_movk_i32 s34, 0x7fff
	v_add3_u32 v36, v38, v36, s34
	v_cmp_o_f32_e32 vcc, v38, v38
	v_mov_b32_e32 v37, 0x7fc0
	s_nop 0
	v_cndmask_b32_sdwa v36, v37, v36, vcc dst_sel:DWORD dst_unused:UNUSED_PAD src0_sel:DWORD src1_sel:WORD_1
	v_and_b32_e32 v37, 0xffff, v36
.LBB503_238:
	s_or_b64 exec, exec, s[36:37]
	s_nop 0
	v_mov_b32_dpp v38, v37 row_shr:2 row_mask:0xf bank_mask:0xf
	v_cmp_lt_u32_e32 vcc, 1, v35
	s_and_saveexec_b64 s[36:37], vcc
	s_cbranch_execz .LBB503_242
; %bb.239:
	v_lshlrev_b32_e32 v38, 16, v38
	v_lshlrev_b32_e32 v36, 16, v37
	v_max_f32_e32 v39, v36, v36
	v_max_f32_e32 v40, v38, v38
	v_min_f32_e32 v37, v40, v39
	v_cmp_u_f32_e32 vcc, v38, v38
	v_max_f32_e32 v39, v40, v39
	v_cmp_u_f32_e64 s[34:35], v36, v36
	v_cndmask_b32_e32 v37, v37, v38, vcc
	v_cndmask_b32_e32 v39, v39, v38, vcc
	v_cndmask_b32_e64 v37, v37, v36, s[34:35]
	v_cndmask_b32_e64 v36, v39, v36, s[34:35]
	s_movk_i32 s34, 0x1f8
	v_cmp_neq_f32_e32 vcc, v37, v36
	v_cmp_class_f32_e64 s[34:35], v37, s34
	s_or_b64 s[38:39], vcc, s[34:35]
	s_and_saveexec_b64 s[34:35], s[38:39]
	s_cbranch_execz .LBB503_241
; %bb.240:
	v_sub_f32_e32 v37, v37, v36
	s_mov_b32 s38, 0x3fb8aa3b
	v_mul_f32_e32 v38, 0x3fb8aa3b, v37
	v_fma_f32 v39, v37, s38, -v38
	v_rndne_f32_e32 v40, v38
	v_fmamk_f32 v39, v37, 0x32a5705f, v39
	v_sub_f32_e32 v38, v38, v40
	v_add_f32_e32 v38, v38, v39
	v_exp_f32_e32 v38, v38
	v_cvt_i32_f32_e32 v39, v40
	s_mov_b32 s38, 0xc2ce8ed0
	v_cmp_ngt_f32_e32 vcc, s38, v37
	s_mov_b32 s38, 0x42b17218
	v_ldexp_f32 v38, v38, v39
	v_cndmask_b32_e32 v38, 0, v38, vcc
	v_mov_b32_e32 v52, 0x7f800000
	v_cmp_nlt_f32_e32 vcc, s38, v37
	s_mov_b32 s38, 0x3f2aaaab
	s_mov_b32 s39, 0x7f800000
	v_cndmask_b32_e32 v37, v52, v38, vcc
	v_add_f32_e32 v40, 1.0, v37
	v_add_f32_e32 v38, -1.0, v40
	v_sub_f32_e32 v39, v38, v40
	v_add_f32_e32 v39, 1.0, v39
	v_sub_f32_e32 v38, v37, v38
	v_add_f32_e32 v41, v38, v39
	v_frexp_mant_f32_e32 v42, v40
	v_cvt_f64_f32_e32 v[38:39], v40
	v_frexp_exp_i32_f64_e32 v38, v[38:39]
	v_cmp_gt_f32_e32 vcc, s38, v42
	s_mov_b32 s38, 0x3f317218
	s_nop 0
	v_subbrev_co_u32_e32 v46, vcc, 0, v38, vcc
	v_sub_u32_e32 v38, 0, v46
	v_ldexp_f32 v39, v40, v38
	v_add_f32_e32 v40, -1.0, v39
	v_add_f32_e32 v42, 1.0, v39
	v_ldexp_f32 v38, v41, v38
	v_add_f32_e32 v41, 1.0, v40
	v_add_f32_e32 v43, -1.0, v42
	v_sub_f32_e32 v41, v39, v41
	v_sub_f32_e32 v39, v39, v43
	v_add_f32_e32 v41, v38, v41
	v_add_f32_e32 v38, v38, v39
	;; [unrolled: 1-line block ×3, first 2 shown]
	v_rcp_f32_e32 v49, v47
	v_sub_f32_e32 v39, v42, v47
	v_add_f32_e32 v48, v38, v39
	v_add_f32_e32 v39, v40, v41
	v_mul_f32_e32 v51, v39, v49
	v_sub_f32_e32 v38, v40, v39
	v_mul_f32_e32 v40, v47, v51
	v_fma_f32 v42, v51, v47, -v40
	v_fmac_f32_e32 v42, v51, v48
	v_add_f32_e32 v50, v41, v38
	v_add_f32_e32 v38, v40, v42
	v_sub_f32_e32 v41, v39, v38
	v_pk_add_f32 v[44:45], v[38:39], v[40:41] neg_lo:[0,1] neg_hi:[0,1]
	v_mov_b32_e32 v43, v38
	v_pk_add_f32 v[38:39], v[44:45], v[42:43] neg_lo:[0,1] neg_hi:[0,1]
	v_cmp_neq_f32_e32 vcc, s39, v37
	v_add_f32_e32 v39, v50, v39
	v_add_f32_e32 v38, v38, v39
	;; [unrolled: 1-line block ×3, first 2 shown]
	v_mul_f32_e32 v50, v49, v39
	v_mul_f32_e32 v40, v47, v50
	v_fma_f32 v42, v50, v47, -v40
	v_fmac_f32_e32 v42, v50, v48
	v_sub_f32_e32 v41, v41, v39
	v_add_f32_e32 v47, v38, v41
	v_add_f32_e32 v38, v40, v42
	v_sub_f32_e32 v41, v39, v38
	v_pk_add_f32 v[44:45], v[38:39], v[40:41] neg_lo:[0,1] neg_hi:[0,1]
	v_mov_b32_e32 v43, v38
	v_pk_add_f32 v[38:39], v[44:45], v[42:43] neg_lo:[0,1] neg_hi:[0,1]
	v_cvt_f32_i32_e32 v40, v46
	v_add_f32_e32 v39, v47, v39
	v_add_f32_e32 v38, v38, v39
	;; [unrolled: 1-line block ×4, first 2 shown]
	v_sub_f32_e32 v39, v41, v51
	v_mul_f32_e32 v38, v49, v38
	v_sub_f32_e32 v39, v50, v39
	v_add_f32_e32 v38, v39, v38
	v_add_f32_e32 v42, v41, v38
	v_mul_f32_e32 v44, v42, v42
	v_mov_b32_e32 v39, 0x3ecc95a3
	v_sub_f32_e32 v41, v42, v41
	v_fmac_f32_e32 v39, 0x3e9b6dac, v44
	v_sub_f32_e32 v38, v38, v41
	v_fmaak_f32 v39, v44, v39, 0x3f2aaada
	v_ldexp_f32 v45, v38, 1
	v_mul_f32_e32 v41, v42, v44
	v_mov_b32_e32 v38, 0x3f317218
	v_pk_mul_f32 v[38:39], v[40:41], v[38:39]
	v_ldexp_f32 v43, v42, 1
	v_fma_f32 v41, v40, s38, -v38
	v_fmamk_f32 v42, v40, 0xb102e308, v41
	v_pk_add_f32 v[40:41], v[38:39], v[42:43]
	v_mov_b32_e32 v44, v38
	v_sub_f32_e32 v43, v41, v43
	v_sub_f32_e32 v43, v39, v43
	v_add_f32_e32 v45, v45, v43
	v_pk_add_f32 v[38:39], v[40:41], v[38:39] neg_lo:[0,1] neg_hi:[0,1]
	v_pk_add_f32 v[46:47], v[40:41], v[44:45]
	v_mov_b32_e32 v43, v40
	v_mov_b32_e32 v39, v47
	v_pk_add_f32 v[48:49], v[42:43], v[38:39] neg_lo:[0,1] neg_hi:[0,1]
	v_pk_add_f32 v[38:39], v[42:43], v[38:39]
	v_mov_b32_e32 v44, v45
	v_pk_add_f32 v[42:43], v[38:39], v[40:41] op_sel:[1,0] op_sel_hi:[0,1] neg_lo:[0,1] neg_hi:[0,1]
	v_pk_add_f32 v[50:51], v[46:47], v[42:43] op_sel_hi:[1,0] neg_lo:[0,1] neg_hi:[0,1]
	v_mov_b32_e32 v46, v47
	v_mov_b32_e32 v47, v39
	v_pk_mov_b32 v[42:43], v[40:41], v[42:43] op_sel:[1,0]
	v_mov_b32_e32 v45, v40
	v_pk_add_f32 v[42:43], v[46:47], v[42:43] neg_lo:[0,1] neg_hi:[0,1]
	v_mov_b32_e32 v50, v48
	v_pk_add_f32 v[40:41], v[44:45], v[42:43] neg_lo:[0,1] neg_hi:[0,1]
	v_mov_b32_e32 v49, v39
	v_pk_add_f32 v[42:43], v[50:51], v[40:41]
	s_mov_b32 s38, 0x33800000
	v_pk_add_f32 v[44:45], v[42:43], v[42:43] op_sel:[0,1] op_sel_hi:[1,0]
	s_nop 0
	v_pk_add_f32 v[38:39], v[38:39], v[44:45] op_sel:[1,0] op_sel_hi:[0,1]
	v_mov_b32_e32 v43, v38
	v_pk_add_f32 v[46:47], v[42:43], v[48:49] neg_lo:[0,1] neg_hi:[0,1]
	v_mov_b32_e32 v41, v44
	v_sub_f32_e32 v39, v42, v46
	v_pk_add_f32 v[40:41], v[40:41], v[46:47] neg_lo:[0,1] neg_hi:[0,1]
	v_sub_f32_e32 v39, v48, v39
	v_add_f32_e32 v39, v40, v39
	v_add_f32_e32 v39, v39, v41
	;; [unrolled: 1-line block ×3, first 2 shown]
	v_cndmask_b32_e32 v38, v52, v38, vcc
	v_cmp_lt_f32_e64 vcc, |v37|, s38
	s_nop 1
	v_cndmask_b32_e32 v37, v38, v37, vcc
	v_add_f32_e32 v38, v36, v37
.LBB503_241:
	s_or_b64 exec, exec, s[34:35]
	v_bfe_u32 v36, v38, 16, 1
	s_movk_i32 s34, 0x7fff
	v_add3_u32 v36, v38, v36, s34
	v_cmp_o_f32_e32 vcc, v38, v38
	v_mov_b32_e32 v37, 0x7fc0
	s_nop 0
	v_cndmask_b32_sdwa v36, v37, v36, vcc dst_sel:DWORD dst_unused:UNUSED_PAD src0_sel:DWORD src1_sel:WORD_1
	v_and_b32_e32 v37, 0xffff, v36
.LBB503_242:
	s_or_b64 exec, exec, s[36:37]
	s_nop 0
	v_mov_b32_dpp v38, v37 row_shr:4 row_mask:0xf bank_mask:0xf
	v_cmp_lt_u32_e32 vcc, 3, v35
	s_and_saveexec_b64 s[36:37], vcc
	s_cbranch_execz .LBB503_246
; %bb.243:
	v_lshlrev_b32_e32 v38, 16, v38
	v_lshlrev_b32_e32 v36, 16, v37
	v_max_f32_e32 v39, v36, v36
	v_max_f32_e32 v40, v38, v38
	v_min_f32_e32 v37, v40, v39
	v_cmp_u_f32_e32 vcc, v38, v38
	v_max_f32_e32 v39, v40, v39
	v_cmp_u_f32_e64 s[34:35], v36, v36
	v_cndmask_b32_e32 v37, v37, v38, vcc
	v_cndmask_b32_e32 v39, v39, v38, vcc
	v_cndmask_b32_e64 v37, v37, v36, s[34:35]
	v_cndmask_b32_e64 v36, v39, v36, s[34:35]
	s_movk_i32 s34, 0x1f8
	v_cmp_neq_f32_e32 vcc, v37, v36
	v_cmp_class_f32_e64 s[34:35], v37, s34
	s_or_b64 s[38:39], vcc, s[34:35]
	s_and_saveexec_b64 s[34:35], s[38:39]
	s_cbranch_execz .LBB503_245
; %bb.244:
	v_sub_f32_e32 v37, v37, v36
	s_mov_b32 s38, 0x3fb8aa3b
	v_mul_f32_e32 v38, 0x3fb8aa3b, v37
	v_fma_f32 v39, v37, s38, -v38
	v_rndne_f32_e32 v40, v38
	v_fmamk_f32 v39, v37, 0x32a5705f, v39
	v_sub_f32_e32 v38, v38, v40
	v_add_f32_e32 v38, v38, v39
	v_exp_f32_e32 v38, v38
	v_cvt_i32_f32_e32 v39, v40
	s_mov_b32 s38, 0xc2ce8ed0
	v_cmp_ngt_f32_e32 vcc, s38, v37
	s_mov_b32 s38, 0x42b17218
	v_ldexp_f32 v38, v38, v39
	v_cndmask_b32_e32 v38, 0, v38, vcc
	v_mov_b32_e32 v52, 0x7f800000
	v_cmp_nlt_f32_e32 vcc, s38, v37
	s_mov_b32 s38, 0x3f2aaaab
	s_mov_b32 s39, 0x7f800000
	v_cndmask_b32_e32 v37, v52, v38, vcc
	v_add_f32_e32 v40, 1.0, v37
	v_add_f32_e32 v38, -1.0, v40
	v_sub_f32_e32 v39, v38, v40
	v_add_f32_e32 v39, 1.0, v39
	v_sub_f32_e32 v38, v37, v38
	v_add_f32_e32 v41, v38, v39
	v_frexp_mant_f32_e32 v42, v40
	v_cvt_f64_f32_e32 v[38:39], v40
	v_frexp_exp_i32_f64_e32 v38, v[38:39]
	v_cmp_gt_f32_e32 vcc, s38, v42
	s_mov_b32 s38, 0x3f317218
	s_nop 0
	v_subbrev_co_u32_e32 v46, vcc, 0, v38, vcc
	v_sub_u32_e32 v38, 0, v46
	v_ldexp_f32 v39, v40, v38
	v_add_f32_e32 v40, -1.0, v39
	v_add_f32_e32 v42, 1.0, v39
	v_ldexp_f32 v38, v41, v38
	v_add_f32_e32 v41, 1.0, v40
	v_add_f32_e32 v43, -1.0, v42
	v_sub_f32_e32 v41, v39, v41
	v_sub_f32_e32 v39, v39, v43
	v_add_f32_e32 v41, v38, v41
	v_add_f32_e32 v38, v38, v39
	;; [unrolled: 1-line block ×3, first 2 shown]
	v_rcp_f32_e32 v49, v47
	v_sub_f32_e32 v39, v42, v47
	v_add_f32_e32 v48, v38, v39
	v_add_f32_e32 v39, v40, v41
	v_mul_f32_e32 v51, v39, v49
	v_sub_f32_e32 v38, v40, v39
	v_mul_f32_e32 v40, v47, v51
	v_fma_f32 v42, v51, v47, -v40
	v_fmac_f32_e32 v42, v51, v48
	v_add_f32_e32 v50, v41, v38
	v_add_f32_e32 v38, v40, v42
	v_sub_f32_e32 v41, v39, v38
	v_pk_add_f32 v[44:45], v[38:39], v[40:41] neg_lo:[0,1] neg_hi:[0,1]
	v_mov_b32_e32 v43, v38
	v_pk_add_f32 v[38:39], v[44:45], v[42:43] neg_lo:[0,1] neg_hi:[0,1]
	v_cmp_neq_f32_e32 vcc, s39, v37
	v_add_f32_e32 v39, v50, v39
	v_add_f32_e32 v38, v38, v39
	;; [unrolled: 1-line block ×3, first 2 shown]
	v_mul_f32_e32 v50, v49, v39
	v_mul_f32_e32 v40, v47, v50
	v_fma_f32 v42, v50, v47, -v40
	v_fmac_f32_e32 v42, v50, v48
	v_sub_f32_e32 v41, v41, v39
	v_add_f32_e32 v47, v38, v41
	v_add_f32_e32 v38, v40, v42
	v_sub_f32_e32 v41, v39, v38
	v_pk_add_f32 v[44:45], v[38:39], v[40:41] neg_lo:[0,1] neg_hi:[0,1]
	v_mov_b32_e32 v43, v38
	v_pk_add_f32 v[38:39], v[44:45], v[42:43] neg_lo:[0,1] neg_hi:[0,1]
	v_cvt_f32_i32_e32 v40, v46
	v_add_f32_e32 v39, v47, v39
	v_add_f32_e32 v38, v38, v39
	;; [unrolled: 1-line block ×4, first 2 shown]
	v_sub_f32_e32 v39, v41, v51
	v_mul_f32_e32 v38, v49, v38
	v_sub_f32_e32 v39, v50, v39
	v_add_f32_e32 v38, v39, v38
	v_add_f32_e32 v42, v41, v38
	v_mul_f32_e32 v44, v42, v42
	v_mov_b32_e32 v39, 0x3ecc95a3
	v_sub_f32_e32 v41, v42, v41
	v_fmac_f32_e32 v39, 0x3e9b6dac, v44
	v_sub_f32_e32 v38, v38, v41
	v_fmaak_f32 v39, v44, v39, 0x3f2aaada
	v_ldexp_f32 v45, v38, 1
	v_mul_f32_e32 v41, v42, v44
	v_mov_b32_e32 v38, 0x3f317218
	v_pk_mul_f32 v[38:39], v[40:41], v[38:39]
	v_ldexp_f32 v43, v42, 1
	v_fma_f32 v41, v40, s38, -v38
	v_fmamk_f32 v42, v40, 0xb102e308, v41
	v_pk_add_f32 v[40:41], v[38:39], v[42:43]
	v_mov_b32_e32 v44, v38
	v_sub_f32_e32 v43, v41, v43
	v_sub_f32_e32 v43, v39, v43
	v_add_f32_e32 v45, v45, v43
	v_pk_add_f32 v[38:39], v[40:41], v[38:39] neg_lo:[0,1] neg_hi:[0,1]
	v_pk_add_f32 v[46:47], v[40:41], v[44:45]
	v_mov_b32_e32 v43, v40
	v_mov_b32_e32 v39, v47
	v_pk_add_f32 v[48:49], v[42:43], v[38:39] neg_lo:[0,1] neg_hi:[0,1]
	v_pk_add_f32 v[38:39], v[42:43], v[38:39]
	v_mov_b32_e32 v44, v45
	v_pk_add_f32 v[42:43], v[38:39], v[40:41] op_sel:[1,0] op_sel_hi:[0,1] neg_lo:[0,1] neg_hi:[0,1]
	v_pk_add_f32 v[50:51], v[46:47], v[42:43] op_sel_hi:[1,0] neg_lo:[0,1] neg_hi:[0,1]
	v_mov_b32_e32 v46, v47
	v_mov_b32_e32 v47, v39
	v_pk_mov_b32 v[42:43], v[40:41], v[42:43] op_sel:[1,0]
	v_mov_b32_e32 v45, v40
	v_pk_add_f32 v[42:43], v[46:47], v[42:43] neg_lo:[0,1] neg_hi:[0,1]
	v_mov_b32_e32 v50, v48
	v_pk_add_f32 v[40:41], v[44:45], v[42:43] neg_lo:[0,1] neg_hi:[0,1]
	v_mov_b32_e32 v49, v39
	v_pk_add_f32 v[42:43], v[50:51], v[40:41]
	s_mov_b32 s38, 0x33800000
	v_pk_add_f32 v[44:45], v[42:43], v[42:43] op_sel:[0,1] op_sel_hi:[1,0]
	s_nop 0
	v_pk_add_f32 v[38:39], v[38:39], v[44:45] op_sel:[1,0] op_sel_hi:[0,1]
	v_mov_b32_e32 v43, v38
	v_pk_add_f32 v[46:47], v[42:43], v[48:49] neg_lo:[0,1] neg_hi:[0,1]
	v_mov_b32_e32 v41, v44
	v_sub_f32_e32 v39, v42, v46
	v_pk_add_f32 v[40:41], v[40:41], v[46:47] neg_lo:[0,1] neg_hi:[0,1]
	v_sub_f32_e32 v39, v48, v39
	v_add_f32_e32 v39, v40, v39
	v_add_f32_e32 v39, v39, v41
	v_add_f32_e32 v38, v38, v39
	v_cndmask_b32_e32 v38, v52, v38, vcc
	v_cmp_lt_f32_e64 vcc, |v37|, s38
	s_nop 1
	v_cndmask_b32_e32 v37, v38, v37, vcc
	v_add_f32_e32 v38, v36, v37
.LBB503_245:
	s_or_b64 exec, exec, s[34:35]
	v_bfe_u32 v36, v38, 16, 1
	s_movk_i32 s34, 0x7fff
	v_add3_u32 v36, v38, v36, s34
	v_cmp_o_f32_e32 vcc, v38, v38
	v_mov_b32_e32 v37, 0x7fc0
	s_nop 0
	v_cndmask_b32_sdwa v36, v37, v36, vcc dst_sel:DWORD dst_unused:UNUSED_PAD src0_sel:DWORD src1_sel:WORD_1
	v_and_b32_e32 v37, 0xffff, v36
.LBB503_246:
	s_or_b64 exec, exec, s[36:37]
	s_nop 0
	v_mov_b32_dpp v38, v37 row_shr:8 row_mask:0xf bank_mask:0xf
	v_cmp_lt_u32_e32 vcc, 7, v35
	s_and_saveexec_b64 s[36:37], vcc
	s_cbranch_execz .LBB503_250
; %bb.247:
	v_lshlrev_b32_e32 v36, 16, v38
	v_lshlrev_b32_e32 v35, 16, v37
	v_max_f32_e32 v38, v35, v35
	v_max_f32_e32 v39, v36, v36
	v_min_f32_e32 v37, v39, v38
	v_cmp_u_f32_e32 vcc, v36, v36
	v_max_f32_e32 v38, v39, v38
	v_cmp_u_f32_e64 s[34:35], v35, v35
	v_cndmask_b32_e32 v37, v37, v36, vcc
	v_cndmask_b32_e32 v38, v38, v36, vcc
	v_cndmask_b32_e64 v37, v37, v35, s[34:35]
	v_cndmask_b32_e64 v35, v38, v35, s[34:35]
	s_movk_i32 s34, 0x1f8
	v_cmp_neq_f32_e32 vcc, v37, v35
	v_cmp_class_f32_e64 s[34:35], v37, s34
	s_or_b64 s[38:39], vcc, s[34:35]
	s_and_saveexec_b64 s[34:35], s[38:39]
	s_cbranch_execz .LBB503_249
; %bb.248:
	v_sub_f32_e32 v36, v37, v35
	s_mov_b32 s38, 0x3fb8aa3b
	v_mul_f32_e32 v37, 0x3fb8aa3b, v36
	v_fma_f32 v38, v36, s38, -v37
	v_rndne_f32_e32 v39, v37
	v_fmamk_f32 v38, v36, 0x32a5705f, v38
	v_sub_f32_e32 v37, v37, v39
	v_add_f32_e32 v37, v37, v38
	v_exp_f32_e32 v37, v37
	v_cvt_i32_f32_e32 v38, v39
	s_mov_b32 s38, 0xc2ce8ed0
	v_cmp_ngt_f32_e32 vcc, s38, v36
	s_mov_b32 s38, 0x42b17218
	v_ldexp_f32 v37, v37, v38
	v_cndmask_b32_e32 v37, 0, v37, vcc
	v_mov_b32_e32 v50, 0x7f800000
	v_cmp_nlt_f32_e32 vcc, s38, v36
	s_mov_b32 s38, 0x3f2aaaab
	s_mov_b32 s39, 0x7f800000
	v_cndmask_b32_e32 v51, v50, v37, vcc
	v_add_f32_e32 v38, 1.0, v51
	v_add_f32_e32 v36, -1.0, v38
	v_sub_f32_e32 v37, v36, v38
	v_add_f32_e32 v37, 1.0, v37
	v_sub_f32_e32 v36, v51, v36
	v_add_f32_e32 v39, v36, v37
	v_frexp_mant_f32_e32 v40, v38
	v_cvt_f64_f32_e32 v[36:37], v38
	v_frexp_exp_i32_f64_e32 v36, v[36:37]
	v_cmp_gt_f32_e32 vcc, s38, v40
	s_mov_b32 s38, 0x3f317218
	s_nop 0
	v_subbrev_co_u32_e32 v44, vcc, 0, v36, vcc
	v_sub_u32_e32 v36, 0, v44
	v_ldexp_f32 v37, v38, v36
	v_add_f32_e32 v38, -1.0, v37
	v_add_f32_e32 v40, 1.0, v37
	v_ldexp_f32 v36, v39, v36
	v_add_f32_e32 v39, 1.0, v38
	v_add_f32_e32 v41, -1.0, v40
	v_sub_f32_e32 v39, v37, v39
	v_sub_f32_e32 v37, v37, v41
	v_add_f32_e32 v39, v36, v39
	v_add_f32_e32 v36, v36, v37
	;; [unrolled: 1-line block ×3, first 2 shown]
	v_rcp_f32_e32 v47, v45
	v_sub_f32_e32 v37, v40, v45
	v_add_f32_e32 v46, v36, v37
	v_add_f32_e32 v37, v38, v39
	v_mul_f32_e32 v49, v37, v47
	v_sub_f32_e32 v36, v38, v37
	v_mul_f32_e32 v38, v45, v49
	v_fma_f32 v40, v49, v45, -v38
	v_fmac_f32_e32 v40, v49, v46
	v_add_f32_e32 v48, v39, v36
	v_add_f32_e32 v36, v38, v40
	v_sub_f32_e32 v39, v37, v36
	v_pk_add_f32 v[42:43], v[36:37], v[38:39] neg_lo:[0,1] neg_hi:[0,1]
	v_mov_b32_e32 v41, v36
	v_pk_add_f32 v[36:37], v[42:43], v[40:41] neg_lo:[0,1] neg_hi:[0,1]
	v_cmp_neq_f32_e32 vcc, s39, v51
	v_add_f32_e32 v37, v48, v37
	v_add_f32_e32 v36, v36, v37
	;; [unrolled: 1-line block ×3, first 2 shown]
	v_mul_f32_e32 v48, v47, v37
	v_mul_f32_e32 v38, v45, v48
	v_fma_f32 v40, v48, v45, -v38
	v_fmac_f32_e32 v40, v48, v46
	v_sub_f32_e32 v39, v39, v37
	v_add_f32_e32 v45, v36, v39
	v_add_f32_e32 v36, v38, v40
	v_sub_f32_e32 v39, v37, v36
	v_pk_add_f32 v[42:43], v[36:37], v[38:39] neg_lo:[0,1] neg_hi:[0,1]
	v_mov_b32_e32 v41, v36
	v_pk_add_f32 v[36:37], v[42:43], v[40:41] neg_lo:[0,1] neg_hi:[0,1]
	v_cvt_f32_i32_e32 v38, v44
	v_add_f32_e32 v37, v45, v37
	v_add_f32_e32 v36, v36, v37
	;; [unrolled: 1-line block ×4, first 2 shown]
	v_sub_f32_e32 v37, v39, v49
	v_mul_f32_e32 v36, v47, v36
	v_sub_f32_e32 v37, v48, v37
	v_add_f32_e32 v36, v37, v36
	v_add_f32_e32 v40, v39, v36
	v_mul_f32_e32 v42, v40, v40
	v_mov_b32_e32 v37, 0x3ecc95a3
	v_sub_f32_e32 v39, v40, v39
	v_fmac_f32_e32 v37, 0x3e9b6dac, v42
	v_sub_f32_e32 v36, v36, v39
	v_fmaak_f32 v37, v42, v37, 0x3f2aaada
	v_ldexp_f32 v43, v36, 1
	v_mul_f32_e32 v39, v40, v42
	v_mov_b32_e32 v36, 0x3f317218
	v_pk_mul_f32 v[36:37], v[38:39], v[36:37]
	v_ldexp_f32 v41, v40, 1
	v_fma_f32 v39, v38, s38, -v36
	v_fmamk_f32 v40, v38, 0xb102e308, v39
	v_pk_add_f32 v[38:39], v[36:37], v[40:41]
	v_mov_b32_e32 v42, v36
	v_sub_f32_e32 v41, v39, v41
	v_sub_f32_e32 v41, v37, v41
	v_add_f32_e32 v43, v43, v41
	v_pk_add_f32 v[36:37], v[38:39], v[36:37] neg_lo:[0,1] neg_hi:[0,1]
	v_pk_add_f32 v[44:45], v[38:39], v[42:43]
	v_mov_b32_e32 v41, v38
	v_mov_b32_e32 v37, v45
	v_pk_add_f32 v[46:47], v[40:41], v[36:37] neg_lo:[0,1] neg_hi:[0,1]
	v_pk_add_f32 v[36:37], v[40:41], v[36:37]
	v_mov_b32_e32 v42, v43
	v_pk_add_f32 v[40:41], v[36:37], v[38:39] op_sel:[1,0] op_sel_hi:[0,1] neg_lo:[0,1] neg_hi:[0,1]
	v_pk_add_f32 v[48:49], v[44:45], v[40:41] op_sel_hi:[1,0] neg_lo:[0,1] neg_hi:[0,1]
	v_mov_b32_e32 v44, v45
	v_mov_b32_e32 v45, v37
	v_pk_mov_b32 v[40:41], v[38:39], v[40:41] op_sel:[1,0]
	v_mov_b32_e32 v43, v38
	v_pk_add_f32 v[40:41], v[44:45], v[40:41] neg_lo:[0,1] neg_hi:[0,1]
	v_mov_b32_e32 v48, v46
	v_pk_add_f32 v[38:39], v[42:43], v[40:41] neg_lo:[0,1] neg_hi:[0,1]
	v_mov_b32_e32 v47, v37
	v_pk_add_f32 v[40:41], v[48:49], v[38:39]
	s_mov_b32 s38, 0x33800000
	v_pk_add_f32 v[42:43], v[40:41], v[40:41] op_sel:[0,1] op_sel_hi:[1,0]
	s_nop 0
	v_pk_add_f32 v[36:37], v[36:37], v[42:43] op_sel:[1,0] op_sel_hi:[0,1]
	v_mov_b32_e32 v41, v36
	v_pk_add_f32 v[44:45], v[40:41], v[46:47] neg_lo:[0,1] neg_hi:[0,1]
	v_mov_b32_e32 v39, v42
	v_sub_f32_e32 v37, v40, v44
	v_pk_add_f32 v[38:39], v[38:39], v[44:45] neg_lo:[0,1] neg_hi:[0,1]
	v_sub_f32_e32 v37, v46, v37
	v_add_f32_e32 v37, v38, v37
	v_add_f32_e32 v37, v37, v39
	v_add_f32_e32 v36, v36, v37
	v_cndmask_b32_e32 v36, v50, v36, vcc
	v_cmp_lt_f32_e64 vcc, |v51|, s38
	s_nop 1
	v_cndmask_b32_e32 v36, v36, v51, vcc
	v_add_f32_e32 v36, v35, v36
.LBB503_249:
	s_or_b64 exec, exec, s[34:35]
	v_bfe_u32 v35, v36, 16, 1
	s_movk_i32 s34, 0x7fff
	v_add3_u32 v35, v36, v35, s34
	v_cmp_o_f32_e32 vcc, v36, v36
	v_mov_b32_e32 v36, 0x7fc0
	s_nop 0
	v_cndmask_b32_sdwa v36, v36, v35, vcc dst_sel:DWORD dst_unused:UNUSED_PAD src0_sel:DWORD src1_sel:WORD_1
	v_and_b32_e32 v37, 0xffff, v36
.LBB503_250:
	s_or_b64 exec, exec, s[36:37]
	v_and_b32_e32 v38, 16, v34
	v_mov_b32_dpp v35, v37 row_bcast:15 row_mask:0xf bank_mask:0xf
	v_cmp_ne_u32_e32 vcc, 0, v38
	s_and_saveexec_b64 s[36:37], vcc
	s_cbranch_execz .LBB503_254
; %bb.251:
	v_lshlrev_b32_e32 v36, 16, v35
	v_lshlrev_b32_e32 v35, 16, v37
	v_max_f32_e32 v38, v35, v35
	v_max_f32_e32 v39, v36, v36
	v_min_f32_e32 v37, v39, v38
	v_cmp_u_f32_e32 vcc, v36, v36
	v_max_f32_e32 v38, v39, v38
	v_cmp_u_f32_e64 s[34:35], v35, v35
	v_cndmask_b32_e32 v37, v37, v36, vcc
	v_cndmask_b32_e32 v38, v38, v36, vcc
	v_cndmask_b32_e64 v37, v37, v35, s[34:35]
	v_cndmask_b32_e64 v35, v38, v35, s[34:35]
	s_movk_i32 s34, 0x1f8
	v_cmp_neq_f32_e32 vcc, v37, v35
	v_cmp_class_f32_e64 s[34:35], v37, s34
	s_or_b64 s[38:39], vcc, s[34:35]
	s_and_saveexec_b64 s[34:35], s[38:39]
	s_cbranch_execz .LBB503_253
; %bb.252:
	v_sub_f32_e32 v36, v37, v35
	s_mov_b32 s38, 0x3fb8aa3b
	v_mul_f32_e32 v37, 0x3fb8aa3b, v36
	v_fma_f32 v38, v36, s38, -v37
	v_rndne_f32_e32 v39, v37
	v_fmamk_f32 v38, v36, 0x32a5705f, v38
	v_sub_f32_e32 v37, v37, v39
	v_add_f32_e32 v37, v37, v38
	v_exp_f32_e32 v37, v37
	v_cvt_i32_f32_e32 v38, v39
	s_mov_b32 s38, 0xc2ce8ed0
	v_cmp_ngt_f32_e32 vcc, s38, v36
	s_mov_b32 s38, 0x42b17218
	v_ldexp_f32 v37, v37, v38
	v_cndmask_b32_e32 v37, 0, v37, vcc
	v_mov_b32_e32 v50, 0x7f800000
	v_cmp_nlt_f32_e32 vcc, s38, v36
	s_mov_b32 s38, 0x3f2aaaab
	s_mov_b32 s39, 0x7f800000
	v_cndmask_b32_e32 v51, v50, v37, vcc
	v_add_f32_e32 v38, 1.0, v51
	v_add_f32_e32 v36, -1.0, v38
	v_sub_f32_e32 v37, v36, v38
	v_add_f32_e32 v37, 1.0, v37
	v_sub_f32_e32 v36, v51, v36
	v_add_f32_e32 v39, v36, v37
	v_frexp_mant_f32_e32 v40, v38
	v_cvt_f64_f32_e32 v[36:37], v38
	v_frexp_exp_i32_f64_e32 v36, v[36:37]
	v_cmp_gt_f32_e32 vcc, s38, v40
	s_mov_b32 s38, 0x3f317218
	s_nop 0
	v_subbrev_co_u32_e32 v44, vcc, 0, v36, vcc
	v_sub_u32_e32 v36, 0, v44
	v_ldexp_f32 v37, v38, v36
	v_add_f32_e32 v38, -1.0, v37
	v_add_f32_e32 v40, 1.0, v37
	v_ldexp_f32 v36, v39, v36
	v_add_f32_e32 v39, 1.0, v38
	v_add_f32_e32 v41, -1.0, v40
	v_sub_f32_e32 v39, v37, v39
	v_sub_f32_e32 v37, v37, v41
	v_add_f32_e32 v39, v36, v39
	v_add_f32_e32 v36, v36, v37
	v_add_f32_e32 v45, v40, v36
	v_rcp_f32_e32 v47, v45
	v_sub_f32_e32 v37, v40, v45
	v_add_f32_e32 v46, v36, v37
	v_add_f32_e32 v37, v38, v39
	v_mul_f32_e32 v49, v37, v47
	v_sub_f32_e32 v36, v38, v37
	v_mul_f32_e32 v38, v45, v49
	v_fma_f32 v40, v49, v45, -v38
	v_fmac_f32_e32 v40, v49, v46
	v_add_f32_e32 v48, v39, v36
	v_add_f32_e32 v36, v38, v40
	v_sub_f32_e32 v39, v37, v36
	v_pk_add_f32 v[42:43], v[36:37], v[38:39] neg_lo:[0,1] neg_hi:[0,1]
	v_mov_b32_e32 v41, v36
	v_pk_add_f32 v[36:37], v[42:43], v[40:41] neg_lo:[0,1] neg_hi:[0,1]
	v_cmp_neq_f32_e32 vcc, s39, v51
	v_add_f32_e32 v37, v48, v37
	v_add_f32_e32 v36, v36, v37
	;; [unrolled: 1-line block ×3, first 2 shown]
	v_mul_f32_e32 v48, v47, v37
	v_mul_f32_e32 v38, v45, v48
	v_fma_f32 v40, v48, v45, -v38
	v_fmac_f32_e32 v40, v48, v46
	v_sub_f32_e32 v39, v39, v37
	v_add_f32_e32 v45, v36, v39
	v_add_f32_e32 v36, v38, v40
	v_sub_f32_e32 v39, v37, v36
	v_pk_add_f32 v[42:43], v[36:37], v[38:39] neg_lo:[0,1] neg_hi:[0,1]
	v_mov_b32_e32 v41, v36
	v_pk_add_f32 v[36:37], v[42:43], v[40:41] neg_lo:[0,1] neg_hi:[0,1]
	v_cvt_f32_i32_e32 v38, v44
	v_add_f32_e32 v37, v45, v37
	v_add_f32_e32 v36, v36, v37
	;; [unrolled: 1-line block ×4, first 2 shown]
	v_sub_f32_e32 v37, v39, v49
	v_mul_f32_e32 v36, v47, v36
	v_sub_f32_e32 v37, v48, v37
	v_add_f32_e32 v36, v37, v36
	v_add_f32_e32 v40, v39, v36
	v_mul_f32_e32 v42, v40, v40
	v_mov_b32_e32 v37, 0x3ecc95a3
	v_sub_f32_e32 v39, v40, v39
	v_fmac_f32_e32 v37, 0x3e9b6dac, v42
	v_sub_f32_e32 v36, v36, v39
	v_fmaak_f32 v37, v42, v37, 0x3f2aaada
	v_ldexp_f32 v43, v36, 1
	v_mul_f32_e32 v39, v40, v42
	v_mov_b32_e32 v36, 0x3f317218
	v_pk_mul_f32 v[36:37], v[38:39], v[36:37]
	v_ldexp_f32 v41, v40, 1
	v_fma_f32 v39, v38, s38, -v36
	v_fmamk_f32 v40, v38, 0xb102e308, v39
	v_pk_add_f32 v[38:39], v[36:37], v[40:41]
	v_mov_b32_e32 v42, v36
	v_sub_f32_e32 v41, v39, v41
	v_sub_f32_e32 v41, v37, v41
	v_add_f32_e32 v43, v43, v41
	v_pk_add_f32 v[36:37], v[38:39], v[36:37] neg_lo:[0,1] neg_hi:[0,1]
	v_pk_add_f32 v[44:45], v[38:39], v[42:43]
	v_mov_b32_e32 v41, v38
	v_mov_b32_e32 v37, v45
	v_pk_add_f32 v[46:47], v[40:41], v[36:37] neg_lo:[0,1] neg_hi:[0,1]
	v_pk_add_f32 v[36:37], v[40:41], v[36:37]
	v_mov_b32_e32 v42, v43
	v_pk_add_f32 v[40:41], v[36:37], v[38:39] op_sel:[1,0] op_sel_hi:[0,1] neg_lo:[0,1] neg_hi:[0,1]
	v_pk_add_f32 v[48:49], v[44:45], v[40:41] op_sel_hi:[1,0] neg_lo:[0,1] neg_hi:[0,1]
	v_mov_b32_e32 v44, v45
	v_mov_b32_e32 v45, v37
	v_pk_mov_b32 v[40:41], v[38:39], v[40:41] op_sel:[1,0]
	v_mov_b32_e32 v43, v38
	v_pk_add_f32 v[40:41], v[44:45], v[40:41] neg_lo:[0,1] neg_hi:[0,1]
	v_mov_b32_e32 v48, v46
	v_pk_add_f32 v[38:39], v[42:43], v[40:41] neg_lo:[0,1] neg_hi:[0,1]
	v_mov_b32_e32 v47, v37
	v_pk_add_f32 v[40:41], v[48:49], v[38:39]
	s_mov_b32 s38, 0x33800000
	v_pk_add_f32 v[42:43], v[40:41], v[40:41] op_sel:[0,1] op_sel_hi:[1,0]
	s_nop 0
	v_pk_add_f32 v[36:37], v[36:37], v[42:43] op_sel:[1,0] op_sel_hi:[0,1]
	v_mov_b32_e32 v41, v36
	v_pk_add_f32 v[44:45], v[40:41], v[46:47] neg_lo:[0,1] neg_hi:[0,1]
	v_mov_b32_e32 v39, v42
	v_sub_f32_e32 v37, v40, v44
	v_pk_add_f32 v[38:39], v[38:39], v[44:45] neg_lo:[0,1] neg_hi:[0,1]
	v_sub_f32_e32 v37, v46, v37
	v_add_f32_e32 v37, v38, v37
	v_add_f32_e32 v37, v37, v39
	;; [unrolled: 1-line block ×3, first 2 shown]
	v_cndmask_b32_e32 v36, v50, v36, vcc
	v_cmp_lt_f32_e64 vcc, |v51|, s38
	s_nop 1
	v_cndmask_b32_e32 v36, v36, v51, vcc
	v_add_f32_e32 v36, v35, v36
.LBB503_253:
	s_or_b64 exec, exec, s[34:35]
	v_bfe_u32 v35, v36, 16, 1
	s_movk_i32 s34, 0x7fff
	v_add3_u32 v35, v36, v35, s34
	v_cmp_o_f32_e32 vcc, v36, v36
	v_mov_b32_e32 v36, 0x7fc0
	s_nop 0
	v_cndmask_b32_sdwa v36, v36, v35, vcc dst_sel:DWORD dst_unused:UNUSED_PAD src0_sel:DWORD src1_sel:WORD_1
	v_and_b32_e32 v37, 0xffff, v36
.LBB503_254:
	s_or_b64 exec, exec, s[36:37]
	s_nop 0
	v_mov_b32_dpp v35, v37 row_bcast:31 row_mask:0xf bank_mask:0xf
	v_cmp_lt_u32_e32 vcc, 31, v34
	s_and_saveexec_b64 s[36:37], vcc
	s_cbranch_execz .LBB503_258
; %bb.255:
	v_lshlrev_b32_e32 v36, 16, v35
	v_lshlrev_b32_e32 v35, 16, v37
	v_max_f32_e32 v38, v35, v35
	v_max_f32_e32 v39, v36, v36
	v_min_f32_e32 v37, v39, v38
	v_cmp_u_f32_e32 vcc, v36, v36
	v_max_f32_e32 v38, v39, v38
	v_cmp_u_f32_e64 s[34:35], v35, v35
	v_cndmask_b32_e32 v37, v37, v36, vcc
	v_cndmask_b32_e32 v38, v38, v36, vcc
	v_cndmask_b32_e64 v37, v37, v35, s[34:35]
	v_cndmask_b32_e64 v35, v38, v35, s[34:35]
	s_movk_i32 s34, 0x1f8
	v_cmp_neq_f32_e32 vcc, v37, v35
	v_cmp_class_f32_e64 s[34:35], v37, s34
	s_or_b64 s[38:39], vcc, s[34:35]
	s_and_saveexec_b64 s[34:35], s[38:39]
	s_cbranch_execz .LBB503_257
; %bb.256:
	v_sub_f32_e32 v36, v37, v35
	s_mov_b32 s38, 0x3fb8aa3b
	v_mul_f32_e32 v37, 0x3fb8aa3b, v36
	v_fma_f32 v38, v36, s38, -v37
	v_rndne_f32_e32 v39, v37
	v_fmamk_f32 v38, v36, 0x32a5705f, v38
	v_sub_f32_e32 v37, v37, v39
	v_add_f32_e32 v37, v37, v38
	v_exp_f32_e32 v37, v37
	v_cvt_i32_f32_e32 v38, v39
	s_mov_b32 s38, 0xc2ce8ed0
	v_cmp_ngt_f32_e32 vcc, s38, v36
	s_mov_b32 s38, 0x42b17218
	v_ldexp_f32 v37, v37, v38
	v_cndmask_b32_e32 v37, 0, v37, vcc
	v_mov_b32_e32 v50, 0x7f800000
	v_cmp_nlt_f32_e32 vcc, s38, v36
	s_mov_b32 s38, 0x3f2aaaab
	s_mov_b32 s39, 0x7f800000
	v_cndmask_b32_e32 v51, v50, v37, vcc
	v_add_f32_e32 v38, 1.0, v51
	v_add_f32_e32 v36, -1.0, v38
	v_sub_f32_e32 v37, v36, v38
	v_add_f32_e32 v37, 1.0, v37
	v_sub_f32_e32 v36, v51, v36
	v_add_f32_e32 v39, v36, v37
	v_frexp_mant_f32_e32 v40, v38
	v_cvt_f64_f32_e32 v[36:37], v38
	v_frexp_exp_i32_f64_e32 v36, v[36:37]
	v_cmp_gt_f32_e32 vcc, s38, v40
	s_mov_b32 s38, 0x3f317218
	s_nop 0
	v_subbrev_co_u32_e32 v44, vcc, 0, v36, vcc
	v_sub_u32_e32 v36, 0, v44
	v_ldexp_f32 v37, v38, v36
	v_add_f32_e32 v38, -1.0, v37
	v_add_f32_e32 v40, 1.0, v37
	v_ldexp_f32 v36, v39, v36
	v_add_f32_e32 v39, 1.0, v38
	v_add_f32_e32 v41, -1.0, v40
	v_sub_f32_e32 v39, v37, v39
	v_sub_f32_e32 v37, v37, v41
	v_add_f32_e32 v39, v36, v39
	v_add_f32_e32 v36, v36, v37
	;; [unrolled: 1-line block ×3, first 2 shown]
	v_rcp_f32_e32 v47, v45
	v_sub_f32_e32 v37, v40, v45
	v_add_f32_e32 v46, v36, v37
	v_add_f32_e32 v37, v38, v39
	v_mul_f32_e32 v49, v37, v47
	v_sub_f32_e32 v36, v38, v37
	v_mul_f32_e32 v38, v45, v49
	v_fma_f32 v40, v49, v45, -v38
	v_fmac_f32_e32 v40, v49, v46
	v_add_f32_e32 v48, v39, v36
	v_add_f32_e32 v36, v38, v40
	v_sub_f32_e32 v39, v37, v36
	v_pk_add_f32 v[42:43], v[36:37], v[38:39] neg_lo:[0,1] neg_hi:[0,1]
	v_mov_b32_e32 v41, v36
	v_pk_add_f32 v[36:37], v[42:43], v[40:41] neg_lo:[0,1] neg_hi:[0,1]
	v_cmp_neq_f32_e32 vcc, s39, v51
	v_add_f32_e32 v37, v48, v37
	v_add_f32_e32 v36, v36, v37
	;; [unrolled: 1-line block ×3, first 2 shown]
	v_mul_f32_e32 v48, v47, v37
	v_mul_f32_e32 v38, v45, v48
	v_fma_f32 v40, v48, v45, -v38
	v_fmac_f32_e32 v40, v48, v46
	v_sub_f32_e32 v39, v39, v37
	v_add_f32_e32 v45, v36, v39
	v_add_f32_e32 v36, v38, v40
	v_sub_f32_e32 v39, v37, v36
	v_pk_add_f32 v[42:43], v[36:37], v[38:39] neg_lo:[0,1] neg_hi:[0,1]
	v_mov_b32_e32 v41, v36
	v_pk_add_f32 v[36:37], v[42:43], v[40:41] neg_lo:[0,1] neg_hi:[0,1]
	v_cvt_f32_i32_e32 v38, v44
	v_add_f32_e32 v37, v45, v37
	v_add_f32_e32 v36, v36, v37
	;; [unrolled: 1-line block ×4, first 2 shown]
	v_sub_f32_e32 v37, v39, v49
	v_mul_f32_e32 v36, v47, v36
	v_sub_f32_e32 v37, v48, v37
	v_add_f32_e32 v36, v37, v36
	v_add_f32_e32 v40, v39, v36
	v_mul_f32_e32 v42, v40, v40
	v_mov_b32_e32 v37, 0x3ecc95a3
	v_sub_f32_e32 v39, v40, v39
	v_fmac_f32_e32 v37, 0x3e9b6dac, v42
	v_sub_f32_e32 v36, v36, v39
	v_fmaak_f32 v37, v42, v37, 0x3f2aaada
	v_ldexp_f32 v43, v36, 1
	v_mul_f32_e32 v39, v40, v42
	v_mov_b32_e32 v36, 0x3f317218
	v_pk_mul_f32 v[36:37], v[38:39], v[36:37]
	v_ldexp_f32 v41, v40, 1
	v_fma_f32 v39, v38, s38, -v36
	v_fmamk_f32 v40, v38, 0xb102e308, v39
	v_pk_add_f32 v[38:39], v[36:37], v[40:41]
	v_mov_b32_e32 v42, v36
	v_sub_f32_e32 v41, v39, v41
	v_sub_f32_e32 v41, v37, v41
	v_add_f32_e32 v43, v43, v41
	v_pk_add_f32 v[36:37], v[38:39], v[36:37] neg_lo:[0,1] neg_hi:[0,1]
	v_pk_add_f32 v[44:45], v[38:39], v[42:43]
	v_mov_b32_e32 v41, v38
	v_mov_b32_e32 v37, v45
	v_pk_add_f32 v[46:47], v[40:41], v[36:37] neg_lo:[0,1] neg_hi:[0,1]
	v_pk_add_f32 v[36:37], v[40:41], v[36:37]
	v_mov_b32_e32 v42, v43
	v_pk_add_f32 v[40:41], v[36:37], v[38:39] op_sel:[1,0] op_sel_hi:[0,1] neg_lo:[0,1] neg_hi:[0,1]
	v_pk_add_f32 v[48:49], v[44:45], v[40:41] op_sel_hi:[1,0] neg_lo:[0,1] neg_hi:[0,1]
	v_mov_b32_e32 v44, v45
	v_mov_b32_e32 v45, v37
	v_pk_mov_b32 v[40:41], v[38:39], v[40:41] op_sel:[1,0]
	v_mov_b32_e32 v43, v38
	v_pk_add_f32 v[40:41], v[44:45], v[40:41] neg_lo:[0,1] neg_hi:[0,1]
	v_mov_b32_e32 v48, v46
	v_pk_add_f32 v[38:39], v[42:43], v[40:41] neg_lo:[0,1] neg_hi:[0,1]
	v_mov_b32_e32 v47, v37
	v_pk_add_f32 v[40:41], v[48:49], v[38:39]
	s_mov_b32 s38, 0x33800000
	v_pk_add_f32 v[42:43], v[40:41], v[40:41] op_sel:[0,1] op_sel_hi:[1,0]
	s_nop 0
	v_pk_add_f32 v[36:37], v[36:37], v[42:43] op_sel:[1,0] op_sel_hi:[0,1]
	v_mov_b32_e32 v41, v36
	v_pk_add_f32 v[44:45], v[40:41], v[46:47] neg_lo:[0,1] neg_hi:[0,1]
	v_mov_b32_e32 v39, v42
	v_sub_f32_e32 v37, v40, v44
	v_pk_add_f32 v[38:39], v[38:39], v[44:45] neg_lo:[0,1] neg_hi:[0,1]
	v_sub_f32_e32 v37, v46, v37
	v_add_f32_e32 v37, v38, v37
	v_add_f32_e32 v37, v37, v39
	;; [unrolled: 1-line block ×3, first 2 shown]
	v_cndmask_b32_e32 v36, v50, v36, vcc
	v_cmp_lt_f32_e64 vcc, |v51|, s38
	s_nop 1
	v_cndmask_b32_e32 v36, v36, v51, vcc
	v_add_f32_e32 v36, v35, v36
.LBB503_257:
	s_or_b64 exec, exec, s[34:35]
	v_bfe_u32 v35, v36, 16, 1
	s_movk_i32 s34, 0x7fff
	v_add3_u32 v35, v36, v35, s34
	v_cmp_o_f32_e32 vcc, v36, v36
	v_mov_b32_e32 v36, 0x7fc0
	s_nop 0
	v_cndmask_b32_sdwa v36, v36, v35, vcc dst_sel:DWORD dst_unused:UNUSED_PAD src0_sel:DWORD src1_sel:WORD_1
.LBB503_258:
	s_or_b64 exec, exec, s[36:37]
	v_or_b32_e32 v37, 63, v0
	v_lshrrev_b32_e32 v35, 6, v0
	v_cmp_eq_u32_e32 vcc, v0, v37
	s_and_saveexec_b64 s[34:35], vcc
; %bb.259:
	v_lshlrev_b32_e32 v37, 1, v35
	ds_write_b16 v37, v36
; %bb.260:
	s_or_b64 exec, exec, s[34:35]
	v_cmp_gt_u32_e32 vcc, 2, v0
	s_waitcnt lgkmcnt(0)
	s_barrier
	s_and_saveexec_b64 s[36:37], vcc
	s_cbranch_execz .LBB503_266
; %bb.261:
	ds_read_u16 v37, v2
	v_and_b32_e32 v40, 1, v34
	v_cmp_eq_u32_e32 vcc, 1, v40
	s_waitcnt lgkmcnt(0)
	v_and_b32_e32 v39, 0xffff, v37
	s_nop 1
	v_mov_b32_dpp v38, v39 row_shr:1 row_mask:0xf bank_mask:0xf
	s_and_saveexec_b64 s[38:39], vcc
	s_cbranch_execz .LBB503_265
; %bb.262:
	v_lshlrev_b32_e32 v38, 16, v38
	v_lshlrev_b32_e32 v37, 16, v39
	v_max_f32_e32 v40, v37, v37
	v_max_f32_e32 v41, v38, v38
	v_min_f32_e32 v39, v41, v40
	v_cmp_u_f32_e32 vcc, v38, v38
	v_max_f32_e32 v40, v41, v40
	v_cmp_u_f32_e64 s[34:35], v37, v37
	v_cndmask_b32_e32 v39, v39, v38, vcc
	v_cndmask_b32_e32 v40, v40, v38, vcc
	v_cndmask_b32_e64 v39, v39, v37, s[34:35]
	v_cndmask_b32_e64 v37, v40, v37, s[34:35]
	s_movk_i32 s34, 0x1f8
	v_cmp_neq_f32_e32 vcc, v39, v37
	v_cmp_class_f32_e64 s[34:35], v39, s34
	s_or_b64 s[40:41], vcc, s[34:35]
	s_and_saveexec_b64 s[34:35], s[40:41]
	s_cbranch_execz .LBB503_264
; %bb.263:
	v_sub_f32_e32 v38, v39, v37
	s_mov_b32 s40, 0x3fb8aa3b
	v_mul_f32_e32 v39, 0x3fb8aa3b, v38
	v_fma_f32 v40, v38, s40, -v39
	v_rndne_f32_e32 v41, v39
	v_fmamk_f32 v40, v38, 0x32a5705f, v40
	v_sub_f32_e32 v39, v39, v41
	v_add_f32_e32 v39, v39, v40
	v_exp_f32_e32 v39, v39
	v_cvt_i32_f32_e32 v40, v41
	s_mov_b32 s40, 0xc2ce8ed0
	v_cmp_ngt_f32_e32 vcc, s40, v38
	s_mov_b32 s40, 0x42b17218
	v_ldexp_f32 v39, v39, v40
	v_cndmask_b32_e32 v39, 0, v39, vcc
	v_mov_b32_e32 v52, 0x7f800000
	v_cmp_nlt_f32_e32 vcc, s40, v38
	s_mov_b32 s40, 0x3f2aaaab
	s_mov_b32 s41, 0x7f800000
	v_cndmask_b32_e32 v53, v52, v39, vcc
	v_add_f32_e32 v40, 1.0, v53
	v_add_f32_e32 v38, -1.0, v40
	v_sub_f32_e32 v39, v38, v40
	v_add_f32_e32 v39, 1.0, v39
	v_sub_f32_e32 v38, v53, v38
	v_add_f32_e32 v41, v38, v39
	v_frexp_mant_f32_e32 v42, v40
	v_cvt_f64_f32_e32 v[38:39], v40
	v_frexp_exp_i32_f64_e32 v38, v[38:39]
	v_cmp_gt_f32_e32 vcc, s40, v42
	s_mov_b32 s40, 0x3f317218
	s_nop 0
	v_subbrev_co_u32_e32 v46, vcc, 0, v38, vcc
	v_sub_u32_e32 v38, 0, v46
	v_ldexp_f32 v39, v40, v38
	v_add_f32_e32 v40, -1.0, v39
	v_add_f32_e32 v42, 1.0, v39
	v_ldexp_f32 v38, v41, v38
	v_add_f32_e32 v41, 1.0, v40
	v_add_f32_e32 v43, -1.0, v42
	v_sub_f32_e32 v41, v39, v41
	v_sub_f32_e32 v39, v39, v43
	v_add_f32_e32 v41, v38, v41
	v_add_f32_e32 v38, v38, v39
	;; [unrolled: 1-line block ×3, first 2 shown]
	v_rcp_f32_e32 v49, v47
	v_sub_f32_e32 v39, v42, v47
	v_add_f32_e32 v48, v38, v39
	v_add_f32_e32 v39, v40, v41
	v_mul_f32_e32 v51, v39, v49
	v_sub_f32_e32 v38, v40, v39
	v_mul_f32_e32 v40, v47, v51
	v_fma_f32 v42, v51, v47, -v40
	v_fmac_f32_e32 v42, v51, v48
	v_add_f32_e32 v50, v41, v38
	v_add_f32_e32 v38, v40, v42
	v_sub_f32_e32 v41, v39, v38
	v_pk_add_f32 v[44:45], v[38:39], v[40:41] neg_lo:[0,1] neg_hi:[0,1]
	v_mov_b32_e32 v43, v38
	v_pk_add_f32 v[38:39], v[44:45], v[42:43] neg_lo:[0,1] neg_hi:[0,1]
	v_cmp_neq_f32_e32 vcc, s41, v53
	v_add_f32_e32 v39, v50, v39
	v_add_f32_e32 v38, v38, v39
	;; [unrolled: 1-line block ×3, first 2 shown]
	v_mul_f32_e32 v50, v49, v39
	v_mul_f32_e32 v40, v47, v50
	v_fma_f32 v42, v50, v47, -v40
	v_fmac_f32_e32 v42, v50, v48
	v_sub_f32_e32 v41, v41, v39
	v_add_f32_e32 v47, v38, v41
	v_add_f32_e32 v38, v40, v42
	v_sub_f32_e32 v41, v39, v38
	v_pk_add_f32 v[44:45], v[38:39], v[40:41] neg_lo:[0,1] neg_hi:[0,1]
	v_mov_b32_e32 v43, v38
	v_pk_add_f32 v[38:39], v[44:45], v[42:43] neg_lo:[0,1] neg_hi:[0,1]
	v_cvt_f32_i32_e32 v40, v46
	v_add_f32_e32 v39, v47, v39
	v_add_f32_e32 v38, v38, v39
	;; [unrolled: 1-line block ×4, first 2 shown]
	v_sub_f32_e32 v39, v41, v51
	v_mul_f32_e32 v38, v49, v38
	v_sub_f32_e32 v39, v50, v39
	v_add_f32_e32 v38, v39, v38
	v_add_f32_e32 v42, v41, v38
	v_mul_f32_e32 v44, v42, v42
	v_mov_b32_e32 v39, 0x3ecc95a3
	v_sub_f32_e32 v41, v42, v41
	v_fmac_f32_e32 v39, 0x3e9b6dac, v44
	v_sub_f32_e32 v38, v38, v41
	v_fmaak_f32 v39, v44, v39, 0x3f2aaada
	v_ldexp_f32 v45, v38, 1
	v_mul_f32_e32 v41, v42, v44
	v_mov_b32_e32 v38, 0x3f317218
	v_pk_mul_f32 v[38:39], v[40:41], v[38:39]
	v_ldexp_f32 v43, v42, 1
	v_fma_f32 v41, v40, s40, -v38
	v_fmamk_f32 v42, v40, 0xb102e308, v41
	v_pk_add_f32 v[40:41], v[38:39], v[42:43]
	v_mov_b32_e32 v44, v38
	v_sub_f32_e32 v43, v41, v43
	v_sub_f32_e32 v43, v39, v43
	v_add_f32_e32 v45, v45, v43
	v_pk_add_f32 v[38:39], v[40:41], v[38:39] neg_lo:[0,1] neg_hi:[0,1]
	v_pk_add_f32 v[46:47], v[40:41], v[44:45]
	v_mov_b32_e32 v43, v40
	v_mov_b32_e32 v39, v47
	v_pk_add_f32 v[48:49], v[42:43], v[38:39] neg_lo:[0,1] neg_hi:[0,1]
	v_pk_add_f32 v[38:39], v[42:43], v[38:39]
	v_mov_b32_e32 v44, v45
	v_pk_add_f32 v[42:43], v[38:39], v[40:41] op_sel:[1,0] op_sel_hi:[0,1] neg_lo:[0,1] neg_hi:[0,1]
	v_pk_add_f32 v[50:51], v[46:47], v[42:43] op_sel_hi:[1,0] neg_lo:[0,1] neg_hi:[0,1]
	v_mov_b32_e32 v46, v47
	v_mov_b32_e32 v47, v39
	v_pk_mov_b32 v[42:43], v[40:41], v[42:43] op_sel:[1,0]
	v_mov_b32_e32 v45, v40
	v_pk_add_f32 v[42:43], v[46:47], v[42:43] neg_lo:[0,1] neg_hi:[0,1]
	v_mov_b32_e32 v50, v48
	v_pk_add_f32 v[40:41], v[44:45], v[42:43] neg_lo:[0,1] neg_hi:[0,1]
	v_mov_b32_e32 v49, v39
	v_pk_add_f32 v[42:43], v[50:51], v[40:41]
	s_mov_b32 s40, 0x33800000
	v_pk_add_f32 v[44:45], v[42:43], v[42:43] op_sel:[0,1] op_sel_hi:[1,0]
	s_nop 0
	v_pk_add_f32 v[38:39], v[38:39], v[44:45] op_sel:[1,0] op_sel_hi:[0,1]
	v_mov_b32_e32 v43, v38
	v_pk_add_f32 v[46:47], v[42:43], v[48:49] neg_lo:[0,1] neg_hi:[0,1]
	v_mov_b32_e32 v41, v44
	v_sub_f32_e32 v39, v42, v46
	v_pk_add_f32 v[40:41], v[40:41], v[46:47] neg_lo:[0,1] neg_hi:[0,1]
	v_sub_f32_e32 v39, v48, v39
	v_add_f32_e32 v39, v40, v39
	v_add_f32_e32 v39, v39, v41
	;; [unrolled: 1-line block ×3, first 2 shown]
	v_cndmask_b32_e32 v38, v52, v38, vcc
	v_cmp_lt_f32_e64 vcc, |v53|, s40
	s_nop 1
	v_cndmask_b32_e32 v38, v38, v53, vcc
	v_add_f32_e32 v38, v37, v38
.LBB503_264:
	s_or_b64 exec, exec, s[34:35]
	v_bfe_u32 v37, v38, 16, 1
	s_movk_i32 s34, 0x7fff
	v_add3_u32 v37, v38, v37, s34
	v_cmp_o_f32_e32 vcc, v38, v38
	v_mov_b32_e32 v38, 0x7fc0
	s_nop 0
	v_cndmask_b32_sdwa v37, v38, v37, vcc dst_sel:DWORD dst_unused:UNUSED_PAD src0_sel:DWORD src1_sel:WORD_1
.LBB503_265:
	s_or_b64 exec, exec, s[38:39]
	ds_write_b16 v2, v37
.LBB503_266:
	s_or_b64 exec, exec, s[36:37]
	v_cmp_lt_u32_e32 vcc, 63, v0
	s_waitcnt lgkmcnt(0)
	s_barrier
                                        ; implicit-def: $vgpr37
	s_and_saveexec_b64 s[36:37], vcc
	s_cbranch_execz .LBB503_270
; %bb.267:
	v_lshl_add_u32 v35, v35, 1, -2
	ds_read_u16 v37, v35
	v_lshlrev_b32_e32 v35, 16, v36
	v_max_f32_e32 v39, v35, v35
	v_cmp_u_f32_e64 s[34:35], v35, v35
	s_waitcnt lgkmcnt(0)
	v_lshlrev_b32_e32 v36, 16, v37
	v_max_f32_e32 v40, v36, v36
	v_min_f32_e32 v38, v40, v39
	v_cmp_u_f32_e32 vcc, v36, v36
	v_max_f32_e32 v39, v40, v39
	s_nop 0
	v_cndmask_b32_e32 v38, v38, v36, vcc
	v_cndmask_b32_e32 v39, v39, v36, vcc
	v_cndmask_b32_e64 v38, v38, v35, s[34:35]
	v_cndmask_b32_e64 v35, v39, v35, s[34:35]
	s_movk_i32 s34, 0x1f8
	v_cmp_neq_f32_e32 vcc, v38, v35
	v_cmp_class_f32_e64 s[34:35], v38, s34
	s_or_b64 s[38:39], vcc, s[34:35]
	s_and_saveexec_b64 s[34:35], s[38:39]
	s_cbranch_execz .LBB503_269
; %bb.268:
	v_sub_f32_e32 v36, v38, v35
	s_mov_b32 s38, 0x3fb8aa3b
	v_mul_f32_e32 v38, 0x3fb8aa3b, v36
	v_fma_f32 v39, v36, s38, -v38
	v_rndne_f32_e32 v40, v38
	v_fmamk_f32 v39, v36, 0x32a5705f, v39
	v_sub_f32_e32 v38, v38, v40
	v_add_f32_e32 v38, v38, v39
	v_exp_f32_e32 v38, v38
	v_cvt_i32_f32_e32 v39, v40
	s_mov_b32 s38, 0xc2ce8ed0
	v_cmp_ngt_f32_e32 vcc, s38, v36
	s_mov_b32 s38, 0x42b17218
	v_ldexp_f32 v38, v38, v39
	v_cndmask_b32_e32 v38, 0, v38, vcc
	v_mov_b32_e32 v52, 0x7f800000
	v_cmp_nlt_f32_e32 vcc, s38, v36
	s_mov_b32 s38, 0x3f2aaaab
	s_mov_b32 s39, 0x7f800000
	v_cndmask_b32_e32 v36, v52, v38, vcc
	v_add_f32_e32 v40, 1.0, v36
	v_add_f32_e32 v38, -1.0, v40
	v_sub_f32_e32 v39, v38, v40
	v_add_f32_e32 v39, 1.0, v39
	v_sub_f32_e32 v38, v36, v38
	v_add_f32_e32 v41, v38, v39
	v_frexp_mant_f32_e32 v42, v40
	v_cvt_f64_f32_e32 v[38:39], v40
	v_frexp_exp_i32_f64_e32 v38, v[38:39]
	v_cmp_gt_f32_e32 vcc, s38, v42
	s_mov_b32 s38, 0x3f317218
	s_nop 0
	v_subbrev_co_u32_e32 v46, vcc, 0, v38, vcc
	v_sub_u32_e32 v38, 0, v46
	v_ldexp_f32 v39, v40, v38
	v_add_f32_e32 v40, -1.0, v39
	v_add_f32_e32 v42, 1.0, v39
	v_ldexp_f32 v38, v41, v38
	v_add_f32_e32 v41, 1.0, v40
	v_add_f32_e32 v43, -1.0, v42
	v_sub_f32_e32 v41, v39, v41
	v_sub_f32_e32 v39, v39, v43
	v_add_f32_e32 v41, v38, v41
	v_add_f32_e32 v38, v38, v39
	;; [unrolled: 1-line block ×3, first 2 shown]
	v_rcp_f32_e32 v49, v47
	v_sub_f32_e32 v39, v42, v47
	v_add_f32_e32 v48, v38, v39
	v_add_f32_e32 v39, v40, v41
	v_mul_f32_e32 v51, v39, v49
	v_sub_f32_e32 v38, v40, v39
	v_mul_f32_e32 v40, v47, v51
	v_fma_f32 v42, v51, v47, -v40
	v_fmac_f32_e32 v42, v51, v48
	v_add_f32_e32 v50, v41, v38
	v_add_f32_e32 v38, v40, v42
	v_sub_f32_e32 v41, v39, v38
	v_pk_add_f32 v[44:45], v[38:39], v[40:41] neg_lo:[0,1] neg_hi:[0,1]
	v_mov_b32_e32 v43, v38
	v_pk_add_f32 v[38:39], v[44:45], v[42:43] neg_lo:[0,1] neg_hi:[0,1]
	v_cmp_neq_f32_e32 vcc, s39, v36
	v_add_f32_e32 v39, v50, v39
	v_add_f32_e32 v38, v38, v39
	;; [unrolled: 1-line block ×3, first 2 shown]
	v_mul_f32_e32 v50, v49, v39
	v_mul_f32_e32 v40, v47, v50
	v_fma_f32 v42, v50, v47, -v40
	v_fmac_f32_e32 v42, v50, v48
	v_sub_f32_e32 v41, v41, v39
	v_add_f32_e32 v47, v38, v41
	v_add_f32_e32 v38, v40, v42
	v_sub_f32_e32 v41, v39, v38
	v_pk_add_f32 v[44:45], v[38:39], v[40:41] neg_lo:[0,1] neg_hi:[0,1]
	v_mov_b32_e32 v43, v38
	v_pk_add_f32 v[38:39], v[44:45], v[42:43] neg_lo:[0,1] neg_hi:[0,1]
	v_cvt_f32_i32_e32 v40, v46
	v_add_f32_e32 v39, v47, v39
	v_add_f32_e32 v38, v38, v39
	v_add_f32_e32 v38, v41, v38
	v_add_f32_e32 v41, v51, v50
	v_sub_f32_e32 v39, v41, v51
	v_mul_f32_e32 v38, v49, v38
	v_sub_f32_e32 v39, v50, v39
	v_add_f32_e32 v38, v39, v38
	v_add_f32_e32 v42, v41, v38
	v_mul_f32_e32 v44, v42, v42
	v_mov_b32_e32 v39, 0x3ecc95a3
	v_sub_f32_e32 v41, v42, v41
	v_fmac_f32_e32 v39, 0x3e9b6dac, v44
	v_sub_f32_e32 v38, v38, v41
	v_fmaak_f32 v39, v44, v39, 0x3f2aaada
	v_ldexp_f32 v45, v38, 1
	v_mul_f32_e32 v41, v42, v44
	v_mov_b32_e32 v38, 0x3f317218
	v_pk_mul_f32 v[38:39], v[40:41], v[38:39]
	v_ldexp_f32 v43, v42, 1
	v_fma_f32 v41, v40, s38, -v38
	v_fmamk_f32 v42, v40, 0xb102e308, v41
	v_pk_add_f32 v[40:41], v[38:39], v[42:43]
	v_mov_b32_e32 v44, v38
	v_sub_f32_e32 v43, v41, v43
	v_sub_f32_e32 v43, v39, v43
	v_add_f32_e32 v45, v45, v43
	v_pk_add_f32 v[38:39], v[40:41], v[38:39] neg_lo:[0,1] neg_hi:[0,1]
	v_pk_add_f32 v[46:47], v[40:41], v[44:45]
	v_mov_b32_e32 v43, v40
	v_mov_b32_e32 v39, v47
	v_pk_add_f32 v[48:49], v[42:43], v[38:39] neg_lo:[0,1] neg_hi:[0,1]
	v_pk_add_f32 v[38:39], v[42:43], v[38:39]
	v_mov_b32_e32 v44, v45
	v_pk_add_f32 v[42:43], v[38:39], v[40:41] op_sel:[1,0] op_sel_hi:[0,1] neg_lo:[0,1] neg_hi:[0,1]
	v_pk_add_f32 v[50:51], v[46:47], v[42:43] op_sel_hi:[1,0] neg_lo:[0,1] neg_hi:[0,1]
	v_mov_b32_e32 v46, v47
	v_mov_b32_e32 v47, v39
	v_pk_mov_b32 v[42:43], v[40:41], v[42:43] op_sel:[1,0]
	v_mov_b32_e32 v45, v40
	v_pk_add_f32 v[42:43], v[46:47], v[42:43] neg_lo:[0,1] neg_hi:[0,1]
	v_mov_b32_e32 v50, v48
	v_pk_add_f32 v[40:41], v[44:45], v[42:43] neg_lo:[0,1] neg_hi:[0,1]
	v_mov_b32_e32 v49, v39
	v_pk_add_f32 v[42:43], v[50:51], v[40:41]
	s_mov_b32 s38, 0x33800000
	v_pk_add_f32 v[44:45], v[42:43], v[42:43] op_sel:[0,1] op_sel_hi:[1,0]
	s_nop 0
	v_pk_add_f32 v[38:39], v[38:39], v[44:45] op_sel:[1,0] op_sel_hi:[0,1]
	v_mov_b32_e32 v43, v38
	v_pk_add_f32 v[46:47], v[42:43], v[48:49] neg_lo:[0,1] neg_hi:[0,1]
	v_mov_b32_e32 v41, v44
	v_sub_f32_e32 v39, v42, v46
	v_pk_add_f32 v[40:41], v[40:41], v[46:47] neg_lo:[0,1] neg_hi:[0,1]
	v_sub_f32_e32 v39, v48, v39
	v_add_f32_e32 v39, v40, v39
	v_add_f32_e32 v39, v39, v41
	;; [unrolled: 1-line block ×3, first 2 shown]
	v_cndmask_b32_e32 v38, v52, v38, vcc
	v_cmp_lt_f32_e64 vcc, |v36|, s38
	s_nop 1
	v_cndmask_b32_e32 v36, v38, v36, vcc
	v_add_f32_e32 v36, v35, v36
.LBB503_269:
	s_or_b64 exec, exec, s[34:35]
	v_bfe_u32 v35, v36, 16, 1
	s_movk_i32 s34, 0x7fff
	v_add3_u32 v35, v36, v35, s34
	v_cmp_o_f32_e32 vcc, v36, v36
	v_mov_b32_e32 v36, 0x7fc0
	s_nop 0
	v_cndmask_b32_sdwa v36, v36, v35, vcc dst_sel:DWORD dst_unused:UNUSED_PAD src0_sel:DWORD src1_sel:WORD_1
.LBB503_270:
	s_or_b64 exec, exec, s[36:37]
	v_add_u32_e32 v35, -1, v34
	v_and_b32_e32 v38, 64, v34
	v_cmp_lt_i32_e32 vcc, v35, v38
	v_and_b32_e32 v36, 0xffff, v36
	s_nop 0
	v_cndmask_b32_e32 v35, v35, v34, vcc
	v_lshlrev_b32_e32 v35, 2, v35
	ds_bpermute_b32 v35, v35, v36
	s_and_saveexec_b64 s[34:35], s[2:3]
	s_cbranch_execz .LBB503_274
; %bb.271:
	v_cmp_eq_u32_e32 vcc, 0, v34
	s_movk_i32 s2, 0x1f8
	s_waitcnt lgkmcnt(0)
	v_cndmask_b32_sdwa v31, v35, v37, vcc dst_sel:WORD_1 dst_unused:UNUSED_PAD src0_sel:DWORD src1_sel:DWORD
	s_nop 0
	v_max_f32_e32 v10, v31, v31
	v_min_f32_e32 v33, v10, v32
	v_cmp_u_f32_e32 vcc, v31, v31
	v_max_f32_e32 v10, v10, v32
	s_nop 0
	v_cndmask_b32_e32 v33, v33, v31, vcc
	v_cndmask_b32_e32 v10, v10, v31, vcc
	v_cndmask_b32_e64 v33, v33, v30, s[30:31]
	v_cndmask_b32_e64 v10, v10, v30, s[30:31]
	v_cmp_neq_f32_e32 vcc, v33, v10
	v_cmp_class_f32_e64 s[2:3], v33, s2
	s_or_b64 s[30:31], vcc, s[2:3]
	s_and_saveexec_b64 s[2:3], s[30:31]
	s_cbranch_execz .LBB503_273
; %bb.272:
	v_sub_f32_e32 v30, v33, v10
	s_mov_b32 s30, 0x3fb8aa3b
	v_mul_f32_e32 v31, 0x3fb8aa3b, v30
	v_fma_f32 v32, v30, s30, -v31
	v_rndne_f32_e32 v33, v31
	v_fmamk_f32 v32, v30, 0x32a5705f, v32
	v_sub_f32_e32 v31, v31, v33
	v_add_f32_e32 v31, v31, v32
	v_exp_f32_e32 v31, v31
	v_cvt_i32_f32_e32 v32, v33
	s_mov_b32 s30, 0xc2ce8ed0
	v_cmp_ngt_f32_e32 vcc, s30, v30
	s_mov_b32 s30, 0x42b17218
	v_ldexp_f32 v31, v31, v32
	v_cndmask_b32_e32 v31, 0, v31, vcc
	v_mov_b32_e32 v44, 0x7f800000
	v_cmp_nlt_f32_e32 vcc, s30, v30
	s_mov_b32 s30, 0x3f2aaaab
	s_mov_b32 s31, 0x7f800000
	v_cndmask_b32_e32 v45, v44, v31, vcc
	v_add_f32_e32 v32, 1.0, v45
	v_add_f32_e32 v30, -1.0, v32
	v_sub_f32_e32 v31, v30, v32
	v_add_f32_e32 v31, 1.0, v31
	v_sub_f32_e32 v30, v45, v30
	v_add_f32_e32 v33, v30, v31
	v_frexp_mant_f32_e32 v34, v32
	v_cvt_f64_f32_e32 v[30:31], v32
	v_frexp_exp_i32_f64_e32 v30, v[30:31]
	v_cmp_gt_f32_e32 vcc, s30, v34
	s_mov_b32 s30, 0x3f317218
	s_nop 0
	v_subbrev_co_u32_e32 v38, vcc, 0, v30, vcc
	v_sub_u32_e32 v30, 0, v38
	v_ldexp_f32 v31, v32, v30
	v_add_f32_e32 v32, -1.0, v31
	v_add_f32_e32 v34, 1.0, v31
	v_ldexp_f32 v30, v33, v30
	v_add_f32_e32 v33, 1.0, v32
	v_add_f32_e32 v35, -1.0, v34
	v_sub_f32_e32 v33, v31, v33
	v_sub_f32_e32 v31, v31, v35
	v_add_f32_e32 v33, v30, v33
	v_add_f32_e32 v30, v30, v31
	;; [unrolled: 1-line block ×3, first 2 shown]
	v_rcp_f32_e32 v41, v39
	v_sub_f32_e32 v31, v34, v39
	v_add_f32_e32 v40, v30, v31
	v_add_f32_e32 v31, v32, v33
	v_mul_f32_e32 v43, v31, v41
	v_sub_f32_e32 v30, v32, v31
	v_mul_f32_e32 v32, v39, v43
	v_fma_f32 v34, v43, v39, -v32
	v_fmac_f32_e32 v34, v43, v40
	v_add_f32_e32 v42, v33, v30
	v_add_f32_e32 v30, v32, v34
	v_sub_f32_e32 v33, v31, v30
	v_pk_add_f32 v[36:37], v[30:31], v[32:33] neg_lo:[0,1] neg_hi:[0,1]
	v_mov_b32_e32 v35, v30
	v_pk_add_f32 v[30:31], v[36:37], v[34:35] neg_lo:[0,1] neg_hi:[0,1]
	v_cmp_neq_f32_e32 vcc, s31, v45
	v_add_f32_e32 v31, v42, v31
	v_add_f32_e32 v30, v30, v31
	;; [unrolled: 1-line block ×3, first 2 shown]
	v_mul_f32_e32 v42, v41, v31
	v_mul_f32_e32 v32, v39, v42
	v_fma_f32 v34, v42, v39, -v32
	v_fmac_f32_e32 v34, v42, v40
	v_sub_f32_e32 v33, v33, v31
	v_add_f32_e32 v39, v30, v33
	v_add_f32_e32 v30, v32, v34
	v_sub_f32_e32 v33, v31, v30
	v_pk_add_f32 v[36:37], v[30:31], v[32:33] neg_lo:[0,1] neg_hi:[0,1]
	v_mov_b32_e32 v35, v30
	v_pk_add_f32 v[30:31], v[36:37], v[34:35] neg_lo:[0,1] neg_hi:[0,1]
	v_cvt_f32_i32_e32 v32, v38
	v_add_f32_e32 v31, v39, v31
	v_add_f32_e32 v30, v30, v31
	;; [unrolled: 1-line block ×4, first 2 shown]
	v_sub_f32_e32 v31, v33, v43
	v_mul_f32_e32 v30, v41, v30
	v_sub_f32_e32 v31, v42, v31
	v_add_f32_e32 v30, v31, v30
	v_add_f32_e32 v34, v33, v30
	v_mul_f32_e32 v36, v34, v34
	v_mov_b32_e32 v31, 0x3ecc95a3
	v_sub_f32_e32 v33, v34, v33
	v_fmac_f32_e32 v31, 0x3e9b6dac, v36
	v_sub_f32_e32 v30, v30, v33
	v_fmaak_f32 v31, v36, v31, 0x3f2aaada
	v_ldexp_f32 v37, v30, 1
	v_mul_f32_e32 v33, v34, v36
	v_mov_b32_e32 v30, 0x3f317218
	v_pk_mul_f32 v[30:31], v[32:33], v[30:31]
	v_ldexp_f32 v35, v34, 1
	v_fma_f32 v33, v32, s30, -v30
	v_fmamk_f32 v34, v32, 0xb102e308, v33
	v_pk_add_f32 v[32:33], v[30:31], v[34:35]
	v_mov_b32_e32 v36, v30
	v_sub_f32_e32 v35, v33, v35
	v_sub_f32_e32 v35, v31, v35
	v_add_f32_e32 v37, v37, v35
	v_pk_add_f32 v[30:31], v[32:33], v[30:31] neg_lo:[0,1] neg_hi:[0,1]
	v_pk_add_f32 v[38:39], v[32:33], v[36:37]
	v_mov_b32_e32 v35, v32
	v_mov_b32_e32 v31, v39
	v_pk_add_f32 v[40:41], v[34:35], v[30:31] neg_lo:[0,1] neg_hi:[0,1]
	v_pk_add_f32 v[30:31], v[34:35], v[30:31]
	v_mov_b32_e32 v36, v37
	v_pk_add_f32 v[34:35], v[30:31], v[32:33] op_sel:[1,0] op_sel_hi:[0,1] neg_lo:[0,1] neg_hi:[0,1]
	v_pk_add_f32 v[42:43], v[38:39], v[34:35] op_sel_hi:[1,0] neg_lo:[0,1] neg_hi:[0,1]
	v_mov_b32_e32 v38, v39
	v_mov_b32_e32 v39, v31
	v_pk_mov_b32 v[34:35], v[32:33], v[34:35] op_sel:[1,0]
	v_mov_b32_e32 v37, v32
	v_pk_add_f32 v[34:35], v[38:39], v[34:35] neg_lo:[0,1] neg_hi:[0,1]
	v_mov_b32_e32 v42, v40
	v_pk_add_f32 v[32:33], v[36:37], v[34:35] neg_lo:[0,1] neg_hi:[0,1]
	v_mov_b32_e32 v41, v31
	v_pk_add_f32 v[34:35], v[42:43], v[32:33]
	s_mov_b32 s30, 0x33800000
	v_pk_add_f32 v[36:37], v[34:35], v[34:35] op_sel:[0,1] op_sel_hi:[1,0]
	s_nop 0
	v_pk_add_f32 v[30:31], v[30:31], v[36:37] op_sel:[1,0] op_sel_hi:[0,1]
	v_mov_b32_e32 v35, v30
	v_pk_add_f32 v[38:39], v[34:35], v[40:41] neg_lo:[0,1] neg_hi:[0,1]
	v_mov_b32_e32 v33, v36
	v_sub_f32_e32 v31, v34, v38
	v_pk_add_f32 v[32:33], v[32:33], v[38:39] neg_lo:[0,1] neg_hi:[0,1]
	v_sub_f32_e32 v31, v40, v31
	v_add_f32_e32 v31, v32, v31
	v_add_f32_e32 v31, v31, v33
	;; [unrolled: 1-line block ×3, first 2 shown]
	v_cndmask_b32_e32 v30, v44, v30, vcc
	v_cmp_lt_f32_e64 vcc, |v45|, s30
	s_nop 1
	v_cndmask_b32_e32 v30, v30, v45, vcc
	v_add_f32_e32 v31, v10, v30
.LBB503_273:
	s_or_b64 exec, exec, s[2:3]
	v_bfe_u32 v10, v31, 16, 1
	s_movk_i32 s2, 0x7fff
	v_add3_u32 v10, v31, v10, s2
	v_cmp_o_f32_e32 vcc, v31, v31
	v_mov_b32_e32 v30, 0x7fc0
	;;#ASMSTART
	;;#ASMEND
	s_nop 0
	v_cndmask_b32_sdwa v10, v30, v10, vcc dst_sel:DWORD dst_unused:UNUSED_PAD src0_sel:DWORD src1_sel:WORD_1
	v_lshlrev_b32_e32 v30, 16, v10
	v_max_f32_e32 v32, v30, v30
	v_min_f32_e32 v31, v32, v11
	v_max_f32_e32 v33, v32, v11
.LBB503_274:
	s_or_b64 exec, exec, s[34:35]
	v_cmp_u_f32_e32 vcc, v30, v30
	s_nop 1
	v_cndmask_b32_e32 v11, v31, v30, vcc
	v_cndmask_b32_e32 v31, v33, v30, vcc
	v_cndmask_b32_e64 v11, v11, v8, s[4:5]
	v_cndmask_b32_e64 v8, v31, v8, s[4:5]
	s_movk_i32 s4, 0x1f8
	v_cmp_neq_f32_e32 vcc, v11, v8
	v_cmp_class_f32_e64 s[2:3], v11, s4
	s_or_b64 s[30:31], vcc, s[2:3]
	s_and_saveexec_b64 s[2:3], s[30:31]
	s_cbranch_execz .LBB503_276
; %bb.275:
	v_sub_f32_e32 v11, v11, v8
	s_mov_b32 s5, 0x3fb8aa3b
	v_mul_f32_e32 v30, 0x3fb8aa3b, v11
	v_fma_f32 v31, v11, s5, -v30
	v_rndne_f32_e32 v32, v30
	v_fmamk_f32 v31, v11, 0x32a5705f, v31
	v_sub_f32_e32 v30, v30, v32
	v_add_f32_e32 v30, v30, v31
	v_exp_f32_e32 v30, v30
	v_cvt_i32_f32_e32 v31, v32
	s_mov_b32 s5, 0xc2ce8ed0
	v_cmp_ngt_f32_e32 vcc, s5, v11
	s_mov_b32 s5, 0x42b17218
	v_ldexp_f32 v30, v30, v31
	v_cndmask_b32_e32 v30, 0, v30, vcc
	v_mov_b32_e32 v44, 0x7f800000
	v_cmp_nlt_f32_e32 vcc, s5, v11
	s_mov_b32 s5, 0x3f2aaaab
	s_mov_b32 s30, 0x7f800000
	v_cndmask_b32_e32 v11, v44, v30, vcc
	v_add_f32_e32 v32, 1.0, v11
	v_add_f32_e32 v30, -1.0, v32
	v_sub_f32_e32 v31, v30, v32
	v_add_f32_e32 v31, 1.0, v31
	v_sub_f32_e32 v30, v11, v30
	v_add_f32_e32 v33, v30, v31
	v_frexp_mant_f32_e32 v34, v32
	v_cvt_f64_f32_e32 v[30:31], v32
	v_frexp_exp_i32_f64_e32 v30, v[30:31]
	v_cmp_gt_f32_e32 vcc, s5, v34
	s_mov_b32 s5, 0x3f317218
	s_nop 0
	v_subbrev_co_u32_e32 v38, vcc, 0, v30, vcc
	v_sub_u32_e32 v30, 0, v38
	v_ldexp_f32 v31, v32, v30
	v_add_f32_e32 v32, -1.0, v31
	v_add_f32_e32 v34, 1.0, v31
	v_ldexp_f32 v30, v33, v30
	v_add_f32_e32 v33, 1.0, v32
	s_waitcnt lgkmcnt(0)
	v_add_f32_e32 v35, -1.0, v34
	v_sub_f32_e32 v33, v31, v33
	v_sub_f32_e32 v31, v31, v35
	v_add_f32_e32 v33, v30, v33
	v_add_f32_e32 v30, v30, v31
	;; [unrolled: 1-line block ×3, first 2 shown]
	v_rcp_f32_e32 v41, v39
	v_sub_f32_e32 v31, v34, v39
	v_add_f32_e32 v40, v30, v31
	v_add_f32_e32 v31, v32, v33
	v_mul_f32_e32 v43, v31, v41
	v_sub_f32_e32 v30, v32, v31
	v_mul_f32_e32 v32, v39, v43
	v_fma_f32 v34, v43, v39, -v32
	v_fmac_f32_e32 v34, v43, v40
	v_add_f32_e32 v42, v33, v30
	v_add_f32_e32 v30, v32, v34
	v_sub_f32_e32 v33, v31, v30
	v_pk_add_f32 v[36:37], v[30:31], v[32:33] neg_lo:[0,1] neg_hi:[0,1]
	v_mov_b32_e32 v35, v30
	v_pk_add_f32 v[30:31], v[36:37], v[34:35] neg_lo:[0,1] neg_hi:[0,1]
	v_cmp_neq_f32_e32 vcc, s30, v11
	v_add_f32_e32 v31, v42, v31
	v_add_f32_e32 v30, v30, v31
	;; [unrolled: 1-line block ×3, first 2 shown]
	v_mul_f32_e32 v42, v41, v31
	v_mul_f32_e32 v32, v39, v42
	v_fma_f32 v34, v42, v39, -v32
	v_fmac_f32_e32 v34, v42, v40
	v_sub_f32_e32 v33, v33, v31
	v_add_f32_e32 v39, v30, v33
	v_add_f32_e32 v30, v32, v34
	v_sub_f32_e32 v33, v31, v30
	v_pk_add_f32 v[36:37], v[30:31], v[32:33] neg_lo:[0,1] neg_hi:[0,1]
	v_mov_b32_e32 v35, v30
	v_pk_add_f32 v[30:31], v[36:37], v[34:35] neg_lo:[0,1] neg_hi:[0,1]
	v_cvt_f32_i32_e32 v32, v38
	v_add_f32_e32 v31, v39, v31
	v_add_f32_e32 v30, v30, v31
	;; [unrolled: 1-line block ×4, first 2 shown]
	v_sub_f32_e32 v31, v33, v43
	v_mul_f32_e32 v30, v41, v30
	v_sub_f32_e32 v31, v42, v31
	v_add_f32_e32 v30, v31, v30
	v_add_f32_e32 v34, v33, v30
	v_mul_f32_e32 v36, v34, v34
	v_mov_b32_e32 v31, 0x3ecc95a3
	v_sub_f32_e32 v33, v34, v33
	v_fmac_f32_e32 v31, 0x3e9b6dac, v36
	v_sub_f32_e32 v30, v30, v33
	v_fmaak_f32 v31, v36, v31, 0x3f2aaada
	v_ldexp_f32 v37, v30, 1
	v_mul_f32_e32 v33, v34, v36
	v_mov_b32_e32 v30, 0x3f317218
	v_pk_mul_f32 v[30:31], v[32:33], v[30:31]
	v_ldexp_f32 v35, v34, 1
	v_fma_f32 v33, v32, s5, -v30
	v_fmamk_f32 v34, v32, 0xb102e308, v33
	v_pk_add_f32 v[32:33], v[30:31], v[34:35]
	v_mov_b32_e32 v36, v30
	v_sub_f32_e32 v35, v33, v35
	v_sub_f32_e32 v35, v31, v35
	v_add_f32_e32 v37, v37, v35
	v_pk_add_f32 v[30:31], v[32:33], v[30:31] neg_lo:[0,1] neg_hi:[0,1]
	v_pk_add_f32 v[38:39], v[32:33], v[36:37]
	v_mov_b32_e32 v35, v32
	v_mov_b32_e32 v31, v39
	v_pk_add_f32 v[40:41], v[34:35], v[30:31] neg_lo:[0,1] neg_hi:[0,1]
	v_pk_add_f32 v[30:31], v[34:35], v[30:31]
	v_mov_b32_e32 v36, v37
	v_pk_add_f32 v[34:35], v[30:31], v[32:33] op_sel:[1,0] op_sel_hi:[0,1] neg_lo:[0,1] neg_hi:[0,1]
	v_pk_add_f32 v[42:43], v[38:39], v[34:35] op_sel_hi:[1,0] neg_lo:[0,1] neg_hi:[0,1]
	v_mov_b32_e32 v38, v39
	v_mov_b32_e32 v39, v31
	v_pk_mov_b32 v[34:35], v[32:33], v[34:35] op_sel:[1,0]
	v_mov_b32_e32 v37, v32
	v_pk_add_f32 v[34:35], v[38:39], v[34:35] neg_lo:[0,1] neg_hi:[0,1]
	v_mov_b32_e32 v42, v40
	v_pk_add_f32 v[32:33], v[36:37], v[34:35] neg_lo:[0,1] neg_hi:[0,1]
	v_mov_b32_e32 v41, v31
	v_pk_add_f32 v[34:35], v[42:43], v[32:33]
	s_mov_b32 s5, 0x33800000
	v_pk_add_f32 v[36:37], v[34:35], v[34:35] op_sel:[0,1] op_sel_hi:[1,0]
	s_nop 0
	v_pk_add_f32 v[30:31], v[30:31], v[36:37] op_sel:[1,0] op_sel_hi:[0,1]
	v_mov_b32_e32 v35, v30
	v_pk_add_f32 v[38:39], v[34:35], v[40:41] neg_lo:[0,1] neg_hi:[0,1]
	v_mov_b32_e32 v33, v36
	v_sub_f32_e32 v31, v34, v38
	v_pk_add_f32 v[32:33], v[32:33], v[38:39] neg_lo:[0,1] neg_hi:[0,1]
	v_sub_f32_e32 v31, v40, v31
	v_add_f32_e32 v31, v32, v31
	v_add_f32_e32 v31, v31, v33
	;; [unrolled: 1-line block ×3, first 2 shown]
	v_cndmask_b32_e32 v30, v44, v30, vcc
	v_cmp_lt_f32_e64 vcc, |v11|, s5
	s_nop 1
	v_cndmask_b32_e32 v11, v30, v11, vcc
	v_add_f32_e32 v30, v8, v11
.LBB503_276:
	s_or_b64 exec, exec, s[2:3]
	v_bfe_u32 v8, v30, 16, 1
	s_movk_i32 s5, 0x7fff
	v_add3_u32 v11, v30, v8, s5
	v_cmp_o_f32_e32 vcc, v30, v30
	v_mov_b32_e32 v8, 0x7fc0
	s_nop 0
	v_cndmask_b32_sdwa v11, v8, v11, vcc dst_sel:DWORD dst_unused:UNUSED_PAD src0_sel:DWORD src1_sel:WORD_1
	v_lshlrev_b32_e32 v30, 16, v11
	v_max_f32_e32 v32, v30, v30
	v_min_f32_e32 v31, v32, v13
	v_cmp_u_f32_e32 vcc, v30, v30
	v_max_f32_e32 v13, v32, v13
	s_nop 0
	v_cndmask_b32_e32 v31, v31, v30, vcc
	v_cndmask_b32_e32 v13, v13, v30, vcc
	v_cndmask_b32_e64 v31, v31, v12, s[6:7]
	v_cndmask_b32_e64 v12, v13, v12, s[6:7]
	v_cmp_neq_f32_e32 vcc, v31, v12
	v_cmp_class_f32_e64 s[2:3], v31, s4
	s_or_b64 s[6:7], vcc, s[2:3]
	s_and_saveexec_b64 s[2:3], s[6:7]
	s_cbranch_execz .LBB503_278
; %bb.277:
	v_sub_f32_e32 v13, v31, v12
	s_mov_b32 s4, 0x3fb8aa3b
	v_mul_f32_e32 v30, 0x3fb8aa3b, v13
	v_fma_f32 v31, v13, s4, -v30
	v_rndne_f32_e32 v32, v30
	v_fmamk_f32 v31, v13, 0x32a5705f, v31
	v_sub_f32_e32 v30, v30, v32
	v_add_f32_e32 v30, v30, v31
	v_exp_f32_e32 v30, v30
	v_cvt_i32_f32_e32 v31, v32
	s_mov_b32 s4, 0xc2ce8ed0
	v_cmp_ngt_f32_e32 vcc, s4, v13
	s_mov_b32 s4, 0x42b17218
	v_ldexp_f32 v30, v30, v31
	v_cndmask_b32_e32 v30, 0, v30, vcc
	v_mov_b32_e32 v44, 0x7f800000
	v_cmp_nlt_f32_e32 vcc, s4, v13
	s_mov_b32 s4, 0x3f2aaaab
	s_mov_b32 s6, 0x7f800000
	v_cndmask_b32_e32 v13, v44, v30, vcc
	v_add_f32_e32 v32, 1.0, v13
	v_add_f32_e32 v30, -1.0, v32
	v_sub_f32_e32 v31, v30, v32
	v_add_f32_e32 v31, 1.0, v31
	v_sub_f32_e32 v30, v13, v30
	v_add_f32_e32 v33, v30, v31
	v_frexp_mant_f32_e32 v34, v32
	v_cvt_f64_f32_e32 v[30:31], v32
	v_frexp_exp_i32_f64_e32 v30, v[30:31]
	v_cmp_gt_f32_e32 vcc, s4, v34
	s_mov_b32 s4, 0x3f317218
	s_nop 0
	v_subbrev_co_u32_e32 v38, vcc, 0, v30, vcc
	v_sub_u32_e32 v30, 0, v38
	v_ldexp_f32 v31, v32, v30
	v_add_f32_e32 v32, -1.0, v31
	v_add_f32_e32 v34, 1.0, v31
	v_ldexp_f32 v30, v33, v30
	v_add_f32_e32 v33, 1.0, v32
	s_waitcnt lgkmcnt(0)
	v_add_f32_e32 v35, -1.0, v34
	v_sub_f32_e32 v33, v31, v33
	v_sub_f32_e32 v31, v31, v35
	v_add_f32_e32 v33, v30, v33
	v_add_f32_e32 v30, v30, v31
	;; [unrolled: 1-line block ×3, first 2 shown]
	v_rcp_f32_e32 v41, v39
	v_sub_f32_e32 v31, v34, v39
	v_add_f32_e32 v40, v30, v31
	v_add_f32_e32 v31, v32, v33
	v_mul_f32_e32 v43, v31, v41
	v_sub_f32_e32 v30, v32, v31
	v_mul_f32_e32 v32, v39, v43
	v_fma_f32 v34, v43, v39, -v32
	v_fmac_f32_e32 v34, v43, v40
	v_add_f32_e32 v42, v33, v30
	v_add_f32_e32 v30, v32, v34
	v_sub_f32_e32 v33, v31, v30
	v_pk_add_f32 v[36:37], v[30:31], v[32:33] neg_lo:[0,1] neg_hi:[0,1]
	v_mov_b32_e32 v35, v30
	v_pk_add_f32 v[30:31], v[36:37], v[34:35] neg_lo:[0,1] neg_hi:[0,1]
	v_cmp_neq_f32_e32 vcc, s6, v13
	v_add_f32_e32 v31, v42, v31
	v_add_f32_e32 v30, v30, v31
	v_add_f32_e32 v31, v33, v30
	v_mul_f32_e32 v42, v41, v31
	v_mul_f32_e32 v32, v39, v42
	v_fma_f32 v34, v42, v39, -v32
	v_fmac_f32_e32 v34, v42, v40
	v_sub_f32_e32 v33, v33, v31
	v_add_f32_e32 v39, v30, v33
	v_add_f32_e32 v30, v32, v34
	v_sub_f32_e32 v33, v31, v30
	v_pk_add_f32 v[36:37], v[30:31], v[32:33] neg_lo:[0,1] neg_hi:[0,1]
	v_mov_b32_e32 v35, v30
	v_pk_add_f32 v[30:31], v[36:37], v[34:35] neg_lo:[0,1] neg_hi:[0,1]
	v_cvt_f32_i32_e32 v32, v38
	v_add_f32_e32 v31, v39, v31
	v_add_f32_e32 v30, v30, v31
	;; [unrolled: 1-line block ×4, first 2 shown]
	v_sub_f32_e32 v31, v33, v43
	v_mul_f32_e32 v30, v41, v30
	v_sub_f32_e32 v31, v42, v31
	v_add_f32_e32 v30, v31, v30
	v_add_f32_e32 v34, v33, v30
	v_mul_f32_e32 v36, v34, v34
	v_mov_b32_e32 v31, 0x3ecc95a3
	v_sub_f32_e32 v33, v34, v33
	v_fmac_f32_e32 v31, 0x3e9b6dac, v36
	v_sub_f32_e32 v30, v30, v33
	v_fmaak_f32 v31, v36, v31, 0x3f2aaada
	v_ldexp_f32 v37, v30, 1
	v_mul_f32_e32 v33, v34, v36
	v_mov_b32_e32 v30, 0x3f317218
	v_pk_mul_f32 v[30:31], v[32:33], v[30:31]
	v_ldexp_f32 v35, v34, 1
	v_fma_f32 v33, v32, s4, -v30
	v_fmamk_f32 v34, v32, 0xb102e308, v33
	v_pk_add_f32 v[32:33], v[30:31], v[34:35]
	v_mov_b32_e32 v36, v30
	v_sub_f32_e32 v35, v33, v35
	v_sub_f32_e32 v35, v31, v35
	v_add_f32_e32 v37, v37, v35
	v_pk_add_f32 v[30:31], v[32:33], v[30:31] neg_lo:[0,1] neg_hi:[0,1]
	v_pk_add_f32 v[38:39], v[32:33], v[36:37]
	v_mov_b32_e32 v35, v32
	v_mov_b32_e32 v31, v39
	v_pk_add_f32 v[40:41], v[34:35], v[30:31] neg_lo:[0,1] neg_hi:[0,1]
	v_pk_add_f32 v[30:31], v[34:35], v[30:31]
	v_mov_b32_e32 v36, v37
	v_pk_add_f32 v[34:35], v[30:31], v[32:33] op_sel:[1,0] op_sel_hi:[0,1] neg_lo:[0,1] neg_hi:[0,1]
	v_pk_add_f32 v[42:43], v[38:39], v[34:35] op_sel_hi:[1,0] neg_lo:[0,1] neg_hi:[0,1]
	v_mov_b32_e32 v38, v39
	v_mov_b32_e32 v39, v31
	v_pk_mov_b32 v[34:35], v[32:33], v[34:35] op_sel:[1,0]
	v_mov_b32_e32 v37, v32
	v_pk_add_f32 v[34:35], v[38:39], v[34:35] neg_lo:[0,1] neg_hi:[0,1]
	v_mov_b32_e32 v42, v40
	v_pk_add_f32 v[32:33], v[36:37], v[34:35] neg_lo:[0,1] neg_hi:[0,1]
	v_mov_b32_e32 v41, v31
	v_pk_add_f32 v[34:35], v[42:43], v[32:33]
	s_mov_b32 s4, 0x33800000
	v_pk_add_f32 v[36:37], v[34:35], v[34:35] op_sel:[0,1] op_sel_hi:[1,0]
	s_nop 0
	v_pk_add_f32 v[30:31], v[30:31], v[36:37] op_sel:[1,0] op_sel_hi:[0,1]
	v_mov_b32_e32 v35, v30
	v_pk_add_f32 v[38:39], v[34:35], v[40:41] neg_lo:[0,1] neg_hi:[0,1]
	v_mov_b32_e32 v33, v36
	v_sub_f32_e32 v31, v34, v38
	v_pk_add_f32 v[32:33], v[32:33], v[38:39] neg_lo:[0,1] neg_hi:[0,1]
	v_sub_f32_e32 v31, v40, v31
	v_add_f32_e32 v31, v32, v31
	v_add_f32_e32 v31, v31, v33
	;; [unrolled: 1-line block ×3, first 2 shown]
	v_cndmask_b32_e32 v30, v44, v30, vcc
	v_cmp_lt_f32_e64 vcc, |v13|, s4
	s_nop 1
	v_cndmask_b32_e32 v13, v30, v13, vcc
	v_add_f32_e32 v30, v12, v13
.LBB503_278:
	s_or_b64 exec, exec, s[2:3]
	v_bfe_u32 v12, v30, 16, 1
	v_add3_u32 v12, v30, v12, s5
	v_cmp_o_f32_e32 vcc, v30, v30
	s_movk_i32 s4, 0x1f8
	s_nop 0
	v_cndmask_b32_sdwa v12, v8, v12, vcc dst_sel:DWORD dst_unused:UNUSED_PAD src0_sel:DWORD src1_sel:WORD_1
	v_lshlrev_b32_e32 v13, 16, v12
	v_max_f32_e32 v8, v13, v13
	v_min_f32_e32 v30, v8, v15
	v_cmp_u_f32_e32 vcc, v13, v13
	v_max_f32_e32 v8, v8, v15
	s_nop 0
	v_cndmask_b32_e32 v30, v30, v13, vcc
	v_cndmask_b32_e32 v8, v8, v13, vcc
	v_cndmask_b32_e64 v30, v30, v9, s[8:9]
	v_cndmask_b32_e64 v8, v8, v9, s[8:9]
	v_cmp_neq_f32_e32 vcc, v30, v8
	v_cmp_class_f32_e64 s[2:3], v30, s4
	s_or_b64 s[6:7], vcc, s[2:3]
	s_and_saveexec_b64 s[2:3], s[6:7]
	s_cbranch_execz .LBB503_280
; %bb.279:
	v_sub_f32_e32 v9, v30, v8
	s_mov_b32 s5, 0x3fb8aa3b
	v_mul_f32_e32 v13, 0x3fb8aa3b, v9
	v_fma_f32 v15, v9, s5, -v13
	v_rndne_f32_e32 v30, v13
	v_fmamk_f32 v15, v9, 0x32a5705f, v15
	v_sub_f32_e32 v13, v13, v30
	v_add_f32_e32 v13, v13, v15
	v_exp_f32_e32 v13, v13
	v_cvt_i32_f32_e32 v15, v30
	s_mov_b32 s5, 0xc2ce8ed0
	v_cmp_ngt_f32_e32 vcc, s5, v9
	s_mov_b32 s5, 0x42b17218
	v_ldexp_f32 v13, v13, v15
	v_cndmask_b32_e32 v13, 0, v13, vcc
	v_mov_b32_e32 v15, 0x7f800000
	v_cmp_nlt_f32_e32 vcc, s5, v9
	s_mov_b32 s5, 0x3f2aaaab
	s_mov_b32 s6, 0x7f800000
	v_cndmask_b32_e32 v9, v15, v13, vcc
	v_add_f32_e32 v13, 1.0, v9
	v_add_f32_e32 v30, -1.0, v13
	v_sub_f32_e32 v31, v30, v13
	v_add_f32_e32 v31, 1.0, v31
	v_sub_f32_e32 v30, v9, v30
	v_add_f32_e32 v32, v30, v31
	v_frexp_mant_f32_e32 v33, v13
	v_cvt_f64_f32_e32 v[30:31], v13
	v_frexp_exp_i32_f64_e32 v30, v[30:31]
	v_cmp_gt_f32_e32 vcc, s5, v33
	s_mov_b32 s5, 0x3f317218
	s_nop 0
	v_subbrev_co_u32_e32 v38, vcc, 0, v30, vcc
	v_sub_u32_e32 v30, 0, v38
	v_ldexp_f32 v13, v13, v30
	v_ldexp_f32 v30, v32, v30
	v_add_f32_e32 v32, -1.0, v13
	v_add_f32_e32 v31, 1.0, v32
	v_sub_f32_e32 v31, v13, v31
	v_add_f32_e32 v33, v30, v31
	v_add_f32_e32 v31, 1.0, v13
	v_add_f32_e32 v34, -1.0, v31
	v_sub_f32_e32 v13, v13, v34
	v_add_f32_e32 v13, v30, v13
	v_add_f32_e32 v39, v31, v13
	v_rcp_f32_e32 v40, v39
	v_sub_f32_e32 v30, v31, v39
	v_add_f32_e32 v31, v32, v33
	v_add_f32_e32 v13, v13, v30
	v_mul_f32_e32 v42, v31, v40
	v_sub_f32_e32 v30, v32, v31
	v_mul_f32_e32 v32, v39, v42
	v_fma_f32 v34, v42, v39, -v32
	v_fmac_f32_e32 v34, v42, v13
	v_add_f32_e32 v41, v33, v30
	v_add_f32_e32 v30, v32, v34
	v_sub_f32_e32 v33, v31, v30
	v_pk_add_f32 v[36:37], v[30:31], v[32:33] neg_lo:[0,1] neg_hi:[0,1]
	s_waitcnt lgkmcnt(0)
	v_mov_b32_e32 v35, v30
	v_pk_add_f32 v[30:31], v[36:37], v[34:35] neg_lo:[0,1] neg_hi:[0,1]
	v_cmp_neq_f32_e32 vcc, s6, v9
	v_add_f32_e32 v31, v41, v31
	v_add_f32_e32 v30, v30, v31
	;; [unrolled: 1-line block ×3, first 2 shown]
	v_mul_f32_e32 v41, v40, v31
	v_mul_f32_e32 v32, v39, v41
	v_fma_f32 v34, v41, v39, -v32
	v_fmac_f32_e32 v34, v41, v13
	v_sub_f32_e32 v13, v33, v31
	v_add_f32_e32 v13, v30, v13
	v_add_f32_e32 v30, v32, v34
	v_sub_f32_e32 v33, v31, v30
	v_pk_add_f32 v[36:37], v[30:31], v[32:33] neg_lo:[0,1] neg_hi:[0,1]
	v_mov_b32_e32 v35, v30
	v_pk_add_f32 v[30:31], v[36:37], v[34:35] neg_lo:[0,1] neg_hi:[0,1]
	v_cvt_f32_i32_e32 v32, v38
	v_add_f32_e32 v13, v13, v31
	v_add_f32_e32 v13, v30, v13
	v_add_f32_e32 v30, v42, v41
	v_add_f32_e32 v13, v33, v13
	v_sub_f32_e32 v31, v30, v42
	v_mul_f32_e32 v13, v40, v13
	v_sub_f32_e32 v31, v41, v31
	v_add_f32_e32 v13, v31, v13
	v_add_f32_e32 v33, v30, v13
	v_mul_f32_e32 v34, v33, v33
	v_mov_b32_e32 v31, 0x3ecc95a3
	v_fmac_f32_e32 v31, 0x3e9b6dac, v34
	v_sub_f32_e32 v30, v33, v30
	v_fmaak_f32 v31, v34, v31, 0x3f2aaada
	v_sub_f32_e32 v13, v13, v30
	v_ldexp_f32 v35, v33, 1
	v_mul_f32_e32 v33, v33, v34
	v_mov_b32_e32 v30, 0x3f317218
	v_pk_mul_f32 v[30:31], v[32:33], v[30:31]
	v_ldexp_f32 v13, v13, 1
	v_fma_f32 v33, v32, s5, -v30
	v_fmamk_f32 v34, v32, 0xb102e308, v33
	v_pk_add_f32 v[32:33], v[30:31], v[34:35]
	v_mov_b32_e32 v36, v30
	v_sub_f32_e32 v35, v33, v35
	v_sub_f32_e32 v35, v31, v35
	v_add_f32_e32 v37, v13, v35
	v_pk_add_f32 v[30:31], v[32:33], v[30:31] neg_lo:[0,1] neg_hi:[0,1]
	v_pk_add_f32 v[38:39], v[32:33], v[36:37]
	v_mov_b32_e32 v35, v32
	v_mov_b32_e32 v31, v39
	v_pk_add_f32 v[40:41], v[34:35], v[30:31] neg_lo:[0,1] neg_hi:[0,1]
	v_pk_add_f32 v[30:31], v[34:35], v[30:31]
	v_mov_b32_e32 v36, v37
	v_pk_add_f32 v[34:35], v[30:31], v[32:33] op_sel:[1,0] op_sel_hi:[0,1] neg_lo:[0,1] neg_hi:[0,1]
	v_pk_add_f32 v[42:43], v[38:39], v[34:35] op_sel_hi:[1,0] neg_lo:[0,1] neg_hi:[0,1]
	v_mov_b32_e32 v38, v39
	v_mov_b32_e32 v39, v31
	v_pk_mov_b32 v[34:35], v[32:33], v[34:35] op_sel:[1,0]
	v_mov_b32_e32 v37, v32
	v_pk_add_f32 v[34:35], v[38:39], v[34:35] neg_lo:[0,1] neg_hi:[0,1]
	v_mov_b32_e32 v42, v40
	v_pk_add_f32 v[32:33], v[36:37], v[34:35] neg_lo:[0,1] neg_hi:[0,1]
	v_mov_b32_e32 v41, v31
	v_pk_add_f32 v[34:35], v[42:43], v[32:33]
	s_mov_b32 s5, 0x33800000
	v_pk_add_f32 v[36:37], v[34:35], v[34:35] op_sel:[0,1] op_sel_hi:[1,0]
	s_nop 0
	v_pk_add_f32 v[30:31], v[30:31], v[36:37] op_sel:[1,0] op_sel_hi:[0,1]
	v_mov_b32_e32 v35, v30
	v_pk_add_f32 v[38:39], v[34:35], v[40:41] neg_lo:[0,1] neg_hi:[0,1]
	v_mov_b32_e32 v33, v36
	v_sub_f32_e32 v13, v34, v38
	v_pk_add_f32 v[32:33], v[32:33], v[38:39] neg_lo:[0,1] neg_hi:[0,1]
	v_sub_f32_e32 v13, v40, v13
	v_add_f32_e32 v13, v32, v13
	v_add_f32_e32 v13, v13, v33
	;; [unrolled: 1-line block ×3, first 2 shown]
	v_cndmask_b32_e32 v13, v15, v13, vcc
	v_cmp_lt_f32_e64 vcc, |v9|, s5
	s_nop 1
	v_cndmask_b32_e32 v9, v13, v9, vcc
	v_add_f32_e32 v13, v8, v9
.LBB503_280:
	s_or_b64 exec, exec, s[2:3]
	v_bfe_u32 v8, v13, 16, 1
	s_movk_i32 s5, 0x7fff
	v_add3_u32 v9, v13, v8, s5
	v_cmp_o_f32_e32 vcc, v13, v13
	v_mov_b32_e32 v8, 0x7fc0
	s_nop 0
	v_cndmask_b32_sdwa v13, v8, v9, vcc dst_sel:DWORD dst_unused:UNUSED_PAD src0_sel:DWORD src1_sel:WORD_1
	v_lshlrev_b32_e32 v15, 16, v13
	v_max_f32_e32 v9, v15, v15
	v_min_f32_e32 v30, v9, v16
	v_cmp_u_f32_e32 vcc, v15, v15
	v_max_f32_e32 v9, v9, v16
	s_nop 0
	v_cndmask_b32_e32 v30, v30, v15, vcc
	v_cndmask_b32_e32 v9, v9, v15, vcc
	v_cndmask_b32_e64 v30, v30, v14, s[10:11]
	v_cndmask_b32_e64 v9, v9, v14, s[10:11]
	v_cmp_neq_f32_e32 vcc, v30, v9
	v_cmp_class_f32_e64 s[2:3], v30, s4
	s_or_b64 s[6:7], vcc, s[2:3]
	s_and_saveexec_b64 s[2:3], s[6:7]
	s_cbranch_execz .LBB503_282
; %bb.281:
	v_sub_f32_e32 v14, v30, v9
	s_mov_b32 s4, 0x3fb8aa3b
	v_mul_f32_e32 v15, 0x3fb8aa3b, v14
	v_fma_f32 v16, v14, s4, -v15
	v_rndne_f32_e32 v30, v15
	v_fmamk_f32 v16, v14, 0x32a5705f, v16
	v_sub_f32_e32 v15, v15, v30
	v_add_f32_e32 v15, v15, v16
	v_exp_f32_e32 v15, v15
	v_cvt_i32_f32_e32 v16, v30
	s_mov_b32 s4, 0xc2ce8ed0
	v_cmp_ngt_f32_e32 vcc, s4, v14
	s_mov_b32 s4, 0x42b17218
	v_ldexp_f32 v15, v15, v16
	v_cndmask_b32_e32 v15, 0, v15, vcc
	v_mov_b32_e32 v16, 0x7f800000
	v_cmp_nlt_f32_e32 vcc, s4, v14
	s_mov_b32 s4, 0x3f2aaaab
	s_mov_b32 s6, 0x7f800000
	v_cndmask_b32_e32 v42, v16, v15, vcc
	v_add_f32_e32 v30, 1.0, v42
	v_add_f32_e32 v14, -1.0, v30
	v_sub_f32_e32 v15, v14, v30
	v_add_f32_e32 v15, 1.0, v15
	v_sub_f32_e32 v14, v42, v14
	v_add_f32_e32 v31, v14, v15
	v_frexp_mant_f32_e32 v32, v30
	v_cvt_f64_f32_e32 v[14:15], v30
	v_frexp_exp_i32_f64_e32 v14, v[14:15]
	v_cmp_gt_f32_e32 vcc, s4, v32
	s_mov_b32 s4, 0x3f317218
	s_nop 0
	v_subbrev_co_u32_e32 v36, vcc, 0, v14, vcc
	v_sub_u32_e32 v14, 0, v36
	v_ldexp_f32 v15, v30, v14
	v_add_f32_e32 v30, -1.0, v15
	v_add_f32_e32 v32, 1.0, v15
	v_ldexp_f32 v14, v31, v14
	v_add_f32_e32 v31, 1.0, v30
	v_add_f32_e32 v33, -1.0, v32
	v_sub_f32_e32 v31, v15, v31
	v_sub_f32_e32 v15, v15, v33
	v_add_f32_e32 v31, v14, v31
	v_add_f32_e32 v14, v14, v15
	;; [unrolled: 1-line block ×3, first 2 shown]
	v_rcp_f32_e32 v39, v37
	v_sub_f32_e32 v15, v32, v37
	v_add_f32_e32 v38, v14, v15
	v_add_f32_e32 v15, v30, v31
	v_mul_f32_e32 v41, v15, v39
	v_sub_f32_e32 v14, v30, v15
	v_mul_f32_e32 v30, v37, v41
	v_fma_f32 v32, v41, v37, -v30
	v_fmac_f32_e32 v32, v41, v38
	v_add_f32_e32 v40, v31, v14
	v_add_f32_e32 v14, v30, v32
	v_sub_f32_e32 v31, v15, v14
	s_waitcnt lgkmcnt(0)
	v_pk_add_f32 v[34:35], v[14:15], v[30:31] neg_lo:[0,1] neg_hi:[0,1]
	v_mov_b32_e32 v33, v14
	v_pk_add_f32 v[14:15], v[34:35], v[32:33] neg_lo:[0,1] neg_hi:[0,1]
	v_cmp_neq_f32_e32 vcc, s6, v42
	v_add_f32_e32 v15, v40, v15
	v_add_f32_e32 v14, v14, v15
	;; [unrolled: 1-line block ×3, first 2 shown]
	v_mul_f32_e32 v40, v39, v15
	v_mul_f32_e32 v30, v37, v40
	v_fma_f32 v32, v40, v37, -v30
	v_fmac_f32_e32 v32, v40, v38
	v_sub_f32_e32 v31, v31, v15
	v_add_f32_e32 v37, v14, v31
	v_add_f32_e32 v14, v30, v32
	v_sub_f32_e32 v31, v15, v14
	v_pk_add_f32 v[34:35], v[14:15], v[30:31] neg_lo:[0,1] neg_hi:[0,1]
	v_mov_b32_e32 v33, v14
	v_pk_add_f32 v[14:15], v[34:35], v[32:33] neg_lo:[0,1] neg_hi:[0,1]
	v_cvt_f32_i32_e32 v30, v36
	v_add_f32_e32 v15, v37, v15
	v_add_f32_e32 v14, v14, v15
	;; [unrolled: 1-line block ×4, first 2 shown]
	v_sub_f32_e32 v15, v31, v41
	v_mul_f32_e32 v14, v39, v14
	v_sub_f32_e32 v15, v40, v15
	v_add_f32_e32 v14, v15, v14
	v_add_f32_e32 v32, v31, v14
	v_mul_f32_e32 v34, v32, v32
	v_mov_b32_e32 v15, 0x3ecc95a3
	v_sub_f32_e32 v31, v32, v31
	v_fmac_f32_e32 v15, 0x3e9b6dac, v34
	v_sub_f32_e32 v14, v14, v31
	v_fmaak_f32 v15, v34, v15, 0x3f2aaada
	v_ldexp_f32 v35, v14, 1
	v_mul_f32_e32 v31, v32, v34
	v_mov_b32_e32 v14, 0x3f317218
	v_pk_mul_f32 v[14:15], v[30:31], v[14:15]
	v_ldexp_f32 v33, v32, 1
	v_fma_f32 v31, v30, s4, -v14
	v_fmamk_f32 v32, v30, 0xb102e308, v31
	v_pk_add_f32 v[30:31], v[14:15], v[32:33]
	v_mov_b32_e32 v34, v14
	v_sub_f32_e32 v33, v31, v33
	v_sub_f32_e32 v33, v15, v33
	v_add_f32_e32 v35, v35, v33
	v_pk_add_f32 v[14:15], v[30:31], v[14:15] neg_lo:[0,1] neg_hi:[0,1]
	v_pk_add_f32 v[36:37], v[30:31], v[34:35]
	v_mov_b32_e32 v33, v30
	v_mov_b32_e32 v15, v37
	v_pk_add_f32 v[38:39], v[32:33], v[14:15] neg_lo:[0,1] neg_hi:[0,1]
	v_pk_add_f32 v[14:15], v[32:33], v[14:15]
	v_mov_b32_e32 v34, v35
	v_pk_add_f32 v[32:33], v[14:15], v[30:31] op_sel:[1,0] op_sel_hi:[0,1] neg_lo:[0,1] neg_hi:[0,1]
	v_pk_add_f32 v[40:41], v[36:37], v[32:33] op_sel_hi:[1,0] neg_lo:[0,1] neg_hi:[0,1]
	v_mov_b32_e32 v36, v37
	v_mov_b32_e32 v37, v15
	v_pk_mov_b32 v[32:33], v[30:31], v[32:33] op_sel:[1,0]
	v_mov_b32_e32 v35, v30
	v_pk_add_f32 v[32:33], v[36:37], v[32:33] neg_lo:[0,1] neg_hi:[0,1]
	v_mov_b32_e32 v40, v38
	v_pk_add_f32 v[30:31], v[34:35], v[32:33] neg_lo:[0,1] neg_hi:[0,1]
	v_mov_b32_e32 v39, v15
	v_pk_add_f32 v[32:33], v[40:41], v[30:31]
	s_mov_b32 s4, 0x33800000
	v_pk_add_f32 v[34:35], v[32:33], v[32:33] op_sel:[0,1] op_sel_hi:[1,0]
	s_nop 0
	v_pk_add_f32 v[14:15], v[14:15], v[34:35] op_sel:[1,0] op_sel_hi:[0,1]
	v_mov_b32_e32 v33, v14
	v_pk_add_f32 v[36:37], v[32:33], v[38:39] neg_lo:[0,1] neg_hi:[0,1]
	v_mov_b32_e32 v31, v34
	v_sub_f32_e32 v15, v32, v36
	v_pk_add_f32 v[30:31], v[30:31], v[36:37] neg_lo:[0,1] neg_hi:[0,1]
	v_sub_f32_e32 v15, v38, v15
	v_add_f32_e32 v15, v30, v15
	v_add_f32_e32 v15, v15, v31
	;; [unrolled: 1-line block ×3, first 2 shown]
	v_cndmask_b32_e32 v14, v16, v14, vcc
	v_cmp_lt_f32_e64 vcc, |v42|, s4
	s_nop 1
	v_cndmask_b32_e32 v14, v14, v42, vcc
	v_add_f32_e32 v15, v9, v14
.LBB503_282:
	s_or_b64 exec, exec, s[2:3]
	v_bfe_u32 v9, v15, 16, 1
	v_add3_u32 v9, v15, v9, s5
	v_cmp_o_f32_e32 vcc, v15, v15
	s_movk_i32 s4, 0x1f8
	s_nop 0
	v_cndmask_b32_sdwa v14, v8, v9, vcc dst_sel:DWORD dst_unused:UNUSED_PAD src0_sel:DWORD src1_sel:WORD_1
	v_lshlrev_b32_e32 v8, 16, v14
	v_max_f32_e32 v15, v8, v8
	v_min_f32_e32 v9, v15, v18
	v_cmp_u_f32_e32 vcc, v8, v8
	v_max_f32_e32 v15, v15, v18
	s_nop 0
	v_cndmask_b32_e32 v9, v9, v8, vcc
	v_cndmask_b32_e32 v15, v15, v8, vcc
	v_cndmask_b32_e64 v9, v9, v6, s[12:13]
	v_cndmask_b32_e64 v6, v15, v6, s[12:13]
	v_cmp_neq_f32_e32 vcc, v9, v6
	v_cmp_class_f32_e64 s[2:3], v9, s4
	s_or_b64 s[6:7], vcc, s[2:3]
	s_and_saveexec_b64 s[2:3], s[6:7]
	s_cbranch_execz .LBB503_284
; %bb.283:
	v_sub_f32_e32 v8, v9, v6
	s_mov_b32 s5, 0x3fb8aa3b
	v_mul_f32_e32 v9, 0x3fb8aa3b, v8
	v_fma_f32 v15, v8, s5, -v9
	v_rndne_f32_e32 v16, v9
	v_fmamk_f32 v15, v8, 0x32a5705f, v15
	v_sub_f32_e32 v9, v9, v16
	v_add_f32_e32 v9, v9, v15
	v_exp_f32_e32 v9, v9
	v_cvt_i32_f32_e32 v15, v16
	s_mov_b32 s5, 0xc2ce8ed0
	v_cmp_ngt_f32_e32 vcc, s5, v8
	s_mov_b32 s5, 0x42b17218
	v_ldexp_f32 v9, v9, v15
	v_cndmask_b32_e32 v9, 0, v9, vcc
	v_mov_b32_e32 v15, 0x7f800000
	v_cmp_nlt_f32_e32 vcc, s5, v8
	s_mov_b32 s5, 0x3f2aaaab
	s_mov_b32 s6, 0x7f800000
	v_cndmask_b32_e32 v16, v15, v9, vcc
	v_add_f32_e32 v18, 1.0, v16
	v_add_f32_e32 v8, -1.0, v18
	v_sub_f32_e32 v9, v8, v18
	v_add_f32_e32 v9, 1.0, v9
	v_sub_f32_e32 v8, v16, v8
	v_add_f32_e32 v30, v8, v9
	v_frexp_mant_f32_e32 v31, v18
	v_cvt_f64_f32_e32 v[8:9], v18
	v_frexp_exp_i32_f64_e32 v8, v[8:9]
	v_cmp_gt_f32_e32 vcc, s5, v31
	s_mov_b32 s5, 0x3f317218
	s_nop 0
	v_subbrev_co_u32_e32 v36, vcc, 0, v8, vcc
	v_sub_u32_e32 v8, 0, v36
	v_ldexp_f32 v9, v18, v8
	v_add_f32_e32 v18, -1.0, v9
	v_add_f32_e32 v31, 1.0, v9
	v_ldexp_f32 v8, v30, v8
	v_add_f32_e32 v30, 1.0, v18
	v_add_f32_e32 v32, -1.0, v31
	v_sub_f32_e32 v30, v9, v30
	v_sub_f32_e32 v9, v9, v32
	v_add_f32_e32 v30, v8, v30
	v_add_f32_e32 v8, v8, v9
	;; [unrolled: 1-line block ×3, first 2 shown]
	v_rcp_f32_e32 v39, v37
	v_sub_f32_e32 v9, v31, v37
	v_add_f32_e32 v38, v8, v9
	v_add_f32_e32 v9, v18, v30
	v_sub_f32_e32 v8, v18, v9
	v_mul_f32_e32 v40, v9, v39
	v_add_f32_e32 v18, v30, v8
	v_mul_f32_e32 v30, v37, v40
	v_fma_f32 v32, v40, v37, -v30
	v_fmac_f32_e32 v32, v40, v38
	v_add_f32_e32 v8, v30, v32
	v_sub_f32_e32 v31, v9, v8
	s_waitcnt lgkmcnt(0)
	v_pk_add_f32 v[34:35], v[8:9], v[30:31] neg_lo:[0,1] neg_hi:[0,1]
	v_mov_b32_e32 v33, v8
	v_pk_add_f32 v[8:9], v[34:35], v[32:33] neg_lo:[0,1] neg_hi:[0,1]
	v_cmp_neq_f32_e32 vcc, s6, v16
	v_add_f32_e32 v9, v18, v9
	v_add_f32_e32 v8, v8, v9
	v_add_f32_e32 v9, v31, v8
	v_mul_f32_e32 v18, v39, v9
	v_mul_f32_e32 v30, v37, v18
	v_fma_f32 v32, v18, v37, -v30
	v_fmac_f32_e32 v32, v18, v38
	v_sub_f32_e32 v31, v31, v9
	v_add_f32_e32 v37, v8, v31
	v_add_f32_e32 v8, v30, v32
	v_sub_f32_e32 v31, v9, v8
	v_pk_add_f32 v[34:35], v[8:9], v[30:31] neg_lo:[0,1] neg_hi:[0,1]
	v_mov_b32_e32 v33, v8
	v_pk_add_f32 v[8:9], v[34:35], v[32:33] neg_lo:[0,1] neg_hi:[0,1]
	v_cvt_f32_i32_e32 v30, v36
	v_add_f32_e32 v9, v37, v9
	v_add_f32_e32 v8, v8, v9
	;; [unrolled: 1-line block ×4, first 2 shown]
	v_sub_f32_e32 v9, v31, v40
	v_mul_f32_e32 v8, v39, v8
	v_sub_f32_e32 v9, v18, v9
	v_add_f32_e32 v8, v9, v8
	v_add_f32_e32 v18, v31, v8
	v_mul_f32_e32 v32, v18, v18
	v_mov_b32_e32 v9, 0x3ecc95a3
	v_sub_f32_e32 v31, v18, v31
	v_fmac_f32_e32 v9, 0x3e9b6dac, v32
	v_sub_f32_e32 v8, v8, v31
	v_fmaak_f32 v9, v32, v9, 0x3f2aaada
	v_ldexp_f32 v34, v8, 1
	v_mul_f32_e32 v31, v18, v32
	v_mov_b32_e32 v8, 0x3f317218
	v_pk_mul_f32 v[8:9], v[30:31], v[8:9]
	v_ldexp_f32 v33, v18, 1
	v_fma_f32 v18, v30, s5, -v8
	v_fmamk_f32 v32, v30, 0xb102e308, v18
	v_pk_add_f32 v[30:31], v[8:9], v[32:33]
	s_mov_b32 s5, 0x33800000
	v_sub_f32_e32 v18, v31, v33
	v_sub_f32_e32 v18, v9, v18
	v_add_f32_e32 v35, v34, v18
	v_mov_b32_e32 v34, v8
	v_pk_add_f32 v[8:9], v[30:31], v[8:9] neg_lo:[0,1] neg_hi:[0,1]
	v_pk_add_f32 v[36:37], v[30:31], v[34:35]
	v_mov_b32_e32 v33, v30
	v_mov_b32_e32 v9, v37
	v_pk_add_f32 v[38:39], v[32:33], v[8:9] neg_lo:[0,1] neg_hi:[0,1]
	v_pk_add_f32 v[8:9], v[32:33], v[8:9]
	v_mov_b32_e32 v34, v35
	v_pk_add_f32 v[32:33], v[8:9], v[30:31] op_sel:[1,0] op_sel_hi:[0,1] neg_lo:[0,1] neg_hi:[0,1]
	v_pk_add_f32 v[40:41], v[36:37], v[32:33] op_sel_hi:[1,0] neg_lo:[0,1] neg_hi:[0,1]
	v_mov_b32_e32 v36, v37
	v_mov_b32_e32 v37, v9
	v_pk_mov_b32 v[32:33], v[30:31], v[32:33] op_sel:[1,0]
	v_mov_b32_e32 v35, v30
	v_pk_add_f32 v[32:33], v[36:37], v[32:33] neg_lo:[0,1] neg_hi:[0,1]
	v_mov_b32_e32 v40, v38
	v_pk_add_f32 v[30:31], v[34:35], v[32:33] neg_lo:[0,1] neg_hi:[0,1]
	v_mov_b32_e32 v39, v9
	v_pk_add_f32 v[32:33], v[40:41], v[30:31]
	s_nop 0
	v_pk_add_f32 v[34:35], v[32:33], v[32:33] op_sel:[0,1] op_sel_hi:[1,0]
	s_nop 0
	v_pk_add_f32 v[8:9], v[8:9], v[34:35] op_sel:[1,0] op_sel_hi:[0,1]
	v_mov_b32_e32 v33, v8
	v_pk_add_f32 v[36:37], v[32:33], v[38:39] neg_lo:[0,1] neg_hi:[0,1]
	v_mov_b32_e32 v31, v34
	v_sub_f32_e32 v9, v32, v36
	v_pk_add_f32 v[30:31], v[30:31], v[36:37] neg_lo:[0,1] neg_hi:[0,1]
	v_sub_f32_e32 v9, v38, v9
	v_add_f32_e32 v9, v30, v9
	v_add_f32_e32 v9, v9, v31
	;; [unrolled: 1-line block ×3, first 2 shown]
	v_cndmask_b32_e32 v8, v15, v8, vcc
	v_cmp_lt_f32_e64 vcc, |v16|, s5
	s_nop 1
	v_cndmask_b32_e32 v8, v8, v16, vcc
	v_add_f32_e32 v8, v6, v8
.LBB503_284:
	s_or_b64 exec, exec, s[2:3]
	v_bfe_u32 v6, v8, 16, 1
	s_movk_i32 s5, 0x7fff
	v_add3_u32 v9, v8, v6, s5
	v_cmp_o_f32_e32 vcc, v8, v8
	v_mov_b32_e32 v6, 0x7fc0
	s_nop 0
	v_cndmask_b32_sdwa v15, v6, v9, vcc dst_sel:DWORD dst_unused:UNUSED_PAD src0_sel:DWORD src1_sel:WORD_1
	v_lshlrev_b32_e32 v9, 16, v15
	v_max_f32_e32 v8, v9, v9
	v_min_f32_e32 v16, v8, v19
	v_cmp_u_f32_e32 vcc, v9, v9
	v_max_f32_e32 v8, v8, v19
	s_nop 0
	v_cndmask_b32_e32 v16, v16, v9, vcc
	v_cndmask_b32_e32 v8, v8, v9, vcc
	v_cndmask_b32_e64 v16, v16, v17, s[14:15]
	v_cndmask_b32_e64 v8, v8, v17, s[14:15]
	v_cmp_neq_f32_e32 vcc, v16, v8
	v_cmp_class_f32_e64 s[2:3], v16, s4
	s_or_b64 s[6:7], vcc, s[2:3]
	s_and_saveexec_b64 s[2:3], s[6:7]
	s_cbranch_execz .LBB503_286
; %bb.285:
	v_sub_f32_e32 v9, v16, v8
	s_mov_b32 s4, 0x3fb8aa3b
	v_mul_f32_e32 v16, 0x3fb8aa3b, v9
	v_fma_f32 v17, v9, s4, -v16
	v_rndne_f32_e32 v18, v16
	v_fmamk_f32 v17, v9, 0x32a5705f, v17
	v_sub_f32_e32 v16, v16, v18
	v_add_f32_e32 v16, v16, v17
	v_exp_f32_e32 v16, v16
	v_cvt_i32_f32_e32 v17, v18
	s_mov_b32 s4, 0xc2ce8ed0
	v_cmp_ngt_f32_e32 vcc, s4, v9
	s_mov_b32 s4, 0x42b17218
	v_ldexp_f32 v16, v16, v17
	v_cndmask_b32_e32 v16, 0, v16, vcc
	v_mov_b32_e32 v40, 0x7f800000
	v_cmp_nlt_f32_e32 vcc, s4, v9
	s_mov_b32 s4, 0x3f2aaaab
	s_mov_b32 s6, 0x7f800000
	v_cndmask_b32_e32 v9, v40, v16, vcc
	v_add_f32_e32 v18, 1.0, v9
	v_add_f32_e32 v16, -1.0, v18
	v_sub_f32_e32 v17, v16, v18
	v_add_f32_e32 v17, 1.0, v17
	v_sub_f32_e32 v16, v9, v16
	v_add_f32_e32 v19, v16, v17
	v_frexp_mant_f32_e32 v30, v18
	v_cvt_f64_f32_e32 v[16:17], v18
	v_frexp_exp_i32_f64_e32 v16, v[16:17]
	v_cmp_gt_f32_e32 vcc, s4, v30
	s_mov_b32 s4, 0x3f317218
	s_nop 0
	v_subbrev_co_u32_e32 v34, vcc, 0, v16, vcc
	v_sub_u32_e32 v16, 0, v34
	v_ldexp_f32 v17, v18, v16
	v_add_f32_e32 v18, -1.0, v17
	v_add_f32_e32 v30, 1.0, v17
	v_ldexp_f32 v16, v19, v16
	v_add_f32_e32 v19, 1.0, v18
	v_add_f32_e32 v31, -1.0, v30
	v_sub_f32_e32 v19, v17, v19
	v_sub_f32_e32 v17, v17, v31
	v_add_f32_e32 v19, v16, v19
	v_add_f32_e32 v16, v16, v17
	s_waitcnt lgkmcnt(0)
	v_add_f32_e32 v35, v30, v16
	v_rcp_f32_e32 v37, v35
	v_sub_f32_e32 v17, v30, v35
	v_add_f32_e32 v36, v16, v17
	v_add_f32_e32 v17, v18, v19
	v_mul_f32_e32 v39, v17, v37
	v_sub_f32_e32 v16, v18, v17
	v_mul_f32_e32 v18, v35, v39
	v_fma_f32 v30, v39, v35, -v18
	v_fmac_f32_e32 v30, v39, v36
	v_add_f32_e32 v38, v19, v16
	v_add_f32_e32 v16, v18, v30
	v_sub_f32_e32 v19, v17, v16
	v_pk_add_f32 v[32:33], v[16:17], v[18:19] neg_lo:[0,1] neg_hi:[0,1]
	v_mov_b32_e32 v31, v16
	v_pk_add_f32 v[16:17], v[32:33], v[30:31] neg_lo:[0,1] neg_hi:[0,1]
	v_cmp_neq_f32_e32 vcc, s6, v9
	v_add_f32_e32 v17, v38, v17
	v_add_f32_e32 v16, v16, v17
	;; [unrolled: 1-line block ×3, first 2 shown]
	v_mul_f32_e32 v38, v37, v17
	v_mul_f32_e32 v18, v35, v38
	v_fma_f32 v30, v38, v35, -v18
	v_fmac_f32_e32 v30, v38, v36
	v_sub_f32_e32 v19, v19, v17
	v_add_f32_e32 v35, v16, v19
	v_add_f32_e32 v16, v18, v30
	v_sub_f32_e32 v19, v17, v16
	v_pk_add_f32 v[32:33], v[16:17], v[18:19] neg_lo:[0,1] neg_hi:[0,1]
	v_mov_b32_e32 v31, v16
	v_pk_add_f32 v[16:17], v[32:33], v[30:31] neg_lo:[0,1] neg_hi:[0,1]
	v_cvt_f32_i32_e32 v18, v34
	v_add_f32_e32 v17, v35, v17
	v_add_f32_e32 v16, v16, v17
	;; [unrolled: 1-line block ×4, first 2 shown]
	v_sub_f32_e32 v17, v19, v39
	v_mul_f32_e32 v16, v37, v16
	v_sub_f32_e32 v17, v38, v17
	v_add_f32_e32 v16, v17, v16
	v_add_f32_e32 v30, v19, v16
	v_mul_f32_e32 v32, v30, v30
	v_mov_b32_e32 v17, 0x3ecc95a3
	v_sub_f32_e32 v19, v30, v19
	v_fmac_f32_e32 v17, 0x3e9b6dac, v32
	v_sub_f32_e32 v16, v16, v19
	v_fmaak_f32 v17, v32, v17, 0x3f2aaada
	v_ldexp_f32 v33, v16, 1
	v_mul_f32_e32 v19, v30, v32
	v_mov_b32_e32 v16, 0x3f317218
	v_pk_mul_f32 v[16:17], v[18:19], v[16:17]
	v_ldexp_f32 v31, v30, 1
	v_fma_f32 v19, v18, s4, -v16
	v_fmamk_f32 v30, v18, 0xb102e308, v19
	v_pk_add_f32 v[18:19], v[16:17], v[30:31]
	v_mov_b32_e32 v32, v16
	v_sub_f32_e32 v31, v19, v31
	v_sub_f32_e32 v31, v17, v31
	v_add_f32_e32 v33, v33, v31
	v_pk_add_f32 v[16:17], v[18:19], v[16:17] neg_lo:[0,1] neg_hi:[0,1]
	v_pk_add_f32 v[34:35], v[18:19], v[32:33]
	v_mov_b32_e32 v31, v18
	v_mov_b32_e32 v17, v35
	v_pk_add_f32 v[36:37], v[30:31], v[16:17] neg_lo:[0,1] neg_hi:[0,1]
	v_pk_add_f32 v[16:17], v[30:31], v[16:17]
	v_mov_b32_e32 v32, v33
	v_pk_add_f32 v[30:31], v[16:17], v[18:19] op_sel:[1,0] op_sel_hi:[0,1] neg_lo:[0,1] neg_hi:[0,1]
	v_pk_add_f32 v[38:39], v[34:35], v[30:31] op_sel_hi:[1,0] neg_lo:[0,1] neg_hi:[0,1]
	v_mov_b32_e32 v34, v35
	v_mov_b32_e32 v35, v17
	v_pk_mov_b32 v[30:31], v[18:19], v[30:31] op_sel:[1,0]
	v_mov_b32_e32 v33, v18
	v_pk_add_f32 v[30:31], v[34:35], v[30:31] neg_lo:[0,1] neg_hi:[0,1]
	v_mov_b32_e32 v38, v36
	v_pk_add_f32 v[18:19], v[32:33], v[30:31] neg_lo:[0,1] neg_hi:[0,1]
	v_mov_b32_e32 v37, v17
	v_pk_add_f32 v[30:31], v[38:39], v[18:19]
	s_mov_b32 s4, 0x33800000
	v_pk_add_f32 v[32:33], v[30:31], v[30:31] op_sel:[0,1] op_sel_hi:[1,0]
	s_nop 0
	v_pk_add_f32 v[16:17], v[16:17], v[32:33] op_sel:[1,0] op_sel_hi:[0,1]
	v_mov_b32_e32 v31, v16
	v_pk_add_f32 v[34:35], v[30:31], v[36:37] neg_lo:[0,1] neg_hi:[0,1]
	v_mov_b32_e32 v19, v32
	v_sub_f32_e32 v17, v30, v34
	v_pk_add_f32 v[18:19], v[18:19], v[34:35] neg_lo:[0,1] neg_hi:[0,1]
	v_sub_f32_e32 v17, v36, v17
	v_add_f32_e32 v17, v18, v17
	v_add_f32_e32 v17, v17, v19
	;; [unrolled: 1-line block ×3, first 2 shown]
	v_cndmask_b32_e32 v16, v40, v16, vcc
	v_cmp_lt_f32_e64 vcc, |v9|, s4
	s_nop 1
	v_cndmask_b32_e32 v9, v16, v9, vcc
	v_add_f32_e32 v9, v8, v9
.LBB503_286:
	s_or_b64 exec, exec, s[2:3]
	v_bfe_u32 v8, v9, 16, 1
	v_add3_u32 v8, v9, v8, s5
	v_cmp_o_f32_e32 vcc, v9, v9
	s_movk_i32 s4, 0x1f8
	s_nop 0
	v_cndmask_b32_sdwa v16, v6, v8, vcc dst_sel:DWORD dst_unused:UNUSED_PAD src0_sel:DWORD src1_sel:WORD_1
	v_lshlrev_b32_e32 v8, 16, v16
	v_max_f32_e32 v6, v8, v8
	v_min_f32_e32 v9, v6, v21
	v_cmp_u_f32_e32 vcc, v8, v8
	v_max_f32_e32 v6, v6, v21
	s_nop 0
	v_cndmask_b32_e32 v9, v9, v8, vcc
	v_cndmask_b32_e32 v6, v6, v8, vcc
	v_cndmask_b32_e64 v9, v9, v7, s[16:17]
	v_cndmask_b32_e64 v6, v6, v7, s[16:17]
	v_cmp_neq_f32_e32 vcc, v9, v6
	v_cmp_class_f32_e64 s[2:3], v9, s4
	s_or_b64 s[6:7], vcc, s[2:3]
	s_and_saveexec_b64 s[2:3], s[6:7]
	s_cbranch_execz .LBB503_288
; %bb.287:
	v_sub_f32_e32 v7, v9, v6
	s_mov_b32 s5, 0x3fb8aa3b
	v_mul_f32_e32 v8, 0x3fb8aa3b, v7
	v_fma_f32 v9, v7, s5, -v8
	v_rndne_f32_e32 v17, v8
	v_fmamk_f32 v9, v7, 0x32a5705f, v9
	v_sub_f32_e32 v8, v8, v17
	v_add_f32_e32 v8, v8, v9
	v_exp_f32_e32 v8, v8
	v_cvt_i32_f32_e32 v9, v17
	s_mov_b32 s5, 0xc2ce8ed0
	v_cmp_ngt_f32_e32 vcc, s5, v7
	s_mov_b32 s5, 0x42b17218
	v_ldexp_f32 v8, v8, v9
	v_cndmask_b32_e32 v8, 0, v8, vcc
	v_mov_b32_e32 v17, 0x7f800000
	v_cmp_nlt_f32_e32 vcc, s5, v7
	s_mov_b32 s5, 0x3f2aaaab
	s_mov_b32 s6, 0x7f800000
	v_cndmask_b32_e32 v7, v17, v8, vcc
	v_add_f32_e32 v18, 1.0, v7
	v_add_f32_e32 v8, -1.0, v18
	v_sub_f32_e32 v9, v8, v18
	v_add_f32_e32 v9, 1.0, v9
	v_sub_f32_e32 v8, v7, v8
	v_add_f32_e32 v19, v8, v9
	v_frexp_mant_f32_e32 v21, v18
	v_cvt_f64_f32_e32 v[8:9], v18
	v_frexp_exp_i32_f64_e32 v8, v[8:9]
	v_cmp_gt_f32_e32 vcc, s5, v21
	s_mov_b32 s5, 0x3f317218
	s_nop 0
	v_subbrev_co_u32_e32 v21, vcc, 0, v8, vcc
	v_sub_u32_e32 v8, 0, v21
	v_ldexp_f32 v9, v18, v8
	v_add_f32_e32 v18, -1.0, v9
	v_add_f32_e32 v30, 1.0, v9
	v_ldexp_f32 v8, v19, v8
	v_add_f32_e32 v19, 1.0, v18
	v_add_f32_e32 v31, -1.0, v30
	v_sub_f32_e32 v19, v9, v19
	v_sub_f32_e32 v9, v9, v31
	v_add_f32_e32 v19, v8, v19
	v_add_f32_e32 v8, v8, v9
	;; [unrolled: 1-line block ×3, first 2 shown]
	v_rcp_f32_e32 v36, v34
	v_sub_f32_e32 v9, v30, v34
	s_waitcnt lgkmcnt(0)
	v_add_f32_e32 v35, v8, v9
	v_add_f32_e32 v9, v18, v19
	v_mul_f32_e32 v38, v9, v36
	v_sub_f32_e32 v8, v18, v9
	v_mul_f32_e32 v18, v34, v38
	v_fma_f32 v30, v38, v34, -v18
	v_fmac_f32_e32 v30, v38, v35
	v_add_f32_e32 v37, v19, v8
	v_add_f32_e32 v8, v18, v30
	v_sub_f32_e32 v19, v9, v8
	v_pk_add_f32 v[32:33], v[8:9], v[18:19] neg_lo:[0,1] neg_hi:[0,1]
	v_mov_b32_e32 v31, v8
	v_pk_add_f32 v[8:9], v[32:33], v[30:31] neg_lo:[0,1] neg_hi:[0,1]
	v_cmp_neq_f32_e32 vcc, s6, v7
	v_add_f32_e32 v9, v37, v9
	v_add_f32_e32 v8, v8, v9
	;; [unrolled: 1-line block ×3, first 2 shown]
	v_mul_f32_e32 v37, v36, v9
	v_mul_f32_e32 v18, v34, v37
	v_fma_f32 v30, v37, v34, -v18
	v_fmac_f32_e32 v30, v37, v35
	v_sub_f32_e32 v19, v19, v9
	v_add_f32_e32 v34, v8, v19
	v_add_f32_e32 v8, v18, v30
	v_sub_f32_e32 v19, v9, v8
	v_pk_add_f32 v[32:33], v[8:9], v[18:19] neg_lo:[0,1] neg_hi:[0,1]
	v_mov_b32_e32 v31, v8
	v_pk_add_f32 v[8:9], v[32:33], v[30:31] neg_lo:[0,1] neg_hi:[0,1]
	v_cvt_f32_i32_e32 v18, v21
	v_add_f32_e32 v9, v34, v9
	v_add_f32_e32 v8, v8, v9
	;; [unrolled: 1-line block ×4, first 2 shown]
	v_sub_f32_e32 v9, v19, v38
	v_mul_f32_e32 v8, v36, v8
	v_sub_f32_e32 v9, v37, v9
	v_add_f32_e32 v8, v9, v8
	v_add_f32_e32 v30, v19, v8
	v_mul_f32_e32 v32, v30, v30
	v_mov_b32_e32 v9, 0x3ecc95a3
	v_sub_f32_e32 v19, v30, v19
	v_fmac_f32_e32 v9, 0x3e9b6dac, v32
	v_sub_f32_e32 v8, v8, v19
	v_fmaak_f32 v9, v32, v9, 0x3f2aaada
	v_ldexp_f32 v21, v8, 1
	v_mul_f32_e32 v19, v30, v32
	v_mov_b32_e32 v8, 0x3f317218
	v_pk_mul_f32 v[8:9], v[18:19], v[8:9]
	v_ldexp_f32 v31, v30, 1
	v_fma_f32 v19, v18, s5, -v8
	v_fmamk_f32 v30, v18, 0xb102e308, v19
	v_pk_add_f32 v[18:19], v[8:9], v[30:31]
	v_mov_b32_e32 v32, v8
	v_sub_f32_e32 v31, v19, v31
	v_sub_f32_e32 v31, v9, v31
	v_add_f32_e32 v33, v21, v31
	v_pk_add_f32 v[8:9], v[18:19], v[8:9] neg_lo:[0,1] neg_hi:[0,1]
	v_pk_add_f32 v[34:35], v[18:19], v[32:33]
	v_mov_b32_e32 v31, v18
	v_mov_b32_e32 v9, v35
	v_pk_add_f32 v[36:37], v[30:31], v[8:9] neg_lo:[0,1] neg_hi:[0,1]
	v_pk_add_f32 v[8:9], v[30:31], v[8:9]
	v_mov_b32_e32 v32, v33
	v_pk_add_f32 v[30:31], v[8:9], v[18:19] op_sel:[1,0] op_sel_hi:[0,1] neg_lo:[0,1] neg_hi:[0,1]
	v_pk_add_f32 v[38:39], v[34:35], v[30:31] op_sel_hi:[1,0] neg_lo:[0,1] neg_hi:[0,1]
	v_mov_b32_e32 v34, v35
	v_mov_b32_e32 v35, v9
	v_pk_mov_b32 v[30:31], v[18:19], v[30:31] op_sel:[1,0]
	v_mov_b32_e32 v33, v18
	v_pk_add_f32 v[30:31], v[34:35], v[30:31] neg_lo:[0,1] neg_hi:[0,1]
	v_mov_b32_e32 v38, v36
	v_pk_add_f32 v[18:19], v[32:33], v[30:31] neg_lo:[0,1] neg_hi:[0,1]
	v_mov_b32_e32 v37, v9
	v_pk_add_f32 v[30:31], v[38:39], v[18:19]
	s_mov_b32 s5, 0x33800000
	v_pk_add_f32 v[32:33], v[30:31], v[30:31] op_sel:[0,1] op_sel_hi:[1,0]
	s_nop 0
	v_pk_add_f32 v[8:9], v[8:9], v[32:33] op_sel:[1,0] op_sel_hi:[0,1]
	v_mov_b32_e32 v31, v8
	v_pk_add_f32 v[34:35], v[30:31], v[36:37] neg_lo:[0,1] neg_hi:[0,1]
	v_mov_b32_e32 v19, v32
	v_sub_f32_e32 v9, v30, v34
	v_pk_add_f32 v[18:19], v[18:19], v[34:35] neg_lo:[0,1] neg_hi:[0,1]
	v_sub_f32_e32 v9, v36, v9
	v_add_f32_e32 v9, v18, v9
	v_add_f32_e32 v9, v9, v19
	;; [unrolled: 1-line block ×3, first 2 shown]
	v_cndmask_b32_e32 v8, v17, v8, vcc
	v_cmp_lt_f32_e64 vcc, |v7|, s5
	s_nop 1
	v_cndmask_b32_e32 v7, v8, v7, vcc
	v_add_f32_e32 v8, v6, v7
.LBB503_288:
	s_or_b64 exec, exec, s[2:3]
	v_bfe_u32 v6, v8, 16, 1
	s_movk_i32 s5, 0x7fff
	v_add3_u32 v7, v8, v6, s5
	v_cmp_o_f32_e32 vcc, v8, v8
	v_mov_b32_e32 v6, 0x7fc0
	s_nop 0
	v_cndmask_b32_sdwa v17, v6, v7, vcc dst_sel:DWORD dst_unused:UNUSED_PAD src0_sel:DWORD src1_sel:WORD_1
	v_lshlrev_b32_e32 v8, 16, v17
	v_max_f32_e32 v7, v8, v8
	v_min_f32_e32 v9, v7, v22
	v_cmp_u_f32_e32 vcc, v8, v8
	v_max_f32_e32 v7, v7, v22
	s_nop 0
	v_cndmask_b32_e32 v9, v9, v8, vcc
	v_cndmask_b32_e32 v7, v7, v8, vcc
	v_cndmask_b32_e64 v9, v9, v20, s[18:19]
	v_cndmask_b32_e64 v7, v7, v20, s[18:19]
	v_cmp_neq_f32_e32 vcc, v9, v7
	v_cmp_class_f32_e64 s[2:3], v9, s4
	s_or_b64 s[6:7], vcc, s[2:3]
	s_and_saveexec_b64 s[2:3], s[6:7]
	s_cbranch_execz .LBB503_290
; %bb.289:
	v_sub_f32_e32 v8, v9, v7
	s_mov_b32 s4, 0x3fb8aa3b
	v_mul_f32_e32 v9, 0x3fb8aa3b, v8
	v_fma_f32 v18, v8, s4, -v9
	v_rndne_f32_e32 v19, v9
	v_fmamk_f32 v18, v8, 0x32a5705f, v18
	v_sub_f32_e32 v9, v9, v19
	v_add_f32_e32 v9, v9, v18
	v_exp_f32_e32 v9, v9
	v_cvt_i32_f32_e32 v18, v19
	s_mov_b32 s4, 0xc2ce8ed0
	v_cmp_ngt_f32_e32 vcc, s4, v8
	s_mov_b32 s4, 0x42b17218
	v_ldexp_f32 v9, v9, v18
	v_cndmask_b32_e32 v9, 0, v9, vcc
	v_mov_b32_e32 v22, 0x7f800000
	v_cmp_nlt_f32_e32 vcc, s4, v8
	s_mov_b32 s4, 0x3f2aaaab
	s_mov_b32 s6, 0x7f800000
	v_cndmask_b32_e32 v38, v22, v9, vcc
	v_add_f32_e32 v18, 1.0, v38
	v_add_f32_e32 v8, -1.0, v18
	v_sub_f32_e32 v9, v8, v18
	v_add_f32_e32 v9, 1.0, v9
	v_sub_f32_e32 v8, v38, v8
	v_add_f32_e32 v19, v8, v9
	v_frexp_mant_f32_e32 v20, v18
	v_cvt_f64_f32_e32 v[8:9], v18
	v_frexp_exp_i32_f64_e32 v8, v[8:9]
	v_cmp_gt_f32_e32 vcc, s4, v20
	s_mov_b32 s4, 0x3f317218
	s_nop 0
	v_subbrev_co_u32_e32 v32, vcc, 0, v8, vcc
	v_sub_u32_e32 v8, 0, v32
	v_ldexp_f32 v9, v18, v8
	v_add_f32_e32 v18, -1.0, v9
	v_add_f32_e32 v20, 1.0, v9
	v_ldexp_f32 v8, v19, v8
	v_add_f32_e32 v19, 1.0, v18
	v_add_f32_e32 v21, -1.0, v20
	v_sub_f32_e32 v19, v9, v19
	v_sub_f32_e32 v9, v9, v21
	v_add_f32_e32 v19, v8, v19
	v_add_f32_e32 v8, v8, v9
	v_add_f32_e32 v33, v20, v8
	s_waitcnt lgkmcnt(0)
	v_rcp_f32_e32 v35, v33
	v_sub_f32_e32 v9, v20, v33
	v_add_f32_e32 v34, v8, v9
	v_add_f32_e32 v9, v18, v19
	v_mul_f32_e32 v37, v9, v35
	v_sub_f32_e32 v8, v18, v9
	v_mul_f32_e32 v18, v33, v37
	v_fma_f32 v20, v37, v33, -v18
	v_fmac_f32_e32 v20, v37, v34
	v_add_f32_e32 v36, v19, v8
	v_add_f32_e32 v8, v18, v20
	v_sub_f32_e32 v19, v9, v8
	v_pk_add_f32 v[30:31], v[8:9], v[18:19] neg_lo:[0,1] neg_hi:[0,1]
	v_mov_b32_e32 v21, v8
	v_pk_add_f32 v[8:9], v[30:31], v[20:21] neg_lo:[0,1] neg_hi:[0,1]
	v_cmp_neq_f32_e32 vcc, s6, v38
	v_add_f32_e32 v9, v36, v9
	v_add_f32_e32 v8, v8, v9
	;; [unrolled: 1-line block ×3, first 2 shown]
	v_mul_f32_e32 v36, v35, v9
	v_mul_f32_e32 v18, v33, v36
	v_fma_f32 v20, v36, v33, -v18
	v_fmac_f32_e32 v20, v36, v34
	v_sub_f32_e32 v19, v19, v9
	v_add_f32_e32 v33, v8, v19
	v_add_f32_e32 v8, v18, v20
	v_sub_f32_e32 v19, v9, v8
	v_pk_add_f32 v[30:31], v[8:9], v[18:19] neg_lo:[0,1] neg_hi:[0,1]
	v_mov_b32_e32 v21, v8
	v_pk_add_f32 v[8:9], v[30:31], v[20:21] neg_lo:[0,1] neg_hi:[0,1]
	v_cvt_f32_i32_e32 v18, v32
	v_add_f32_e32 v9, v33, v9
	v_add_f32_e32 v8, v8, v9
	;; [unrolled: 1-line block ×4, first 2 shown]
	v_sub_f32_e32 v9, v19, v37
	v_mul_f32_e32 v8, v35, v8
	v_sub_f32_e32 v9, v36, v9
	v_add_f32_e32 v8, v9, v8
	v_add_f32_e32 v20, v19, v8
	v_mul_f32_e32 v30, v20, v20
	v_mov_b32_e32 v9, 0x3ecc95a3
	v_sub_f32_e32 v19, v20, v19
	v_fmac_f32_e32 v9, 0x3e9b6dac, v30
	v_sub_f32_e32 v8, v8, v19
	v_fmaak_f32 v9, v30, v9, 0x3f2aaada
	v_ldexp_f32 v31, v8, 1
	v_mul_f32_e32 v19, v20, v30
	v_mov_b32_e32 v8, 0x3f317218
	v_pk_mul_f32 v[8:9], v[18:19], v[8:9]
	v_ldexp_f32 v21, v20, 1
	v_fma_f32 v19, v18, s4, -v8
	v_fmamk_f32 v20, v18, 0xb102e308, v19
	v_pk_add_f32 v[18:19], v[8:9], v[20:21]
	v_mov_b32_e32 v30, v8
	v_sub_f32_e32 v21, v19, v21
	v_sub_f32_e32 v21, v9, v21
	v_add_f32_e32 v31, v31, v21
	v_pk_add_f32 v[8:9], v[18:19], v[8:9] neg_lo:[0,1] neg_hi:[0,1]
	v_pk_add_f32 v[32:33], v[18:19], v[30:31]
	v_mov_b32_e32 v21, v18
	v_mov_b32_e32 v9, v33
	v_pk_add_f32 v[34:35], v[20:21], v[8:9] neg_lo:[0,1] neg_hi:[0,1]
	v_pk_add_f32 v[8:9], v[20:21], v[8:9]
	v_mov_b32_e32 v30, v31
	v_pk_add_f32 v[20:21], v[8:9], v[18:19] op_sel:[1,0] op_sel_hi:[0,1] neg_lo:[0,1] neg_hi:[0,1]
	v_pk_add_f32 v[36:37], v[32:33], v[20:21] op_sel_hi:[1,0] neg_lo:[0,1] neg_hi:[0,1]
	v_mov_b32_e32 v32, v33
	v_mov_b32_e32 v33, v9
	v_pk_mov_b32 v[20:21], v[18:19], v[20:21] op_sel:[1,0]
	v_mov_b32_e32 v31, v18
	v_pk_add_f32 v[20:21], v[32:33], v[20:21] neg_lo:[0,1] neg_hi:[0,1]
	v_mov_b32_e32 v36, v34
	v_pk_add_f32 v[18:19], v[30:31], v[20:21] neg_lo:[0,1] neg_hi:[0,1]
	v_mov_b32_e32 v35, v9
	v_pk_add_f32 v[20:21], v[36:37], v[18:19]
	s_mov_b32 s4, 0x33800000
	v_pk_add_f32 v[30:31], v[20:21], v[20:21] op_sel:[0,1] op_sel_hi:[1,0]
	s_nop 0
	v_pk_add_f32 v[8:9], v[8:9], v[30:31] op_sel:[1,0] op_sel_hi:[0,1]
	v_mov_b32_e32 v21, v8
	v_pk_add_f32 v[32:33], v[20:21], v[34:35] neg_lo:[0,1] neg_hi:[0,1]
	v_mov_b32_e32 v19, v30
	v_sub_f32_e32 v9, v20, v32
	v_pk_add_f32 v[18:19], v[18:19], v[32:33] neg_lo:[0,1] neg_hi:[0,1]
	v_sub_f32_e32 v9, v34, v9
	v_add_f32_e32 v9, v18, v9
	v_add_f32_e32 v9, v9, v19
	;; [unrolled: 1-line block ×3, first 2 shown]
	v_cndmask_b32_e32 v8, v22, v8, vcc
	v_cmp_lt_f32_e64 vcc, |v38|, s4
	s_nop 1
	v_cndmask_b32_e32 v8, v8, v38, vcc
	v_add_f32_e32 v8, v7, v8
.LBB503_290:
	s_or_b64 exec, exec, s[2:3]
	v_bfe_u32 v7, v8, 16, 1
	v_add3_u32 v7, v8, v7, s5
	v_cmp_o_f32_e32 vcc, v8, v8
	s_movk_i32 s4, 0x1f8
	s_nop 0
	v_cndmask_b32_sdwa v18, v6, v7, vcc dst_sel:DWORD dst_unused:UNUSED_PAD src0_sel:DWORD src1_sel:WORD_1
	v_lshlrev_b32_e32 v6, 16, v18
	v_max_f32_e32 v8, v6, v6
	v_min_f32_e32 v7, v8, v24
	v_cmp_u_f32_e32 vcc, v6, v6
	v_max_f32_e32 v8, v8, v24
	s_nop 0
	v_cndmask_b32_e32 v7, v7, v6, vcc
	v_cndmask_b32_e32 v8, v8, v6, vcc
	v_cndmask_b32_e64 v7, v7, v4, s[20:21]
	v_cndmask_b32_e64 v4, v8, v4, s[20:21]
	v_cmp_neq_f32_e32 vcc, v7, v4
	v_cmp_class_f32_e64 s[2:3], v7, s4
	s_or_b64 s[6:7], vcc, s[2:3]
	s_and_saveexec_b64 s[2:3], s[6:7]
	s_cbranch_execz .LBB503_292
; %bb.291:
	v_sub_f32_e32 v6, v7, v4
	s_mov_b32 s5, 0x3fb8aa3b
	v_mul_f32_e32 v7, 0x3fb8aa3b, v6
	v_fma_f32 v8, v6, s5, -v7
	v_rndne_f32_e32 v9, v7
	v_fmamk_f32 v8, v6, 0x32a5705f, v8
	v_sub_f32_e32 v7, v7, v9
	v_add_f32_e32 v7, v7, v8
	v_exp_f32_e32 v7, v7
	v_cvt_i32_f32_e32 v8, v9
	s_mov_b32 s5, 0xc2ce8ed0
	v_cmp_ngt_f32_e32 vcc, s5, v6
	s_mov_b32 s5, 0x42b17218
	v_ldexp_f32 v7, v7, v8
	v_cndmask_b32_e32 v7, 0, v7, vcc
	v_mov_b32_e32 v19, 0x7f800000
	v_cmp_nlt_f32_e32 vcc, s5, v6
	s_mov_b32 s5, 0x3f2aaaab
	s_mov_b32 s6, 0x7f800000
	v_cndmask_b32_e32 v22, v19, v7, vcc
	v_add_f32_e32 v8, 1.0, v22
	v_add_f32_e32 v6, -1.0, v8
	v_sub_f32_e32 v7, v6, v8
	v_add_f32_e32 v7, 1.0, v7
	v_sub_f32_e32 v6, v22, v6
	v_add_f32_e32 v9, v6, v7
	v_frexp_mant_f32_e32 v20, v8
	v_cvt_f64_f32_e32 v[6:7], v8
	v_frexp_exp_i32_f64_e32 v6, v[6:7]
	v_cmp_gt_f32_e32 vcc, s5, v20
	s_mov_b32 s5, 0x3f317218
	s_nop 0
	v_subbrev_co_u32_e32 v24, vcc, 0, v6, vcc
	v_sub_u32_e32 v6, 0, v24
	v_ldexp_f32 v7, v8, v6
	v_add_f32_e32 v8, -1.0, v7
	v_add_f32_e32 v20, 1.0, v7
	v_ldexp_f32 v6, v9, v6
	v_add_f32_e32 v9, 1.0, v8
	v_add_f32_e32 v21, -1.0, v20
	v_sub_f32_e32 v9, v7, v9
	v_sub_f32_e32 v7, v7, v21
	v_add_f32_e32 v9, v6, v9
	v_add_f32_e32 v6, v6, v7
	;; [unrolled: 1-line block ×3, first 2 shown]
	v_rcp_f32_e32 v34, v32
	v_sub_f32_e32 v7, v20, v32
	v_add_f32_e32 v33, v6, v7
	v_add_f32_e32 v7, v8, v9
	v_mul_f32_e32 v36, v7, v34
	v_sub_f32_e32 v6, v8, v7
	v_mul_f32_e32 v8, v32, v36
	v_fma_f32 v20, v36, v32, -v8
	v_fmac_f32_e32 v20, v36, v33
	s_waitcnt lgkmcnt(0)
	v_add_f32_e32 v35, v9, v6
	v_add_f32_e32 v6, v8, v20
	v_sub_f32_e32 v9, v7, v6
	v_pk_add_f32 v[30:31], v[6:7], v[8:9] neg_lo:[0,1] neg_hi:[0,1]
	v_mov_b32_e32 v21, v6
	v_pk_add_f32 v[6:7], v[30:31], v[20:21] neg_lo:[0,1] neg_hi:[0,1]
	v_cmp_neq_f32_e32 vcc, s6, v22
	v_add_f32_e32 v7, v35, v7
	v_add_f32_e32 v6, v6, v7
	;; [unrolled: 1-line block ×3, first 2 shown]
	v_mul_f32_e32 v35, v34, v7
	v_mul_f32_e32 v8, v32, v35
	v_fma_f32 v20, v35, v32, -v8
	v_fmac_f32_e32 v20, v35, v33
	v_sub_f32_e32 v9, v9, v7
	v_add_f32_e32 v32, v6, v9
	v_add_f32_e32 v6, v8, v20
	v_sub_f32_e32 v9, v7, v6
	v_pk_add_f32 v[30:31], v[6:7], v[8:9] neg_lo:[0,1] neg_hi:[0,1]
	v_mov_b32_e32 v21, v6
	v_pk_add_f32 v[6:7], v[30:31], v[20:21] neg_lo:[0,1] neg_hi:[0,1]
	v_cvt_f32_i32_e32 v8, v24
	v_add_f32_e32 v7, v32, v7
	v_add_f32_e32 v6, v6, v7
	;; [unrolled: 1-line block ×4, first 2 shown]
	v_sub_f32_e32 v7, v9, v36
	v_mul_f32_e32 v6, v34, v6
	v_sub_f32_e32 v7, v35, v7
	v_add_f32_e32 v6, v7, v6
	v_add_f32_e32 v20, v9, v6
	v_mul_f32_e32 v30, v20, v20
	v_mov_b32_e32 v7, 0x3ecc95a3
	v_sub_f32_e32 v9, v20, v9
	v_fmac_f32_e32 v7, 0x3e9b6dac, v30
	v_sub_f32_e32 v6, v6, v9
	v_fmaak_f32 v7, v30, v7, 0x3f2aaada
	v_ldexp_f32 v24, v6, 1
	v_mul_f32_e32 v9, v20, v30
	v_mov_b32_e32 v6, 0x3f317218
	v_pk_mul_f32 v[6:7], v[8:9], v[6:7]
	v_ldexp_f32 v21, v20, 1
	v_fma_f32 v9, v8, s5, -v6
	v_fmamk_f32 v20, v8, 0xb102e308, v9
	v_pk_add_f32 v[8:9], v[6:7], v[20:21]
	v_mov_b32_e32 v30, v6
	v_sub_f32_e32 v21, v9, v21
	v_sub_f32_e32 v21, v7, v21
	v_add_f32_e32 v31, v24, v21
	v_pk_add_f32 v[6:7], v[8:9], v[6:7] neg_lo:[0,1] neg_hi:[0,1]
	v_pk_add_f32 v[32:33], v[8:9], v[30:31]
	v_mov_b32_e32 v21, v8
	v_mov_b32_e32 v7, v33
	v_pk_add_f32 v[34:35], v[20:21], v[6:7] neg_lo:[0,1] neg_hi:[0,1]
	v_pk_add_f32 v[6:7], v[20:21], v[6:7]
	v_mov_b32_e32 v30, v31
	v_pk_add_f32 v[20:21], v[6:7], v[8:9] op_sel:[1,0] op_sel_hi:[0,1] neg_lo:[0,1] neg_hi:[0,1]
	v_pk_add_f32 v[36:37], v[32:33], v[20:21] op_sel_hi:[1,0] neg_lo:[0,1] neg_hi:[0,1]
	v_mov_b32_e32 v32, v33
	v_mov_b32_e32 v33, v7
	v_pk_mov_b32 v[20:21], v[8:9], v[20:21] op_sel:[1,0]
	v_mov_b32_e32 v31, v8
	v_pk_add_f32 v[20:21], v[32:33], v[20:21] neg_lo:[0,1] neg_hi:[0,1]
	v_mov_b32_e32 v36, v34
	v_pk_add_f32 v[8:9], v[30:31], v[20:21] neg_lo:[0,1] neg_hi:[0,1]
	v_mov_b32_e32 v35, v7
	v_pk_add_f32 v[20:21], v[36:37], v[8:9]
	s_mov_b32 s5, 0x33800000
	v_pk_add_f32 v[30:31], v[20:21], v[20:21] op_sel:[0,1] op_sel_hi:[1,0]
	s_nop 0
	v_pk_add_f32 v[6:7], v[6:7], v[30:31] op_sel:[1,0] op_sel_hi:[0,1]
	v_mov_b32_e32 v21, v6
	v_pk_add_f32 v[32:33], v[20:21], v[34:35] neg_lo:[0,1] neg_hi:[0,1]
	v_mov_b32_e32 v9, v30
	v_sub_f32_e32 v7, v20, v32
	v_pk_add_f32 v[8:9], v[8:9], v[32:33] neg_lo:[0,1] neg_hi:[0,1]
	v_sub_f32_e32 v7, v34, v7
	v_add_f32_e32 v7, v8, v7
	v_add_f32_e32 v7, v7, v9
	;; [unrolled: 1-line block ×3, first 2 shown]
	v_cndmask_b32_e32 v6, v19, v6, vcc
	v_cmp_lt_f32_e64 vcc, |v22|, s5
	s_nop 1
	v_cndmask_b32_e32 v6, v6, v22, vcc
	v_add_f32_e32 v6, v4, v6
.LBB503_292:
	s_or_b64 exec, exec, s[2:3]
	v_bfe_u32 v4, v6, 16, 1
	s_movk_i32 s5, 0x7fff
	v_add3_u32 v7, v6, v4, s5
	v_cmp_o_f32_e32 vcc, v6, v6
	v_mov_b32_e32 v4, 0x7fc0
	s_nop 0
	v_cndmask_b32_sdwa v19, v4, v7, vcc dst_sel:DWORD dst_unused:UNUSED_PAD src0_sel:DWORD src1_sel:WORD_1
	v_lshlrev_b32_e32 v7, 16, v19
	v_max_f32_e32 v6, v7, v7
	v_min_f32_e32 v8, v6, v25
	v_cmp_u_f32_e32 vcc, v7, v7
	v_max_f32_e32 v6, v6, v25
	s_nop 0
	v_cndmask_b32_e32 v8, v8, v7, vcc
	v_cndmask_b32_e32 v6, v6, v7, vcc
	v_cndmask_b32_e64 v8, v8, v23, s[22:23]
	v_cndmask_b32_e64 v6, v6, v23, s[22:23]
	v_cmp_neq_f32_e32 vcc, v8, v6
	v_cmp_class_f32_e64 s[2:3], v8, s4
	s_or_b64 s[6:7], vcc, s[2:3]
	s_and_saveexec_b64 s[2:3], s[6:7]
	s_cbranch_execz .LBB503_294
; %bb.293:
	v_sub_f32_e32 v7, v8, v6
	s_mov_b32 s4, 0x3fb8aa3b
	v_mul_f32_e32 v8, 0x3fb8aa3b, v7
	v_fma_f32 v9, v7, s4, -v8
	v_rndne_f32_e32 v20, v8
	v_fmamk_f32 v9, v7, 0x32a5705f, v9
	v_sub_f32_e32 v8, v8, v20
	v_add_f32_e32 v8, v8, v9
	v_exp_f32_e32 v8, v8
	v_cvt_i32_f32_e32 v9, v20
	s_mov_b32 s4, 0xc2ce8ed0
	v_cmp_ngt_f32_e32 vcc, s4, v7
	s_mov_b32 s4, 0x42b17218
	v_ldexp_f32 v8, v8, v9
	v_cndmask_b32_e32 v8, 0, v8, vcc
	v_mov_b32_e32 v36, 0x7f800000
	v_cmp_nlt_f32_e32 vcc, s4, v7
	s_mov_b32 s4, 0x3f2aaaab
	s_mov_b32 s6, 0x7f800000
	v_cndmask_b32_e32 v7, v36, v8, vcc
	v_add_f32_e32 v20, 1.0, v7
	v_add_f32_e32 v8, -1.0, v20
	v_sub_f32_e32 v9, v8, v20
	v_add_f32_e32 v9, 1.0, v9
	v_sub_f32_e32 v8, v7, v8
	v_add_f32_e32 v21, v8, v9
	v_frexp_mant_f32_e32 v22, v20
	v_cvt_f64_f32_e32 v[8:9], v20
	v_frexp_exp_i32_f64_e32 v8, v[8:9]
	v_cmp_gt_f32_e32 vcc, s4, v22
	s_mov_b32 s4, 0x3f317218
	s_nop 0
	v_subbrev_co_u32_e32 v30, vcc, 0, v8, vcc
	v_sub_u32_e32 v8, 0, v30
	v_ldexp_f32 v9, v20, v8
	v_add_f32_e32 v20, -1.0, v9
	v_add_f32_e32 v22, 1.0, v9
	v_ldexp_f32 v8, v21, v8
	v_add_f32_e32 v21, 1.0, v20
	v_add_f32_e32 v23, -1.0, v22
	v_sub_f32_e32 v21, v9, v21
	v_sub_f32_e32 v9, v9, v23
	v_add_f32_e32 v21, v8, v21
	v_add_f32_e32 v8, v8, v9
	v_add_f32_e32 v31, v22, v8
	v_rcp_f32_e32 v33, v31
	v_sub_f32_e32 v9, v22, v31
	v_add_f32_e32 v32, v8, v9
	v_add_f32_e32 v9, v20, v21
	s_waitcnt lgkmcnt(0)
	v_mul_f32_e32 v35, v9, v33
	v_sub_f32_e32 v8, v20, v9
	v_mul_f32_e32 v20, v31, v35
	v_fma_f32 v22, v35, v31, -v20
	v_fmac_f32_e32 v22, v35, v32
	v_add_f32_e32 v34, v21, v8
	v_add_f32_e32 v8, v20, v22
	v_sub_f32_e32 v21, v9, v8
	v_pk_add_f32 v[24:25], v[8:9], v[20:21] neg_lo:[0,1] neg_hi:[0,1]
	v_mov_b32_e32 v23, v8
	v_pk_add_f32 v[8:9], v[24:25], v[22:23] neg_lo:[0,1] neg_hi:[0,1]
	v_cmp_neq_f32_e32 vcc, s6, v7
	v_add_f32_e32 v9, v34, v9
	v_add_f32_e32 v8, v8, v9
	;; [unrolled: 1-line block ×3, first 2 shown]
	v_mul_f32_e32 v34, v33, v9
	v_mul_f32_e32 v20, v31, v34
	v_fma_f32 v22, v34, v31, -v20
	v_fmac_f32_e32 v22, v34, v32
	v_sub_f32_e32 v21, v21, v9
	v_add_f32_e32 v31, v8, v21
	v_add_f32_e32 v8, v20, v22
	v_sub_f32_e32 v21, v9, v8
	v_pk_add_f32 v[24:25], v[8:9], v[20:21] neg_lo:[0,1] neg_hi:[0,1]
	v_mov_b32_e32 v23, v8
	v_pk_add_f32 v[8:9], v[24:25], v[22:23] neg_lo:[0,1] neg_hi:[0,1]
	v_cvt_f32_i32_e32 v20, v30
	v_add_f32_e32 v9, v31, v9
	v_add_f32_e32 v8, v8, v9
	;; [unrolled: 1-line block ×4, first 2 shown]
	v_sub_f32_e32 v9, v21, v35
	v_mul_f32_e32 v8, v33, v8
	v_sub_f32_e32 v9, v34, v9
	v_add_f32_e32 v8, v9, v8
	v_add_f32_e32 v22, v21, v8
	v_mul_f32_e32 v24, v22, v22
	v_mov_b32_e32 v9, 0x3ecc95a3
	v_sub_f32_e32 v21, v22, v21
	v_fmac_f32_e32 v9, 0x3e9b6dac, v24
	v_sub_f32_e32 v8, v8, v21
	v_fmaak_f32 v9, v24, v9, 0x3f2aaada
	v_ldexp_f32 v25, v8, 1
	v_mul_f32_e32 v21, v22, v24
	v_mov_b32_e32 v8, 0x3f317218
	v_pk_mul_f32 v[8:9], v[20:21], v[8:9]
	v_ldexp_f32 v23, v22, 1
	v_fma_f32 v21, v20, s4, -v8
	v_fmamk_f32 v22, v20, 0xb102e308, v21
	v_pk_add_f32 v[20:21], v[8:9], v[22:23]
	v_mov_b32_e32 v24, v8
	v_sub_f32_e32 v23, v21, v23
	v_sub_f32_e32 v23, v9, v23
	v_add_f32_e32 v25, v25, v23
	v_pk_add_f32 v[8:9], v[20:21], v[8:9] neg_lo:[0,1] neg_hi:[0,1]
	v_pk_add_f32 v[30:31], v[20:21], v[24:25]
	v_mov_b32_e32 v23, v20
	v_mov_b32_e32 v9, v31
	v_pk_add_f32 v[32:33], v[22:23], v[8:9] neg_lo:[0,1] neg_hi:[0,1]
	v_pk_add_f32 v[8:9], v[22:23], v[8:9]
	v_mov_b32_e32 v24, v25
	v_pk_add_f32 v[22:23], v[8:9], v[20:21] op_sel:[1,0] op_sel_hi:[0,1] neg_lo:[0,1] neg_hi:[0,1]
	v_pk_add_f32 v[34:35], v[30:31], v[22:23] op_sel_hi:[1,0] neg_lo:[0,1] neg_hi:[0,1]
	v_mov_b32_e32 v30, v31
	v_mov_b32_e32 v31, v9
	v_pk_mov_b32 v[22:23], v[20:21], v[22:23] op_sel:[1,0]
	v_mov_b32_e32 v25, v20
	v_pk_add_f32 v[22:23], v[30:31], v[22:23] neg_lo:[0,1] neg_hi:[0,1]
	v_mov_b32_e32 v34, v32
	v_pk_add_f32 v[20:21], v[24:25], v[22:23] neg_lo:[0,1] neg_hi:[0,1]
	v_mov_b32_e32 v33, v9
	v_pk_add_f32 v[22:23], v[34:35], v[20:21]
	s_mov_b32 s4, 0x33800000
	v_pk_add_f32 v[24:25], v[22:23], v[22:23] op_sel:[0,1] op_sel_hi:[1,0]
	s_nop 0
	v_pk_add_f32 v[8:9], v[8:9], v[24:25] op_sel:[1,0] op_sel_hi:[0,1]
	v_mov_b32_e32 v23, v8
	v_pk_add_f32 v[30:31], v[22:23], v[32:33] neg_lo:[0,1] neg_hi:[0,1]
	v_mov_b32_e32 v21, v24
	v_sub_f32_e32 v9, v22, v30
	v_pk_add_f32 v[20:21], v[20:21], v[30:31] neg_lo:[0,1] neg_hi:[0,1]
	v_sub_f32_e32 v9, v32, v9
	v_add_f32_e32 v9, v20, v9
	v_add_f32_e32 v9, v9, v21
	;; [unrolled: 1-line block ×3, first 2 shown]
	v_cndmask_b32_e32 v8, v36, v8, vcc
	v_cmp_lt_f32_e64 vcc, |v7|, s4
	s_nop 1
	v_cndmask_b32_e32 v7, v8, v7, vcc
	v_add_f32_e32 v7, v6, v7
.LBB503_294:
	s_or_b64 exec, exec, s[2:3]
	v_bfe_u32 v6, v7, 16, 1
	v_add3_u32 v6, v7, v6, s5
	v_cmp_o_f32_e32 vcc, v7, v7
	s_movk_i32 s4, 0x1f8
	s_nop 0
	v_cndmask_b32_sdwa v20, v4, v6, vcc dst_sel:DWORD dst_unused:UNUSED_PAD src0_sel:DWORD src1_sel:WORD_1
	v_lshlrev_b32_e32 v6, 16, v20
	v_max_f32_e32 v4, v6, v6
	v_min_f32_e32 v7, v4, v27
	v_cmp_u_f32_e32 vcc, v6, v6
	v_max_f32_e32 v4, v4, v27
	s_nop 0
	v_cndmask_b32_e32 v7, v7, v6, vcc
	v_cndmask_b32_e32 v4, v4, v6, vcc
	v_cndmask_b32_e64 v7, v7, v5, s[24:25]
	v_cndmask_b32_e64 v4, v4, v5, s[24:25]
	v_cmp_neq_f32_e32 vcc, v7, v4
	v_cmp_class_f32_e64 s[2:3], v7, s4
	s_or_b64 s[6:7], vcc, s[2:3]
	s_and_saveexec_b64 s[2:3], s[6:7]
	s_cbranch_execz .LBB503_296
; %bb.295:
	v_sub_f32_e32 v5, v7, v4
	s_mov_b32 s5, 0x3fb8aa3b
	v_mul_f32_e32 v6, 0x3fb8aa3b, v5
	v_fma_f32 v7, v5, s5, -v6
	v_rndne_f32_e32 v8, v6
	v_fmamk_f32 v7, v5, 0x32a5705f, v7
	v_sub_f32_e32 v6, v6, v8
	v_add_f32_e32 v6, v6, v7
	v_exp_f32_e32 v6, v6
	v_cvt_i32_f32_e32 v7, v8
	s_mov_b32 s5, 0xc2ce8ed0
	v_cmp_ngt_f32_e32 vcc, s5, v5
	s_mov_b32 s5, 0x42b17218
	v_ldexp_f32 v6, v6, v7
	v_cndmask_b32_e32 v6, 0, v6, vcc
	v_mov_b32_e32 v21, 0x7f800000
	v_cmp_nlt_f32_e32 vcc, s5, v5
	s_mov_b32 s5, 0x3f2aaaab
	s_mov_b32 s6, 0x7f800000
	v_cndmask_b32_e32 v5, v21, v6, vcc
	v_add_f32_e32 v8, 1.0, v5
	v_add_f32_e32 v6, -1.0, v8
	v_sub_f32_e32 v7, v6, v8
	v_add_f32_e32 v7, 1.0, v7
	v_sub_f32_e32 v6, v5, v6
	v_add_f32_e32 v9, v6, v7
	v_frexp_mant_f32_e32 v22, v8
	v_cvt_f64_f32_e32 v[6:7], v8
	v_frexp_exp_i32_f64_e32 v6, v[6:7]
	v_cmp_gt_f32_e32 vcc, s5, v22
	s_mov_b32 s5, 0x3f317218
	s_nop 0
	v_subbrev_co_u32_e32 v27, vcc, 0, v6, vcc
	v_sub_u32_e32 v6, 0, v27
	v_ldexp_f32 v7, v8, v6
	v_add_f32_e32 v8, -1.0, v7
	v_add_f32_e32 v22, 1.0, v7
	v_ldexp_f32 v6, v9, v6
	v_add_f32_e32 v9, 1.0, v8
	v_add_f32_e32 v23, -1.0, v22
	v_sub_f32_e32 v9, v7, v9
	v_sub_f32_e32 v7, v7, v23
	v_add_f32_e32 v9, v6, v9
	v_add_f32_e32 v6, v6, v7
	;; [unrolled: 1-line block ×3, first 2 shown]
	v_rcp_f32_e32 v32, v30
	v_sub_f32_e32 v7, v22, v30
	v_add_f32_e32 v31, v6, v7
	v_add_f32_e32 v7, v8, v9
	v_mul_f32_e32 v34, v7, v32
	v_sub_f32_e32 v6, v8, v7
	v_mul_f32_e32 v8, v30, v34
	v_fma_f32 v22, v34, v30, -v8
	v_fmac_f32_e32 v22, v34, v31
	v_add_f32_e32 v33, v9, v6
	v_add_f32_e32 v6, v8, v22
	v_sub_f32_e32 v9, v7, v6
	v_pk_add_f32 v[24:25], v[6:7], v[8:9] neg_lo:[0,1] neg_hi:[0,1]
	v_mov_b32_e32 v23, v6
	v_pk_add_f32 v[6:7], v[24:25], v[22:23] neg_lo:[0,1] neg_hi:[0,1]
	v_cmp_neq_f32_e32 vcc, s6, v5
	v_add_f32_e32 v7, v33, v7
	v_add_f32_e32 v6, v6, v7
	;; [unrolled: 1-line block ×3, first 2 shown]
	v_mul_f32_e32 v33, v32, v7
	v_mul_f32_e32 v8, v30, v33
	v_fma_f32 v22, v33, v30, -v8
	v_fmac_f32_e32 v22, v33, v31
	v_sub_f32_e32 v9, v9, v7
	v_add_f32_e32 v30, v6, v9
	v_add_f32_e32 v6, v8, v22
	v_sub_f32_e32 v9, v7, v6
	v_pk_add_f32 v[24:25], v[6:7], v[8:9] neg_lo:[0,1] neg_hi:[0,1]
	v_mov_b32_e32 v23, v6
	v_pk_add_f32 v[6:7], v[24:25], v[22:23] neg_lo:[0,1] neg_hi:[0,1]
	v_cvt_f32_i32_e32 v8, v27
	v_add_f32_e32 v7, v30, v7
	v_add_f32_e32 v6, v6, v7
	;; [unrolled: 1-line block ×4, first 2 shown]
	v_sub_f32_e32 v7, v9, v34
	v_mul_f32_e32 v6, v32, v6
	v_sub_f32_e32 v7, v33, v7
	v_add_f32_e32 v6, v7, v6
	v_add_f32_e32 v22, v9, v6
	v_mul_f32_e32 v24, v22, v22
	v_mov_b32_e32 v7, 0x3ecc95a3
	v_sub_f32_e32 v9, v22, v9
	v_fmac_f32_e32 v7, 0x3e9b6dac, v24
	v_sub_f32_e32 v6, v6, v9
	v_fmaak_f32 v7, v24, v7, 0x3f2aaada
	v_ldexp_f32 v25, v6, 1
	v_mul_f32_e32 v9, v22, v24
	v_mov_b32_e32 v6, 0x3f317218
	v_pk_mul_f32 v[6:7], v[8:9], v[6:7]
	v_ldexp_f32 v23, v22, 1
	v_fma_f32 v9, v8, s5, -v6
	v_fmamk_f32 v22, v8, 0xb102e308, v9
	v_pk_add_f32 v[8:9], v[6:7], v[22:23]
	v_mov_b32_e32 v24, v6
	v_sub_f32_e32 v23, v9, v23
	v_sub_f32_e32 v23, v7, v23
	v_add_f32_e32 v25, v25, v23
	v_pk_add_f32 v[6:7], v[8:9], v[6:7] neg_lo:[0,1] neg_hi:[0,1]
	v_pk_add_f32 v[30:31], v[8:9], v[24:25]
	v_mov_b32_e32 v23, v8
	v_mov_b32_e32 v7, v31
	v_pk_add_f32 v[32:33], v[22:23], v[6:7] neg_lo:[0,1] neg_hi:[0,1]
	v_pk_add_f32 v[6:7], v[22:23], v[6:7]
	v_mov_b32_e32 v24, v25
	v_pk_add_f32 v[22:23], v[6:7], v[8:9] op_sel:[1,0] op_sel_hi:[0,1] neg_lo:[0,1] neg_hi:[0,1]
	s_waitcnt lgkmcnt(0)
	v_pk_add_f32 v[34:35], v[30:31], v[22:23] op_sel_hi:[1,0] neg_lo:[0,1] neg_hi:[0,1]
	v_mov_b32_e32 v30, v31
	v_mov_b32_e32 v31, v7
	v_pk_mov_b32 v[22:23], v[8:9], v[22:23] op_sel:[1,0]
	v_mov_b32_e32 v25, v8
	v_pk_add_f32 v[22:23], v[30:31], v[22:23] neg_lo:[0,1] neg_hi:[0,1]
	v_mov_b32_e32 v34, v32
	v_pk_add_f32 v[8:9], v[24:25], v[22:23] neg_lo:[0,1] neg_hi:[0,1]
	v_mov_b32_e32 v33, v7
	v_pk_add_f32 v[22:23], v[34:35], v[8:9]
	s_mov_b32 s5, 0x33800000
	v_pk_add_f32 v[24:25], v[22:23], v[22:23] op_sel:[0,1] op_sel_hi:[1,0]
	s_nop 0
	v_pk_add_f32 v[6:7], v[6:7], v[24:25] op_sel:[1,0] op_sel_hi:[0,1]
	v_mov_b32_e32 v23, v6
	v_pk_add_f32 v[30:31], v[22:23], v[32:33] neg_lo:[0,1] neg_hi:[0,1]
	v_mov_b32_e32 v9, v24
	v_sub_f32_e32 v7, v22, v30
	v_pk_add_f32 v[8:9], v[8:9], v[30:31] neg_lo:[0,1] neg_hi:[0,1]
	v_sub_f32_e32 v7, v32, v7
	v_add_f32_e32 v7, v8, v7
	v_add_f32_e32 v7, v7, v9
	;; [unrolled: 1-line block ×3, first 2 shown]
	v_cndmask_b32_e32 v6, v21, v6, vcc
	v_cmp_lt_f32_e64 vcc, |v5|, s5
	s_nop 1
	v_cndmask_b32_e32 v5, v6, v5, vcc
	v_add_f32_e32 v6, v4, v5
.LBB503_296:
	s_or_b64 exec, exec, s[2:3]
	v_bfe_u32 v4, v6, 16, 1
	s_movk_i32 s5, 0x7fff
	v_add3_u32 v5, v6, v4, s5
	v_cmp_o_f32_e32 vcc, v6, v6
	v_mov_b32_e32 v4, 0x7fc0
	s_nop 0
	v_cndmask_b32_sdwa v21, v4, v5, vcc dst_sel:DWORD dst_unused:UNUSED_PAD src0_sel:DWORD src1_sel:WORD_1
	v_lshlrev_b32_e32 v6, 16, v21
	v_max_f32_e32 v5, v6, v6
	v_min_f32_e32 v7, v5, v28
	v_cmp_u_f32_e32 vcc, v6, v6
	v_max_f32_e32 v5, v5, v28
	s_nop 0
	v_cndmask_b32_e32 v7, v7, v6, vcc
	v_cndmask_b32_e32 v5, v5, v6, vcc
	v_cndmask_b32_e64 v7, v7, v26, s[26:27]
	v_cndmask_b32_e64 v5, v5, v26, s[26:27]
	v_cmp_neq_f32_e32 vcc, v7, v5
	v_cmp_class_f32_e64 s[2:3], v7, s4
	s_or_b64 s[6:7], vcc, s[2:3]
	s_and_saveexec_b64 s[2:3], s[6:7]
	s_cbranch_execz .LBB503_298
; %bb.297:
	v_sub_f32_e32 v6, v7, v5
	s_mov_b32 s4, 0x3fb8aa3b
	v_mul_f32_e32 v7, 0x3fb8aa3b, v6
	v_fma_f32 v8, v6, s4, -v7
	v_rndne_f32_e32 v9, v7
	v_fmamk_f32 v8, v6, 0x32a5705f, v8
	v_sub_f32_e32 v7, v7, v9
	v_add_f32_e32 v7, v7, v8
	v_exp_f32_e32 v7, v7
	v_cvt_i32_f32_e32 v8, v9
	s_mov_b32 s4, 0xc2ce8ed0
	v_cmp_ngt_f32_e32 vcc, s4, v6
	s_mov_b32 s4, 0x42b17218
	v_ldexp_f32 v7, v7, v8
	v_cndmask_b32_e32 v7, 0, v7, vcc
	v_mov_b32_e32 v28, 0x7f800000
	v_cmp_nlt_f32_e32 vcc, s4, v6
	s_mov_b32 s4, 0x3f2aaaab
	s_mov_b32 s6, 0x7f800000
	v_cndmask_b32_e32 v34, v28, v7, vcc
	v_add_f32_e32 v8, 1.0, v34
	v_add_f32_e32 v6, -1.0, v8
	v_sub_f32_e32 v7, v6, v8
	v_add_f32_e32 v7, 1.0, v7
	v_sub_f32_e32 v6, v34, v6
	v_add_f32_e32 v9, v6, v7
	v_frexp_mant_f32_e32 v22, v8
	v_cvt_f64_f32_e32 v[6:7], v8
	v_frexp_exp_i32_f64_e32 v6, v[6:7]
	v_cmp_gt_f32_e32 vcc, s4, v22
	s_mov_b32 s4, 0x3f317218
	s_nop 0
	v_subbrev_co_u32_e32 v26, vcc, 0, v6, vcc
	v_sub_u32_e32 v6, 0, v26
	v_ldexp_f32 v7, v8, v6
	v_add_f32_e32 v8, -1.0, v7
	v_add_f32_e32 v22, 1.0, v7
	v_ldexp_f32 v6, v9, v6
	v_add_f32_e32 v9, 1.0, v8
	v_add_f32_e32 v23, -1.0, v22
	v_sub_f32_e32 v9, v7, v9
	v_sub_f32_e32 v7, v7, v23
	v_add_f32_e32 v9, v6, v9
	v_add_f32_e32 v6, v6, v7
	;; [unrolled: 1-line block ×3, first 2 shown]
	v_rcp_f32_e32 v31, v27
	v_sub_f32_e32 v7, v22, v27
	v_add_f32_e32 v30, v6, v7
	v_add_f32_e32 v7, v8, v9
	v_mul_f32_e32 v33, v7, v31
	v_sub_f32_e32 v6, v8, v7
	v_mul_f32_e32 v8, v27, v33
	v_fma_f32 v22, v33, v27, -v8
	v_fmac_f32_e32 v22, v33, v30
	v_add_f32_e32 v32, v9, v6
	v_add_f32_e32 v6, v8, v22
	v_sub_f32_e32 v9, v7, v6
	v_pk_add_f32 v[24:25], v[6:7], v[8:9] neg_lo:[0,1] neg_hi:[0,1]
	v_mov_b32_e32 v23, v6
	v_pk_add_f32 v[6:7], v[24:25], v[22:23] neg_lo:[0,1] neg_hi:[0,1]
	v_cmp_neq_f32_e32 vcc, s6, v34
	v_add_f32_e32 v7, v32, v7
	v_add_f32_e32 v6, v6, v7
	;; [unrolled: 1-line block ×3, first 2 shown]
	v_mul_f32_e32 v32, v31, v7
	v_mul_f32_e32 v8, v27, v32
	v_fma_f32 v22, v32, v27, -v8
	v_fmac_f32_e32 v22, v32, v30
	v_sub_f32_e32 v9, v9, v7
	v_add_f32_e32 v27, v6, v9
	v_add_f32_e32 v6, v8, v22
	v_sub_f32_e32 v9, v7, v6
	v_pk_add_f32 v[24:25], v[6:7], v[8:9] neg_lo:[0,1] neg_hi:[0,1]
	v_mov_b32_e32 v23, v6
	v_pk_add_f32 v[6:7], v[24:25], v[22:23] neg_lo:[0,1] neg_hi:[0,1]
	v_cvt_f32_i32_e32 v8, v26
	v_add_f32_e32 v7, v27, v7
	v_add_f32_e32 v6, v6, v7
	;; [unrolled: 1-line block ×4, first 2 shown]
	v_sub_f32_e32 v7, v9, v33
	v_mul_f32_e32 v6, v31, v6
	v_sub_f32_e32 v7, v32, v7
	v_add_f32_e32 v6, v7, v6
	v_add_f32_e32 v22, v9, v6
	v_mul_f32_e32 v24, v22, v22
	v_mov_b32_e32 v7, 0x3ecc95a3
	v_sub_f32_e32 v9, v22, v9
	v_fmac_f32_e32 v7, 0x3e9b6dac, v24
	v_sub_f32_e32 v6, v6, v9
	v_fmaak_f32 v7, v24, v7, 0x3f2aaada
	v_ldexp_f32 v25, v6, 1
	v_mul_f32_e32 v9, v22, v24
	v_mov_b32_e32 v6, 0x3f317218
	v_pk_mul_f32 v[6:7], v[8:9], v[6:7]
	v_ldexp_f32 v23, v22, 1
	v_fma_f32 v9, v8, s4, -v6
	v_fmamk_f32 v22, v8, 0xb102e308, v9
	v_pk_add_f32 v[8:9], v[6:7], v[22:23]
	v_mov_b32_e32 v24, v6
	v_sub_f32_e32 v23, v9, v23
	v_sub_f32_e32 v23, v7, v23
	v_add_f32_e32 v25, v25, v23
	v_pk_add_f32 v[6:7], v[8:9], v[6:7] neg_lo:[0,1] neg_hi:[0,1]
	v_pk_add_f32 v[26:27], v[8:9], v[24:25]
	v_mov_b32_e32 v23, v8
	v_mov_b32_e32 v7, v27
	v_pk_add_f32 v[30:31], v[22:23], v[6:7] neg_lo:[0,1] neg_hi:[0,1]
	v_pk_add_f32 v[6:7], v[22:23], v[6:7]
	v_mov_b32_e32 v24, v25
	v_pk_add_f32 v[22:23], v[6:7], v[8:9] op_sel:[1,0] op_sel_hi:[0,1] neg_lo:[0,1] neg_hi:[0,1]
	v_pk_add_f32 v[32:33], v[26:27], v[22:23] op_sel_hi:[1,0] neg_lo:[0,1] neg_hi:[0,1]
	v_mov_b32_e32 v26, v27
	v_mov_b32_e32 v27, v7
	v_pk_mov_b32 v[22:23], v[8:9], v[22:23] op_sel:[1,0]
	v_mov_b32_e32 v25, v8
	v_pk_add_f32 v[22:23], v[26:27], v[22:23] neg_lo:[0,1] neg_hi:[0,1]
	v_mov_b32_e32 v32, v30
	v_pk_add_f32 v[8:9], v[24:25], v[22:23] neg_lo:[0,1] neg_hi:[0,1]
	v_mov_b32_e32 v31, v7
	v_pk_add_f32 v[22:23], v[32:33], v[8:9]
	s_mov_b32 s4, 0x33800000
	v_pk_add_f32 v[24:25], v[22:23], v[22:23] op_sel:[0,1] op_sel_hi:[1,0]
	s_nop 0
	v_pk_add_f32 v[6:7], v[6:7], v[24:25] op_sel:[1,0] op_sel_hi:[0,1]
	v_mov_b32_e32 v23, v6
	v_pk_add_f32 v[26:27], v[22:23], v[30:31] neg_lo:[0,1] neg_hi:[0,1]
	v_mov_b32_e32 v9, v24
	v_sub_f32_e32 v7, v22, v26
	v_pk_add_f32 v[8:9], v[8:9], v[26:27] neg_lo:[0,1] neg_hi:[0,1]
	v_sub_f32_e32 v7, v30, v7
	v_add_f32_e32 v7, v8, v7
	v_add_f32_e32 v7, v7, v9
	;; [unrolled: 1-line block ×3, first 2 shown]
	v_cndmask_b32_e32 v6, v28, v6, vcc
	v_cmp_lt_f32_e64 vcc, |v34|, s4
	s_nop 1
	v_cndmask_b32_e32 v6, v6, v34, vcc
	v_add_f32_e32 v6, v5, v6
.LBB503_298:
	s_or_b64 exec, exec, s[2:3]
	v_bfe_u32 v5, v6, 16, 1
	v_add3_u32 v5, v6, v5, s5
	v_cmp_o_f32_e32 vcc, v6, v6
	s_movk_i32 s2, 0x1f8
	s_nop 0
	v_cndmask_b32_sdwa v22, v4, v5, vcc dst_sel:DWORD dst_unused:UNUSED_PAD src0_sel:DWORD src1_sel:WORD_1
	v_lshlrev_b32_e32 v4, 16, v22
	v_max_f32_e32 v6, v4, v4
	v_min_f32_e32 v5, v6, v29
	v_cmp_u_f32_e32 vcc, v4, v4
	v_max_f32_e32 v6, v6, v29
	s_nop 0
	v_cndmask_b32_e32 v5, v5, v4, vcc
	v_cndmask_b32_e32 v6, v6, v4, vcc
	v_cndmask_b32_e64 v5, v5, v3, s[28:29]
	v_cndmask_b32_e64 v3, v6, v3, s[28:29]
	v_cmp_neq_f32_e32 vcc, v5, v3
	v_cmp_class_f32_e64 s[2:3], v5, s2
	s_or_b64 s[4:5], vcc, s[2:3]
	s_and_saveexec_b64 s[2:3], s[4:5]
	s_cbranch_execz .LBB503_300
; %bb.299:
	v_sub_f32_e32 v4, v5, v3
	s_mov_b32 s4, 0x3fb8aa3b
	v_mul_f32_e32 v5, 0x3fb8aa3b, v4
	v_fma_f32 v6, v4, s4, -v5
	v_rndne_f32_e32 v7, v5
	v_fmamk_f32 v6, v4, 0x32a5705f, v6
	v_sub_f32_e32 v5, v5, v7
	v_add_f32_e32 v5, v5, v6
	v_exp_f32_e32 v5, v5
	v_cvt_i32_f32_e32 v6, v7
	s_mov_b32 s4, 0xc2ce8ed0
	v_cmp_ngt_f32_e32 vcc, s4, v4
	s_mov_b32 s4, 0x42b17218
	v_ldexp_f32 v5, v5, v6
	v_cndmask_b32_e32 v5, 0, v5, vcc
	v_mov_b32_e32 v23, 0x7f800000
	v_cmp_nlt_f32_e32 vcc, s4, v4
	s_mov_b32 s4, 0x3f2aaaab
	s_mov_b32 s5, 0x7f800000
	v_cndmask_b32_e32 v32, v23, v5, vcc
	v_add_f32_e32 v6, 1.0, v32
	v_add_f32_e32 v4, -1.0, v6
	v_sub_f32_e32 v5, v4, v6
	v_add_f32_e32 v5, 1.0, v5
	v_sub_f32_e32 v4, v32, v4
	v_add_f32_e32 v7, v4, v5
	v_frexp_mant_f32_e32 v8, v6
	v_cvt_f64_f32_e32 v[4:5], v6
	v_frexp_exp_i32_f64_e32 v4, v[4:5]
	v_cmp_gt_f32_e32 vcc, s4, v8
	s_mov_b32 s4, 0x3f317218
	s_nop 0
	v_subbrev_co_u32_e32 v26, vcc, 0, v4, vcc
	v_sub_u32_e32 v4, 0, v26
	v_ldexp_f32 v5, v6, v4
	v_add_f32_e32 v6, -1.0, v5
	v_add_f32_e32 v8, 1.0, v5
	v_ldexp_f32 v4, v7, v4
	v_add_f32_e32 v7, 1.0, v6
	v_add_f32_e32 v9, -1.0, v8
	v_sub_f32_e32 v7, v5, v7
	v_sub_f32_e32 v5, v5, v9
	v_add_f32_e32 v7, v4, v7
	v_add_f32_e32 v4, v4, v5
	;; [unrolled: 1-line block ×3, first 2 shown]
	v_rcp_f32_e32 v29, v27
	v_sub_f32_e32 v5, v8, v27
	v_add_f32_e32 v28, v4, v5
	v_add_f32_e32 v5, v6, v7
	v_mul_f32_e32 v31, v5, v29
	v_sub_f32_e32 v4, v6, v5
	v_mul_f32_e32 v6, v27, v31
	v_fma_f32 v8, v31, v27, -v6
	v_fmac_f32_e32 v8, v31, v28
	v_add_f32_e32 v30, v7, v4
	v_add_f32_e32 v4, v6, v8
	v_sub_f32_e32 v7, v5, v4
	v_pk_add_f32 v[24:25], v[4:5], v[6:7] neg_lo:[0,1] neg_hi:[0,1]
	v_mov_b32_e32 v9, v4
	v_pk_add_f32 v[4:5], v[24:25], v[8:9] neg_lo:[0,1] neg_hi:[0,1]
	v_cmp_neq_f32_e32 vcc, s5, v32
	v_add_f32_e32 v5, v30, v5
	v_add_f32_e32 v4, v4, v5
	;; [unrolled: 1-line block ×3, first 2 shown]
	v_mul_f32_e32 v30, v29, v5
	v_mul_f32_e32 v6, v27, v30
	v_fma_f32 v8, v30, v27, -v6
	v_fmac_f32_e32 v8, v30, v28
	v_sub_f32_e32 v7, v7, v5
	v_add_f32_e32 v27, v4, v7
	v_add_f32_e32 v4, v6, v8
	v_sub_f32_e32 v7, v5, v4
	v_pk_add_f32 v[24:25], v[4:5], v[6:7] neg_lo:[0,1] neg_hi:[0,1]
	v_mov_b32_e32 v9, v4
	v_pk_add_f32 v[4:5], v[24:25], v[8:9] neg_lo:[0,1] neg_hi:[0,1]
	v_cvt_f32_i32_e32 v6, v26
	v_add_f32_e32 v5, v27, v5
	v_add_f32_e32 v4, v4, v5
	;; [unrolled: 1-line block ×4, first 2 shown]
	v_sub_f32_e32 v5, v7, v31
	v_mul_f32_e32 v4, v29, v4
	v_sub_f32_e32 v5, v30, v5
	v_add_f32_e32 v4, v5, v4
	v_add_f32_e32 v8, v7, v4
	v_mul_f32_e32 v24, v8, v8
	v_mov_b32_e32 v5, 0x3ecc95a3
	v_sub_f32_e32 v7, v8, v7
	v_fmac_f32_e32 v5, 0x3e9b6dac, v24
	v_sub_f32_e32 v4, v4, v7
	v_fmaak_f32 v5, v24, v5, 0x3f2aaada
	v_ldexp_f32 v25, v4, 1
	v_mul_f32_e32 v7, v8, v24
	v_mov_b32_e32 v4, 0x3f317218
	v_pk_mul_f32 v[4:5], v[6:7], v[4:5]
	v_ldexp_f32 v9, v8, 1
	v_fma_f32 v7, v6, s4, -v4
	v_fmamk_f32 v8, v6, 0xb102e308, v7
	v_pk_add_f32 v[6:7], v[4:5], v[8:9]
	v_mov_b32_e32 v24, v4
	v_sub_f32_e32 v9, v7, v9
	v_sub_f32_e32 v9, v5, v9
	v_add_f32_e32 v25, v25, v9
	v_pk_add_f32 v[4:5], v[6:7], v[4:5] neg_lo:[0,1] neg_hi:[0,1]
	v_pk_add_f32 v[26:27], v[6:7], v[24:25]
	v_mov_b32_e32 v9, v6
	v_mov_b32_e32 v5, v27
	v_pk_add_f32 v[28:29], v[8:9], v[4:5] neg_lo:[0,1] neg_hi:[0,1]
	v_pk_add_f32 v[4:5], v[8:9], v[4:5]
	v_mov_b32_e32 v24, v25
	v_pk_add_f32 v[8:9], v[4:5], v[6:7] op_sel:[1,0] op_sel_hi:[0,1] neg_lo:[0,1] neg_hi:[0,1]
	v_pk_add_f32 v[30:31], v[26:27], v[8:9] op_sel_hi:[1,0] neg_lo:[0,1] neg_hi:[0,1]
	v_mov_b32_e32 v26, v27
	v_mov_b32_e32 v27, v5
	v_pk_mov_b32 v[8:9], v[6:7], v[8:9] op_sel:[1,0]
	v_mov_b32_e32 v25, v6
	v_pk_add_f32 v[8:9], v[26:27], v[8:9] neg_lo:[0,1] neg_hi:[0,1]
	v_mov_b32_e32 v30, v28
	v_pk_add_f32 v[6:7], v[24:25], v[8:9] neg_lo:[0,1] neg_hi:[0,1]
	v_mov_b32_e32 v29, v5
	v_pk_add_f32 v[8:9], v[30:31], v[6:7]
	s_mov_b32 s4, 0x33800000
	v_pk_add_f32 v[24:25], v[8:9], v[8:9] op_sel:[0,1] op_sel_hi:[1,0]
	s_nop 0
	v_pk_add_f32 v[4:5], v[4:5], v[24:25] op_sel:[1,0] op_sel_hi:[0,1]
	v_mov_b32_e32 v9, v4
	v_pk_add_f32 v[26:27], v[8:9], v[28:29] neg_lo:[0,1] neg_hi:[0,1]
	v_mov_b32_e32 v7, v24
	v_sub_f32_e32 v5, v8, v26
	v_pk_add_f32 v[6:7], v[6:7], v[26:27] neg_lo:[0,1] neg_hi:[0,1]
	v_sub_f32_e32 v5, v28, v5
	v_add_f32_e32 v5, v6, v5
	v_add_f32_e32 v5, v5, v7
	;; [unrolled: 1-line block ×3, first 2 shown]
	v_cndmask_b32_e32 v4, v23, v4, vcc
	v_cmp_lt_f32_e64 vcc, |v32|, s4
	s_nop 1
	v_cndmask_b32_e32 v4, v4, v32, vcc
	v_add_f32_e32 v4, v3, v4
.LBB503_300:
	s_or_b64 exec, exec, s[2:3]
	v_bfe_u32 v3, v4, 16, 1
	s_movk_i32 s2, 0x7fff
	v_add3_u32 v3, v4, v3, s2
	v_cmp_o_f32_e32 vcc, v4, v4
	v_mov_b32_e32 v4, 0x7fc0
	s_movk_i32 s2, 0x7f
	v_cndmask_b32_sdwa v23, v4, v3, vcc dst_sel:DWORD dst_unused:UNUSED_PAD src0_sel:DWORD src1_sel:WORD_1
	v_cmp_eq_u32_e32 vcc, s2, v0
	s_and_saveexec_b64 s[2:3], vcc
	s_cbranch_execz .LBB503_302
; %bb.301:
	s_mov_b32 s4, 0x20000
	v_mov_b32_e32 v3, 0
	v_or_b32_sdwa v4, v23, s4 dst_sel:DWORD dst_unused:UNUSED_PAD src0_sel:WORD_0 src1_sel:DWORD
	global_store_dword v3, v4, s[56:57] offset:256 sc1
.LBB503_302:
	s_or_b64 exec, exec, s[2:3]
.LBB503_303:
	s_add_u32 s2, s52, s50
	s_addc_u32 s3, s53, s51
	s_add_u32 s2, s2, s48
	s_addc_u32 s3, s3, s49
	s_mov_b64 s[4:5], -1
	s_and_b64 vcc, exec, s[0:1]
	s_waitcnt lgkmcnt(0)
	s_barrier
	s_cbranch_vccz .LBB503_305
; %bb.304:
	s_mov_b32 s0, 0x5040100
	v_perm_b32 v3, v13, v12, s0
	v_perm_b32 v4, v11, v10, s0
	ds_write2_b32 v1, v4, v3 offset1:1
	v_perm_b32 v3, v17, v16, s0
	v_perm_b32 v4, v15, v14, s0
	ds_write2_b32 v1, v4, v3 offset0:2 offset1:3
	v_perm_b32 v3, v21, v20, s0
	v_perm_b32 v4, v19, v18, s0
	ds_write2_b32 v1, v4, v3 offset0:4 offset1:5
	v_perm_b32 v3, v23, v22, s0
	ds_write_b32 v1, v3 offset:24
	s_waitcnt lgkmcnt(0)
	s_barrier
	ds_read_u16 v3, v2
	ds_read_u16 v4, v2 offset:256
	ds_read_u16 v5, v2 offset:512
	;; [unrolled: 1-line block ×13, first 2 shown]
	s_waitcnt lgkmcnt(13)
	global_store_short v2, v3, s[2:3]
	s_waitcnt lgkmcnt(12)
	global_store_short v2, v4, s[2:3] offset:256
	s_waitcnt lgkmcnt(11)
	global_store_short v2, v5, s[2:3] offset:512
	;; [unrolled: 2-line block ×13, first 2 shown]
	s_mov_b64 s[4:5], 0
.LBB503_305:
	s_andn2_b64 vcc, exec, s[4:5]
	s_cbranch_vccnz .LBB503_385
; %bb.306:
	s_mov_b32 s0, 0x5040100
	v_perm_b32 v3, v13, v12, s0
	v_perm_b32 v4, v11, v10, s0
	ds_write2_b32 v1, v4, v3 offset1:1
	v_perm_b32 v3, v17, v16, s0
	v_perm_b32 v4, v15, v14, s0
	ds_write2_b32 v1, v4, v3 offset0:2 offset1:3
	v_perm_b32 v3, v21, v20, s0
	v_perm_b32 v4, v19, v18, s0
	ds_write2_b32 v1, v4, v3 offset0:4 offset1:5
	v_perm_b32 v3, v23, v22, s0
	ds_write_b32 v1, v3 offset:24
	s_waitcnt lgkmcnt(0)
	s_barrier
	ds_read_u16 v8, v2
	ds_read_u16 v7, v2 offset:256
	ds_read_u16 v9, v2 offset:512
	;; [unrolled: 1-line block ×13, first 2 shown]
	v_mov_b32_e32 v3, 0
	v_lshl_add_u64 v[4:5], s[2:3], 0, v[2:3]
	v_cmp_gt_u32_e32 vcc, s33, v0
	s_and_saveexec_b64 s[0:1], vcc
	s_cbranch_execz .LBB503_308
; %bb.307:
	s_waitcnt lgkmcnt(13)
	global_store_short v[4:5], v8, off
.LBB503_308:
	s_or_b64 exec, exec, s[0:1]
	v_or_b32_e32 v1, 0x80, v0
	v_cmp_gt_u32_e32 vcc, s33, v1
	s_and_saveexec_b64 s[0:1], vcc
	s_cbranch_execz .LBB503_310
; %bb.309:
	s_waitcnt lgkmcnt(12)
	global_store_short v[4:5], v7, off offset:256
.LBB503_310:
	s_or_b64 exec, exec, s[0:1]
	v_or_b32_e32 v1, 0x100, v0
	v_cmp_gt_u32_e32 vcc, s33, v1
	s_and_saveexec_b64 s[0:1], vcc
	s_cbranch_execz .LBB503_312
; %bb.311:
	s_waitcnt lgkmcnt(11)
	global_store_short v[4:5], v9, off offset:512
.LBB503_312:
	;; [unrolled: 9-line block ×13, first 2 shown]
	s_or_b64 exec, exec, s[0:1]
	v_cmp_lt_u64_e64 s[0:1], s[46:47], 2
	s_and_b64 vcc, exec, s[0:1]
	s_cbranch_vccnz .LBB503_385
; %bb.335:
	s_add_u32 s0, s33, -1
	s_addc_u32 s1, s60, -1
	s_lshr_b64 s[2:3], s[0:1], 1
	s_lshr_b32 s5, s1, 1
	s_mul_hi_u32 s3, s2, 0x49249249
	s_mul_i32 s4, s2, 0x49249249
	s_mul_i32 s7, s5, 0x24924925
	s_mul_hi_u32 s2, s2, 0x24924925
	s_mul_hi_u32 s6, s5, 0x24924925
	s_add_u32 s2, s7, s2
	s_addc_u32 s6, s6, 0
	s_add_u32 s2, s4, s2
	s_addc_u32 s2, s3, 0
	;; [unrolled: 2-line block ×3, first 2 shown]
	s_mul_hi_u32 s4, s5, 0x49249249
	s_mul_i32 s5, s5, 0x49249249
	s_add_u32 s2, s5, s2
	s_addc_u32 s3, s4, s3
	v_mov_b32_e32 v1, v3
	s_lshr_b64 s[2:3], s[2:3], 1
	v_cmp_eq_u64_e32 vcc, s[2:3], v[0:1]
	s_and_saveexec_b64 s[2:3], vcc
	s_cbranch_execz .LBB503_385
; %bb.336:
	v_mul_hi_u32_u24_e32 v1, 14, v0
	v_mul_u32_u24_e32 v0, 14, v0
	v_mov_b32_e32 v2, s1
	v_sub_co_u32_e32 v0, vcc, s0, v0
	s_nop 1
	v_subb_co_u32_e32 v1, vcc, v2, v1, vcc
	v_cmp_lt_i64_e32 vcc, 6, v[0:1]
	s_and_saveexec_b64 s[0:1], vcc
	s_xor_b64 s[0:1], exec, s[0:1]
	s_cbranch_execz .LBB503_362
; %bb.337:
	v_cmp_lt_i64_e32 vcc, 9, v[0:1]
	s_and_saveexec_b64 s[2:3], vcc
	s_xor_b64 s[2:3], exec, s[2:3]
	s_cbranch_execz .LBB503_351
; %bb.338:
	v_cmp_lt_i64_e32 vcc, 11, v[0:1]
	s_and_saveexec_b64 s[4:5], vcc
	s_xor_b64 s[4:5], exec, s[4:5]
	s_cbranch_execz .LBB503_344
; %bb.339:
	v_cmp_lt_i64_e32 vcc, 12, v[0:1]
	s_and_saveexec_b64 s[6:7], vcc
	s_xor_b64 s[6:7], exec, s[6:7]
	s_cbranch_execz .LBB503_341
; %bb.340:
	v_mov_b32_e32 v0, 0
	s_waitcnt lgkmcnt(0)
	global_store_short v0, v6, s[42:43]
                                        ; implicit-def: $vgpr19
.LBB503_341:
	s_andn2_saveexec_b64 s[6:7], s[6:7]
	s_cbranch_execz .LBB503_343
; %bb.342:
	v_mov_b32_e32 v0, 0
	s_waitcnt lgkmcnt(1)
	global_store_short v0, v19, s[42:43]
.LBB503_343:
	s_or_b64 exec, exec, s[6:7]
                                        ; implicit-def: $vgpr13
                                        ; implicit-def: $vgpr0_vgpr1
                                        ; implicit-def: $vgpr18
.LBB503_344:
	s_andn2_saveexec_b64 s[4:5], s[4:5]
	s_cbranch_execz .LBB503_350
; %bb.345:
	v_cmp_lt_i64_e32 vcc, 10, v[0:1]
	s_and_saveexec_b64 s[6:7], vcc
	s_xor_b64 s[6:7], exec, s[6:7]
	s_cbranch_execz .LBB503_347
; %bb.346:
	v_mov_b32_e32 v0, 0
	s_waitcnt lgkmcnt(2)
	global_store_short v0, v18, s[42:43]
                                        ; implicit-def: $vgpr13
.LBB503_347:
	s_andn2_saveexec_b64 s[6:7], s[6:7]
	s_cbranch_execz .LBB503_349
; %bb.348:
	v_mov_b32_e32 v0, 0
	s_waitcnt lgkmcnt(3)
	global_store_short v0, v13, s[42:43]
.LBB503_349:
	s_or_b64 exec, exec, s[6:7]
.LBB503_350:
	s_or_b64 exec, exec, s[4:5]
                                        ; implicit-def: $vgpr16
                                        ; implicit-def: $vgpr0_vgpr1
                                        ; implicit-def: $vgpr14
                                        ; implicit-def: $vgpr17
.LBB503_351:
	s_andn2_saveexec_b64 s[2:3], s[2:3]
	s_cbranch_execz .LBB503_361
; %bb.352:
	v_cmp_lt_i64_e32 vcc, 7, v[0:1]
	s_and_saveexec_b64 s[4:5], vcc
	s_xor_b64 s[4:5], exec, s[4:5]
	s_cbranch_execz .LBB503_358
; %bb.353:
	v_cmp_lt_i64_e32 vcc, 8, v[0:1]
	s_and_saveexec_b64 s[6:7], vcc
	s_xor_b64 s[6:7], exec, s[6:7]
	s_cbranch_execz .LBB503_355
; %bb.354:
	v_mov_b32_e32 v0, 0
	s_waitcnt lgkmcnt(4)
	global_store_short v0, v17, s[42:43]
                                        ; implicit-def: $vgpr14
.LBB503_355:
	s_andn2_saveexec_b64 s[6:7], s[6:7]
	s_cbranch_execz .LBB503_357
; %bb.356:
	v_mov_b32_e32 v0, 0
	s_waitcnt lgkmcnt(5)
	global_store_short v0, v14, s[42:43]
.LBB503_357:
	s_or_b64 exec, exec, s[6:7]
                                        ; implicit-def: $vgpr16
.LBB503_358:
	s_andn2_saveexec_b64 s[4:5], s[4:5]
	s_cbranch_execz .LBB503_360
; %bb.359:
	v_mov_b32_e32 v0, 0
	s_waitcnt lgkmcnt(6)
	global_store_short v0, v16, s[42:43]
.LBB503_360:
	s_or_b64 exec, exec, s[4:5]
.LBB503_361:
	s_or_b64 exec, exec, s[2:3]
                                        ; implicit-def: $vgpr0_vgpr1
                                        ; implicit-def: $vgpr12
                                        ; implicit-def: $vgpr7
                                        ; implicit-def: $vgpr9
                                        ; implicit-def: $vgpr8
                                        ; implicit-def: $vgpr11
                                        ; implicit-def: $vgpr10
                                        ; implicit-def: $vgpr15
.LBB503_362:
	s_andn2_saveexec_b64 s[0:1], s[0:1]
	s_cbranch_execz .LBB503_385
; %bb.363:
	v_cmp_lt_i64_e32 vcc, 3, v[0:1]
	s_and_saveexec_b64 s[0:1], vcc
	s_xor_b64 s[0:1], exec, s[0:1]
	s_cbranch_execz .LBB503_373
; %bb.364:
	v_cmp_lt_i64_e32 vcc, 4, v[0:1]
	s_and_saveexec_b64 s[2:3], vcc
	s_xor_b64 s[2:3], exec, s[2:3]
	;; [unrolled: 5-line block ×3, first 2 shown]
	s_cbranch_execz .LBB503_367
; %bb.366:
	v_mov_b32_e32 v0, 0
	s_waitcnt lgkmcnt(7)
	global_store_short v0, v15, s[42:43]
                                        ; implicit-def: $vgpr11
.LBB503_367:
	s_andn2_saveexec_b64 s[4:5], s[4:5]
	s_cbranch_execz .LBB503_369
; %bb.368:
	v_mov_b32_e32 v0, 0
	s_waitcnt lgkmcnt(8)
	global_store_short v0, v11, s[42:43]
.LBB503_369:
	s_or_b64 exec, exec, s[4:5]
                                        ; implicit-def: $vgpr12
.LBB503_370:
	s_andn2_saveexec_b64 s[2:3], s[2:3]
	s_cbranch_execz .LBB503_372
; %bb.371:
	v_mov_b32_e32 v0, 0
	s_waitcnt lgkmcnt(9)
	global_store_short v0, v12, s[42:43]
.LBB503_372:
	s_or_b64 exec, exec, s[2:3]
                                        ; implicit-def: $vgpr0_vgpr1
                                        ; implicit-def: $vgpr7
                                        ; implicit-def: $vgpr9
                                        ; implicit-def: $vgpr8
                                        ; implicit-def: $vgpr10
.LBB503_373:
	s_andn2_saveexec_b64 s[0:1], s[0:1]
	s_cbranch_execz .LBB503_385
; %bb.374:
	v_cmp_lt_i64_e32 vcc, 1, v[0:1]
	s_and_saveexec_b64 s[0:1], vcc
	s_xor_b64 s[0:1], exec, s[0:1]
	s_cbranch_execz .LBB503_380
; %bb.375:
	v_cmp_lt_i64_e32 vcc, 2, v[0:1]
	s_and_saveexec_b64 s[2:3], vcc
	s_xor_b64 s[2:3], exec, s[2:3]
	s_cbranch_execz .LBB503_377
; %bb.376:
	v_mov_b32_e32 v0, 0
	s_waitcnt lgkmcnt(10)
	global_store_short v0, v10, s[42:43]
                                        ; implicit-def: $vgpr9
.LBB503_377:
	s_andn2_saveexec_b64 s[2:3], s[2:3]
	s_cbranch_execz .LBB503_379
; %bb.378:
	v_mov_b32_e32 v0, 0
	s_waitcnt lgkmcnt(11)
	global_store_short v0, v9, s[42:43]
.LBB503_379:
	s_or_b64 exec, exec, s[2:3]
                                        ; implicit-def: $vgpr7
                                        ; implicit-def: $vgpr0_vgpr1
                                        ; implicit-def: $vgpr8
.LBB503_380:
	s_andn2_saveexec_b64 s[0:1], s[0:1]
	s_cbranch_execz .LBB503_385
; %bb.381:
	v_cmp_ne_u64_e32 vcc, 1, v[0:1]
	s_and_saveexec_b64 s[0:1], vcc
	s_xor_b64 s[0:1], exec, s[0:1]
	s_cbranch_execz .LBB503_383
; %bb.382:
	v_mov_b32_e32 v0, 0
	s_waitcnt lgkmcnt(13)
	global_store_short v0, v8, s[42:43]
                                        ; implicit-def: $vgpr7
.LBB503_383:
	s_andn2_saveexec_b64 s[0:1], s[0:1]
	s_cbranch_execz .LBB503_385
; %bb.384:
	v_mov_b32_e32 v0, 0
	s_waitcnt lgkmcnt(12)
	global_store_short v0, v7, s[42:43]
.LBB503_385:
	s_endpgm
	.section	.rodata,"a",@progbits
	.p2align	6, 0x0
	.amdhsa_kernel _ZN7rocprim17ROCPRIM_400000_NS6detail17trampoline_kernelINS0_14default_configENS1_20scan_config_selectorIN3c108BFloat16EEEZZNS1_9scan_implILNS1_25lookback_scan_determinismE0ELb0ELb0ES3_PKS6_PS6_S6_ZZZN2at6native31launch_logcumsumexp_cuda_kernelERKNSD_10TensorBaseESH_lENKUlvE_clEvENKUlvE4_clEvEUlS6_S6_E_S6_EEDaPvRmT3_T4_T5_mT6_P12ihipStream_tbENKUlT_T0_E_clISt17integral_constantIbLb0EESX_IbLb1EEEEDaST_SU_EUlST_E_NS1_11comp_targetILNS1_3genE0ELNS1_11target_archE4294967295ELNS1_3gpuE0ELNS1_3repE0EEENS1_30default_config_static_selectorELNS0_4arch9wavefront6targetE1EEEvT1_
		.amdhsa_group_segment_fixed_size 3584
		.amdhsa_private_segment_fixed_size 0
		.amdhsa_kernarg_size 96
		.amdhsa_user_sgpr_count 2
		.amdhsa_user_sgpr_dispatch_ptr 0
		.amdhsa_user_sgpr_queue_ptr 0
		.amdhsa_user_sgpr_kernarg_segment_ptr 1
		.amdhsa_user_sgpr_dispatch_id 0
		.amdhsa_user_sgpr_kernarg_preload_length 0
		.amdhsa_user_sgpr_kernarg_preload_offset 0
		.amdhsa_user_sgpr_private_segment_size 0
		.amdhsa_uses_dynamic_stack 0
		.amdhsa_enable_private_segment 0
		.amdhsa_system_sgpr_workgroup_id_x 1
		.amdhsa_system_sgpr_workgroup_id_y 0
		.amdhsa_system_sgpr_workgroup_id_z 0
		.amdhsa_system_sgpr_workgroup_info 0
		.amdhsa_system_vgpr_workitem_id 0
		.amdhsa_next_free_vgpr 82
		.amdhsa_next_free_sgpr 74
		.amdhsa_accum_offset 84
		.amdhsa_reserve_vcc 1
		.amdhsa_float_round_mode_32 0
		.amdhsa_float_round_mode_16_64 0
		.amdhsa_float_denorm_mode_32 3
		.amdhsa_float_denorm_mode_16_64 3
		.amdhsa_dx10_clamp 1
		.amdhsa_ieee_mode 1
		.amdhsa_fp16_overflow 0
		.amdhsa_tg_split 0
		.amdhsa_exception_fp_ieee_invalid_op 0
		.amdhsa_exception_fp_denorm_src 0
		.amdhsa_exception_fp_ieee_div_zero 0
		.amdhsa_exception_fp_ieee_overflow 0
		.amdhsa_exception_fp_ieee_underflow 0
		.amdhsa_exception_fp_ieee_inexact 0
		.amdhsa_exception_int_div_zero 0
	.end_amdhsa_kernel
	.section	.text._ZN7rocprim17ROCPRIM_400000_NS6detail17trampoline_kernelINS0_14default_configENS1_20scan_config_selectorIN3c108BFloat16EEEZZNS1_9scan_implILNS1_25lookback_scan_determinismE0ELb0ELb0ES3_PKS6_PS6_S6_ZZZN2at6native31launch_logcumsumexp_cuda_kernelERKNSD_10TensorBaseESH_lENKUlvE_clEvENKUlvE4_clEvEUlS6_S6_E_S6_EEDaPvRmT3_T4_T5_mT6_P12ihipStream_tbENKUlT_T0_E_clISt17integral_constantIbLb0EESX_IbLb1EEEEDaST_SU_EUlST_E_NS1_11comp_targetILNS1_3genE0ELNS1_11target_archE4294967295ELNS1_3gpuE0ELNS1_3repE0EEENS1_30default_config_static_selectorELNS0_4arch9wavefront6targetE1EEEvT1_,"axG",@progbits,_ZN7rocprim17ROCPRIM_400000_NS6detail17trampoline_kernelINS0_14default_configENS1_20scan_config_selectorIN3c108BFloat16EEEZZNS1_9scan_implILNS1_25lookback_scan_determinismE0ELb0ELb0ES3_PKS6_PS6_S6_ZZZN2at6native31launch_logcumsumexp_cuda_kernelERKNSD_10TensorBaseESH_lENKUlvE_clEvENKUlvE4_clEvEUlS6_S6_E_S6_EEDaPvRmT3_T4_T5_mT6_P12ihipStream_tbENKUlT_T0_E_clISt17integral_constantIbLb0EESX_IbLb1EEEEDaST_SU_EUlST_E_NS1_11comp_targetILNS1_3genE0ELNS1_11target_archE4294967295ELNS1_3gpuE0ELNS1_3repE0EEENS1_30default_config_static_selectorELNS0_4arch9wavefront6targetE1EEEvT1_,comdat
.Lfunc_end503:
	.size	_ZN7rocprim17ROCPRIM_400000_NS6detail17trampoline_kernelINS0_14default_configENS1_20scan_config_selectorIN3c108BFloat16EEEZZNS1_9scan_implILNS1_25lookback_scan_determinismE0ELb0ELb0ES3_PKS6_PS6_S6_ZZZN2at6native31launch_logcumsumexp_cuda_kernelERKNSD_10TensorBaseESH_lENKUlvE_clEvENKUlvE4_clEvEUlS6_S6_E_S6_EEDaPvRmT3_T4_T5_mT6_P12ihipStream_tbENKUlT_T0_E_clISt17integral_constantIbLb0EESX_IbLb1EEEEDaST_SU_EUlST_E_NS1_11comp_targetILNS1_3genE0ELNS1_11target_archE4294967295ELNS1_3gpuE0ELNS1_3repE0EEENS1_30default_config_static_selectorELNS0_4arch9wavefront6targetE1EEEvT1_, .Lfunc_end503-_ZN7rocprim17ROCPRIM_400000_NS6detail17trampoline_kernelINS0_14default_configENS1_20scan_config_selectorIN3c108BFloat16EEEZZNS1_9scan_implILNS1_25lookback_scan_determinismE0ELb0ELb0ES3_PKS6_PS6_S6_ZZZN2at6native31launch_logcumsumexp_cuda_kernelERKNSD_10TensorBaseESH_lENKUlvE_clEvENKUlvE4_clEvEUlS6_S6_E_S6_EEDaPvRmT3_T4_T5_mT6_P12ihipStream_tbENKUlT_T0_E_clISt17integral_constantIbLb0EESX_IbLb1EEEEDaST_SU_EUlST_E_NS1_11comp_targetILNS1_3genE0ELNS1_11target_archE4294967295ELNS1_3gpuE0ELNS1_3repE0EEENS1_30default_config_static_selectorELNS0_4arch9wavefront6targetE1EEEvT1_
                                        ; -- End function
	.set _ZN7rocprim17ROCPRIM_400000_NS6detail17trampoline_kernelINS0_14default_configENS1_20scan_config_selectorIN3c108BFloat16EEEZZNS1_9scan_implILNS1_25lookback_scan_determinismE0ELb0ELb0ES3_PKS6_PS6_S6_ZZZN2at6native31launch_logcumsumexp_cuda_kernelERKNSD_10TensorBaseESH_lENKUlvE_clEvENKUlvE4_clEvEUlS6_S6_E_S6_EEDaPvRmT3_T4_T5_mT6_P12ihipStream_tbENKUlT_T0_E_clISt17integral_constantIbLb0EESX_IbLb1EEEEDaST_SU_EUlST_E_NS1_11comp_targetILNS1_3genE0ELNS1_11target_archE4294967295ELNS1_3gpuE0ELNS1_3repE0EEENS1_30default_config_static_selectorELNS0_4arch9wavefront6targetE1EEEvT1_.num_vgpr, 82
	.set _ZN7rocprim17ROCPRIM_400000_NS6detail17trampoline_kernelINS0_14default_configENS1_20scan_config_selectorIN3c108BFloat16EEEZZNS1_9scan_implILNS1_25lookback_scan_determinismE0ELb0ELb0ES3_PKS6_PS6_S6_ZZZN2at6native31launch_logcumsumexp_cuda_kernelERKNSD_10TensorBaseESH_lENKUlvE_clEvENKUlvE4_clEvEUlS6_S6_E_S6_EEDaPvRmT3_T4_T5_mT6_P12ihipStream_tbENKUlT_T0_E_clISt17integral_constantIbLb0EESX_IbLb1EEEEDaST_SU_EUlST_E_NS1_11comp_targetILNS1_3genE0ELNS1_11target_archE4294967295ELNS1_3gpuE0ELNS1_3repE0EEENS1_30default_config_static_selectorELNS0_4arch9wavefront6targetE1EEEvT1_.num_agpr, 0
	.set _ZN7rocprim17ROCPRIM_400000_NS6detail17trampoline_kernelINS0_14default_configENS1_20scan_config_selectorIN3c108BFloat16EEEZZNS1_9scan_implILNS1_25lookback_scan_determinismE0ELb0ELb0ES3_PKS6_PS6_S6_ZZZN2at6native31launch_logcumsumexp_cuda_kernelERKNSD_10TensorBaseESH_lENKUlvE_clEvENKUlvE4_clEvEUlS6_S6_E_S6_EEDaPvRmT3_T4_T5_mT6_P12ihipStream_tbENKUlT_T0_E_clISt17integral_constantIbLb0EESX_IbLb1EEEEDaST_SU_EUlST_E_NS1_11comp_targetILNS1_3genE0ELNS1_11target_archE4294967295ELNS1_3gpuE0ELNS1_3repE0EEENS1_30default_config_static_selectorELNS0_4arch9wavefront6targetE1EEEvT1_.numbered_sgpr, 74
	.set _ZN7rocprim17ROCPRIM_400000_NS6detail17trampoline_kernelINS0_14default_configENS1_20scan_config_selectorIN3c108BFloat16EEEZZNS1_9scan_implILNS1_25lookback_scan_determinismE0ELb0ELb0ES3_PKS6_PS6_S6_ZZZN2at6native31launch_logcumsumexp_cuda_kernelERKNSD_10TensorBaseESH_lENKUlvE_clEvENKUlvE4_clEvEUlS6_S6_E_S6_EEDaPvRmT3_T4_T5_mT6_P12ihipStream_tbENKUlT_T0_E_clISt17integral_constantIbLb0EESX_IbLb1EEEEDaST_SU_EUlST_E_NS1_11comp_targetILNS1_3genE0ELNS1_11target_archE4294967295ELNS1_3gpuE0ELNS1_3repE0EEENS1_30default_config_static_selectorELNS0_4arch9wavefront6targetE1EEEvT1_.num_named_barrier, 0
	.set _ZN7rocprim17ROCPRIM_400000_NS6detail17trampoline_kernelINS0_14default_configENS1_20scan_config_selectorIN3c108BFloat16EEEZZNS1_9scan_implILNS1_25lookback_scan_determinismE0ELb0ELb0ES3_PKS6_PS6_S6_ZZZN2at6native31launch_logcumsumexp_cuda_kernelERKNSD_10TensorBaseESH_lENKUlvE_clEvENKUlvE4_clEvEUlS6_S6_E_S6_EEDaPvRmT3_T4_T5_mT6_P12ihipStream_tbENKUlT_T0_E_clISt17integral_constantIbLb0EESX_IbLb1EEEEDaST_SU_EUlST_E_NS1_11comp_targetILNS1_3genE0ELNS1_11target_archE4294967295ELNS1_3gpuE0ELNS1_3repE0EEENS1_30default_config_static_selectorELNS0_4arch9wavefront6targetE1EEEvT1_.private_seg_size, 0
	.set _ZN7rocprim17ROCPRIM_400000_NS6detail17trampoline_kernelINS0_14default_configENS1_20scan_config_selectorIN3c108BFloat16EEEZZNS1_9scan_implILNS1_25lookback_scan_determinismE0ELb0ELb0ES3_PKS6_PS6_S6_ZZZN2at6native31launch_logcumsumexp_cuda_kernelERKNSD_10TensorBaseESH_lENKUlvE_clEvENKUlvE4_clEvEUlS6_S6_E_S6_EEDaPvRmT3_T4_T5_mT6_P12ihipStream_tbENKUlT_T0_E_clISt17integral_constantIbLb0EESX_IbLb1EEEEDaST_SU_EUlST_E_NS1_11comp_targetILNS1_3genE0ELNS1_11target_archE4294967295ELNS1_3gpuE0ELNS1_3repE0EEENS1_30default_config_static_selectorELNS0_4arch9wavefront6targetE1EEEvT1_.uses_vcc, 1
	.set _ZN7rocprim17ROCPRIM_400000_NS6detail17trampoline_kernelINS0_14default_configENS1_20scan_config_selectorIN3c108BFloat16EEEZZNS1_9scan_implILNS1_25lookback_scan_determinismE0ELb0ELb0ES3_PKS6_PS6_S6_ZZZN2at6native31launch_logcumsumexp_cuda_kernelERKNSD_10TensorBaseESH_lENKUlvE_clEvENKUlvE4_clEvEUlS6_S6_E_S6_EEDaPvRmT3_T4_T5_mT6_P12ihipStream_tbENKUlT_T0_E_clISt17integral_constantIbLb0EESX_IbLb1EEEEDaST_SU_EUlST_E_NS1_11comp_targetILNS1_3genE0ELNS1_11target_archE4294967295ELNS1_3gpuE0ELNS1_3repE0EEENS1_30default_config_static_selectorELNS0_4arch9wavefront6targetE1EEEvT1_.uses_flat_scratch, 0
	.set _ZN7rocprim17ROCPRIM_400000_NS6detail17trampoline_kernelINS0_14default_configENS1_20scan_config_selectorIN3c108BFloat16EEEZZNS1_9scan_implILNS1_25lookback_scan_determinismE0ELb0ELb0ES3_PKS6_PS6_S6_ZZZN2at6native31launch_logcumsumexp_cuda_kernelERKNSD_10TensorBaseESH_lENKUlvE_clEvENKUlvE4_clEvEUlS6_S6_E_S6_EEDaPvRmT3_T4_T5_mT6_P12ihipStream_tbENKUlT_T0_E_clISt17integral_constantIbLb0EESX_IbLb1EEEEDaST_SU_EUlST_E_NS1_11comp_targetILNS1_3genE0ELNS1_11target_archE4294967295ELNS1_3gpuE0ELNS1_3repE0EEENS1_30default_config_static_selectorELNS0_4arch9wavefront6targetE1EEEvT1_.has_dyn_sized_stack, 0
	.set _ZN7rocprim17ROCPRIM_400000_NS6detail17trampoline_kernelINS0_14default_configENS1_20scan_config_selectorIN3c108BFloat16EEEZZNS1_9scan_implILNS1_25lookback_scan_determinismE0ELb0ELb0ES3_PKS6_PS6_S6_ZZZN2at6native31launch_logcumsumexp_cuda_kernelERKNSD_10TensorBaseESH_lENKUlvE_clEvENKUlvE4_clEvEUlS6_S6_E_S6_EEDaPvRmT3_T4_T5_mT6_P12ihipStream_tbENKUlT_T0_E_clISt17integral_constantIbLb0EESX_IbLb1EEEEDaST_SU_EUlST_E_NS1_11comp_targetILNS1_3genE0ELNS1_11target_archE4294967295ELNS1_3gpuE0ELNS1_3repE0EEENS1_30default_config_static_selectorELNS0_4arch9wavefront6targetE1EEEvT1_.has_recursion, 0
	.set _ZN7rocprim17ROCPRIM_400000_NS6detail17trampoline_kernelINS0_14default_configENS1_20scan_config_selectorIN3c108BFloat16EEEZZNS1_9scan_implILNS1_25lookback_scan_determinismE0ELb0ELb0ES3_PKS6_PS6_S6_ZZZN2at6native31launch_logcumsumexp_cuda_kernelERKNSD_10TensorBaseESH_lENKUlvE_clEvENKUlvE4_clEvEUlS6_S6_E_S6_EEDaPvRmT3_T4_T5_mT6_P12ihipStream_tbENKUlT_T0_E_clISt17integral_constantIbLb0EESX_IbLb1EEEEDaST_SU_EUlST_E_NS1_11comp_targetILNS1_3genE0ELNS1_11target_archE4294967295ELNS1_3gpuE0ELNS1_3repE0EEENS1_30default_config_static_selectorELNS0_4arch9wavefront6targetE1EEEvT1_.has_indirect_call, 0
	.section	.AMDGPU.csdata,"",@progbits
; Kernel info:
; codeLenInByte = 79348
; TotalNumSgprs: 80
; NumVgprs: 82
; NumAgprs: 0
; TotalNumVgprs: 82
; ScratchSize: 0
; MemoryBound: 0
; FloatMode: 240
; IeeeMode: 1
; LDSByteSize: 3584 bytes/workgroup (compile time only)
; SGPRBlocks: 9
; VGPRBlocks: 10
; NumSGPRsForWavesPerEU: 80
; NumVGPRsForWavesPerEU: 82
; AccumOffset: 84
; Occupancy: 5
; WaveLimiterHint : 1
; COMPUTE_PGM_RSRC2:SCRATCH_EN: 0
; COMPUTE_PGM_RSRC2:USER_SGPR: 2
; COMPUTE_PGM_RSRC2:TRAP_HANDLER: 0
; COMPUTE_PGM_RSRC2:TGID_X_EN: 1
; COMPUTE_PGM_RSRC2:TGID_Y_EN: 0
; COMPUTE_PGM_RSRC2:TGID_Z_EN: 0
; COMPUTE_PGM_RSRC2:TIDIG_COMP_CNT: 0
; COMPUTE_PGM_RSRC3_GFX90A:ACCUM_OFFSET: 20
; COMPUTE_PGM_RSRC3_GFX90A:TG_SPLIT: 0
	.section	.text._ZN7rocprim17ROCPRIM_400000_NS6detail17trampoline_kernelINS0_14default_configENS1_20scan_config_selectorIN3c108BFloat16EEEZZNS1_9scan_implILNS1_25lookback_scan_determinismE0ELb0ELb0ES3_PKS6_PS6_S6_ZZZN2at6native31launch_logcumsumexp_cuda_kernelERKNSD_10TensorBaseESH_lENKUlvE_clEvENKUlvE4_clEvEUlS6_S6_E_S6_EEDaPvRmT3_T4_T5_mT6_P12ihipStream_tbENKUlT_T0_E_clISt17integral_constantIbLb0EESX_IbLb1EEEEDaST_SU_EUlST_E_NS1_11comp_targetILNS1_3genE5ELNS1_11target_archE942ELNS1_3gpuE9ELNS1_3repE0EEENS1_30default_config_static_selectorELNS0_4arch9wavefront6targetE1EEEvT1_,"axG",@progbits,_ZN7rocprim17ROCPRIM_400000_NS6detail17trampoline_kernelINS0_14default_configENS1_20scan_config_selectorIN3c108BFloat16EEEZZNS1_9scan_implILNS1_25lookback_scan_determinismE0ELb0ELb0ES3_PKS6_PS6_S6_ZZZN2at6native31launch_logcumsumexp_cuda_kernelERKNSD_10TensorBaseESH_lENKUlvE_clEvENKUlvE4_clEvEUlS6_S6_E_S6_EEDaPvRmT3_T4_T5_mT6_P12ihipStream_tbENKUlT_T0_E_clISt17integral_constantIbLb0EESX_IbLb1EEEEDaST_SU_EUlST_E_NS1_11comp_targetILNS1_3genE5ELNS1_11target_archE942ELNS1_3gpuE9ELNS1_3repE0EEENS1_30default_config_static_selectorELNS0_4arch9wavefront6targetE1EEEvT1_,comdat
	.globl	_ZN7rocprim17ROCPRIM_400000_NS6detail17trampoline_kernelINS0_14default_configENS1_20scan_config_selectorIN3c108BFloat16EEEZZNS1_9scan_implILNS1_25lookback_scan_determinismE0ELb0ELb0ES3_PKS6_PS6_S6_ZZZN2at6native31launch_logcumsumexp_cuda_kernelERKNSD_10TensorBaseESH_lENKUlvE_clEvENKUlvE4_clEvEUlS6_S6_E_S6_EEDaPvRmT3_T4_T5_mT6_P12ihipStream_tbENKUlT_T0_E_clISt17integral_constantIbLb0EESX_IbLb1EEEEDaST_SU_EUlST_E_NS1_11comp_targetILNS1_3genE5ELNS1_11target_archE942ELNS1_3gpuE9ELNS1_3repE0EEENS1_30default_config_static_selectorELNS0_4arch9wavefront6targetE1EEEvT1_ ; -- Begin function _ZN7rocprim17ROCPRIM_400000_NS6detail17trampoline_kernelINS0_14default_configENS1_20scan_config_selectorIN3c108BFloat16EEEZZNS1_9scan_implILNS1_25lookback_scan_determinismE0ELb0ELb0ES3_PKS6_PS6_S6_ZZZN2at6native31launch_logcumsumexp_cuda_kernelERKNSD_10TensorBaseESH_lENKUlvE_clEvENKUlvE4_clEvEUlS6_S6_E_S6_EEDaPvRmT3_T4_T5_mT6_P12ihipStream_tbENKUlT_T0_E_clISt17integral_constantIbLb0EESX_IbLb1EEEEDaST_SU_EUlST_E_NS1_11comp_targetILNS1_3genE5ELNS1_11target_archE942ELNS1_3gpuE9ELNS1_3repE0EEENS1_30default_config_static_selectorELNS0_4arch9wavefront6targetE1EEEvT1_
	.p2align	8
	.type	_ZN7rocprim17ROCPRIM_400000_NS6detail17trampoline_kernelINS0_14default_configENS1_20scan_config_selectorIN3c108BFloat16EEEZZNS1_9scan_implILNS1_25lookback_scan_determinismE0ELb0ELb0ES3_PKS6_PS6_S6_ZZZN2at6native31launch_logcumsumexp_cuda_kernelERKNSD_10TensorBaseESH_lENKUlvE_clEvENKUlvE4_clEvEUlS6_S6_E_S6_EEDaPvRmT3_T4_T5_mT6_P12ihipStream_tbENKUlT_T0_E_clISt17integral_constantIbLb0EESX_IbLb1EEEEDaST_SU_EUlST_E_NS1_11comp_targetILNS1_3genE5ELNS1_11target_archE942ELNS1_3gpuE9ELNS1_3repE0EEENS1_30default_config_static_selectorELNS0_4arch9wavefront6targetE1EEEvT1_,@function
_ZN7rocprim17ROCPRIM_400000_NS6detail17trampoline_kernelINS0_14default_configENS1_20scan_config_selectorIN3c108BFloat16EEEZZNS1_9scan_implILNS1_25lookback_scan_determinismE0ELb0ELb0ES3_PKS6_PS6_S6_ZZZN2at6native31launch_logcumsumexp_cuda_kernelERKNSD_10TensorBaseESH_lENKUlvE_clEvENKUlvE4_clEvEUlS6_S6_E_S6_EEDaPvRmT3_T4_T5_mT6_P12ihipStream_tbENKUlT_T0_E_clISt17integral_constantIbLb0EESX_IbLb1EEEEDaST_SU_EUlST_E_NS1_11comp_targetILNS1_3genE5ELNS1_11target_archE942ELNS1_3gpuE9ELNS1_3repE0EEENS1_30default_config_static_selectorELNS0_4arch9wavefront6targetE1EEEvT1_: ; @_ZN7rocprim17ROCPRIM_400000_NS6detail17trampoline_kernelINS0_14default_configENS1_20scan_config_selectorIN3c108BFloat16EEEZZNS1_9scan_implILNS1_25lookback_scan_determinismE0ELb0ELb0ES3_PKS6_PS6_S6_ZZZN2at6native31launch_logcumsumexp_cuda_kernelERKNSD_10TensorBaseESH_lENKUlvE_clEvENKUlvE4_clEvEUlS6_S6_E_S6_EEDaPvRmT3_T4_T5_mT6_P12ihipStream_tbENKUlT_T0_E_clISt17integral_constantIbLb0EESX_IbLb1EEEEDaST_SU_EUlST_E_NS1_11comp_targetILNS1_3genE5ELNS1_11target_archE942ELNS1_3gpuE9ELNS1_3repE0EEENS1_30default_config_static_selectorELNS0_4arch9wavefront6targetE1EEEvT1_
; %bb.0:
	.section	.rodata,"a",@progbits
	.p2align	6, 0x0
	.amdhsa_kernel _ZN7rocprim17ROCPRIM_400000_NS6detail17trampoline_kernelINS0_14default_configENS1_20scan_config_selectorIN3c108BFloat16EEEZZNS1_9scan_implILNS1_25lookback_scan_determinismE0ELb0ELb0ES3_PKS6_PS6_S6_ZZZN2at6native31launch_logcumsumexp_cuda_kernelERKNSD_10TensorBaseESH_lENKUlvE_clEvENKUlvE4_clEvEUlS6_S6_E_S6_EEDaPvRmT3_T4_T5_mT6_P12ihipStream_tbENKUlT_T0_E_clISt17integral_constantIbLb0EESX_IbLb1EEEEDaST_SU_EUlST_E_NS1_11comp_targetILNS1_3genE5ELNS1_11target_archE942ELNS1_3gpuE9ELNS1_3repE0EEENS1_30default_config_static_selectorELNS0_4arch9wavefront6targetE1EEEvT1_
		.amdhsa_group_segment_fixed_size 0
		.amdhsa_private_segment_fixed_size 0
		.amdhsa_kernarg_size 96
		.amdhsa_user_sgpr_count 2
		.amdhsa_user_sgpr_dispatch_ptr 0
		.amdhsa_user_sgpr_queue_ptr 0
		.amdhsa_user_sgpr_kernarg_segment_ptr 1
		.amdhsa_user_sgpr_dispatch_id 0
		.amdhsa_user_sgpr_kernarg_preload_length 0
		.amdhsa_user_sgpr_kernarg_preload_offset 0
		.amdhsa_user_sgpr_private_segment_size 0
		.amdhsa_uses_dynamic_stack 0
		.amdhsa_enable_private_segment 0
		.amdhsa_system_sgpr_workgroup_id_x 1
		.amdhsa_system_sgpr_workgroup_id_y 0
		.amdhsa_system_sgpr_workgroup_id_z 0
		.amdhsa_system_sgpr_workgroup_info 0
		.amdhsa_system_vgpr_workitem_id 0
		.amdhsa_next_free_vgpr 1
		.amdhsa_next_free_sgpr 0
		.amdhsa_accum_offset 4
		.amdhsa_reserve_vcc 0
		.amdhsa_float_round_mode_32 0
		.amdhsa_float_round_mode_16_64 0
		.amdhsa_float_denorm_mode_32 3
		.amdhsa_float_denorm_mode_16_64 3
		.amdhsa_dx10_clamp 1
		.amdhsa_ieee_mode 1
		.amdhsa_fp16_overflow 0
		.amdhsa_tg_split 0
		.amdhsa_exception_fp_ieee_invalid_op 0
		.amdhsa_exception_fp_denorm_src 0
		.amdhsa_exception_fp_ieee_div_zero 0
		.amdhsa_exception_fp_ieee_overflow 0
		.amdhsa_exception_fp_ieee_underflow 0
		.amdhsa_exception_fp_ieee_inexact 0
		.amdhsa_exception_int_div_zero 0
	.end_amdhsa_kernel
	.section	.text._ZN7rocprim17ROCPRIM_400000_NS6detail17trampoline_kernelINS0_14default_configENS1_20scan_config_selectorIN3c108BFloat16EEEZZNS1_9scan_implILNS1_25lookback_scan_determinismE0ELb0ELb0ES3_PKS6_PS6_S6_ZZZN2at6native31launch_logcumsumexp_cuda_kernelERKNSD_10TensorBaseESH_lENKUlvE_clEvENKUlvE4_clEvEUlS6_S6_E_S6_EEDaPvRmT3_T4_T5_mT6_P12ihipStream_tbENKUlT_T0_E_clISt17integral_constantIbLb0EESX_IbLb1EEEEDaST_SU_EUlST_E_NS1_11comp_targetILNS1_3genE5ELNS1_11target_archE942ELNS1_3gpuE9ELNS1_3repE0EEENS1_30default_config_static_selectorELNS0_4arch9wavefront6targetE1EEEvT1_,"axG",@progbits,_ZN7rocprim17ROCPRIM_400000_NS6detail17trampoline_kernelINS0_14default_configENS1_20scan_config_selectorIN3c108BFloat16EEEZZNS1_9scan_implILNS1_25lookback_scan_determinismE0ELb0ELb0ES3_PKS6_PS6_S6_ZZZN2at6native31launch_logcumsumexp_cuda_kernelERKNSD_10TensorBaseESH_lENKUlvE_clEvENKUlvE4_clEvEUlS6_S6_E_S6_EEDaPvRmT3_T4_T5_mT6_P12ihipStream_tbENKUlT_T0_E_clISt17integral_constantIbLb0EESX_IbLb1EEEEDaST_SU_EUlST_E_NS1_11comp_targetILNS1_3genE5ELNS1_11target_archE942ELNS1_3gpuE9ELNS1_3repE0EEENS1_30default_config_static_selectorELNS0_4arch9wavefront6targetE1EEEvT1_,comdat
.Lfunc_end504:
	.size	_ZN7rocprim17ROCPRIM_400000_NS6detail17trampoline_kernelINS0_14default_configENS1_20scan_config_selectorIN3c108BFloat16EEEZZNS1_9scan_implILNS1_25lookback_scan_determinismE0ELb0ELb0ES3_PKS6_PS6_S6_ZZZN2at6native31launch_logcumsumexp_cuda_kernelERKNSD_10TensorBaseESH_lENKUlvE_clEvENKUlvE4_clEvEUlS6_S6_E_S6_EEDaPvRmT3_T4_T5_mT6_P12ihipStream_tbENKUlT_T0_E_clISt17integral_constantIbLb0EESX_IbLb1EEEEDaST_SU_EUlST_E_NS1_11comp_targetILNS1_3genE5ELNS1_11target_archE942ELNS1_3gpuE9ELNS1_3repE0EEENS1_30default_config_static_selectorELNS0_4arch9wavefront6targetE1EEEvT1_, .Lfunc_end504-_ZN7rocprim17ROCPRIM_400000_NS6detail17trampoline_kernelINS0_14default_configENS1_20scan_config_selectorIN3c108BFloat16EEEZZNS1_9scan_implILNS1_25lookback_scan_determinismE0ELb0ELb0ES3_PKS6_PS6_S6_ZZZN2at6native31launch_logcumsumexp_cuda_kernelERKNSD_10TensorBaseESH_lENKUlvE_clEvENKUlvE4_clEvEUlS6_S6_E_S6_EEDaPvRmT3_T4_T5_mT6_P12ihipStream_tbENKUlT_T0_E_clISt17integral_constantIbLb0EESX_IbLb1EEEEDaST_SU_EUlST_E_NS1_11comp_targetILNS1_3genE5ELNS1_11target_archE942ELNS1_3gpuE9ELNS1_3repE0EEENS1_30default_config_static_selectorELNS0_4arch9wavefront6targetE1EEEvT1_
                                        ; -- End function
	.set _ZN7rocprim17ROCPRIM_400000_NS6detail17trampoline_kernelINS0_14default_configENS1_20scan_config_selectorIN3c108BFloat16EEEZZNS1_9scan_implILNS1_25lookback_scan_determinismE0ELb0ELb0ES3_PKS6_PS6_S6_ZZZN2at6native31launch_logcumsumexp_cuda_kernelERKNSD_10TensorBaseESH_lENKUlvE_clEvENKUlvE4_clEvEUlS6_S6_E_S6_EEDaPvRmT3_T4_T5_mT6_P12ihipStream_tbENKUlT_T0_E_clISt17integral_constantIbLb0EESX_IbLb1EEEEDaST_SU_EUlST_E_NS1_11comp_targetILNS1_3genE5ELNS1_11target_archE942ELNS1_3gpuE9ELNS1_3repE0EEENS1_30default_config_static_selectorELNS0_4arch9wavefront6targetE1EEEvT1_.num_vgpr, 0
	.set _ZN7rocprim17ROCPRIM_400000_NS6detail17trampoline_kernelINS0_14default_configENS1_20scan_config_selectorIN3c108BFloat16EEEZZNS1_9scan_implILNS1_25lookback_scan_determinismE0ELb0ELb0ES3_PKS6_PS6_S6_ZZZN2at6native31launch_logcumsumexp_cuda_kernelERKNSD_10TensorBaseESH_lENKUlvE_clEvENKUlvE4_clEvEUlS6_S6_E_S6_EEDaPvRmT3_T4_T5_mT6_P12ihipStream_tbENKUlT_T0_E_clISt17integral_constantIbLb0EESX_IbLb1EEEEDaST_SU_EUlST_E_NS1_11comp_targetILNS1_3genE5ELNS1_11target_archE942ELNS1_3gpuE9ELNS1_3repE0EEENS1_30default_config_static_selectorELNS0_4arch9wavefront6targetE1EEEvT1_.num_agpr, 0
	.set _ZN7rocprim17ROCPRIM_400000_NS6detail17trampoline_kernelINS0_14default_configENS1_20scan_config_selectorIN3c108BFloat16EEEZZNS1_9scan_implILNS1_25lookback_scan_determinismE0ELb0ELb0ES3_PKS6_PS6_S6_ZZZN2at6native31launch_logcumsumexp_cuda_kernelERKNSD_10TensorBaseESH_lENKUlvE_clEvENKUlvE4_clEvEUlS6_S6_E_S6_EEDaPvRmT3_T4_T5_mT6_P12ihipStream_tbENKUlT_T0_E_clISt17integral_constantIbLb0EESX_IbLb1EEEEDaST_SU_EUlST_E_NS1_11comp_targetILNS1_3genE5ELNS1_11target_archE942ELNS1_3gpuE9ELNS1_3repE0EEENS1_30default_config_static_selectorELNS0_4arch9wavefront6targetE1EEEvT1_.numbered_sgpr, 0
	.set _ZN7rocprim17ROCPRIM_400000_NS6detail17trampoline_kernelINS0_14default_configENS1_20scan_config_selectorIN3c108BFloat16EEEZZNS1_9scan_implILNS1_25lookback_scan_determinismE0ELb0ELb0ES3_PKS6_PS6_S6_ZZZN2at6native31launch_logcumsumexp_cuda_kernelERKNSD_10TensorBaseESH_lENKUlvE_clEvENKUlvE4_clEvEUlS6_S6_E_S6_EEDaPvRmT3_T4_T5_mT6_P12ihipStream_tbENKUlT_T0_E_clISt17integral_constantIbLb0EESX_IbLb1EEEEDaST_SU_EUlST_E_NS1_11comp_targetILNS1_3genE5ELNS1_11target_archE942ELNS1_3gpuE9ELNS1_3repE0EEENS1_30default_config_static_selectorELNS0_4arch9wavefront6targetE1EEEvT1_.num_named_barrier, 0
	.set _ZN7rocprim17ROCPRIM_400000_NS6detail17trampoline_kernelINS0_14default_configENS1_20scan_config_selectorIN3c108BFloat16EEEZZNS1_9scan_implILNS1_25lookback_scan_determinismE0ELb0ELb0ES3_PKS6_PS6_S6_ZZZN2at6native31launch_logcumsumexp_cuda_kernelERKNSD_10TensorBaseESH_lENKUlvE_clEvENKUlvE4_clEvEUlS6_S6_E_S6_EEDaPvRmT3_T4_T5_mT6_P12ihipStream_tbENKUlT_T0_E_clISt17integral_constantIbLb0EESX_IbLb1EEEEDaST_SU_EUlST_E_NS1_11comp_targetILNS1_3genE5ELNS1_11target_archE942ELNS1_3gpuE9ELNS1_3repE0EEENS1_30default_config_static_selectorELNS0_4arch9wavefront6targetE1EEEvT1_.private_seg_size, 0
	.set _ZN7rocprim17ROCPRIM_400000_NS6detail17trampoline_kernelINS0_14default_configENS1_20scan_config_selectorIN3c108BFloat16EEEZZNS1_9scan_implILNS1_25lookback_scan_determinismE0ELb0ELb0ES3_PKS6_PS6_S6_ZZZN2at6native31launch_logcumsumexp_cuda_kernelERKNSD_10TensorBaseESH_lENKUlvE_clEvENKUlvE4_clEvEUlS6_S6_E_S6_EEDaPvRmT3_T4_T5_mT6_P12ihipStream_tbENKUlT_T0_E_clISt17integral_constantIbLb0EESX_IbLb1EEEEDaST_SU_EUlST_E_NS1_11comp_targetILNS1_3genE5ELNS1_11target_archE942ELNS1_3gpuE9ELNS1_3repE0EEENS1_30default_config_static_selectorELNS0_4arch9wavefront6targetE1EEEvT1_.uses_vcc, 0
	.set _ZN7rocprim17ROCPRIM_400000_NS6detail17trampoline_kernelINS0_14default_configENS1_20scan_config_selectorIN3c108BFloat16EEEZZNS1_9scan_implILNS1_25lookback_scan_determinismE0ELb0ELb0ES3_PKS6_PS6_S6_ZZZN2at6native31launch_logcumsumexp_cuda_kernelERKNSD_10TensorBaseESH_lENKUlvE_clEvENKUlvE4_clEvEUlS6_S6_E_S6_EEDaPvRmT3_T4_T5_mT6_P12ihipStream_tbENKUlT_T0_E_clISt17integral_constantIbLb0EESX_IbLb1EEEEDaST_SU_EUlST_E_NS1_11comp_targetILNS1_3genE5ELNS1_11target_archE942ELNS1_3gpuE9ELNS1_3repE0EEENS1_30default_config_static_selectorELNS0_4arch9wavefront6targetE1EEEvT1_.uses_flat_scratch, 0
	.set _ZN7rocprim17ROCPRIM_400000_NS6detail17trampoline_kernelINS0_14default_configENS1_20scan_config_selectorIN3c108BFloat16EEEZZNS1_9scan_implILNS1_25lookback_scan_determinismE0ELb0ELb0ES3_PKS6_PS6_S6_ZZZN2at6native31launch_logcumsumexp_cuda_kernelERKNSD_10TensorBaseESH_lENKUlvE_clEvENKUlvE4_clEvEUlS6_S6_E_S6_EEDaPvRmT3_T4_T5_mT6_P12ihipStream_tbENKUlT_T0_E_clISt17integral_constantIbLb0EESX_IbLb1EEEEDaST_SU_EUlST_E_NS1_11comp_targetILNS1_3genE5ELNS1_11target_archE942ELNS1_3gpuE9ELNS1_3repE0EEENS1_30default_config_static_selectorELNS0_4arch9wavefront6targetE1EEEvT1_.has_dyn_sized_stack, 0
	.set _ZN7rocprim17ROCPRIM_400000_NS6detail17trampoline_kernelINS0_14default_configENS1_20scan_config_selectorIN3c108BFloat16EEEZZNS1_9scan_implILNS1_25lookback_scan_determinismE0ELb0ELb0ES3_PKS6_PS6_S6_ZZZN2at6native31launch_logcumsumexp_cuda_kernelERKNSD_10TensorBaseESH_lENKUlvE_clEvENKUlvE4_clEvEUlS6_S6_E_S6_EEDaPvRmT3_T4_T5_mT6_P12ihipStream_tbENKUlT_T0_E_clISt17integral_constantIbLb0EESX_IbLb1EEEEDaST_SU_EUlST_E_NS1_11comp_targetILNS1_3genE5ELNS1_11target_archE942ELNS1_3gpuE9ELNS1_3repE0EEENS1_30default_config_static_selectorELNS0_4arch9wavefront6targetE1EEEvT1_.has_recursion, 0
	.set _ZN7rocprim17ROCPRIM_400000_NS6detail17trampoline_kernelINS0_14default_configENS1_20scan_config_selectorIN3c108BFloat16EEEZZNS1_9scan_implILNS1_25lookback_scan_determinismE0ELb0ELb0ES3_PKS6_PS6_S6_ZZZN2at6native31launch_logcumsumexp_cuda_kernelERKNSD_10TensorBaseESH_lENKUlvE_clEvENKUlvE4_clEvEUlS6_S6_E_S6_EEDaPvRmT3_T4_T5_mT6_P12ihipStream_tbENKUlT_T0_E_clISt17integral_constantIbLb0EESX_IbLb1EEEEDaST_SU_EUlST_E_NS1_11comp_targetILNS1_3genE5ELNS1_11target_archE942ELNS1_3gpuE9ELNS1_3repE0EEENS1_30default_config_static_selectorELNS0_4arch9wavefront6targetE1EEEvT1_.has_indirect_call, 0
	.section	.AMDGPU.csdata,"",@progbits
; Kernel info:
; codeLenInByte = 0
; TotalNumSgprs: 6
; NumVgprs: 0
; NumAgprs: 0
; TotalNumVgprs: 0
; ScratchSize: 0
; MemoryBound: 0
; FloatMode: 240
; IeeeMode: 1
; LDSByteSize: 0 bytes/workgroup (compile time only)
; SGPRBlocks: 0
; VGPRBlocks: 0
; NumSGPRsForWavesPerEU: 6
; NumVGPRsForWavesPerEU: 1
; AccumOffset: 4
; Occupancy: 8
; WaveLimiterHint : 0
; COMPUTE_PGM_RSRC2:SCRATCH_EN: 0
; COMPUTE_PGM_RSRC2:USER_SGPR: 2
; COMPUTE_PGM_RSRC2:TRAP_HANDLER: 0
; COMPUTE_PGM_RSRC2:TGID_X_EN: 1
; COMPUTE_PGM_RSRC2:TGID_Y_EN: 0
; COMPUTE_PGM_RSRC2:TGID_Z_EN: 0
; COMPUTE_PGM_RSRC2:TIDIG_COMP_CNT: 0
; COMPUTE_PGM_RSRC3_GFX90A:ACCUM_OFFSET: 0
; COMPUTE_PGM_RSRC3_GFX90A:TG_SPLIT: 0
	.section	.text._ZN7rocprim17ROCPRIM_400000_NS6detail17trampoline_kernelINS0_14default_configENS1_20scan_config_selectorIN3c108BFloat16EEEZZNS1_9scan_implILNS1_25lookback_scan_determinismE0ELb0ELb0ES3_PKS6_PS6_S6_ZZZN2at6native31launch_logcumsumexp_cuda_kernelERKNSD_10TensorBaseESH_lENKUlvE_clEvENKUlvE4_clEvEUlS6_S6_E_S6_EEDaPvRmT3_T4_T5_mT6_P12ihipStream_tbENKUlT_T0_E_clISt17integral_constantIbLb0EESX_IbLb1EEEEDaST_SU_EUlST_E_NS1_11comp_targetILNS1_3genE4ELNS1_11target_archE910ELNS1_3gpuE8ELNS1_3repE0EEENS1_30default_config_static_selectorELNS0_4arch9wavefront6targetE1EEEvT1_,"axG",@progbits,_ZN7rocprim17ROCPRIM_400000_NS6detail17trampoline_kernelINS0_14default_configENS1_20scan_config_selectorIN3c108BFloat16EEEZZNS1_9scan_implILNS1_25lookback_scan_determinismE0ELb0ELb0ES3_PKS6_PS6_S6_ZZZN2at6native31launch_logcumsumexp_cuda_kernelERKNSD_10TensorBaseESH_lENKUlvE_clEvENKUlvE4_clEvEUlS6_S6_E_S6_EEDaPvRmT3_T4_T5_mT6_P12ihipStream_tbENKUlT_T0_E_clISt17integral_constantIbLb0EESX_IbLb1EEEEDaST_SU_EUlST_E_NS1_11comp_targetILNS1_3genE4ELNS1_11target_archE910ELNS1_3gpuE8ELNS1_3repE0EEENS1_30default_config_static_selectorELNS0_4arch9wavefront6targetE1EEEvT1_,comdat
	.globl	_ZN7rocprim17ROCPRIM_400000_NS6detail17trampoline_kernelINS0_14default_configENS1_20scan_config_selectorIN3c108BFloat16EEEZZNS1_9scan_implILNS1_25lookback_scan_determinismE0ELb0ELb0ES3_PKS6_PS6_S6_ZZZN2at6native31launch_logcumsumexp_cuda_kernelERKNSD_10TensorBaseESH_lENKUlvE_clEvENKUlvE4_clEvEUlS6_S6_E_S6_EEDaPvRmT3_T4_T5_mT6_P12ihipStream_tbENKUlT_T0_E_clISt17integral_constantIbLb0EESX_IbLb1EEEEDaST_SU_EUlST_E_NS1_11comp_targetILNS1_3genE4ELNS1_11target_archE910ELNS1_3gpuE8ELNS1_3repE0EEENS1_30default_config_static_selectorELNS0_4arch9wavefront6targetE1EEEvT1_ ; -- Begin function _ZN7rocprim17ROCPRIM_400000_NS6detail17trampoline_kernelINS0_14default_configENS1_20scan_config_selectorIN3c108BFloat16EEEZZNS1_9scan_implILNS1_25lookback_scan_determinismE0ELb0ELb0ES3_PKS6_PS6_S6_ZZZN2at6native31launch_logcumsumexp_cuda_kernelERKNSD_10TensorBaseESH_lENKUlvE_clEvENKUlvE4_clEvEUlS6_S6_E_S6_EEDaPvRmT3_T4_T5_mT6_P12ihipStream_tbENKUlT_T0_E_clISt17integral_constantIbLb0EESX_IbLb1EEEEDaST_SU_EUlST_E_NS1_11comp_targetILNS1_3genE4ELNS1_11target_archE910ELNS1_3gpuE8ELNS1_3repE0EEENS1_30default_config_static_selectorELNS0_4arch9wavefront6targetE1EEEvT1_
	.p2align	8
	.type	_ZN7rocprim17ROCPRIM_400000_NS6detail17trampoline_kernelINS0_14default_configENS1_20scan_config_selectorIN3c108BFloat16EEEZZNS1_9scan_implILNS1_25lookback_scan_determinismE0ELb0ELb0ES3_PKS6_PS6_S6_ZZZN2at6native31launch_logcumsumexp_cuda_kernelERKNSD_10TensorBaseESH_lENKUlvE_clEvENKUlvE4_clEvEUlS6_S6_E_S6_EEDaPvRmT3_T4_T5_mT6_P12ihipStream_tbENKUlT_T0_E_clISt17integral_constantIbLb0EESX_IbLb1EEEEDaST_SU_EUlST_E_NS1_11comp_targetILNS1_3genE4ELNS1_11target_archE910ELNS1_3gpuE8ELNS1_3repE0EEENS1_30default_config_static_selectorELNS0_4arch9wavefront6targetE1EEEvT1_,@function
_ZN7rocprim17ROCPRIM_400000_NS6detail17trampoline_kernelINS0_14default_configENS1_20scan_config_selectorIN3c108BFloat16EEEZZNS1_9scan_implILNS1_25lookback_scan_determinismE0ELb0ELb0ES3_PKS6_PS6_S6_ZZZN2at6native31launch_logcumsumexp_cuda_kernelERKNSD_10TensorBaseESH_lENKUlvE_clEvENKUlvE4_clEvEUlS6_S6_E_S6_EEDaPvRmT3_T4_T5_mT6_P12ihipStream_tbENKUlT_T0_E_clISt17integral_constantIbLb0EESX_IbLb1EEEEDaST_SU_EUlST_E_NS1_11comp_targetILNS1_3genE4ELNS1_11target_archE910ELNS1_3gpuE8ELNS1_3repE0EEENS1_30default_config_static_selectorELNS0_4arch9wavefront6targetE1EEEvT1_: ; @_ZN7rocprim17ROCPRIM_400000_NS6detail17trampoline_kernelINS0_14default_configENS1_20scan_config_selectorIN3c108BFloat16EEEZZNS1_9scan_implILNS1_25lookback_scan_determinismE0ELb0ELb0ES3_PKS6_PS6_S6_ZZZN2at6native31launch_logcumsumexp_cuda_kernelERKNSD_10TensorBaseESH_lENKUlvE_clEvENKUlvE4_clEvEUlS6_S6_E_S6_EEDaPvRmT3_T4_T5_mT6_P12ihipStream_tbENKUlT_T0_E_clISt17integral_constantIbLb0EESX_IbLb1EEEEDaST_SU_EUlST_E_NS1_11comp_targetILNS1_3genE4ELNS1_11target_archE910ELNS1_3gpuE8ELNS1_3repE0EEENS1_30default_config_static_selectorELNS0_4arch9wavefront6targetE1EEEvT1_
; %bb.0:
	.section	.rodata,"a",@progbits
	.p2align	6, 0x0
	.amdhsa_kernel _ZN7rocprim17ROCPRIM_400000_NS6detail17trampoline_kernelINS0_14default_configENS1_20scan_config_selectorIN3c108BFloat16EEEZZNS1_9scan_implILNS1_25lookback_scan_determinismE0ELb0ELb0ES3_PKS6_PS6_S6_ZZZN2at6native31launch_logcumsumexp_cuda_kernelERKNSD_10TensorBaseESH_lENKUlvE_clEvENKUlvE4_clEvEUlS6_S6_E_S6_EEDaPvRmT3_T4_T5_mT6_P12ihipStream_tbENKUlT_T0_E_clISt17integral_constantIbLb0EESX_IbLb1EEEEDaST_SU_EUlST_E_NS1_11comp_targetILNS1_3genE4ELNS1_11target_archE910ELNS1_3gpuE8ELNS1_3repE0EEENS1_30default_config_static_selectorELNS0_4arch9wavefront6targetE1EEEvT1_
		.amdhsa_group_segment_fixed_size 0
		.amdhsa_private_segment_fixed_size 0
		.amdhsa_kernarg_size 96
		.amdhsa_user_sgpr_count 2
		.amdhsa_user_sgpr_dispatch_ptr 0
		.amdhsa_user_sgpr_queue_ptr 0
		.amdhsa_user_sgpr_kernarg_segment_ptr 1
		.amdhsa_user_sgpr_dispatch_id 0
		.amdhsa_user_sgpr_kernarg_preload_length 0
		.amdhsa_user_sgpr_kernarg_preload_offset 0
		.amdhsa_user_sgpr_private_segment_size 0
		.amdhsa_uses_dynamic_stack 0
		.amdhsa_enable_private_segment 0
		.amdhsa_system_sgpr_workgroup_id_x 1
		.amdhsa_system_sgpr_workgroup_id_y 0
		.amdhsa_system_sgpr_workgroup_id_z 0
		.amdhsa_system_sgpr_workgroup_info 0
		.amdhsa_system_vgpr_workitem_id 0
		.amdhsa_next_free_vgpr 1
		.amdhsa_next_free_sgpr 0
		.amdhsa_accum_offset 4
		.amdhsa_reserve_vcc 0
		.amdhsa_float_round_mode_32 0
		.amdhsa_float_round_mode_16_64 0
		.amdhsa_float_denorm_mode_32 3
		.amdhsa_float_denorm_mode_16_64 3
		.amdhsa_dx10_clamp 1
		.amdhsa_ieee_mode 1
		.amdhsa_fp16_overflow 0
		.amdhsa_tg_split 0
		.amdhsa_exception_fp_ieee_invalid_op 0
		.amdhsa_exception_fp_denorm_src 0
		.amdhsa_exception_fp_ieee_div_zero 0
		.amdhsa_exception_fp_ieee_overflow 0
		.amdhsa_exception_fp_ieee_underflow 0
		.amdhsa_exception_fp_ieee_inexact 0
		.amdhsa_exception_int_div_zero 0
	.end_amdhsa_kernel
	.section	.text._ZN7rocprim17ROCPRIM_400000_NS6detail17trampoline_kernelINS0_14default_configENS1_20scan_config_selectorIN3c108BFloat16EEEZZNS1_9scan_implILNS1_25lookback_scan_determinismE0ELb0ELb0ES3_PKS6_PS6_S6_ZZZN2at6native31launch_logcumsumexp_cuda_kernelERKNSD_10TensorBaseESH_lENKUlvE_clEvENKUlvE4_clEvEUlS6_S6_E_S6_EEDaPvRmT3_T4_T5_mT6_P12ihipStream_tbENKUlT_T0_E_clISt17integral_constantIbLb0EESX_IbLb1EEEEDaST_SU_EUlST_E_NS1_11comp_targetILNS1_3genE4ELNS1_11target_archE910ELNS1_3gpuE8ELNS1_3repE0EEENS1_30default_config_static_selectorELNS0_4arch9wavefront6targetE1EEEvT1_,"axG",@progbits,_ZN7rocprim17ROCPRIM_400000_NS6detail17trampoline_kernelINS0_14default_configENS1_20scan_config_selectorIN3c108BFloat16EEEZZNS1_9scan_implILNS1_25lookback_scan_determinismE0ELb0ELb0ES3_PKS6_PS6_S6_ZZZN2at6native31launch_logcumsumexp_cuda_kernelERKNSD_10TensorBaseESH_lENKUlvE_clEvENKUlvE4_clEvEUlS6_S6_E_S6_EEDaPvRmT3_T4_T5_mT6_P12ihipStream_tbENKUlT_T0_E_clISt17integral_constantIbLb0EESX_IbLb1EEEEDaST_SU_EUlST_E_NS1_11comp_targetILNS1_3genE4ELNS1_11target_archE910ELNS1_3gpuE8ELNS1_3repE0EEENS1_30default_config_static_selectorELNS0_4arch9wavefront6targetE1EEEvT1_,comdat
.Lfunc_end505:
	.size	_ZN7rocprim17ROCPRIM_400000_NS6detail17trampoline_kernelINS0_14default_configENS1_20scan_config_selectorIN3c108BFloat16EEEZZNS1_9scan_implILNS1_25lookback_scan_determinismE0ELb0ELb0ES3_PKS6_PS6_S6_ZZZN2at6native31launch_logcumsumexp_cuda_kernelERKNSD_10TensorBaseESH_lENKUlvE_clEvENKUlvE4_clEvEUlS6_S6_E_S6_EEDaPvRmT3_T4_T5_mT6_P12ihipStream_tbENKUlT_T0_E_clISt17integral_constantIbLb0EESX_IbLb1EEEEDaST_SU_EUlST_E_NS1_11comp_targetILNS1_3genE4ELNS1_11target_archE910ELNS1_3gpuE8ELNS1_3repE0EEENS1_30default_config_static_selectorELNS0_4arch9wavefront6targetE1EEEvT1_, .Lfunc_end505-_ZN7rocprim17ROCPRIM_400000_NS6detail17trampoline_kernelINS0_14default_configENS1_20scan_config_selectorIN3c108BFloat16EEEZZNS1_9scan_implILNS1_25lookback_scan_determinismE0ELb0ELb0ES3_PKS6_PS6_S6_ZZZN2at6native31launch_logcumsumexp_cuda_kernelERKNSD_10TensorBaseESH_lENKUlvE_clEvENKUlvE4_clEvEUlS6_S6_E_S6_EEDaPvRmT3_T4_T5_mT6_P12ihipStream_tbENKUlT_T0_E_clISt17integral_constantIbLb0EESX_IbLb1EEEEDaST_SU_EUlST_E_NS1_11comp_targetILNS1_3genE4ELNS1_11target_archE910ELNS1_3gpuE8ELNS1_3repE0EEENS1_30default_config_static_selectorELNS0_4arch9wavefront6targetE1EEEvT1_
                                        ; -- End function
	.set _ZN7rocprim17ROCPRIM_400000_NS6detail17trampoline_kernelINS0_14default_configENS1_20scan_config_selectorIN3c108BFloat16EEEZZNS1_9scan_implILNS1_25lookback_scan_determinismE0ELb0ELb0ES3_PKS6_PS6_S6_ZZZN2at6native31launch_logcumsumexp_cuda_kernelERKNSD_10TensorBaseESH_lENKUlvE_clEvENKUlvE4_clEvEUlS6_S6_E_S6_EEDaPvRmT3_T4_T5_mT6_P12ihipStream_tbENKUlT_T0_E_clISt17integral_constantIbLb0EESX_IbLb1EEEEDaST_SU_EUlST_E_NS1_11comp_targetILNS1_3genE4ELNS1_11target_archE910ELNS1_3gpuE8ELNS1_3repE0EEENS1_30default_config_static_selectorELNS0_4arch9wavefront6targetE1EEEvT1_.num_vgpr, 0
	.set _ZN7rocprim17ROCPRIM_400000_NS6detail17trampoline_kernelINS0_14default_configENS1_20scan_config_selectorIN3c108BFloat16EEEZZNS1_9scan_implILNS1_25lookback_scan_determinismE0ELb0ELb0ES3_PKS6_PS6_S6_ZZZN2at6native31launch_logcumsumexp_cuda_kernelERKNSD_10TensorBaseESH_lENKUlvE_clEvENKUlvE4_clEvEUlS6_S6_E_S6_EEDaPvRmT3_T4_T5_mT6_P12ihipStream_tbENKUlT_T0_E_clISt17integral_constantIbLb0EESX_IbLb1EEEEDaST_SU_EUlST_E_NS1_11comp_targetILNS1_3genE4ELNS1_11target_archE910ELNS1_3gpuE8ELNS1_3repE0EEENS1_30default_config_static_selectorELNS0_4arch9wavefront6targetE1EEEvT1_.num_agpr, 0
	.set _ZN7rocprim17ROCPRIM_400000_NS6detail17trampoline_kernelINS0_14default_configENS1_20scan_config_selectorIN3c108BFloat16EEEZZNS1_9scan_implILNS1_25lookback_scan_determinismE0ELb0ELb0ES3_PKS6_PS6_S6_ZZZN2at6native31launch_logcumsumexp_cuda_kernelERKNSD_10TensorBaseESH_lENKUlvE_clEvENKUlvE4_clEvEUlS6_S6_E_S6_EEDaPvRmT3_T4_T5_mT6_P12ihipStream_tbENKUlT_T0_E_clISt17integral_constantIbLb0EESX_IbLb1EEEEDaST_SU_EUlST_E_NS1_11comp_targetILNS1_3genE4ELNS1_11target_archE910ELNS1_3gpuE8ELNS1_3repE0EEENS1_30default_config_static_selectorELNS0_4arch9wavefront6targetE1EEEvT1_.numbered_sgpr, 0
	.set _ZN7rocprim17ROCPRIM_400000_NS6detail17trampoline_kernelINS0_14default_configENS1_20scan_config_selectorIN3c108BFloat16EEEZZNS1_9scan_implILNS1_25lookback_scan_determinismE0ELb0ELb0ES3_PKS6_PS6_S6_ZZZN2at6native31launch_logcumsumexp_cuda_kernelERKNSD_10TensorBaseESH_lENKUlvE_clEvENKUlvE4_clEvEUlS6_S6_E_S6_EEDaPvRmT3_T4_T5_mT6_P12ihipStream_tbENKUlT_T0_E_clISt17integral_constantIbLb0EESX_IbLb1EEEEDaST_SU_EUlST_E_NS1_11comp_targetILNS1_3genE4ELNS1_11target_archE910ELNS1_3gpuE8ELNS1_3repE0EEENS1_30default_config_static_selectorELNS0_4arch9wavefront6targetE1EEEvT1_.num_named_barrier, 0
	.set _ZN7rocprim17ROCPRIM_400000_NS6detail17trampoline_kernelINS0_14default_configENS1_20scan_config_selectorIN3c108BFloat16EEEZZNS1_9scan_implILNS1_25lookback_scan_determinismE0ELb0ELb0ES3_PKS6_PS6_S6_ZZZN2at6native31launch_logcumsumexp_cuda_kernelERKNSD_10TensorBaseESH_lENKUlvE_clEvENKUlvE4_clEvEUlS6_S6_E_S6_EEDaPvRmT3_T4_T5_mT6_P12ihipStream_tbENKUlT_T0_E_clISt17integral_constantIbLb0EESX_IbLb1EEEEDaST_SU_EUlST_E_NS1_11comp_targetILNS1_3genE4ELNS1_11target_archE910ELNS1_3gpuE8ELNS1_3repE0EEENS1_30default_config_static_selectorELNS0_4arch9wavefront6targetE1EEEvT1_.private_seg_size, 0
	.set _ZN7rocprim17ROCPRIM_400000_NS6detail17trampoline_kernelINS0_14default_configENS1_20scan_config_selectorIN3c108BFloat16EEEZZNS1_9scan_implILNS1_25lookback_scan_determinismE0ELb0ELb0ES3_PKS6_PS6_S6_ZZZN2at6native31launch_logcumsumexp_cuda_kernelERKNSD_10TensorBaseESH_lENKUlvE_clEvENKUlvE4_clEvEUlS6_S6_E_S6_EEDaPvRmT3_T4_T5_mT6_P12ihipStream_tbENKUlT_T0_E_clISt17integral_constantIbLb0EESX_IbLb1EEEEDaST_SU_EUlST_E_NS1_11comp_targetILNS1_3genE4ELNS1_11target_archE910ELNS1_3gpuE8ELNS1_3repE0EEENS1_30default_config_static_selectorELNS0_4arch9wavefront6targetE1EEEvT1_.uses_vcc, 0
	.set _ZN7rocprim17ROCPRIM_400000_NS6detail17trampoline_kernelINS0_14default_configENS1_20scan_config_selectorIN3c108BFloat16EEEZZNS1_9scan_implILNS1_25lookback_scan_determinismE0ELb0ELb0ES3_PKS6_PS6_S6_ZZZN2at6native31launch_logcumsumexp_cuda_kernelERKNSD_10TensorBaseESH_lENKUlvE_clEvENKUlvE4_clEvEUlS6_S6_E_S6_EEDaPvRmT3_T4_T5_mT6_P12ihipStream_tbENKUlT_T0_E_clISt17integral_constantIbLb0EESX_IbLb1EEEEDaST_SU_EUlST_E_NS1_11comp_targetILNS1_3genE4ELNS1_11target_archE910ELNS1_3gpuE8ELNS1_3repE0EEENS1_30default_config_static_selectorELNS0_4arch9wavefront6targetE1EEEvT1_.uses_flat_scratch, 0
	.set _ZN7rocprim17ROCPRIM_400000_NS6detail17trampoline_kernelINS0_14default_configENS1_20scan_config_selectorIN3c108BFloat16EEEZZNS1_9scan_implILNS1_25lookback_scan_determinismE0ELb0ELb0ES3_PKS6_PS6_S6_ZZZN2at6native31launch_logcumsumexp_cuda_kernelERKNSD_10TensorBaseESH_lENKUlvE_clEvENKUlvE4_clEvEUlS6_S6_E_S6_EEDaPvRmT3_T4_T5_mT6_P12ihipStream_tbENKUlT_T0_E_clISt17integral_constantIbLb0EESX_IbLb1EEEEDaST_SU_EUlST_E_NS1_11comp_targetILNS1_3genE4ELNS1_11target_archE910ELNS1_3gpuE8ELNS1_3repE0EEENS1_30default_config_static_selectorELNS0_4arch9wavefront6targetE1EEEvT1_.has_dyn_sized_stack, 0
	.set _ZN7rocprim17ROCPRIM_400000_NS6detail17trampoline_kernelINS0_14default_configENS1_20scan_config_selectorIN3c108BFloat16EEEZZNS1_9scan_implILNS1_25lookback_scan_determinismE0ELb0ELb0ES3_PKS6_PS6_S6_ZZZN2at6native31launch_logcumsumexp_cuda_kernelERKNSD_10TensorBaseESH_lENKUlvE_clEvENKUlvE4_clEvEUlS6_S6_E_S6_EEDaPvRmT3_T4_T5_mT6_P12ihipStream_tbENKUlT_T0_E_clISt17integral_constantIbLb0EESX_IbLb1EEEEDaST_SU_EUlST_E_NS1_11comp_targetILNS1_3genE4ELNS1_11target_archE910ELNS1_3gpuE8ELNS1_3repE0EEENS1_30default_config_static_selectorELNS0_4arch9wavefront6targetE1EEEvT1_.has_recursion, 0
	.set _ZN7rocprim17ROCPRIM_400000_NS6detail17trampoline_kernelINS0_14default_configENS1_20scan_config_selectorIN3c108BFloat16EEEZZNS1_9scan_implILNS1_25lookback_scan_determinismE0ELb0ELb0ES3_PKS6_PS6_S6_ZZZN2at6native31launch_logcumsumexp_cuda_kernelERKNSD_10TensorBaseESH_lENKUlvE_clEvENKUlvE4_clEvEUlS6_S6_E_S6_EEDaPvRmT3_T4_T5_mT6_P12ihipStream_tbENKUlT_T0_E_clISt17integral_constantIbLb0EESX_IbLb1EEEEDaST_SU_EUlST_E_NS1_11comp_targetILNS1_3genE4ELNS1_11target_archE910ELNS1_3gpuE8ELNS1_3repE0EEENS1_30default_config_static_selectorELNS0_4arch9wavefront6targetE1EEEvT1_.has_indirect_call, 0
	.section	.AMDGPU.csdata,"",@progbits
; Kernel info:
; codeLenInByte = 0
; TotalNumSgprs: 6
; NumVgprs: 0
; NumAgprs: 0
; TotalNumVgprs: 0
; ScratchSize: 0
; MemoryBound: 0
; FloatMode: 240
; IeeeMode: 1
; LDSByteSize: 0 bytes/workgroup (compile time only)
; SGPRBlocks: 0
; VGPRBlocks: 0
; NumSGPRsForWavesPerEU: 6
; NumVGPRsForWavesPerEU: 1
; AccumOffset: 4
; Occupancy: 8
; WaveLimiterHint : 0
; COMPUTE_PGM_RSRC2:SCRATCH_EN: 0
; COMPUTE_PGM_RSRC2:USER_SGPR: 2
; COMPUTE_PGM_RSRC2:TRAP_HANDLER: 0
; COMPUTE_PGM_RSRC2:TGID_X_EN: 1
; COMPUTE_PGM_RSRC2:TGID_Y_EN: 0
; COMPUTE_PGM_RSRC2:TGID_Z_EN: 0
; COMPUTE_PGM_RSRC2:TIDIG_COMP_CNT: 0
; COMPUTE_PGM_RSRC3_GFX90A:ACCUM_OFFSET: 0
; COMPUTE_PGM_RSRC3_GFX90A:TG_SPLIT: 0
	.section	.text._ZN7rocprim17ROCPRIM_400000_NS6detail17trampoline_kernelINS0_14default_configENS1_20scan_config_selectorIN3c108BFloat16EEEZZNS1_9scan_implILNS1_25lookback_scan_determinismE0ELb0ELb0ES3_PKS6_PS6_S6_ZZZN2at6native31launch_logcumsumexp_cuda_kernelERKNSD_10TensorBaseESH_lENKUlvE_clEvENKUlvE4_clEvEUlS6_S6_E_S6_EEDaPvRmT3_T4_T5_mT6_P12ihipStream_tbENKUlT_T0_E_clISt17integral_constantIbLb0EESX_IbLb1EEEEDaST_SU_EUlST_E_NS1_11comp_targetILNS1_3genE3ELNS1_11target_archE908ELNS1_3gpuE7ELNS1_3repE0EEENS1_30default_config_static_selectorELNS0_4arch9wavefront6targetE1EEEvT1_,"axG",@progbits,_ZN7rocprim17ROCPRIM_400000_NS6detail17trampoline_kernelINS0_14default_configENS1_20scan_config_selectorIN3c108BFloat16EEEZZNS1_9scan_implILNS1_25lookback_scan_determinismE0ELb0ELb0ES3_PKS6_PS6_S6_ZZZN2at6native31launch_logcumsumexp_cuda_kernelERKNSD_10TensorBaseESH_lENKUlvE_clEvENKUlvE4_clEvEUlS6_S6_E_S6_EEDaPvRmT3_T4_T5_mT6_P12ihipStream_tbENKUlT_T0_E_clISt17integral_constantIbLb0EESX_IbLb1EEEEDaST_SU_EUlST_E_NS1_11comp_targetILNS1_3genE3ELNS1_11target_archE908ELNS1_3gpuE7ELNS1_3repE0EEENS1_30default_config_static_selectorELNS0_4arch9wavefront6targetE1EEEvT1_,comdat
	.globl	_ZN7rocprim17ROCPRIM_400000_NS6detail17trampoline_kernelINS0_14default_configENS1_20scan_config_selectorIN3c108BFloat16EEEZZNS1_9scan_implILNS1_25lookback_scan_determinismE0ELb0ELb0ES3_PKS6_PS6_S6_ZZZN2at6native31launch_logcumsumexp_cuda_kernelERKNSD_10TensorBaseESH_lENKUlvE_clEvENKUlvE4_clEvEUlS6_S6_E_S6_EEDaPvRmT3_T4_T5_mT6_P12ihipStream_tbENKUlT_T0_E_clISt17integral_constantIbLb0EESX_IbLb1EEEEDaST_SU_EUlST_E_NS1_11comp_targetILNS1_3genE3ELNS1_11target_archE908ELNS1_3gpuE7ELNS1_3repE0EEENS1_30default_config_static_selectorELNS0_4arch9wavefront6targetE1EEEvT1_ ; -- Begin function _ZN7rocprim17ROCPRIM_400000_NS6detail17trampoline_kernelINS0_14default_configENS1_20scan_config_selectorIN3c108BFloat16EEEZZNS1_9scan_implILNS1_25lookback_scan_determinismE0ELb0ELb0ES3_PKS6_PS6_S6_ZZZN2at6native31launch_logcumsumexp_cuda_kernelERKNSD_10TensorBaseESH_lENKUlvE_clEvENKUlvE4_clEvEUlS6_S6_E_S6_EEDaPvRmT3_T4_T5_mT6_P12ihipStream_tbENKUlT_T0_E_clISt17integral_constantIbLb0EESX_IbLb1EEEEDaST_SU_EUlST_E_NS1_11comp_targetILNS1_3genE3ELNS1_11target_archE908ELNS1_3gpuE7ELNS1_3repE0EEENS1_30default_config_static_selectorELNS0_4arch9wavefront6targetE1EEEvT1_
	.p2align	8
	.type	_ZN7rocprim17ROCPRIM_400000_NS6detail17trampoline_kernelINS0_14default_configENS1_20scan_config_selectorIN3c108BFloat16EEEZZNS1_9scan_implILNS1_25lookback_scan_determinismE0ELb0ELb0ES3_PKS6_PS6_S6_ZZZN2at6native31launch_logcumsumexp_cuda_kernelERKNSD_10TensorBaseESH_lENKUlvE_clEvENKUlvE4_clEvEUlS6_S6_E_S6_EEDaPvRmT3_T4_T5_mT6_P12ihipStream_tbENKUlT_T0_E_clISt17integral_constantIbLb0EESX_IbLb1EEEEDaST_SU_EUlST_E_NS1_11comp_targetILNS1_3genE3ELNS1_11target_archE908ELNS1_3gpuE7ELNS1_3repE0EEENS1_30default_config_static_selectorELNS0_4arch9wavefront6targetE1EEEvT1_,@function
_ZN7rocprim17ROCPRIM_400000_NS6detail17trampoline_kernelINS0_14default_configENS1_20scan_config_selectorIN3c108BFloat16EEEZZNS1_9scan_implILNS1_25lookback_scan_determinismE0ELb0ELb0ES3_PKS6_PS6_S6_ZZZN2at6native31launch_logcumsumexp_cuda_kernelERKNSD_10TensorBaseESH_lENKUlvE_clEvENKUlvE4_clEvEUlS6_S6_E_S6_EEDaPvRmT3_T4_T5_mT6_P12ihipStream_tbENKUlT_T0_E_clISt17integral_constantIbLb0EESX_IbLb1EEEEDaST_SU_EUlST_E_NS1_11comp_targetILNS1_3genE3ELNS1_11target_archE908ELNS1_3gpuE7ELNS1_3repE0EEENS1_30default_config_static_selectorELNS0_4arch9wavefront6targetE1EEEvT1_: ; @_ZN7rocprim17ROCPRIM_400000_NS6detail17trampoline_kernelINS0_14default_configENS1_20scan_config_selectorIN3c108BFloat16EEEZZNS1_9scan_implILNS1_25lookback_scan_determinismE0ELb0ELb0ES3_PKS6_PS6_S6_ZZZN2at6native31launch_logcumsumexp_cuda_kernelERKNSD_10TensorBaseESH_lENKUlvE_clEvENKUlvE4_clEvEUlS6_S6_E_S6_EEDaPvRmT3_T4_T5_mT6_P12ihipStream_tbENKUlT_T0_E_clISt17integral_constantIbLb0EESX_IbLb1EEEEDaST_SU_EUlST_E_NS1_11comp_targetILNS1_3genE3ELNS1_11target_archE908ELNS1_3gpuE7ELNS1_3repE0EEENS1_30default_config_static_selectorELNS0_4arch9wavefront6targetE1EEEvT1_
; %bb.0:
	.section	.rodata,"a",@progbits
	.p2align	6, 0x0
	.amdhsa_kernel _ZN7rocprim17ROCPRIM_400000_NS6detail17trampoline_kernelINS0_14default_configENS1_20scan_config_selectorIN3c108BFloat16EEEZZNS1_9scan_implILNS1_25lookback_scan_determinismE0ELb0ELb0ES3_PKS6_PS6_S6_ZZZN2at6native31launch_logcumsumexp_cuda_kernelERKNSD_10TensorBaseESH_lENKUlvE_clEvENKUlvE4_clEvEUlS6_S6_E_S6_EEDaPvRmT3_T4_T5_mT6_P12ihipStream_tbENKUlT_T0_E_clISt17integral_constantIbLb0EESX_IbLb1EEEEDaST_SU_EUlST_E_NS1_11comp_targetILNS1_3genE3ELNS1_11target_archE908ELNS1_3gpuE7ELNS1_3repE0EEENS1_30default_config_static_selectorELNS0_4arch9wavefront6targetE1EEEvT1_
		.amdhsa_group_segment_fixed_size 0
		.amdhsa_private_segment_fixed_size 0
		.amdhsa_kernarg_size 96
		.amdhsa_user_sgpr_count 2
		.amdhsa_user_sgpr_dispatch_ptr 0
		.amdhsa_user_sgpr_queue_ptr 0
		.amdhsa_user_sgpr_kernarg_segment_ptr 1
		.amdhsa_user_sgpr_dispatch_id 0
		.amdhsa_user_sgpr_kernarg_preload_length 0
		.amdhsa_user_sgpr_kernarg_preload_offset 0
		.amdhsa_user_sgpr_private_segment_size 0
		.amdhsa_uses_dynamic_stack 0
		.amdhsa_enable_private_segment 0
		.amdhsa_system_sgpr_workgroup_id_x 1
		.amdhsa_system_sgpr_workgroup_id_y 0
		.amdhsa_system_sgpr_workgroup_id_z 0
		.amdhsa_system_sgpr_workgroup_info 0
		.amdhsa_system_vgpr_workitem_id 0
		.amdhsa_next_free_vgpr 1
		.amdhsa_next_free_sgpr 0
		.amdhsa_accum_offset 4
		.amdhsa_reserve_vcc 0
		.amdhsa_float_round_mode_32 0
		.amdhsa_float_round_mode_16_64 0
		.amdhsa_float_denorm_mode_32 3
		.amdhsa_float_denorm_mode_16_64 3
		.amdhsa_dx10_clamp 1
		.amdhsa_ieee_mode 1
		.amdhsa_fp16_overflow 0
		.amdhsa_tg_split 0
		.amdhsa_exception_fp_ieee_invalid_op 0
		.amdhsa_exception_fp_denorm_src 0
		.amdhsa_exception_fp_ieee_div_zero 0
		.amdhsa_exception_fp_ieee_overflow 0
		.amdhsa_exception_fp_ieee_underflow 0
		.amdhsa_exception_fp_ieee_inexact 0
		.amdhsa_exception_int_div_zero 0
	.end_amdhsa_kernel
	.section	.text._ZN7rocprim17ROCPRIM_400000_NS6detail17trampoline_kernelINS0_14default_configENS1_20scan_config_selectorIN3c108BFloat16EEEZZNS1_9scan_implILNS1_25lookback_scan_determinismE0ELb0ELb0ES3_PKS6_PS6_S6_ZZZN2at6native31launch_logcumsumexp_cuda_kernelERKNSD_10TensorBaseESH_lENKUlvE_clEvENKUlvE4_clEvEUlS6_S6_E_S6_EEDaPvRmT3_T4_T5_mT6_P12ihipStream_tbENKUlT_T0_E_clISt17integral_constantIbLb0EESX_IbLb1EEEEDaST_SU_EUlST_E_NS1_11comp_targetILNS1_3genE3ELNS1_11target_archE908ELNS1_3gpuE7ELNS1_3repE0EEENS1_30default_config_static_selectorELNS0_4arch9wavefront6targetE1EEEvT1_,"axG",@progbits,_ZN7rocprim17ROCPRIM_400000_NS6detail17trampoline_kernelINS0_14default_configENS1_20scan_config_selectorIN3c108BFloat16EEEZZNS1_9scan_implILNS1_25lookback_scan_determinismE0ELb0ELb0ES3_PKS6_PS6_S6_ZZZN2at6native31launch_logcumsumexp_cuda_kernelERKNSD_10TensorBaseESH_lENKUlvE_clEvENKUlvE4_clEvEUlS6_S6_E_S6_EEDaPvRmT3_T4_T5_mT6_P12ihipStream_tbENKUlT_T0_E_clISt17integral_constantIbLb0EESX_IbLb1EEEEDaST_SU_EUlST_E_NS1_11comp_targetILNS1_3genE3ELNS1_11target_archE908ELNS1_3gpuE7ELNS1_3repE0EEENS1_30default_config_static_selectorELNS0_4arch9wavefront6targetE1EEEvT1_,comdat
.Lfunc_end506:
	.size	_ZN7rocprim17ROCPRIM_400000_NS6detail17trampoline_kernelINS0_14default_configENS1_20scan_config_selectorIN3c108BFloat16EEEZZNS1_9scan_implILNS1_25lookback_scan_determinismE0ELb0ELb0ES3_PKS6_PS6_S6_ZZZN2at6native31launch_logcumsumexp_cuda_kernelERKNSD_10TensorBaseESH_lENKUlvE_clEvENKUlvE4_clEvEUlS6_S6_E_S6_EEDaPvRmT3_T4_T5_mT6_P12ihipStream_tbENKUlT_T0_E_clISt17integral_constantIbLb0EESX_IbLb1EEEEDaST_SU_EUlST_E_NS1_11comp_targetILNS1_3genE3ELNS1_11target_archE908ELNS1_3gpuE7ELNS1_3repE0EEENS1_30default_config_static_selectorELNS0_4arch9wavefront6targetE1EEEvT1_, .Lfunc_end506-_ZN7rocprim17ROCPRIM_400000_NS6detail17trampoline_kernelINS0_14default_configENS1_20scan_config_selectorIN3c108BFloat16EEEZZNS1_9scan_implILNS1_25lookback_scan_determinismE0ELb0ELb0ES3_PKS6_PS6_S6_ZZZN2at6native31launch_logcumsumexp_cuda_kernelERKNSD_10TensorBaseESH_lENKUlvE_clEvENKUlvE4_clEvEUlS6_S6_E_S6_EEDaPvRmT3_T4_T5_mT6_P12ihipStream_tbENKUlT_T0_E_clISt17integral_constantIbLb0EESX_IbLb1EEEEDaST_SU_EUlST_E_NS1_11comp_targetILNS1_3genE3ELNS1_11target_archE908ELNS1_3gpuE7ELNS1_3repE0EEENS1_30default_config_static_selectorELNS0_4arch9wavefront6targetE1EEEvT1_
                                        ; -- End function
	.set _ZN7rocprim17ROCPRIM_400000_NS6detail17trampoline_kernelINS0_14default_configENS1_20scan_config_selectorIN3c108BFloat16EEEZZNS1_9scan_implILNS1_25lookback_scan_determinismE0ELb0ELb0ES3_PKS6_PS6_S6_ZZZN2at6native31launch_logcumsumexp_cuda_kernelERKNSD_10TensorBaseESH_lENKUlvE_clEvENKUlvE4_clEvEUlS6_S6_E_S6_EEDaPvRmT3_T4_T5_mT6_P12ihipStream_tbENKUlT_T0_E_clISt17integral_constantIbLb0EESX_IbLb1EEEEDaST_SU_EUlST_E_NS1_11comp_targetILNS1_3genE3ELNS1_11target_archE908ELNS1_3gpuE7ELNS1_3repE0EEENS1_30default_config_static_selectorELNS0_4arch9wavefront6targetE1EEEvT1_.num_vgpr, 0
	.set _ZN7rocprim17ROCPRIM_400000_NS6detail17trampoline_kernelINS0_14default_configENS1_20scan_config_selectorIN3c108BFloat16EEEZZNS1_9scan_implILNS1_25lookback_scan_determinismE0ELb0ELb0ES3_PKS6_PS6_S6_ZZZN2at6native31launch_logcumsumexp_cuda_kernelERKNSD_10TensorBaseESH_lENKUlvE_clEvENKUlvE4_clEvEUlS6_S6_E_S6_EEDaPvRmT3_T4_T5_mT6_P12ihipStream_tbENKUlT_T0_E_clISt17integral_constantIbLb0EESX_IbLb1EEEEDaST_SU_EUlST_E_NS1_11comp_targetILNS1_3genE3ELNS1_11target_archE908ELNS1_3gpuE7ELNS1_3repE0EEENS1_30default_config_static_selectorELNS0_4arch9wavefront6targetE1EEEvT1_.num_agpr, 0
	.set _ZN7rocprim17ROCPRIM_400000_NS6detail17trampoline_kernelINS0_14default_configENS1_20scan_config_selectorIN3c108BFloat16EEEZZNS1_9scan_implILNS1_25lookback_scan_determinismE0ELb0ELb0ES3_PKS6_PS6_S6_ZZZN2at6native31launch_logcumsumexp_cuda_kernelERKNSD_10TensorBaseESH_lENKUlvE_clEvENKUlvE4_clEvEUlS6_S6_E_S6_EEDaPvRmT3_T4_T5_mT6_P12ihipStream_tbENKUlT_T0_E_clISt17integral_constantIbLb0EESX_IbLb1EEEEDaST_SU_EUlST_E_NS1_11comp_targetILNS1_3genE3ELNS1_11target_archE908ELNS1_3gpuE7ELNS1_3repE0EEENS1_30default_config_static_selectorELNS0_4arch9wavefront6targetE1EEEvT1_.numbered_sgpr, 0
	.set _ZN7rocprim17ROCPRIM_400000_NS6detail17trampoline_kernelINS0_14default_configENS1_20scan_config_selectorIN3c108BFloat16EEEZZNS1_9scan_implILNS1_25lookback_scan_determinismE0ELb0ELb0ES3_PKS6_PS6_S6_ZZZN2at6native31launch_logcumsumexp_cuda_kernelERKNSD_10TensorBaseESH_lENKUlvE_clEvENKUlvE4_clEvEUlS6_S6_E_S6_EEDaPvRmT3_T4_T5_mT6_P12ihipStream_tbENKUlT_T0_E_clISt17integral_constantIbLb0EESX_IbLb1EEEEDaST_SU_EUlST_E_NS1_11comp_targetILNS1_3genE3ELNS1_11target_archE908ELNS1_3gpuE7ELNS1_3repE0EEENS1_30default_config_static_selectorELNS0_4arch9wavefront6targetE1EEEvT1_.num_named_barrier, 0
	.set _ZN7rocprim17ROCPRIM_400000_NS6detail17trampoline_kernelINS0_14default_configENS1_20scan_config_selectorIN3c108BFloat16EEEZZNS1_9scan_implILNS1_25lookback_scan_determinismE0ELb0ELb0ES3_PKS6_PS6_S6_ZZZN2at6native31launch_logcumsumexp_cuda_kernelERKNSD_10TensorBaseESH_lENKUlvE_clEvENKUlvE4_clEvEUlS6_S6_E_S6_EEDaPvRmT3_T4_T5_mT6_P12ihipStream_tbENKUlT_T0_E_clISt17integral_constantIbLb0EESX_IbLb1EEEEDaST_SU_EUlST_E_NS1_11comp_targetILNS1_3genE3ELNS1_11target_archE908ELNS1_3gpuE7ELNS1_3repE0EEENS1_30default_config_static_selectorELNS0_4arch9wavefront6targetE1EEEvT1_.private_seg_size, 0
	.set _ZN7rocprim17ROCPRIM_400000_NS6detail17trampoline_kernelINS0_14default_configENS1_20scan_config_selectorIN3c108BFloat16EEEZZNS1_9scan_implILNS1_25lookback_scan_determinismE0ELb0ELb0ES3_PKS6_PS6_S6_ZZZN2at6native31launch_logcumsumexp_cuda_kernelERKNSD_10TensorBaseESH_lENKUlvE_clEvENKUlvE4_clEvEUlS6_S6_E_S6_EEDaPvRmT3_T4_T5_mT6_P12ihipStream_tbENKUlT_T0_E_clISt17integral_constantIbLb0EESX_IbLb1EEEEDaST_SU_EUlST_E_NS1_11comp_targetILNS1_3genE3ELNS1_11target_archE908ELNS1_3gpuE7ELNS1_3repE0EEENS1_30default_config_static_selectorELNS0_4arch9wavefront6targetE1EEEvT1_.uses_vcc, 0
	.set _ZN7rocprim17ROCPRIM_400000_NS6detail17trampoline_kernelINS0_14default_configENS1_20scan_config_selectorIN3c108BFloat16EEEZZNS1_9scan_implILNS1_25lookback_scan_determinismE0ELb0ELb0ES3_PKS6_PS6_S6_ZZZN2at6native31launch_logcumsumexp_cuda_kernelERKNSD_10TensorBaseESH_lENKUlvE_clEvENKUlvE4_clEvEUlS6_S6_E_S6_EEDaPvRmT3_T4_T5_mT6_P12ihipStream_tbENKUlT_T0_E_clISt17integral_constantIbLb0EESX_IbLb1EEEEDaST_SU_EUlST_E_NS1_11comp_targetILNS1_3genE3ELNS1_11target_archE908ELNS1_3gpuE7ELNS1_3repE0EEENS1_30default_config_static_selectorELNS0_4arch9wavefront6targetE1EEEvT1_.uses_flat_scratch, 0
	.set _ZN7rocprim17ROCPRIM_400000_NS6detail17trampoline_kernelINS0_14default_configENS1_20scan_config_selectorIN3c108BFloat16EEEZZNS1_9scan_implILNS1_25lookback_scan_determinismE0ELb0ELb0ES3_PKS6_PS6_S6_ZZZN2at6native31launch_logcumsumexp_cuda_kernelERKNSD_10TensorBaseESH_lENKUlvE_clEvENKUlvE4_clEvEUlS6_S6_E_S6_EEDaPvRmT3_T4_T5_mT6_P12ihipStream_tbENKUlT_T0_E_clISt17integral_constantIbLb0EESX_IbLb1EEEEDaST_SU_EUlST_E_NS1_11comp_targetILNS1_3genE3ELNS1_11target_archE908ELNS1_3gpuE7ELNS1_3repE0EEENS1_30default_config_static_selectorELNS0_4arch9wavefront6targetE1EEEvT1_.has_dyn_sized_stack, 0
	.set _ZN7rocprim17ROCPRIM_400000_NS6detail17trampoline_kernelINS0_14default_configENS1_20scan_config_selectorIN3c108BFloat16EEEZZNS1_9scan_implILNS1_25lookback_scan_determinismE0ELb0ELb0ES3_PKS6_PS6_S6_ZZZN2at6native31launch_logcumsumexp_cuda_kernelERKNSD_10TensorBaseESH_lENKUlvE_clEvENKUlvE4_clEvEUlS6_S6_E_S6_EEDaPvRmT3_T4_T5_mT6_P12ihipStream_tbENKUlT_T0_E_clISt17integral_constantIbLb0EESX_IbLb1EEEEDaST_SU_EUlST_E_NS1_11comp_targetILNS1_3genE3ELNS1_11target_archE908ELNS1_3gpuE7ELNS1_3repE0EEENS1_30default_config_static_selectorELNS0_4arch9wavefront6targetE1EEEvT1_.has_recursion, 0
	.set _ZN7rocprim17ROCPRIM_400000_NS6detail17trampoline_kernelINS0_14default_configENS1_20scan_config_selectorIN3c108BFloat16EEEZZNS1_9scan_implILNS1_25lookback_scan_determinismE0ELb0ELb0ES3_PKS6_PS6_S6_ZZZN2at6native31launch_logcumsumexp_cuda_kernelERKNSD_10TensorBaseESH_lENKUlvE_clEvENKUlvE4_clEvEUlS6_S6_E_S6_EEDaPvRmT3_T4_T5_mT6_P12ihipStream_tbENKUlT_T0_E_clISt17integral_constantIbLb0EESX_IbLb1EEEEDaST_SU_EUlST_E_NS1_11comp_targetILNS1_3genE3ELNS1_11target_archE908ELNS1_3gpuE7ELNS1_3repE0EEENS1_30default_config_static_selectorELNS0_4arch9wavefront6targetE1EEEvT1_.has_indirect_call, 0
	.section	.AMDGPU.csdata,"",@progbits
; Kernel info:
; codeLenInByte = 0
; TotalNumSgprs: 6
; NumVgprs: 0
; NumAgprs: 0
; TotalNumVgprs: 0
; ScratchSize: 0
; MemoryBound: 0
; FloatMode: 240
; IeeeMode: 1
; LDSByteSize: 0 bytes/workgroup (compile time only)
; SGPRBlocks: 0
; VGPRBlocks: 0
; NumSGPRsForWavesPerEU: 6
; NumVGPRsForWavesPerEU: 1
; AccumOffset: 4
; Occupancy: 8
; WaveLimiterHint : 0
; COMPUTE_PGM_RSRC2:SCRATCH_EN: 0
; COMPUTE_PGM_RSRC2:USER_SGPR: 2
; COMPUTE_PGM_RSRC2:TRAP_HANDLER: 0
; COMPUTE_PGM_RSRC2:TGID_X_EN: 1
; COMPUTE_PGM_RSRC2:TGID_Y_EN: 0
; COMPUTE_PGM_RSRC2:TGID_Z_EN: 0
; COMPUTE_PGM_RSRC2:TIDIG_COMP_CNT: 0
; COMPUTE_PGM_RSRC3_GFX90A:ACCUM_OFFSET: 0
; COMPUTE_PGM_RSRC3_GFX90A:TG_SPLIT: 0
	.section	.text._ZN7rocprim17ROCPRIM_400000_NS6detail17trampoline_kernelINS0_14default_configENS1_20scan_config_selectorIN3c108BFloat16EEEZZNS1_9scan_implILNS1_25lookback_scan_determinismE0ELb0ELb0ES3_PKS6_PS6_S6_ZZZN2at6native31launch_logcumsumexp_cuda_kernelERKNSD_10TensorBaseESH_lENKUlvE_clEvENKUlvE4_clEvEUlS6_S6_E_S6_EEDaPvRmT3_T4_T5_mT6_P12ihipStream_tbENKUlT_T0_E_clISt17integral_constantIbLb0EESX_IbLb1EEEEDaST_SU_EUlST_E_NS1_11comp_targetILNS1_3genE2ELNS1_11target_archE906ELNS1_3gpuE6ELNS1_3repE0EEENS1_30default_config_static_selectorELNS0_4arch9wavefront6targetE1EEEvT1_,"axG",@progbits,_ZN7rocprim17ROCPRIM_400000_NS6detail17trampoline_kernelINS0_14default_configENS1_20scan_config_selectorIN3c108BFloat16EEEZZNS1_9scan_implILNS1_25lookback_scan_determinismE0ELb0ELb0ES3_PKS6_PS6_S6_ZZZN2at6native31launch_logcumsumexp_cuda_kernelERKNSD_10TensorBaseESH_lENKUlvE_clEvENKUlvE4_clEvEUlS6_S6_E_S6_EEDaPvRmT3_T4_T5_mT6_P12ihipStream_tbENKUlT_T0_E_clISt17integral_constantIbLb0EESX_IbLb1EEEEDaST_SU_EUlST_E_NS1_11comp_targetILNS1_3genE2ELNS1_11target_archE906ELNS1_3gpuE6ELNS1_3repE0EEENS1_30default_config_static_selectorELNS0_4arch9wavefront6targetE1EEEvT1_,comdat
	.globl	_ZN7rocprim17ROCPRIM_400000_NS6detail17trampoline_kernelINS0_14default_configENS1_20scan_config_selectorIN3c108BFloat16EEEZZNS1_9scan_implILNS1_25lookback_scan_determinismE0ELb0ELb0ES3_PKS6_PS6_S6_ZZZN2at6native31launch_logcumsumexp_cuda_kernelERKNSD_10TensorBaseESH_lENKUlvE_clEvENKUlvE4_clEvEUlS6_S6_E_S6_EEDaPvRmT3_T4_T5_mT6_P12ihipStream_tbENKUlT_T0_E_clISt17integral_constantIbLb0EESX_IbLb1EEEEDaST_SU_EUlST_E_NS1_11comp_targetILNS1_3genE2ELNS1_11target_archE906ELNS1_3gpuE6ELNS1_3repE0EEENS1_30default_config_static_selectorELNS0_4arch9wavefront6targetE1EEEvT1_ ; -- Begin function _ZN7rocprim17ROCPRIM_400000_NS6detail17trampoline_kernelINS0_14default_configENS1_20scan_config_selectorIN3c108BFloat16EEEZZNS1_9scan_implILNS1_25lookback_scan_determinismE0ELb0ELb0ES3_PKS6_PS6_S6_ZZZN2at6native31launch_logcumsumexp_cuda_kernelERKNSD_10TensorBaseESH_lENKUlvE_clEvENKUlvE4_clEvEUlS6_S6_E_S6_EEDaPvRmT3_T4_T5_mT6_P12ihipStream_tbENKUlT_T0_E_clISt17integral_constantIbLb0EESX_IbLb1EEEEDaST_SU_EUlST_E_NS1_11comp_targetILNS1_3genE2ELNS1_11target_archE906ELNS1_3gpuE6ELNS1_3repE0EEENS1_30default_config_static_selectorELNS0_4arch9wavefront6targetE1EEEvT1_
	.p2align	8
	.type	_ZN7rocprim17ROCPRIM_400000_NS6detail17trampoline_kernelINS0_14default_configENS1_20scan_config_selectorIN3c108BFloat16EEEZZNS1_9scan_implILNS1_25lookback_scan_determinismE0ELb0ELb0ES3_PKS6_PS6_S6_ZZZN2at6native31launch_logcumsumexp_cuda_kernelERKNSD_10TensorBaseESH_lENKUlvE_clEvENKUlvE4_clEvEUlS6_S6_E_S6_EEDaPvRmT3_T4_T5_mT6_P12ihipStream_tbENKUlT_T0_E_clISt17integral_constantIbLb0EESX_IbLb1EEEEDaST_SU_EUlST_E_NS1_11comp_targetILNS1_3genE2ELNS1_11target_archE906ELNS1_3gpuE6ELNS1_3repE0EEENS1_30default_config_static_selectorELNS0_4arch9wavefront6targetE1EEEvT1_,@function
_ZN7rocprim17ROCPRIM_400000_NS6detail17trampoline_kernelINS0_14default_configENS1_20scan_config_selectorIN3c108BFloat16EEEZZNS1_9scan_implILNS1_25lookback_scan_determinismE0ELb0ELb0ES3_PKS6_PS6_S6_ZZZN2at6native31launch_logcumsumexp_cuda_kernelERKNSD_10TensorBaseESH_lENKUlvE_clEvENKUlvE4_clEvEUlS6_S6_E_S6_EEDaPvRmT3_T4_T5_mT6_P12ihipStream_tbENKUlT_T0_E_clISt17integral_constantIbLb0EESX_IbLb1EEEEDaST_SU_EUlST_E_NS1_11comp_targetILNS1_3genE2ELNS1_11target_archE906ELNS1_3gpuE6ELNS1_3repE0EEENS1_30default_config_static_selectorELNS0_4arch9wavefront6targetE1EEEvT1_: ; @_ZN7rocprim17ROCPRIM_400000_NS6detail17trampoline_kernelINS0_14default_configENS1_20scan_config_selectorIN3c108BFloat16EEEZZNS1_9scan_implILNS1_25lookback_scan_determinismE0ELb0ELb0ES3_PKS6_PS6_S6_ZZZN2at6native31launch_logcumsumexp_cuda_kernelERKNSD_10TensorBaseESH_lENKUlvE_clEvENKUlvE4_clEvEUlS6_S6_E_S6_EEDaPvRmT3_T4_T5_mT6_P12ihipStream_tbENKUlT_T0_E_clISt17integral_constantIbLb0EESX_IbLb1EEEEDaST_SU_EUlST_E_NS1_11comp_targetILNS1_3genE2ELNS1_11target_archE906ELNS1_3gpuE6ELNS1_3repE0EEENS1_30default_config_static_selectorELNS0_4arch9wavefront6targetE1EEEvT1_
; %bb.0:
	.section	.rodata,"a",@progbits
	.p2align	6, 0x0
	.amdhsa_kernel _ZN7rocprim17ROCPRIM_400000_NS6detail17trampoline_kernelINS0_14default_configENS1_20scan_config_selectorIN3c108BFloat16EEEZZNS1_9scan_implILNS1_25lookback_scan_determinismE0ELb0ELb0ES3_PKS6_PS6_S6_ZZZN2at6native31launch_logcumsumexp_cuda_kernelERKNSD_10TensorBaseESH_lENKUlvE_clEvENKUlvE4_clEvEUlS6_S6_E_S6_EEDaPvRmT3_T4_T5_mT6_P12ihipStream_tbENKUlT_T0_E_clISt17integral_constantIbLb0EESX_IbLb1EEEEDaST_SU_EUlST_E_NS1_11comp_targetILNS1_3genE2ELNS1_11target_archE906ELNS1_3gpuE6ELNS1_3repE0EEENS1_30default_config_static_selectorELNS0_4arch9wavefront6targetE1EEEvT1_
		.amdhsa_group_segment_fixed_size 0
		.amdhsa_private_segment_fixed_size 0
		.amdhsa_kernarg_size 96
		.amdhsa_user_sgpr_count 2
		.amdhsa_user_sgpr_dispatch_ptr 0
		.amdhsa_user_sgpr_queue_ptr 0
		.amdhsa_user_sgpr_kernarg_segment_ptr 1
		.amdhsa_user_sgpr_dispatch_id 0
		.amdhsa_user_sgpr_kernarg_preload_length 0
		.amdhsa_user_sgpr_kernarg_preload_offset 0
		.amdhsa_user_sgpr_private_segment_size 0
		.amdhsa_uses_dynamic_stack 0
		.amdhsa_enable_private_segment 0
		.amdhsa_system_sgpr_workgroup_id_x 1
		.amdhsa_system_sgpr_workgroup_id_y 0
		.amdhsa_system_sgpr_workgroup_id_z 0
		.amdhsa_system_sgpr_workgroup_info 0
		.amdhsa_system_vgpr_workitem_id 0
		.amdhsa_next_free_vgpr 1
		.amdhsa_next_free_sgpr 0
		.amdhsa_accum_offset 4
		.amdhsa_reserve_vcc 0
		.amdhsa_float_round_mode_32 0
		.amdhsa_float_round_mode_16_64 0
		.amdhsa_float_denorm_mode_32 3
		.amdhsa_float_denorm_mode_16_64 3
		.amdhsa_dx10_clamp 1
		.amdhsa_ieee_mode 1
		.amdhsa_fp16_overflow 0
		.amdhsa_tg_split 0
		.amdhsa_exception_fp_ieee_invalid_op 0
		.amdhsa_exception_fp_denorm_src 0
		.amdhsa_exception_fp_ieee_div_zero 0
		.amdhsa_exception_fp_ieee_overflow 0
		.amdhsa_exception_fp_ieee_underflow 0
		.amdhsa_exception_fp_ieee_inexact 0
		.amdhsa_exception_int_div_zero 0
	.end_amdhsa_kernel
	.section	.text._ZN7rocprim17ROCPRIM_400000_NS6detail17trampoline_kernelINS0_14default_configENS1_20scan_config_selectorIN3c108BFloat16EEEZZNS1_9scan_implILNS1_25lookback_scan_determinismE0ELb0ELb0ES3_PKS6_PS6_S6_ZZZN2at6native31launch_logcumsumexp_cuda_kernelERKNSD_10TensorBaseESH_lENKUlvE_clEvENKUlvE4_clEvEUlS6_S6_E_S6_EEDaPvRmT3_T4_T5_mT6_P12ihipStream_tbENKUlT_T0_E_clISt17integral_constantIbLb0EESX_IbLb1EEEEDaST_SU_EUlST_E_NS1_11comp_targetILNS1_3genE2ELNS1_11target_archE906ELNS1_3gpuE6ELNS1_3repE0EEENS1_30default_config_static_selectorELNS0_4arch9wavefront6targetE1EEEvT1_,"axG",@progbits,_ZN7rocprim17ROCPRIM_400000_NS6detail17trampoline_kernelINS0_14default_configENS1_20scan_config_selectorIN3c108BFloat16EEEZZNS1_9scan_implILNS1_25lookback_scan_determinismE0ELb0ELb0ES3_PKS6_PS6_S6_ZZZN2at6native31launch_logcumsumexp_cuda_kernelERKNSD_10TensorBaseESH_lENKUlvE_clEvENKUlvE4_clEvEUlS6_S6_E_S6_EEDaPvRmT3_T4_T5_mT6_P12ihipStream_tbENKUlT_T0_E_clISt17integral_constantIbLb0EESX_IbLb1EEEEDaST_SU_EUlST_E_NS1_11comp_targetILNS1_3genE2ELNS1_11target_archE906ELNS1_3gpuE6ELNS1_3repE0EEENS1_30default_config_static_selectorELNS0_4arch9wavefront6targetE1EEEvT1_,comdat
.Lfunc_end507:
	.size	_ZN7rocprim17ROCPRIM_400000_NS6detail17trampoline_kernelINS0_14default_configENS1_20scan_config_selectorIN3c108BFloat16EEEZZNS1_9scan_implILNS1_25lookback_scan_determinismE0ELb0ELb0ES3_PKS6_PS6_S6_ZZZN2at6native31launch_logcumsumexp_cuda_kernelERKNSD_10TensorBaseESH_lENKUlvE_clEvENKUlvE4_clEvEUlS6_S6_E_S6_EEDaPvRmT3_T4_T5_mT6_P12ihipStream_tbENKUlT_T0_E_clISt17integral_constantIbLb0EESX_IbLb1EEEEDaST_SU_EUlST_E_NS1_11comp_targetILNS1_3genE2ELNS1_11target_archE906ELNS1_3gpuE6ELNS1_3repE0EEENS1_30default_config_static_selectorELNS0_4arch9wavefront6targetE1EEEvT1_, .Lfunc_end507-_ZN7rocprim17ROCPRIM_400000_NS6detail17trampoline_kernelINS0_14default_configENS1_20scan_config_selectorIN3c108BFloat16EEEZZNS1_9scan_implILNS1_25lookback_scan_determinismE0ELb0ELb0ES3_PKS6_PS6_S6_ZZZN2at6native31launch_logcumsumexp_cuda_kernelERKNSD_10TensorBaseESH_lENKUlvE_clEvENKUlvE4_clEvEUlS6_S6_E_S6_EEDaPvRmT3_T4_T5_mT6_P12ihipStream_tbENKUlT_T0_E_clISt17integral_constantIbLb0EESX_IbLb1EEEEDaST_SU_EUlST_E_NS1_11comp_targetILNS1_3genE2ELNS1_11target_archE906ELNS1_3gpuE6ELNS1_3repE0EEENS1_30default_config_static_selectorELNS0_4arch9wavefront6targetE1EEEvT1_
                                        ; -- End function
	.set _ZN7rocprim17ROCPRIM_400000_NS6detail17trampoline_kernelINS0_14default_configENS1_20scan_config_selectorIN3c108BFloat16EEEZZNS1_9scan_implILNS1_25lookback_scan_determinismE0ELb0ELb0ES3_PKS6_PS6_S6_ZZZN2at6native31launch_logcumsumexp_cuda_kernelERKNSD_10TensorBaseESH_lENKUlvE_clEvENKUlvE4_clEvEUlS6_S6_E_S6_EEDaPvRmT3_T4_T5_mT6_P12ihipStream_tbENKUlT_T0_E_clISt17integral_constantIbLb0EESX_IbLb1EEEEDaST_SU_EUlST_E_NS1_11comp_targetILNS1_3genE2ELNS1_11target_archE906ELNS1_3gpuE6ELNS1_3repE0EEENS1_30default_config_static_selectorELNS0_4arch9wavefront6targetE1EEEvT1_.num_vgpr, 0
	.set _ZN7rocprim17ROCPRIM_400000_NS6detail17trampoline_kernelINS0_14default_configENS1_20scan_config_selectorIN3c108BFloat16EEEZZNS1_9scan_implILNS1_25lookback_scan_determinismE0ELb0ELb0ES3_PKS6_PS6_S6_ZZZN2at6native31launch_logcumsumexp_cuda_kernelERKNSD_10TensorBaseESH_lENKUlvE_clEvENKUlvE4_clEvEUlS6_S6_E_S6_EEDaPvRmT3_T4_T5_mT6_P12ihipStream_tbENKUlT_T0_E_clISt17integral_constantIbLb0EESX_IbLb1EEEEDaST_SU_EUlST_E_NS1_11comp_targetILNS1_3genE2ELNS1_11target_archE906ELNS1_3gpuE6ELNS1_3repE0EEENS1_30default_config_static_selectorELNS0_4arch9wavefront6targetE1EEEvT1_.num_agpr, 0
	.set _ZN7rocprim17ROCPRIM_400000_NS6detail17trampoline_kernelINS0_14default_configENS1_20scan_config_selectorIN3c108BFloat16EEEZZNS1_9scan_implILNS1_25lookback_scan_determinismE0ELb0ELb0ES3_PKS6_PS6_S6_ZZZN2at6native31launch_logcumsumexp_cuda_kernelERKNSD_10TensorBaseESH_lENKUlvE_clEvENKUlvE4_clEvEUlS6_S6_E_S6_EEDaPvRmT3_T4_T5_mT6_P12ihipStream_tbENKUlT_T0_E_clISt17integral_constantIbLb0EESX_IbLb1EEEEDaST_SU_EUlST_E_NS1_11comp_targetILNS1_3genE2ELNS1_11target_archE906ELNS1_3gpuE6ELNS1_3repE0EEENS1_30default_config_static_selectorELNS0_4arch9wavefront6targetE1EEEvT1_.numbered_sgpr, 0
	.set _ZN7rocprim17ROCPRIM_400000_NS6detail17trampoline_kernelINS0_14default_configENS1_20scan_config_selectorIN3c108BFloat16EEEZZNS1_9scan_implILNS1_25lookback_scan_determinismE0ELb0ELb0ES3_PKS6_PS6_S6_ZZZN2at6native31launch_logcumsumexp_cuda_kernelERKNSD_10TensorBaseESH_lENKUlvE_clEvENKUlvE4_clEvEUlS6_S6_E_S6_EEDaPvRmT3_T4_T5_mT6_P12ihipStream_tbENKUlT_T0_E_clISt17integral_constantIbLb0EESX_IbLb1EEEEDaST_SU_EUlST_E_NS1_11comp_targetILNS1_3genE2ELNS1_11target_archE906ELNS1_3gpuE6ELNS1_3repE0EEENS1_30default_config_static_selectorELNS0_4arch9wavefront6targetE1EEEvT1_.num_named_barrier, 0
	.set _ZN7rocprim17ROCPRIM_400000_NS6detail17trampoline_kernelINS0_14default_configENS1_20scan_config_selectorIN3c108BFloat16EEEZZNS1_9scan_implILNS1_25lookback_scan_determinismE0ELb0ELb0ES3_PKS6_PS6_S6_ZZZN2at6native31launch_logcumsumexp_cuda_kernelERKNSD_10TensorBaseESH_lENKUlvE_clEvENKUlvE4_clEvEUlS6_S6_E_S6_EEDaPvRmT3_T4_T5_mT6_P12ihipStream_tbENKUlT_T0_E_clISt17integral_constantIbLb0EESX_IbLb1EEEEDaST_SU_EUlST_E_NS1_11comp_targetILNS1_3genE2ELNS1_11target_archE906ELNS1_3gpuE6ELNS1_3repE0EEENS1_30default_config_static_selectorELNS0_4arch9wavefront6targetE1EEEvT1_.private_seg_size, 0
	.set _ZN7rocprim17ROCPRIM_400000_NS6detail17trampoline_kernelINS0_14default_configENS1_20scan_config_selectorIN3c108BFloat16EEEZZNS1_9scan_implILNS1_25lookback_scan_determinismE0ELb0ELb0ES3_PKS6_PS6_S6_ZZZN2at6native31launch_logcumsumexp_cuda_kernelERKNSD_10TensorBaseESH_lENKUlvE_clEvENKUlvE4_clEvEUlS6_S6_E_S6_EEDaPvRmT3_T4_T5_mT6_P12ihipStream_tbENKUlT_T0_E_clISt17integral_constantIbLb0EESX_IbLb1EEEEDaST_SU_EUlST_E_NS1_11comp_targetILNS1_3genE2ELNS1_11target_archE906ELNS1_3gpuE6ELNS1_3repE0EEENS1_30default_config_static_selectorELNS0_4arch9wavefront6targetE1EEEvT1_.uses_vcc, 0
	.set _ZN7rocprim17ROCPRIM_400000_NS6detail17trampoline_kernelINS0_14default_configENS1_20scan_config_selectorIN3c108BFloat16EEEZZNS1_9scan_implILNS1_25lookback_scan_determinismE0ELb0ELb0ES3_PKS6_PS6_S6_ZZZN2at6native31launch_logcumsumexp_cuda_kernelERKNSD_10TensorBaseESH_lENKUlvE_clEvENKUlvE4_clEvEUlS6_S6_E_S6_EEDaPvRmT3_T4_T5_mT6_P12ihipStream_tbENKUlT_T0_E_clISt17integral_constantIbLb0EESX_IbLb1EEEEDaST_SU_EUlST_E_NS1_11comp_targetILNS1_3genE2ELNS1_11target_archE906ELNS1_3gpuE6ELNS1_3repE0EEENS1_30default_config_static_selectorELNS0_4arch9wavefront6targetE1EEEvT1_.uses_flat_scratch, 0
	.set _ZN7rocprim17ROCPRIM_400000_NS6detail17trampoline_kernelINS0_14default_configENS1_20scan_config_selectorIN3c108BFloat16EEEZZNS1_9scan_implILNS1_25lookback_scan_determinismE0ELb0ELb0ES3_PKS6_PS6_S6_ZZZN2at6native31launch_logcumsumexp_cuda_kernelERKNSD_10TensorBaseESH_lENKUlvE_clEvENKUlvE4_clEvEUlS6_S6_E_S6_EEDaPvRmT3_T4_T5_mT6_P12ihipStream_tbENKUlT_T0_E_clISt17integral_constantIbLb0EESX_IbLb1EEEEDaST_SU_EUlST_E_NS1_11comp_targetILNS1_3genE2ELNS1_11target_archE906ELNS1_3gpuE6ELNS1_3repE0EEENS1_30default_config_static_selectorELNS0_4arch9wavefront6targetE1EEEvT1_.has_dyn_sized_stack, 0
	.set _ZN7rocprim17ROCPRIM_400000_NS6detail17trampoline_kernelINS0_14default_configENS1_20scan_config_selectorIN3c108BFloat16EEEZZNS1_9scan_implILNS1_25lookback_scan_determinismE0ELb0ELb0ES3_PKS6_PS6_S6_ZZZN2at6native31launch_logcumsumexp_cuda_kernelERKNSD_10TensorBaseESH_lENKUlvE_clEvENKUlvE4_clEvEUlS6_S6_E_S6_EEDaPvRmT3_T4_T5_mT6_P12ihipStream_tbENKUlT_T0_E_clISt17integral_constantIbLb0EESX_IbLb1EEEEDaST_SU_EUlST_E_NS1_11comp_targetILNS1_3genE2ELNS1_11target_archE906ELNS1_3gpuE6ELNS1_3repE0EEENS1_30default_config_static_selectorELNS0_4arch9wavefront6targetE1EEEvT1_.has_recursion, 0
	.set _ZN7rocprim17ROCPRIM_400000_NS6detail17trampoline_kernelINS0_14default_configENS1_20scan_config_selectorIN3c108BFloat16EEEZZNS1_9scan_implILNS1_25lookback_scan_determinismE0ELb0ELb0ES3_PKS6_PS6_S6_ZZZN2at6native31launch_logcumsumexp_cuda_kernelERKNSD_10TensorBaseESH_lENKUlvE_clEvENKUlvE4_clEvEUlS6_S6_E_S6_EEDaPvRmT3_T4_T5_mT6_P12ihipStream_tbENKUlT_T0_E_clISt17integral_constantIbLb0EESX_IbLb1EEEEDaST_SU_EUlST_E_NS1_11comp_targetILNS1_3genE2ELNS1_11target_archE906ELNS1_3gpuE6ELNS1_3repE0EEENS1_30default_config_static_selectorELNS0_4arch9wavefront6targetE1EEEvT1_.has_indirect_call, 0
	.section	.AMDGPU.csdata,"",@progbits
; Kernel info:
; codeLenInByte = 0
; TotalNumSgprs: 6
; NumVgprs: 0
; NumAgprs: 0
; TotalNumVgprs: 0
; ScratchSize: 0
; MemoryBound: 0
; FloatMode: 240
; IeeeMode: 1
; LDSByteSize: 0 bytes/workgroup (compile time only)
; SGPRBlocks: 0
; VGPRBlocks: 0
; NumSGPRsForWavesPerEU: 6
; NumVGPRsForWavesPerEU: 1
; AccumOffset: 4
; Occupancy: 8
; WaveLimiterHint : 0
; COMPUTE_PGM_RSRC2:SCRATCH_EN: 0
; COMPUTE_PGM_RSRC2:USER_SGPR: 2
; COMPUTE_PGM_RSRC2:TRAP_HANDLER: 0
; COMPUTE_PGM_RSRC2:TGID_X_EN: 1
; COMPUTE_PGM_RSRC2:TGID_Y_EN: 0
; COMPUTE_PGM_RSRC2:TGID_Z_EN: 0
; COMPUTE_PGM_RSRC2:TIDIG_COMP_CNT: 0
; COMPUTE_PGM_RSRC3_GFX90A:ACCUM_OFFSET: 0
; COMPUTE_PGM_RSRC3_GFX90A:TG_SPLIT: 0
	.section	.text._ZN7rocprim17ROCPRIM_400000_NS6detail17trampoline_kernelINS0_14default_configENS1_20scan_config_selectorIN3c108BFloat16EEEZZNS1_9scan_implILNS1_25lookback_scan_determinismE0ELb0ELb0ES3_PKS6_PS6_S6_ZZZN2at6native31launch_logcumsumexp_cuda_kernelERKNSD_10TensorBaseESH_lENKUlvE_clEvENKUlvE4_clEvEUlS6_S6_E_S6_EEDaPvRmT3_T4_T5_mT6_P12ihipStream_tbENKUlT_T0_E_clISt17integral_constantIbLb0EESX_IbLb1EEEEDaST_SU_EUlST_E_NS1_11comp_targetILNS1_3genE10ELNS1_11target_archE1201ELNS1_3gpuE5ELNS1_3repE0EEENS1_30default_config_static_selectorELNS0_4arch9wavefront6targetE1EEEvT1_,"axG",@progbits,_ZN7rocprim17ROCPRIM_400000_NS6detail17trampoline_kernelINS0_14default_configENS1_20scan_config_selectorIN3c108BFloat16EEEZZNS1_9scan_implILNS1_25lookback_scan_determinismE0ELb0ELb0ES3_PKS6_PS6_S6_ZZZN2at6native31launch_logcumsumexp_cuda_kernelERKNSD_10TensorBaseESH_lENKUlvE_clEvENKUlvE4_clEvEUlS6_S6_E_S6_EEDaPvRmT3_T4_T5_mT6_P12ihipStream_tbENKUlT_T0_E_clISt17integral_constantIbLb0EESX_IbLb1EEEEDaST_SU_EUlST_E_NS1_11comp_targetILNS1_3genE10ELNS1_11target_archE1201ELNS1_3gpuE5ELNS1_3repE0EEENS1_30default_config_static_selectorELNS0_4arch9wavefront6targetE1EEEvT1_,comdat
	.globl	_ZN7rocprim17ROCPRIM_400000_NS6detail17trampoline_kernelINS0_14default_configENS1_20scan_config_selectorIN3c108BFloat16EEEZZNS1_9scan_implILNS1_25lookback_scan_determinismE0ELb0ELb0ES3_PKS6_PS6_S6_ZZZN2at6native31launch_logcumsumexp_cuda_kernelERKNSD_10TensorBaseESH_lENKUlvE_clEvENKUlvE4_clEvEUlS6_S6_E_S6_EEDaPvRmT3_T4_T5_mT6_P12ihipStream_tbENKUlT_T0_E_clISt17integral_constantIbLb0EESX_IbLb1EEEEDaST_SU_EUlST_E_NS1_11comp_targetILNS1_3genE10ELNS1_11target_archE1201ELNS1_3gpuE5ELNS1_3repE0EEENS1_30default_config_static_selectorELNS0_4arch9wavefront6targetE1EEEvT1_ ; -- Begin function _ZN7rocprim17ROCPRIM_400000_NS6detail17trampoline_kernelINS0_14default_configENS1_20scan_config_selectorIN3c108BFloat16EEEZZNS1_9scan_implILNS1_25lookback_scan_determinismE0ELb0ELb0ES3_PKS6_PS6_S6_ZZZN2at6native31launch_logcumsumexp_cuda_kernelERKNSD_10TensorBaseESH_lENKUlvE_clEvENKUlvE4_clEvEUlS6_S6_E_S6_EEDaPvRmT3_T4_T5_mT6_P12ihipStream_tbENKUlT_T0_E_clISt17integral_constantIbLb0EESX_IbLb1EEEEDaST_SU_EUlST_E_NS1_11comp_targetILNS1_3genE10ELNS1_11target_archE1201ELNS1_3gpuE5ELNS1_3repE0EEENS1_30default_config_static_selectorELNS0_4arch9wavefront6targetE1EEEvT1_
	.p2align	8
	.type	_ZN7rocprim17ROCPRIM_400000_NS6detail17trampoline_kernelINS0_14default_configENS1_20scan_config_selectorIN3c108BFloat16EEEZZNS1_9scan_implILNS1_25lookback_scan_determinismE0ELb0ELb0ES3_PKS6_PS6_S6_ZZZN2at6native31launch_logcumsumexp_cuda_kernelERKNSD_10TensorBaseESH_lENKUlvE_clEvENKUlvE4_clEvEUlS6_S6_E_S6_EEDaPvRmT3_T4_T5_mT6_P12ihipStream_tbENKUlT_T0_E_clISt17integral_constantIbLb0EESX_IbLb1EEEEDaST_SU_EUlST_E_NS1_11comp_targetILNS1_3genE10ELNS1_11target_archE1201ELNS1_3gpuE5ELNS1_3repE0EEENS1_30default_config_static_selectorELNS0_4arch9wavefront6targetE1EEEvT1_,@function
_ZN7rocprim17ROCPRIM_400000_NS6detail17trampoline_kernelINS0_14default_configENS1_20scan_config_selectorIN3c108BFloat16EEEZZNS1_9scan_implILNS1_25lookback_scan_determinismE0ELb0ELb0ES3_PKS6_PS6_S6_ZZZN2at6native31launch_logcumsumexp_cuda_kernelERKNSD_10TensorBaseESH_lENKUlvE_clEvENKUlvE4_clEvEUlS6_S6_E_S6_EEDaPvRmT3_T4_T5_mT6_P12ihipStream_tbENKUlT_T0_E_clISt17integral_constantIbLb0EESX_IbLb1EEEEDaST_SU_EUlST_E_NS1_11comp_targetILNS1_3genE10ELNS1_11target_archE1201ELNS1_3gpuE5ELNS1_3repE0EEENS1_30default_config_static_selectorELNS0_4arch9wavefront6targetE1EEEvT1_: ; @_ZN7rocprim17ROCPRIM_400000_NS6detail17trampoline_kernelINS0_14default_configENS1_20scan_config_selectorIN3c108BFloat16EEEZZNS1_9scan_implILNS1_25lookback_scan_determinismE0ELb0ELb0ES3_PKS6_PS6_S6_ZZZN2at6native31launch_logcumsumexp_cuda_kernelERKNSD_10TensorBaseESH_lENKUlvE_clEvENKUlvE4_clEvEUlS6_S6_E_S6_EEDaPvRmT3_T4_T5_mT6_P12ihipStream_tbENKUlT_T0_E_clISt17integral_constantIbLb0EESX_IbLb1EEEEDaST_SU_EUlST_E_NS1_11comp_targetILNS1_3genE10ELNS1_11target_archE1201ELNS1_3gpuE5ELNS1_3repE0EEENS1_30default_config_static_selectorELNS0_4arch9wavefront6targetE1EEEvT1_
; %bb.0:
	.section	.rodata,"a",@progbits
	.p2align	6, 0x0
	.amdhsa_kernel _ZN7rocprim17ROCPRIM_400000_NS6detail17trampoline_kernelINS0_14default_configENS1_20scan_config_selectorIN3c108BFloat16EEEZZNS1_9scan_implILNS1_25lookback_scan_determinismE0ELb0ELb0ES3_PKS6_PS6_S6_ZZZN2at6native31launch_logcumsumexp_cuda_kernelERKNSD_10TensorBaseESH_lENKUlvE_clEvENKUlvE4_clEvEUlS6_S6_E_S6_EEDaPvRmT3_T4_T5_mT6_P12ihipStream_tbENKUlT_T0_E_clISt17integral_constantIbLb0EESX_IbLb1EEEEDaST_SU_EUlST_E_NS1_11comp_targetILNS1_3genE10ELNS1_11target_archE1201ELNS1_3gpuE5ELNS1_3repE0EEENS1_30default_config_static_selectorELNS0_4arch9wavefront6targetE1EEEvT1_
		.amdhsa_group_segment_fixed_size 0
		.amdhsa_private_segment_fixed_size 0
		.amdhsa_kernarg_size 96
		.amdhsa_user_sgpr_count 2
		.amdhsa_user_sgpr_dispatch_ptr 0
		.amdhsa_user_sgpr_queue_ptr 0
		.amdhsa_user_sgpr_kernarg_segment_ptr 1
		.amdhsa_user_sgpr_dispatch_id 0
		.amdhsa_user_sgpr_kernarg_preload_length 0
		.amdhsa_user_sgpr_kernarg_preload_offset 0
		.amdhsa_user_sgpr_private_segment_size 0
		.amdhsa_uses_dynamic_stack 0
		.amdhsa_enable_private_segment 0
		.amdhsa_system_sgpr_workgroup_id_x 1
		.amdhsa_system_sgpr_workgroup_id_y 0
		.amdhsa_system_sgpr_workgroup_id_z 0
		.amdhsa_system_sgpr_workgroup_info 0
		.amdhsa_system_vgpr_workitem_id 0
		.amdhsa_next_free_vgpr 1
		.amdhsa_next_free_sgpr 0
		.amdhsa_accum_offset 4
		.amdhsa_reserve_vcc 0
		.amdhsa_float_round_mode_32 0
		.amdhsa_float_round_mode_16_64 0
		.amdhsa_float_denorm_mode_32 3
		.amdhsa_float_denorm_mode_16_64 3
		.amdhsa_dx10_clamp 1
		.amdhsa_ieee_mode 1
		.amdhsa_fp16_overflow 0
		.amdhsa_tg_split 0
		.amdhsa_exception_fp_ieee_invalid_op 0
		.amdhsa_exception_fp_denorm_src 0
		.amdhsa_exception_fp_ieee_div_zero 0
		.amdhsa_exception_fp_ieee_overflow 0
		.amdhsa_exception_fp_ieee_underflow 0
		.amdhsa_exception_fp_ieee_inexact 0
		.amdhsa_exception_int_div_zero 0
	.end_amdhsa_kernel
	.section	.text._ZN7rocprim17ROCPRIM_400000_NS6detail17trampoline_kernelINS0_14default_configENS1_20scan_config_selectorIN3c108BFloat16EEEZZNS1_9scan_implILNS1_25lookback_scan_determinismE0ELb0ELb0ES3_PKS6_PS6_S6_ZZZN2at6native31launch_logcumsumexp_cuda_kernelERKNSD_10TensorBaseESH_lENKUlvE_clEvENKUlvE4_clEvEUlS6_S6_E_S6_EEDaPvRmT3_T4_T5_mT6_P12ihipStream_tbENKUlT_T0_E_clISt17integral_constantIbLb0EESX_IbLb1EEEEDaST_SU_EUlST_E_NS1_11comp_targetILNS1_3genE10ELNS1_11target_archE1201ELNS1_3gpuE5ELNS1_3repE0EEENS1_30default_config_static_selectorELNS0_4arch9wavefront6targetE1EEEvT1_,"axG",@progbits,_ZN7rocprim17ROCPRIM_400000_NS6detail17trampoline_kernelINS0_14default_configENS1_20scan_config_selectorIN3c108BFloat16EEEZZNS1_9scan_implILNS1_25lookback_scan_determinismE0ELb0ELb0ES3_PKS6_PS6_S6_ZZZN2at6native31launch_logcumsumexp_cuda_kernelERKNSD_10TensorBaseESH_lENKUlvE_clEvENKUlvE4_clEvEUlS6_S6_E_S6_EEDaPvRmT3_T4_T5_mT6_P12ihipStream_tbENKUlT_T0_E_clISt17integral_constantIbLb0EESX_IbLb1EEEEDaST_SU_EUlST_E_NS1_11comp_targetILNS1_3genE10ELNS1_11target_archE1201ELNS1_3gpuE5ELNS1_3repE0EEENS1_30default_config_static_selectorELNS0_4arch9wavefront6targetE1EEEvT1_,comdat
.Lfunc_end508:
	.size	_ZN7rocprim17ROCPRIM_400000_NS6detail17trampoline_kernelINS0_14default_configENS1_20scan_config_selectorIN3c108BFloat16EEEZZNS1_9scan_implILNS1_25lookback_scan_determinismE0ELb0ELb0ES3_PKS6_PS6_S6_ZZZN2at6native31launch_logcumsumexp_cuda_kernelERKNSD_10TensorBaseESH_lENKUlvE_clEvENKUlvE4_clEvEUlS6_S6_E_S6_EEDaPvRmT3_T4_T5_mT6_P12ihipStream_tbENKUlT_T0_E_clISt17integral_constantIbLb0EESX_IbLb1EEEEDaST_SU_EUlST_E_NS1_11comp_targetILNS1_3genE10ELNS1_11target_archE1201ELNS1_3gpuE5ELNS1_3repE0EEENS1_30default_config_static_selectorELNS0_4arch9wavefront6targetE1EEEvT1_, .Lfunc_end508-_ZN7rocprim17ROCPRIM_400000_NS6detail17trampoline_kernelINS0_14default_configENS1_20scan_config_selectorIN3c108BFloat16EEEZZNS1_9scan_implILNS1_25lookback_scan_determinismE0ELb0ELb0ES3_PKS6_PS6_S6_ZZZN2at6native31launch_logcumsumexp_cuda_kernelERKNSD_10TensorBaseESH_lENKUlvE_clEvENKUlvE4_clEvEUlS6_S6_E_S6_EEDaPvRmT3_T4_T5_mT6_P12ihipStream_tbENKUlT_T0_E_clISt17integral_constantIbLb0EESX_IbLb1EEEEDaST_SU_EUlST_E_NS1_11comp_targetILNS1_3genE10ELNS1_11target_archE1201ELNS1_3gpuE5ELNS1_3repE0EEENS1_30default_config_static_selectorELNS0_4arch9wavefront6targetE1EEEvT1_
                                        ; -- End function
	.set _ZN7rocprim17ROCPRIM_400000_NS6detail17trampoline_kernelINS0_14default_configENS1_20scan_config_selectorIN3c108BFloat16EEEZZNS1_9scan_implILNS1_25lookback_scan_determinismE0ELb0ELb0ES3_PKS6_PS6_S6_ZZZN2at6native31launch_logcumsumexp_cuda_kernelERKNSD_10TensorBaseESH_lENKUlvE_clEvENKUlvE4_clEvEUlS6_S6_E_S6_EEDaPvRmT3_T4_T5_mT6_P12ihipStream_tbENKUlT_T0_E_clISt17integral_constantIbLb0EESX_IbLb1EEEEDaST_SU_EUlST_E_NS1_11comp_targetILNS1_3genE10ELNS1_11target_archE1201ELNS1_3gpuE5ELNS1_3repE0EEENS1_30default_config_static_selectorELNS0_4arch9wavefront6targetE1EEEvT1_.num_vgpr, 0
	.set _ZN7rocprim17ROCPRIM_400000_NS6detail17trampoline_kernelINS0_14default_configENS1_20scan_config_selectorIN3c108BFloat16EEEZZNS1_9scan_implILNS1_25lookback_scan_determinismE0ELb0ELb0ES3_PKS6_PS6_S6_ZZZN2at6native31launch_logcumsumexp_cuda_kernelERKNSD_10TensorBaseESH_lENKUlvE_clEvENKUlvE4_clEvEUlS6_S6_E_S6_EEDaPvRmT3_T4_T5_mT6_P12ihipStream_tbENKUlT_T0_E_clISt17integral_constantIbLb0EESX_IbLb1EEEEDaST_SU_EUlST_E_NS1_11comp_targetILNS1_3genE10ELNS1_11target_archE1201ELNS1_3gpuE5ELNS1_3repE0EEENS1_30default_config_static_selectorELNS0_4arch9wavefront6targetE1EEEvT1_.num_agpr, 0
	.set _ZN7rocprim17ROCPRIM_400000_NS6detail17trampoline_kernelINS0_14default_configENS1_20scan_config_selectorIN3c108BFloat16EEEZZNS1_9scan_implILNS1_25lookback_scan_determinismE0ELb0ELb0ES3_PKS6_PS6_S6_ZZZN2at6native31launch_logcumsumexp_cuda_kernelERKNSD_10TensorBaseESH_lENKUlvE_clEvENKUlvE4_clEvEUlS6_S6_E_S6_EEDaPvRmT3_T4_T5_mT6_P12ihipStream_tbENKUlT_T0_E_clISt17integral_constantIbLb0EESX_IbLb1EEEEDaST_SU_EUlST_E_NS1_11comp_targetILNS1_3genE10ELNS1_11target_archE1201ELNS1_3gpuE5ELNS1_3repE0EEENS1_30default_config_static_selectorELNS0_4arch9wavefront6targetE1EEEvT1_.numbered_sgpr, 0
	.set _ZN7rocprim17ROCPRIM_400000_NS6detail17trampoline_kernelINS0_14default_configENS1_20scan_config_selectorIN3c108BFloat16EEEZZNS1_9scan_implILNS1_25lookback_scan_determinismE0ELb0ELb0ES3_PKS6_PS6_S6_ZZZN2at6native31launch_logcumsumexp_cuda_kernelERKNSD_10TensorBaseESH_lENKUlvE_clEvENKUlvE4_clEvEUlS6_S6_E_S6_EEDaPvRmT3_T4_T5_mT6_P12ihipStream_tbENKUlT_T0_E_clISt17integral_constantIbLb0EESX_IbLb1EEEEDaST_SU_EUlST_E_NS1_11comp_targetILNS1_3genE10ELNS1_11target_archE1201ELNS1_3gpuE5ELNS1_3repE0EEENS1_30default_config_static_selectorELNS0_4arch9wavefront6targetE1EEEvT1_.num_named_barrier, 0
	.set _ZN7rocprim17ROCPRIM_400000_NS6detail17trampoline_kernelINS0_14default_configENS1_20scan_config_selectorIN3c108BFloat16EEEZZNS1_9scan_implILNS1_25lookback_scan_determinismE0ELb0ELb0ES3_PKS6_PS6_S6_ZZZN2at6native31launch_logcumsumexp_cuda_kernelERKNSD_10TensorBaseESH_lENKUlvE_clEvENKUlvE4_clEvEUlS6_S6_E_S6_EEDaPvRmT3_T4_T5_mT6_P12ihipStream_tbENKUlT_T0_E_clISt17integral_constantIbLb0EESX_IbLb1EEEEDaST_SU_EUlST_E_NS1_11comp_targetILNS1_3genE10ELNS1_11target_archE1201ELNS1_3gpuE5ELNS1_3repE0EEENS1_30default_config_static_selectorELNS0_4arch9wavefront6targetE1EEEvT1_.private_seg_size, 0
	.set _ZN7rocprim17ROCPRIM_400000_NS6detail17trampoline_kernelINS0_14default_configENS1_20scan_config_selectorIN3c108BFloat16EEEZZNS1_9scan_implILNS1_25lookback_scan_determinismE0ELb0ELb0ES3_PKS6_PS6_S6_ZZZN2at6native31launch_logcumsumexp_cuda_kernelERKNSD_10TensorBaseESH_lENKUlvE_clEvENKUlvE4_clEvEUlS6_S6_E_S6_EEDaPvRmT3_T4_T5_mT6_P12ihipStream_tbENKUlT_T0_E_clISt17integral_constantIbLb0EESX_IbLb1EEEEDaST_SU_EUlST_E_NS1_11comp_targetILNS1_3genE10ELNS1_11target_archE1201ELNS1_3gpuE5ELNS1_3repE0EEENS1_30default_config_static_selectorELNS0_4arch9wavefront6targetE1EEEvT1_.uses_vcc, 0
	.set _ZN7rocprim17ROCPRIM_400000_NS6detail17trampoline_kernelINS0_14default_configENS1_20scan_config_selectorIN3c108BFloat16EEEZZNS1_9scan_implILNS1_25lookback_scan_determinismE0ELb0ELb0ES3_PKS6_PS6_S6_ZZZN2at6native31launch_logcumsumexp_cuda_kernelERKNSD_10TensorBaseESH_lENKUlvE_clEvENKUlvE4_clEvEUlS6_S6_E_S6_EEDaPvRmT3_T4_T5_mT6_P12ihipStream_tbENKUlT_T0_E_clISt17integral_constantIbLb0EESX_IbLb1EEEEDaST_SU_EUlST_E_NS1_11comp_targetILNS1_3genE10ELNS1_11target_archE1201ELNS1_3gpuE5ELNS1_3repE0EEENS1_30default_config_static_selectorELNS0_4arch9wavefront6targetE1EEEvT1_.uses_flat_scratch, 0
	.set _ZN7rocprim17ROCPRIM_400000_NS6detail17trampoline_kernelINS0_14default_configENS1_20scan_config_selectorIN3c108BFloat16EEEZZNS1_9scan_implILNS1_25lookback_scan_determinismE0ELb0ELb0ES3_PKS6_PS6_S6_ZZZN2at6native31launch_logcumsumexp_cuda_kernelERKNSD_10TensorBaseESH_lENKUlvE_clEvENKUlvE4_clEvEUlS6_S6_E_S6_EEDaPvRmT3_T4_T5_mT6_P12ihipStream_tbENKUlT_T0_E_clISt17integral_constantIbLb0EESX_IbLb1EEEEDaST_SU_EUlST_E_NS1_11comp_targetILNS1_3genE10ELNS1_11target_archE1201ELNS1_3gpuE5ELNS1_3repE0EEENS1_30default_config_static_selectorELNS0_4arch9wavefront6targetE1EEEvT1_.has_dyn_sized_stack, 0
	.set _ZN7rocprim17ROCPRIM_400000_NS6detail17trampoline_kernelINS0_14default_configENS1_20scan_config_selectorIN3c108BFloat16EEEZZNS1_9scan_implILNS1_25lookback_scan_determinismE0ELb0ELb0ES3_PKS6_PS6_S6_ZZZN2at6native31launch_logcumsumexp_cuda_kernelERKNSD_10TensorBaseESH_lENKUlvE_clEvENKUlvE4_clEvEUlS6_S6_E_S6_EEDaPvRmT3_T4_T5_mT6_P12ihipStream_tbENKUlT_T0_E_clISt17integral_constantIbLb0EESX_IbLb1EEEEDaST_SU_EUlST_E_NS1_11comp_targetILNS1_3genE10ELNS1_11target_archE1201ELNS1_3gpuE5ELNS1_3repE0EEENS1_30default_config_static_selectorELNS0_4arch9wavefront6targetE1EEEvT1_.has_recursion, 0
	.set _ZN7rocprim17ROCPRIM_400000_NS6detail17trampoline_kernelINS0_14default_configENS1_20scan_config_selectorIN3c108BFloat16EEEZZNS1_9scan_implILNS1_25lookback_scan_determinismE0ELb0ELb0ES3_PKS6_PS6_S6_ZZZN2at6native31launch_logcumsumexp_cuda_kernelERKNSD_10TensorBaseESH_lENKUlvE_clEvENKUlvE4_clEvEUlS6_S6_E_S6_EEDaPvRmT3_T4_T5_mT6_P12ihipStream_tbENKUlT_T0_E_clISt17integral_constantIbLb0EESX_IbLb1EEEEDaST_SU_EUlST_E_NS1_11comp_targetILNS1_3genE10ELNS1_11target_archE1201ELNS1_3gpuE5ELNS1_3repE0EEENS1_30default_config_static_selectorELNS0_4arch9wavefront6targetE1EEEvT1_.has_indirect_call, 0
	.section	.AMDGPU.csdata,"",@progbits
; Kernel info:
; codeLenInByte = 0
; TotalNumSgprs: 6
; NumVgprs: 0
; NumAgprs: 0
; TotalNumVgprs: 0
; ScratchSize: 0
; MemoryBound: 0
; FloatMode: 240
; IeeeMode: 1
; LDSByteSize: 0 bytes/workgroup (compile time only)
; SGPRBlocks: 0
; VGPRBlocks: 0
; NumSGPRsForWavesPerEU: 6
; NumVGPRsForWavesPerEU: 1
; AccumOffset: 4
; Occupancy: 8
; WaveLimiterHint : 0
; COMPUTE_PGM_RSRC2:SCRATCH_EN: 0
; COMPUTE_PGM_RSRC2:USER_SGPR: 2
; COMPUTE_PGM_RSRC2:TRAP_HANDLER: 0
; COMPUTE_PGM_RSRC2:TGID_X_EN: 1
; COMPUTE_PGM_RSRC2:TGID_Y_EN: 0
; COMPUTE_PGM_RSRC2:TGID_Z_EN: 0
; COMPUTE_PGM_RSRC2:TIDIG_COMP_CNT: 0
; COMPUTE_PGM_RSRC3_GFX90A:ACCUM_OFFSET: 0
; COMPUTE_PGM_RSRC3_GFX90A:TG_SPLIT: 0
	.section	.text._ZN7rocprim17ROCPRIM_400000_NS6detail17trampoline_kernelINS0_14default_configENS1_20scan_config_selectorIN3c108BFloat16EEEZZNS1_9scan_implILNS1_25lookback_scan_determinismE0ELb0ELb0ES3_PKS6_PS6_S6_ZZZN2at6native31launch_logcumsumexp_cuda_kernelERKNSD_10TensorBaseESH_lENKUlvE_clEvENKUlvE4_clEvEUlS6_S6_E_S6_EEDaPvRmT3_T4_T5_mT6_P12ihipStream_tbENKUlT_T0_E_clISt17integral_constantIbLb0EESX_IbLb1EEEEDaST_SU_EUlST_E_NS1_11comp_targetILNS1_3genE10ELNS1_11target_archE1200ELNS1_3gpuE4ELNS1_3repE0EEENS1_30default_config_static_selectorELNS0_4arch9wavefront6targetE1EEEvT1_,"axG",@progbits,_ZN7rocprim17ROCPRIM_400000_NS6detail17trampoline_kernelINS0_14default_configENS1_20scan_config_selectorIN3c108BFloat16EEEZZNS1_9scan_implILNS1_25lookback_scan_determinismE0ELb0ELb0ES3_PKS6_PS6_S6_ZZZN2at6native31launch_logcumsumexp_cuda_kernelERKNSD_10TensorBaseESH_lENKUlvE_clEvENKUlvE4_clEvEUlS6_S6_E_S6_EEDaPvRmT3_T4_T5_mT6_P12ihipStream_tbENKUlT_T0_E_clISt17integral_constantIbLb0EESX_IbLb1EEEEDaST_SU_EUlST_E_NS1_11comp_targetILNS1_3genE10ELNS1_11target_archE1200ELNS1_3gpuE4ELNS1_3repE0EEENS1_30default_config_static_selectorELNS0_4arch9wavefront6targetE1EEEvT1_,comdat
	.globl	_ZN7rocprim17ROCPRIM_400000_NS6detail17trampoline_kernelINS0_14default_configENS1_20scan_config_selectorIN3c108BFloat16EEEZZNS1_9scan_implILNS1_25lookback_scan_determinismE0ELb0ELb0ES3_PKS6_PS6_S6_ZZZN2at6native31launch_logcumsumexp_cuda_kernelERKNSD_10TensorBaseESH_lENKUlvE_clEvENKUlvE4_clEvEUlS6_S6_E_S6_EEDaPvRmT3_T4_T5_mT6_P12ihipStream_tbENKUlT_T0_E_clISt17integral_constantIbLb0EESX_IbLb1EEEEDaST_SU_EUlST_E_NS1_11comp_targetILNS1_3genE10ELNS1_11target_archE1200ELNS1_3gpuE4ELNS1_3repE0EEENS1_30default_config_static_selectorELNS0_4arch9wavefront6targetE1EEEvT1_ ; -- Begin function _ZN7rocprim17ROCPRIM_400000_NS6detail17trampoline_kernelINS0_14default_configENS1_20scan_config_selectorIN3c108BFloat16EEEZZNS1_9scan_implILNS1_25lookback_scan_determinismE0ELb0ELb0ES3_PKS6_PS6_S6_ZZZN2at6native31launch_logcumsumexp_cuda_kernelERKNSD_10TensorBaseESH_lENKUlvE_clEvENKUlvE4_clEvEUlS6_S6_E_S6_EEDaPvRmT3_T4_T5_mT6_P12ihipStream_tbENKUlT_T0_E_clISt17integral_constantIbLb0EESX_IbLb1EEEEDaST_SU_EUlST_E_NS1_11comp_targetILNS1_3genE10ELNS1_11target_archE1200ELNS1_3gpuE4ELNS1_3repE0EEENS1_30default_config_static_selectorELNS0_4arch9wavefront6targetE1EEEvT1_
	.p2align	8
	.type	_ZN7rocprim17ROCPRIM_400000_NS6detail17trampoline_kernelINS0_14default_configENS1_20scan_config_selectorIN3c108BFloat16EEEZZNS1_9scan_implILNS1_25lookback_scan_determinismE0ELb0ELb0ES3_PKS6_PS6_S6_ZZZN2at6native31launch_logcumsumexp_cuda_kernelERKNSD_10TensorBaseESH_lENKUlvE_clEvENKUlvE4_clEvEUlS6_S6_E_S6_EEDaPvRmT3_T4_T5_mT6_P12ihipStream_tbENKUlT_T0_E_clISt17integral_constantIbLb0EESX_IbLb1EEEEDaST_SU_EUlST_E_NS1_11comp_targetILNS1_3genE10ELNS1_11target_archE1200ELNS1_3gpuE4ELNS1_3repE0EEENS1_30default_config_static_selectorELNS0_4arch9wavefront6targetE1EEEvT1_,@function
_ZN7rocprim17ROCPRIM_400000_NS6detail17trampoline_kernelINS0_14default_configENS1_20scan_config_selectorIN3c108BFloat16EEEZZNS1_9scan_implILNS1_25lookback_scan_determinismE0ELb0ELb0ES3_PKS6_PS6_S6_ZZZN2at6native31launch_logcumsumexp_cuda_kernelERKNSD_10TensorBaseESH_lENKUlvE_clEvENKUlvE4_clEvEUlS6_S6_E_S6_EEDaPvRmT3_T4_T5_mT6_P12ihipStream_tbENKUlT_T0_E_clISt17integral_constantIbLb0EESX_IbLb1EEEEDaST_SU_EUlST_E_NS1_11comp_targetILNS1_3genE10ELNS1_11target_archE1200ELNS1_3gpuE4ELNS1_3repE0EEENS1_30default_config_static_selectorELNS0_4arch9wavefront6targetE1EEEvT1_: ; @_ZN7rocprim17ROCPRIM_400000_NS6detail17trampoline_kernelINS0_14default_configENS1_20scan_config_selectorIN3c108BFloat16EEEZZNS1_9scan_implILNS1_25lookback_scan_determinismE0ELb0ELb0ES3_PKS6_PS6_S6_ZZZN2at6native31launch_logcumsumexp_cuda_kernelERKNSD_10TensorBaseESH_lENKUlvE_clEvENKUlvE4_clEvEUlS6_S6_E_S6_EEDaPvRmT3_T4_T5_mT6_P12ihipStream_tbENKUlT_T0_E_clISt17integral_constantIbLb0EESX_IbLb1EEEEDaST_SU_EUlST_E_NS1_11comp_targetILNS1_3genE10ELNS1_11target_archE1200ELNS1_3gpuE4ELNS1_3repE0EEENS1_30default_config_static_selectorELNS0_4arch9wavefront6targetE1EEEvT1_
; %bb.0:
	.section	.rodata,"a",@progbits
	.p2align	6, 0x0
	.amdhsa_kernel _ZN7rocprim17ROCPRIM_400000_NS6detail17trampoline_kernelINS0_14default_configENS1_20scan_config_selectorIN3c108BFloat16EEEZZNS1_9scan_implILNS1_25lookback_scan_determinismE0ELb0ELb0ES3_PKS6_PS6_S6_ZZZN2at6native31launch_logcumsumexp_cuda_kernelERKNSD_10TensorBaseESH_lENKUlvE_clEvENKUlvE4_clEvEUlS6_S6_E_S6_EEDaPvRmT3_T4_T5_mT6_P12ihipStream_tbENKUlT_T0_E_clISt17integral_constantIbLb0EESX_IbLb1EEEEDaST_SU_EUlST_E_NS1_11comp_targetILNS1_3genE10ELNS1_11target_archE1200ELNS1_3gpuE4ELNS1_3repE0EEENS1_30default_config_static_selectorELNS0_4arch9wavefront6targetE1EEEvT1_
		.amdhsa_group_segment_fixed_size 0
		.amdhsa_private_segment_fixed_size 0
		.amdhsa_kernarg_size 96
		.amdhsa_user_sgpr_count 2
		.amdhsa_user_sgpr_dispatch_ptr 0
		.amdhsa_user_sgpr_queue_ptr 0
		.amdhsa_user_sgpr_kernarg_segment_ptr 1
		.amdhsa_user_sgpr_dispatch_id 0
		.amdhsa_user_sgpr_kernarg_preload_length 0
		.amdhsa_user_sgpr_kernarg_preload_offset 0
		.amdhsa_user_sgpr_private_segment_size 0
		.amdhsa_uses_dynamic_stack 0
		.amdhsa_enable_private_segment 0
		.amdhsa_system_sgpr_workgroup_id_x 1
		.amdhsa_system_sgpr_workgroup_id_y 0
		.amdhsa_system_sgpr_workgroup_id_z 0
		.amdhsa_system_sgpr_workgroup_info 0
		.amdhsa_system_vgpr_workitem_id 0
		.amdhsa_next_free_vgpr 1
		.amdhsa_next_free_sgpr 0
		.amdhsa_accum_offset 4
		.amdhsa_reserve_vcc 0
		.amdhsa_float_round_mode_32 0
		.amdhsa_float_round_mode_16_64 0
		.amdhsa_float_denorm_mode_32 3
		.amdhsa_float_denorm_mode_16_64 3
		.amdhsa_dx10_clamp 1
		.amdhsa_ieee_mode 1
		.amdhsa_fp16_overflow 0
		.amdhsa_tg_split 0
		.amdhsa_exception_fp_ieee_invalid_op 0
		.amdhsa_exception_fp_denorm_src 0
		.amdhsa_exception_fp_ieee_div_zero 0
		.amdhsa_exception_fp_ieee_overflow 0
		.amdhsa_exception_fp_ieee_underflow 0
		.amdhsa_exception_fp_ieee_inexact 0
		.amdhsa_exception_int_div_zero 0
	.end_amdhsa_kernel
	.section	.text._ZN7rocprim17ROCPRIM_400000_NS6detail17trampoline_kernelINS0_14default_configENS1_20scan_config_selectorIN3c108BFloat16EEEZZNS1_9scan_implILNS1_25lookback_scan_determinismE0ELb0ELb0ES3_PKS6_PS6_S6_ZZZN2at6native31launch_logcumsumexp_cuda_kernelERKNSD_10TensorBaseESH_lENKUlvE_clEvENKUlvE4_clEvEUlS6_S6_E_S6_EEDaPvRmT3_T4_T5_mT6_P12ihipStream_tbENKUlT_T0_E_clISt17integral_constantIbLb0EESX_IbLb1EEEEDaST_SU_EUlST_E_NS1_11comp_targetILNS1_3genE10ELNS1_11target_archE1200ELNS1_3gpuE4ELNS1_3repE0EEENS1_30default_config_static_selectorELNS0_4arch9wavefront6targetE1EEEvT1_,"axG",@progbits,_ZN7rocprim17ROCPRIM_400000_NS6detail17trampoline_kernelINS0_14default_configENS1_20scan_config_selectorIN3c108BFloat16EEEZZNS1_9scan_implILNS1_25lookback_scan_determinismE0ELb0ELb0ES3_PKS6_PS6_S6_ZZZN2at6native31launch_logcumsumexp_cuda_kernelERKNSD_10TensorBaseESH_lENKUlvE_clEvENKUlvE4_clEvEUlS6_S6_E_S6_EEDaPvRmT3_T4_T5_mT6_P12ihipStream_tbENKUlT_T0_E_clISt17integral_constantIbLb0EESX_IbLb1EEEEDaST_SU_EUlST_E_NS1_11comp_targetILNS1_3genE10ELNS1_11target_archE1200ELNS1_3gpuE4ELNS1_3repE0EEENS1_30default_config_static_selectorELNS0_4arch9wavefront6targetE1EEEvT1_,comdat
.Lfunc_end509:
	.size	_ZN7rocprim17ROCPRIM_400000_NS6detail17trampoline_kernelINS0_14default_configENS1_20scan_config_selectorIN3c108BFloat16EEEZZNS1_9scan_implILNS1_25lookback_scan_determinismE0ELb0ELb0ES3_PKS6_PS6_S6_ZZZN2at6native31launch_logcumsumexp_cuda_kernelERKNSD_10TensorBaseESH_lENKUlvE_clEvENKUlvE4_clEvEUlS6_S6_E_S6_EEDaPvRmT3_T4_T5_mT6_P12ihipStream_tbENKUlT_T0_E_clISt17integral_constantIbLb0EESX_IbLb1EEEEDaST_SU_EUlST_E_NS1_11comp_targetILNS1_3genE10ELNS1_11target_archE1200ELNS1_3gpuE4ELNS1_3repE0EEENS1_30default_config_static_selectorELNS0_4arch9wavefront6targetE1EEEvT1_, .Lfunc_end509-_ZN7rocprim17ROCPRIM_400000_NS6detail17trampoline_kernelINS0_14default_configENS1_20scan_config_selectorIN3c108BFloat16EEEZZNS1_9scan_implILNS1_25lookback_scan_determinismE0ELb0ELb0ES3_PKS6_PS6_S6_ZZZN2at6native31launch_logcumsumexp_cuda_kernelERKNSD_10TensorBaseESH_lENKUlvE_clEvENKUlvE4_clEvEUlS6_S6_E_S6_EEDaPvRmT3_T4_T5_mT6_P12ihipStream_tbENKUlT_T0_E_clISt17integral_constantIbLb0EESX_IbLb1EEEEDaST_SU_EUlST_E_NS1_11comp_targetILNS1_3genE10ELNS1_11target_archE1200ELNS1_3gpuE4ELNS1_3repE0EEENS1_30default_config_static_selectorELNS0_4arch9wavefront6targetE1EEEvT1_
                                        ; -- End function
	.set _ZN7rocprim17ROCPRIM_400000_NS6detail17trampoline_kernelINS0_14default_configENS1_20scan_config_selectorIN3c108BFloat16EEEZZNS1_9scan_implILNS1_25lookback_scan_determinismE0ELb0ELb0ES3_PKS6_PS6_S6_ZZZN2at6native31launch_logcumsumexp_cuda_kernelERKNSD_10TensorBaseESH_lENKUlvE_clEvENKUlvE4_clEvEUlS6_S6_E_S6_EEDaPvRmT3_T4_T5_mT6_P12ihipStream_tbENKUlT_T0_E_clISt17integral_constantIbLb0EESX_IbLb1EEEEDaST_SU_EUlST_E_NS1_11comp_targetILNS1_3genE10ELNS1_11target_archE1200ELNS1_3gpuE4ELNS1_3repE0EEENS1_30default_config_static_selectorELNS0_4arch9wavefront6targetE1EEEvT1_.num_vgpr, 0
	.set _ZN7rocprim17ROCPRIM_400000_NS6detail17trampoline_kernelINS0_14default_configENS1_20scan_config_selectorIN3c108BFloat16EEEZZNS1_9scan_implILNS1_25lookback_scan_determinismE0ELb0ELb0ES3_PKS6_PS6_S6_ZZZN2at6native31launch_logcumsumexp_cuda_kernelERKNSD_10TensorBaseESH_lENKUlvE_clEvENKUlvE4_clEvEUlS6_S6_E_S6_EEDaPvRmT3_T4_T5_mT6_P12ihipStream_tbENKUlT_T0_E_clISt17integral_constantIbLb0EESX_IbLb1EEEEDaST_SU_EUlST_E_NS1_11comp_targetILNS1_3genE10ELNS1_11target_archE1200ELNS1_3gpuE4ELNS1_3repE0EEENS1_30default_config_static_selectorELNS0_4arch9wavefront6targetE1EEEvT1_.num_agpr, 0
	.set _ZN7rocprim17ROCPRIM_400000_NS6detail17trampoline_kernelINS0_14default_configENS1_20scan_config_selectorIN3c108BFloat16EEEZZNS1_9scan_implILNS1_25lookback_scan_determinismE0ELb0ELb0ES3_PKS6_PS6_S6_ZZZN2at6native31launch_logcumsumexp_cuda_kernelERKNSD_10TensorBaseESH_lENKUlvE_clEvENKUlvE4_clEvEUlS6_S6_E_S6_EEDaPvRmT3_T4_T5_mT6_P12ihipStream_tbENKUlT_T0_E_clISt17integral_constantIbLb0EESX_IbLb1EEEEDaST_SU_EUlST_E_NS1_11comp_targetILNS1_3genE10ELNS1_11target_archE1200ELNS1_3gpuE4ELNS1_3repE0EEENS1_30default_config_static_selectorELNS0_4arch9wavefront6targetE1EEEvT1_.numbered_sgpr, 0
	.set _ZN7rocprim17ROCPRIM_400000_NS6detail17trampoline_kernelINS0_14default_configENS1_20scan_config_selectorIN3c108BFloat16EEEZZNS1_9scan_implILNS1_25lookback_scan_determinismE0ELb0ELb0ES3_PKS6_PS6_S6_ZZZN2at6native31launch_logcumsumexp_cuda_kernelERKNSD_10TensorBaseESH_lENKUlvE_clEvENKUlvE4_clEvEUlS6_S6_E_S6_EEDaPvRmT3_T4_T5_mT6_P12ihipStream_tbENKUlT_T0_E_clISt17integral_constantIbLb0EESX_IbLb1EEEEDaST_SU_EUlST_E_NS1_11comp_targetILNS1_3genE10ELNS1_11target_archE1200ELNS1_3gpuE4ELNS1_3repE0EEENS1_30default_config_static_selectorELNS0_4arch9wavefront6targetE1EEEvT1_.num_named_barrier, 0
	.set _ZN7rocprim17ROCPRIM_400000_NS6detail17trampoline_kernelINS0_14default_configENS1_20scan_config_selectorIN3c108BFloat16EEEZZNS1_9scan_implILNS1_25lookback_scan_determinismE0ELb0ELb0ES3_PKS6_PS6_S6_ZZZN2at6native31launch_logcumsumexp_cuda_kernelERKNSD_10TensorBaseESH_lENKUlvE_clEvENKUlvE4_clEvEUlS6_S6_E_S6_EEDaPvRmT3_T4_T5_mT6_P12ihipStream_tbENKUlT_T0_E_clISt17integral_constantIbLb0EESX_IbLb1EEEEDaST_SU_EUlST_E_NS1_11comp_targetILNS1_3genE10ELNS1_11target_archE1200ELNS1_3gpuE4ELNS1_3repE0EEENS1_30default_config_static_selectorELNS0_4arch9wavefront6targetE1EEEvT1_.private_seg_size, 0
	.set _ZN7rocprim17ROCPRIM_400000_NS6detail17trampoline_kernelINS0_14default_configENS1_20scan_config_selectorIN3c108BFloat16EEEZZNS1_9scan_implILNS1_25lookback_scan_determinismE0ELb0ELb0ES3_PKS6_PS6_S6_ZZZN2at6native31launch_logcumsumexp_cuda_kernelERKNSD_10TensorBaseESH_lENKUlvE_clEvENKUlvE4_clEvEUlS6_S6_E_S6_EEDaPvRmT3_T4_T5_mT6_P12ihipStream_tbENKUlT_T0_E_clISt17integral_constantIbLb0EESX_IbLb1EEEEDaST_SU_EUlST_E_NS1_11comp_targetILNS1_3genE10ELNS1_11target_archE1200ELNS1_3gpuE4ELNS1_3repE0EEENS1_30default_config_static_selectorELNS0_4arch9wavefront6targetE1EEEvT1_.uses_vcc, 0
	.set _ZN7rocprim17ROCPRIM_400000_NS6detail17trampoline_kernelINS0_14default_configENS1_20scan_config_selectorIN3c108BFloat16EEEZZNS1_9scan_implILNS1_25lookback_scan_determinismE0ELb0ELb0ES3_PKS6_PS6_S6_ZZZN2at6native31launch_logcumsumexp_cuda_kernelERKNSD_10TensorBaseESH_lENKUlvE_clEvENKUlvE4_clEvEUlS6_S6_E_S6_EEDaPvRmT3_T4_T5_mT6_P12ihipStream_tbENKUlT_T0_E_clISt17integral_constantIbLb0EESX_IbLb1EEEEDaST_SU_EUlST_E_NS1_11comp_targetILNS1_3genE10ELNS1_11target_archE1200ELNS1_3gpuE4ELNS1_3repE0EEENS1_30default_config_static_selectorELNS0_4arch9wavefront6targetE1EEEvT1_.uses_flat_scratch, 0
	.set _ZN7rocprim17ROCPRIM_400000_NS6detail17trampoline_kernelINS0_14default_configENS1_20scan_config_selectorIN3c108BFloat16EEEZZNS1_9scan_implILNS1_25lookback_scan_determinismE0ELb0ELb0ES3_PKS6_PS6_S6_ZZZN2at6native31launch_logcumsumexp_cuda_kernelERKNSD_10TensorBaseESH_lENKUlvE_clEvENKUlvE4_clEvEUlS6_S6_E_S6_EEDaPvRmT3_T4_T5_mT6_P12ihipStream_tbENKUlT_T0_E_clISt17integral_constantIbLb0EESX_IbLb1EEEEDaST_SU_EUlST_E_NS1_11comp_targetILNS1_3genE10ELNS1_11target_archE1200ELNS1_3gpuE4ELNS1_3repE0EEENS1_30default_config_static_selectorELNS0_4arch9wavefront6targetE1EEEvT1_.has_dyn_sized_stack, 0
	.set _ZN7rocprim17ROCPRIM_400000_NS6detail17trampoline_kernelINS0_14default_configENS1_20scan_config_selectorIN3c108BFloat16EEEZZNS1_9scan_implILNS1_25lookback_scan_determinismE0ELb0ELb0ES3_PKS6_PS6_S6_ZZZN2at6native31launch_logcumsumexp_cuda_kernelERKNSD_10TensorBaseESH_lENKUlvE_clEvENKUlvE4_clEvEUlS6_S6_E_S6_EEDaPvRmT3_T4_T5_mT6_P12ihipStream_tbENKUlT_T0_E_clISt17integral_constantIbLb0EESX_IbLb1EEEEDaST_SU_EUlST_E_NS1_11comp_targetILNS1_3genE10ELNS1_11target_archE1200ELNS1_3gpuE4ELNS1_3repE0EEENS1_30default_config_static_selectorELNS0_4arch9wavefront6targetE1EEEvT1_.has_recursion, 0
	.set _ZN7rocprim17ROCPRIM_400000_NS6detail17trampoline_kernelINS0_14default_configENS1_20scan_config_selectorIN3c108BFloat16EEEZZNS1_9scan_implILNS1_25lookback_scan_determinismE0ELb0ELb0ES3_PKS6_PS6_S6_ZZZN2at6native31launch_logcumsumexp_cuda_kernelERKNSD_10TensorBaseESH_lENKUlvE_clEvENKUlvE4_clEvEUlS6_S6_E_S6_EEDaPvRmT3_T4_T5_mT6_P12ihipStream_tbENKUlT_T0_E_clISt17integral_constantIbLb0EESX_IbLb1EEEEDaST_SU_EUlST_E_NS1_11comp_targetILNS1_3genE10ELNS1_11target_archE1200ELNS1_3gpuE4ELNS1_3repE0EEENS1_30default_config_static_selectorELNS0_4arch9wavefront6targetE1EEEvT1_.has_indirect_call, 0
	.section	.AMDGPU.csdata,"",@progbits
; Kernel info:
; codeLenInByte = 0
; TotalNumSgprs: 6
; NumVgprs: 0
; NumAgprs: 0
; TotalNumVgprs: 0
; ScratchSize: 0
; MemoryBound: 0
; FloatMode: 240
; IeeeMode: 1
; LDSByteSize: 0 bytes/workgroup (compile time only)
; SGPRBlocks: 0
; VGPRBlocks: 0
; NumSGPRsForWavesPerEU: 6
; NumVGPRsForWavesPerEU: 1
; AccumOffset: 4
; Occupancy: 8
; WaveLimiterHint : 0
; COMPUTE_PGM_RSRC2:SCRATCH_EN: 0
; COMPUTE_PGM_RSRC2:USER_SGPR: 2
; COMPUTE_PGM_RSRC2:TRAP_HANDLER: 0
; COMPUTE_PGM_RSRC2:TGID_X_EN: 1
; COMPUTE_PGM_RSRC2:TGID_Y_EN: 0
; COMPUTE_PGM_RSRC2:TGID_Z_EN: 0
; COMPUTE_PGM_RSRC2:TIDIG_COMP_CNT: 0
; COMPUTE_PGM_RSRC3_GFX90A:ACCUM_OFFSET: 0
; COMPUTE_PGM_RSRC3_GFX90A:TG_SPLIT: 0
	.section	.text._ZN7rocprim17ROCPRIM_400000_NS6detail17trampoline_kernelINS0_14default_configENS1_20scan_config_selectorIN3c108BFloat16EEEZZNS1_9scan_implILNS1_25lookback_scan_determinismE0ELb0ELb0ES3_PKS6_PS6_S6_ZZZN2at6native31launch_logcumsumexp_cuda_kernelERKNSD_10TensorBaseESH_lENKUlvE_clEvENKUlvE4_clEvEUlS6_S6_E_S6_EEDaPvRmT3_T4_T5_mT6_P12ihipStream_tbENKUlT_T0_E_clISt17integral_constantIbLb0EESX_IbLb1EEEEDaST_SU_EUlST_E_NS1_11comp_targetILNS1_3genE9ELNS1_11target_archE1100ELNS1_3gpuE3ELNS1_3repE0EEENS1_30default_config_static_selectorELNS0_4arch9wavefront6targetE1EEEvT1_,"axG",@progbits,_ZN7rocprim17ROCPRIM_400000_NS6detail17trampoline_kernelINS0_14default_configENS1_20scan_config_selectorIN3c108BFloat16EEEZZNS1_9scan_implILNS1_25lookback_scan_determinismE0ELb0ELb0ES3_PKS6_PS6_S6_ZZZN2at6native31launch_logcumsumexp_cuda_kernelERKNSD_10TensorBaseESH_lENKUlvE_clEvENKUlvE4_clEvEUlS6_S6_E_S6_EEDaPvRmT3_T4_T5_mT6_P12ihipStream_tbENKUlT_T0_E_clISt17integral_constantIbLb0EESX_IbLb1EEEEDaST_SU_EUlST_E_NS1_11comp_targetILNS1_3genE9ELNS1_11target_archE1100ELNS1_3gpuE3ELNS1_3repE0EEENS1_30default_config_static_selectorELNS0_4arch9wavefront6targetE1EEEvT1_,comdat
	.globl	_ZN7rocprim17ROCPRIM_400000_NS6detail17trampoline_kernelINS0_14default_configENS1_20scan_config_selectorIN3c108BFloat16EEEZZNS1_9scan_implILNS1_25lookback_scan_determinismE0ELb0ELb0ES3_PKS6_PS6_S6_ZZZN2at6native31launch_logcumsumexp_cuda_kernelERKNSD_10TensorBaseESH_lENKUlvE_clEvENKUlvE4_clEvEUlS6_S6_E_S6_EEDaPvRmT3_T4_T5_mT6_P12ihipStream_tbENKUlT_T0_E_clISt17integral_constantIbLb0EESX_IbLb1EEEEDaST_SU_EUlST_E_NS1_11comp_targetILNS1_3genE9ELNS1_11target_archE1100ELNS1_3gpuE3ELNS1_3repE0EEENS1_30default_config_static_selectorELNS0_4arch9wavefront6targetE1EEEvT1_ ; -- Begin function _ZN7rocprim17ROCPRIM_400000_NS6detail17trampoline_kernelINS0_14default_configENS1_20scan_config_selectorIN3c108BFloat16EEEZZNS1_9scan_implILNS1_25lookback_scan_determinismE0ELb0ELb0ES3_PKS6_PS6_S6_ZZZN2at6native31launch_logcumsumexp_cuda_kernelERKNSD_10TensorBaseESH_lENKUlvE_clEvENKUlvE4_clEvEUlS6_S6_E_S6_EEDaPvRmT3_T4_T5_mT6_P12ihipStream_tbENKUlT_T0_E_clISt17integral_constantIbLb0EESX_IbLb1EEEEDaST_SU_EUlST_E_NS1_11comp_targetILNS1_3genE9ELNS1_11target_archE1100ELNS1_3gpuE3ELNS1_3repE0EEENS1_30default_config_static_selectorELNS0_4arch9wavefront6targetE1EEEvT1_
	.p2align	8
	.type	_ZN7rocprim17ROCPRIM_400000_NS6detail17trampoline_kernelINS0_14default_configENS1_20scan_config_selectorIN3c108BFloat16EEEZZNS1_9scan_implILNS1_25lookback_scan_determinismE0ELb0ELb0ES3_PKS6_PS6_S6_ZZZN2at6native31launch_logcumsumexp_cuda_kernelERKNSD_10TensorBaseESH_lENKUlvE_clEvENKUlvE4_clEvEUlS6_S6_E_S6_EEDaPvRmT3_T4_T5_mT6_P12ihipStream_tbENKUlT_T0_E_clISt17integral_constantIbLb0EESX_IbLb1EEEEDaST_SU_EUlST_E_NS1_11comp_targetILNS1_3genE9ELNS1_11target_archE1100ELNS1_3gpuE3ELNS1_3repE0EEENS1_30default_config_static_selectorELNS0_4arch9wavefront6targetE1EEEvT1_,@function
_ZN7rocprim17ROCPRIM_400000_NS6detail17trampoline_kernelINS0_14default_configENS1_20scan_config_selectorIN3c108BFloat16EEEZZNS1_9scan_implILNS1_25lookback_scan_determinismE0ELb0ELb0ES3_PKS6_PS6_S6_ZZZN2at6native31launch_logcumsumexp_cuda_kernelERKNSD_10TensorBaseESH_lENKUlvE_clEvENKUlvE4_clEvEUlS6_S6_E_S6_EEDaPvRmT3_T4_T5_mT6_P12ihipStream_tbENKUlT_T0_E_clISt17integral_constantIbLb0EESX_IbLb1EEEEDaST_SU_EUlST_E_NS1_11comp_targetILNS1_3genE9ELNS1_11target_archE1100ELNS1_3gpuE3ELNS1_3repE0EEENS1_30default_config_static_selectorELNS0_4arch9wavefront6targetE1EEEvT1_: ; @_ZN7rocprim17ROCPRIM_400000_NS6detail17trampoline_kernelINS0_14default_configENS1_20scan_config_selectorIN3c108BFloat16EEEZZNS1_9scan_implILNS1_25lookback_scan_determinismE0ELb0ELb0ES3_PKS6_PS6_S6_ZZZN2at6native31launch_logcumsumexp_cuda_kernelERKNSD_10TensorBaseESH_lENKUlvE_clEvENKUlvE4_clEvEUlS6_S6_E_S6_EEDaPvRmT3_T4_T5_mT6_P12ihipStream_tbENKUlT_T0_E_clISt17integral_constantIbLb0EESX_IbLb1EEEEDaST_SU_EUlST_E_NS1_11comp_targetILNS1_3genE9ELNS1_11target_archE1100ELNS1_3gpuE3ELNS1_3repE0EEENS1_30default_config_static_selectorELNS0_4arch9wavefront6targetE1EEEvT1_
; %bb.0:
	.section	.rodata,"a",@progbits
	.p2align	6, 0x0
	.amdhsa_kernel _ZN7rocprim17ROCPRIM_400000_NS6detail17trampoline_kernelINS0_14default_configENS1_20scan_config_selectorIN3c108BFloat16EEEZZNS1_9scan_implILNS1_25lookback_scan_determinismE0ELb0ELb0ES3_PKS6_PS6_S6_ZZZN2at6native31launch_logcumsumexp_cuda_kernelERKNSD_10TensorBaseESH_lENKUlvE_clEvENKUlvE4_clEvEUlS6_S6_E_S6_EEDaPvRmT3_T4_T5_mT6_P12ihipStream_tbENKUlT_T0_E_clISt17integral_constantIbLb0EESX_IbLb1EEEEDaST_SU_EUlST_E_NS1_11comp_targetILNS1_3genE9ELNS1_11target_archE1100ELNS1_3gpuE3ELNS1_3repE0EEENS1_30default_config_static_selectorELNS0_4arch9wavefront6targetE1EEEvT1_
		.amdhsa_group_segment_fixed_size 0
		.amdhsa_private_segment_fixed_size 0
		.amdhsa_kernarg_size 96
		.amdhsa_user_sgpr_count 2
		.amdhsa_user_sgpr_dispatch_ptr 0
		.amdhsa_user_sgpr_queue_ptr 0
		.amdhsa_user_sgpr_kernarg_segment_ptr 1
		.amdhsa_user_sgpr_dispatch_id 0
		.amdhsa_user_sgpr_kernarg_preload_length 0
		.amdhsa_user_sgpr_kernarg_preload_offset 0
		.amdhsa_user_sgpr_private_segment_size 0
		.amdhsa_uses_dynamic_stack 0
		.amdhsa_enable_private_segment 0
		.amdhsa_system_sgpr_workgroup_id_x 1
		.amdhsa_system_sgpr_workgroup_id_y 0
		.amdhsa_system_sgpr_workgroup_id_z 0
		.amdhsa_system_sgpr_workgroup_info 0
		.amdhsa_system_vgpr_workitem_id 0
		.amdhsa_next_free_vgpr 1
		.amdhsa_next_free_sgpr 0
		.amdhsa_accum_offset 4
		.amdhsa_reserve_vcc 0
		.amdhsa_float_round_mode_32 0
		.amdhsa_float_round_mode_16_64 0
		.amdhsa_float_denorm_mode_32 3
		.amdhsa_float_denorm_mode_16_64 3
		.amdhsa_dx10_clamp 1
		.amdhsa_ieee_mode 1
		.amdhsa_fp16_overflow 0
		.amdhsa_tg_split 0
		.amdhsa_exception_fp_ieee_invalid_op 0
		.amdhsa_exception_fp_denorm_src 0
		.amdhsa_exception_fp_ieee_div_zero 0
		.amdhsa_exception_fp_ieee_overflow 0
		.amdhsa_exception_fp_ieee_underflow 0
		.amdhsa_exception_fp_ieee_inexact 0
		.amdhsa_exception_int_div_zero 0
	.end_amdhsa_kernel
	.section	.text._ZN7rocprim17ROCPRIM_400000_NS6detail17trampoline_kernelINS0_14default_configENS1_20scan_config_selectorIN3c108BFloat16EEEZZNS1_9scan_implILNS1_25lookback_scan_determinismE0ELb0ELb0ES3_PKS6_PS6_S6_ZZZN2at6native31launch_logcumsumexp_cuda_kernelERKNSD_10TensorBaseESH_lENKUlvE_clEvENKUlvE4_clEvEUlS6_S6_E_S6_EEDaPvRmT3_T4_T5_mT6_P12ihipStream_tbENKUlT_T0_E_clISt17integral_constantIbLb0EESX_IbLb1EEEEDaST_SU_EUlST_E_NS1_11comp_targetILNS1_3genE9ELNS1_11target_archE1100ELNS1_3gpuE3ELNS1_3repE0EEENS1_30default_config_static_selectorELNS0_4arch9wavefront6targetE1EEEvT1_,"axG",@progbits,_ZN7rocprim17ROCPRIM_400000_NS6detail17trampoline_kernelINS0_14default_configENS1_20scan_config_selectorIN3c108BFloat16EEEZZNS1_9scan_implILNS1_25lookback_scan_determinismE0ELb0ELb0ES3_PKS6_PS6_S6_ZZZN2at6native31launch_logcumsumexp_cuda_kernelERKNSD_10TensorBaseESH_lENKUlvE_clEvENKUlvE4_clEvEUlS6_S6_E_S6_EEDaPvRmT3_T4_T5_mT6_P12ihipStream_tbENKUlT_T0_E_clISt17integral_constantIbLb0EESX_IbLb1EEEEDaST_SU_EUlST_E_NS1_11comp_targetILNS1_3genE9ELNS1_11target_archE1100ELNS1_3gpuE3ELNS1_3repE0EEENS1_30default_config_static_selectorELNS0_4arch9wavefront6targetE1EEEvT1_,comdat
.Lfunc_end510:
	.size	_ZN7rocprim17ROCPRIM_400000_NS6detail17trampoline_kernelINS0_14default_configENS1_20scan_config_selectorIN3c108BFloat16EEEZZNS1_9scan_implILNS1_25lookback_scan_determinismE0ELb0ELb0ES3_PKS6_PS6_S6_ZZZN2at6native31launch_logcumsumexp_cuda_kernelERKNSD_10TensorBaseESH_lENKUlvE_clEvENKUlvE4_clEvEUlS6_S6_E_S6_EEDaPvRmT3_T4_T5_mT6_P12ihipStream_tbENKUlT_T0_E_clISt17integral_constantIbLb0EESX_IbLb1EEEEDaST_SU_EUlST_E_NS1_11comp_targetILNS1_3genE9ELNS1_11target_archE1100ELNS1_3gpuE3ELNS1_3repE0EEENS1_30default_config_static_selectorELNS0_4arch9wavefront6targetE1EEEvT1_, .Lfunc_end510-_ZN7rocprim17ROCPRIM_400000_NS6detail17trampoline_kernelINS0_14default_configENS1_20scan_config_selectorIN3c108BFloat16EEEZZNS1_9scan_implILNS1_25lookback_scan_determinismE0ELb0ELb0ES3_PKS6_PS6_S6_ZZZN2at6native31launch_logcumsumexp_cuda_kernelERKNSD_10TensorBaseESH_lENKUlvE_clEvENKUlvE4_clEvEUlS6_S6_E_S6_EEDaPvRmT3_T4_T5_mT6_P12ihipStream_tbENKUlT_T0_E_clISt17integral_constantIbLb0EESX_IbLb1EEEEDaST_SU_EUlST_E_NS1_11comp_targetILNS1_3genE9ELNS1_11target_archE1100ELNS1_3gpuE3ELNS1_3repE0EEENS1_30default_config_static_selectorELNS0_4arch9wavefront6targetE1EEEvT1_
                                        ; -- End function
	.set _ZN7rocprim17ROCPRIM_400000_NS6detail17trampoline_kernelINS0_14default_configENS1_20scan_config_selectorIN3c108BFloat16EEEZZNS1_9scan_implILNS1_25lookback_scan_determinismE0ELb0ELb0ES3_PKS6_PS6_S6_ZZZN2at6native31launch_logcumsumexp_cuda_kernelERKNSD_10TensorBaseESH_lENKUlvE_clEvENKUlvE4_clEvEUlS6_S6_E_S6_EEDaPvRmT3_T4_T5_mT6_P12ihipStream_tbENKUlT_T0_E_clISt17integral_constantIbLb0EESX_IbLb1EEEEDaST_SU_EUlST_E_NS1_11comp_targetILNS1_3genE9ELNS1_11target_archE1100ELNS1_3gpuE3ELNS1_3repE0EEENS1_30default_config_static_selectorELNS0_4arch9wavefront6targetE1EEEvT1_.num_vgpr, 0
	.set _ZN7rocprim17ROCPRIM_400000_NS6detail17trampoline_kernelINS0_14default_configENS1_20scan_config_selectorIN3c108BFloat16EEEZZNS1_9scan_implILNS1_25lookback_scan_determinismE0ELb0ELb0ES3_PKS6_PS6_S6_ZZZN2at6native31launch_logcumsumexp_cuda_kernelERKNSD_10TensorBaseESH_lENKUlvE_clEvENKUlvE4_clEvEUlS6_S6_E_S6_EEDaPvRmT3_T4_T5_mT6_P12ihipStream_tbENKUlT_T0_E_clISt17integral_constantIbLb0EESX_IbLb1EEEEDaST_SU_EUlST_E_NS1_11comp_targetILNS1_3genE9ELNS1_11target_archE1100ELNS1_3gpuE3ELNS1_3repE0EEENS1_30default_config_static_selectorELNS0_4arch9wavefront6targetE1EEEvT1_.num_agpr, 0
	.set _ZN7rocprim17ROCPRIM_400000_NS6detail17trampoline_kernelINS0_14default_configENS1_20scan_config_selectorIN3c108BFloat16EEEZZNS1_9scan_implILNS1_25lookback_scan_determinismE0ELb0ELb0ES3_PKS6_PS6_S6_ZZZN2at6native31launch_logcumsumexp_cuda_kernelERKNSD_10TensorBaseESH_lENKUlvE_clEvENKUlvE4_clEvEUlS6_S6_E_S6_EEDaPvRmT3_T4_T5_mT6_P12ihipStream_tbENKUlT_T0_E_clISt17integral_constantIbLb0EESX_IbLb1EEEEDaST_SU_EUlST_E_NS1_11comp_targetILNS1_3genE9ELNS1_11target_archE1100ELNS1_3gpuE3ELNS1_3repE0EEENS1_30default_config_static_selectorELNS0_4arch9wavefront6targetE1EEEvT1_.numbered_sgpr, 0
	.set _ZN7rocprim17ROCPRIM_400000_NS6detail17trampoline_kernelINS0_14default_configENS1_20scan_config_selectorIN3c108BFloat16EEEZZNS1_9scan_implILNS1_25lookback_scan_determinismE0ELb0ELb0ES3_PKS6_PS6_S6_ZZZN2at6native31launch_logcumsumexp_cuda_kernelERKNSD_10TensorBaseESH_lENKUlvE_clEvENKUlvE4_clEvEUlS6_S6_E_S6_EEDaPvRmT3_T4_T5_mT6_P12ihipStream_tbENKUlT_T0_E_clISt17integral_constantIbLb0EESX_IbLb1EEEEDaST_SU_EUlST_E_NS1_11comp_targetILNS1_3genE9ELNS1_11target_archE1100ELNS1_3gpuE3ELNS1_3repE0EEENS1_30default_config_static_selectorELNS0_4arch9wavefront6targetE1EEEvT1_.num_named_barrier, 0
	.set _ZN7rocprim17ROCPRIM_400000_NS6detail17trampoline_kernelINS0_14default_configENS1_20scan_config_selectorIN3c108BFloat16EEEZZNS1_9scan_implILNS1_25lookback_scan_determinismE0ELb0ELb0ES3_PKS6_PS6_S6_ZZZN2at6native31launch_logcumsumexp_cuda_kernelERKNSD_10TensorBaseESH_lENKUlvE_clEvENKUlvE4_clEvEUlS6_S6_E_S6_EEDaPvRmT3_T4_T5_mT6_P12ihipStream_tbENKUlT_T0_E_clISt17integral_constantIbLb0EESX_IbLb1EEEEDaST_SU_EUlST_E_NS1_11comp_targetILNS1_3genE9ELNS1_11target_archE1100ELNS1_3gpuE3ELNS1_3repE0EEENS1_30default_config_static_selectorELNS0_4arch9wavefront6targetE1EEEvT1_.private_seg_size, 0
	.set _ZN7rocprim17ROCPRIM_400000_NS6detail17trampoline_kernelINS0_14default_configENS1_20scan_config_selectorIN3c108BFloat16EEEZZNS1_9scan_implILNS1_25lookback_scan_determinismE0ELb0ELb0ES3_PKS6_PS6_S6_ZZZN2at6native31launch_logcumsumexp_cuda_kernelERKNSD_10TensorBaseESH_lENKUlvE_clEvENKUlvE4_clEvEUlS6_S6_E_S6_EEDaPvRmT3_T4_T5_mT6_P12ihipStream_tbENKUlT_T0_E_clISt17integral_constantIbLb0EESX_IbLb1EEEEDaST_SU_EUlST_E_NS1_11comp_targetILNS1_3genE9ELNS1_11target_archE1100ELNS1_3gpuE3ELNS1_3repE0EEENS1_30default_config_static_selectorELNS0_4arch9wavefront6targetE1EEEvT1_.uses_vcc, 0
	.set _ZN7rocprim17ROCPRIM_400000_NS6detail17trampoline_kernelINS0_14default_configENS1_20scan_config_selectorIN3c108BFloat16EEEZZNS1_9scan_implILNS1_25lookback_scan_determinismE0ELb0ELb0ES3_PKS6_PS6_S6_ZZZN2at6native31launch_logcumsumexp_cuda_kernelERKNSD_10TensorBaseESH_lENKUlvE_clEvENKUlvE4_clEvEUlS6_S6_E_S6_EEDaPvRmT3_T4_T5_mT6_P12ihipStream_tbENKUlT_T0_E_clISt17integral_constantIbLb0EESX_IbLb1EEEEDaST_SU_EUlST_E_NS1_11comp_targetILNS1_3genE9ELNS1_11target_archE1100ELNS1_3gpuE3ELNS1_3repE0EEENS1_30default_config_static_selectorELNS0_4arch9wavefront6targetE1EEEvT1_.uses_flat_scratch, 0
	.set _ZN7rocprim17ROCPRIM_400000_NS6detail17trampoline_kernelINS0_14default_configENS1_20scan_config_selectorIN3c108BFloat16EEEZZNS1_9scan_implILNS1_25lookback_scan_determinismE0ELb0ELb0ES3_PKS6_PS6_S6_ZZZN2at6native31launch_logcumsumexp_cuda_kernelERKNSD_10TensorBaseESH_lENKUlvE_clEvENKUlvE4_clEvEUlS6_S6_E_S6_EEDaPvRmT3_T4_T5_mT6_P12ihipStream_tbENKUlT_T0_E_clISt17integral_constantIbLb0EESX_IbLb1EEEEDaST_SU_EUlST_E_NS1_11comp_targetILNS1_3genE9ELNS1_11target_archE1100ELNS1_3gpuE3ELNS1_3repE0EEENS1_30default_config_static_selectorELNS0_4arch9wavefront6targetE1EEEvT1_.has_dyn_sized_stack, 0
	.set _ZN7rocprim17ROCPRIM_400000_NS6detail17trampoline_kernelINS0_14default_configENS1_20scan_config_selectorIN3c108BFloat16EEEZZNS1_9scan_implILNS1_25lookback_scan_determinismE0ELb0ELb0ES3_PKS6_PS6_S6_ZZZN2at6native31launch_logcumsumexp_cuda_kernelERKNSD_10TensorBaseESH_lENKUlvE_clEvENKUlvE4_clEvEUlS6_S6_E_S6_EEDaPvRmT3_T4_T5_mT6_P12ihipStream_tbENKUlT_T0_E_clISt17integral_constantIbLb0EESX_IbLb1EEEEDaST_SU_EUlST_E_NS1_11comp_targetILNS1_3genE9ELNS1_11target_archE1100ELNS1_3gpuE3ELNS1_3repE0EEENS1_30default_config_static_selectorELNS0_4arch9wavefront6targetE1EEEvT1_.has_recursion, 0
	.set _ZN7rocprim17ROCPRIM_400000_NS6detail17trampoline_kernelINS0_14default_configENS1_20scan_config_selectorIN3c108BFloat16EEEZZNS1_9scan_implILNS1_25lookback_scan_determinismE0ELb0ELb0ES3_PKS6_PS6_S6_ZZZN2at6native31launch_logcumsumexp_cuda_kernelERKNSD_10TensorBaseESH_lENKUlvE_clEvENKUlvE4_clEvEUlS6_S6_E_S6_EEDaPvRmT3_T4_T5_mT6_P12ihipStream_tbENKUlT_T0_E_clISt17integral_constantIbLb0EESX_IbLb1EEEEDaST_SU_EUlST_E_NS1_11comp_targetILNS1_3genE9ELNS1_11target_archE1100ELNS1_3gpuE3ELNS1_3repE0EEENS1_30default_config_static_selectorELNS0_4arch9wavefront6targetE1EEEvT1_.has_indirect_call, 0
	.section	.AMDGPU.csdata,"",@progbits
; Kernel info:
; codeLenInByte = 0
; TotalNumSgprs: 6
; NumVgprs: 0
; NumAgprs: 0
; TotalNumVgprs: 0
; ScratchSize: 0
; MemoryBound: 0
; FloatMode: 240
; IeeeMode: 1
; LDSByteSize: 0 bytes/workgroup (compile time only)
; SGPRBlocks: 0
; VGPRBlocks: 0
; NumSGPRsForWavesPerEU: 6
; NumVGPRsForWavesPerEU: 1
; AccumOffset: 4
; Occupancy: 8
; WaveLimiterHint : 0
; COMPUTE_PGM_RSRC2:SCRATCH_EN: 0
; COMPUTE_PGM_RSRC2:USER_SGPR: 2
; COMPUTE_PGM_RSRC2:TRAP_HANDLER: 0
; COMPUTE_PGM_RSRC2:TGID_X_EN: 1
; COMPUTE_PGM_RSRC2:TGID_Y_EN: 0
; COMPUTE_PGM_RSRC2:TGID_Z_EN: 0
; COMPUTE_PGM_RSRC2:TIDIG_COMP_CNT: 0
; COMPUTE_PGM_RSRC3_GFX90A:ACCUM_OFFSET: 0
; COMPUTE_PGM_RSRC3_GFX90A:TG_SPLIT: 0
	.section	.text._ZN7rocprim17ROCPRIM_400000_NS6detail17trampoline_kernelINS0_14default_configENS1_20scan_config_selectorIN3c108BFloat16EEEZZNS1_9scan_implILNS1_25lookback_scan_determinismE0ELb0ELb0ES3_PKS6_PS6_S6_ZZZN2at6native31launch_logcumsumexp_cuda_kernelERKNSD_10TensorBaseESH_lENKUlvE_clEvENKUlvE4_clEvEUlS6_S6_E_S6_EEDaPvRmT3_T4_T5_mT6_P12ihipStream_tbENKUlT_T0_E_clISt17integral_constantIbLb0EESX_IbLb1EEEEDaST_SU_EUlST_E_NS1_11comp_targetILNS1_3genE8ELNS1_11target_archE1030ELNS1_3gpuE2ELNS1_3repE0EEENS1_30default_config_static_selectorELNS0_4arch9wavefront6targetE1EEEvT1_,"axG",@progbits,_ZN7rocprim17ROCPRIM_400000_NS6detail17trampoline_kernelINS0_14default_configENS1_20scan_config_selectorIN3c108BFloat16EEEZZNS1_9scan_implILNS1_25lookback_scan_determinismE0ELb0ELb0ES3_PKS6_PS6_S6_ZZZN2at6native31launch_logcumsumexp_cuda_kernelERKNSD_10TensorBaseESH_lENKUlvE_clEvENKUlvE4_clEvEUlS6_S6_E_S6_EEDaPvRmT3_T4_T5_mT6_P12ihipStream_tbENKUlT_T0_E_clISt17integral_constantIbLb0EESX_IbLb1EEEEDaST_SU_EUlST_E_NS1_11comp_targetILNS1_3genE8ELNS1_11target_archE1030ELNS1_3gpuE2ELNS1_3repE0EEENS1_30default_config_static_selectorELNS0_4arch9wavefront6targetE1EEEvT1_,comdat
	.globl	_ZN7rocprim17ROCPRIM_400000_NS6detail17trampoline_kernelINS0_14default_configENS1_20scan_config_selectorIN3c108BFloat16EEEZZNS1_9scan_implILNS1_25lookback_scan_determinismE0ELb0ELb0ES3_PKS6_PS6_S6_ZZZN2at6native31launch_logcumsumexp_cuda_kernelERKNSD_10TensorBaseESH_lENKUlvE_clEvENKUlvE4_clEvEUlS6_S6_E_S6_EEDaPvRmT3_T4_T5_mT6_P12ihipStream_tbENKUlT_T0_E_clISt17integral_constantIbLb0EESX_IbLb1EEEEDaST_SU_EUlST_E_NS1_11comp_targetILNS1_3genE8ELNS1_11target_archE1030ELNS1_3gpuE2ELNS1_3repE0EEENS1_30default_config_static_selectorELNS0_4arch9wavefront6targetE1EEEvT1_ ; -- Begin function _ZN7rocprim17ROCPRIM_400000_NS6detail17trampoline_kernelINS0_14default_configENS1_20scan_config_selectorIN3c108BFloat16EEEZZNS1_9scan_implILNS1_25lookback_scan_determinismE0ELb0ELb0ES3_PKS6_PS6_S6_ZZZN2at6native31launch_logcumsumexp_cuda_kernelERKNSD_10TensorBaseESH_lENKUlvE_clEvENKUlvE4_clEvEUlS6_S6_E_S6_EEDaPvRmT3_T4_T5_mT6_P12ihipStream_tbENKUlT_T0_E_clISt17integral_constantIbLb0EESX_IbLb1EEEEDaST_SU_EUlST_E_NS1_11comp_targetILNS1_3genE8ELNS1_11target_archE1030ELNS1_3gpuE2ELNS1_3repE0EEENS1_30default_config_static_selectorELNS0_4arch9wavefront6targetE1EEEvT1_
	.p2align	8
	.type	_ZN7rocprim17ROCPRIM_400000_NS6detail17trampoline_kernelINS0_14default_configENS1_20scan_config_selectorIN3c108BFloat16EEEZZNS1_9scan_implILNS1_25lookback_scan_determinismE0ELb0ELb0ES3_PKS6_PS6_S6_ZZZN2at6native31launch_logcumsumexp_cuda_kernelERKNSD_10TensorBaseESH_lENKUlvE_clEvENKUlvE4_clEvEUlS6_S6_E_S6_EEDaPvRmT3_T4_T5_mT6_P12ihipStream_tbENKUlT_T0_E_clISt17integral_constantIbLb0EESX_IbLb1EEEEDaST_SU_EUlST_E_NS1_11comp_targetILNS1_3genE8ELNS1_11target_archE1030ELNS1_3gpuE2ELNS1_3repE0EEENS1_30default_config_static_selectorELNS0_4arch9wavefront6targetE1EEEvT1_,@function
_ZN7rocprim17ROCPRIM_400000_NS6detail17trampoline_kernelINS0_14default_configENS1_20scan_config_selectorIN3c108BFloat16EEEZZNS1_9scan_implILNS1_25lookback_scan_determinismE0ELb0ELb0ES3_PKS6_PS6_S6_ZZZN2at6native31launch_logcumsumexp_cuda_kernelERKNSD_10TensorBaseESH_lENKUlvE_clEvENKUlvE4_clEvEUlS6_S6_E_S6_EEDaPvRmT3_T4_T5_mT6_P12ihipStream_tbENKUlT_T0_E_clISt17integral_constantIbLb0EESX_IbLb1EEEEDaST_SU_EUlST_E_NS1_11comp_targetILNS1_3genE8ELNS1_11target_archE1030ELNS1_3gpuE2ELNS1_3repE0EEENS1_30default_config_static_selectorELNS0_4arch9wavefront6targetE1EEEvT1_: ; @_ZN7rocprim17ROCPRIM_400000_NS6detail17trampoline_kernelINS0_14default_configENS1_20scan_config_selectorIN3c108BFloat16EEEZZNS1_9scan_implILNS1_25lookback_scan_determinismE0ELb0ELb0ES3_PKS6_PS6_S6_ZZZN2at6native31launch_logcumsumexp_cuda_kernelERKNSD_10TensorBaseESH_lENKUlvE_clEvENKUlvE4_clEvEUlS6_S6_E_S6_EEDaPvRmT3_T4_T5_mT6_P12ihipStream_tbENKUlT_T0_E_clISt17integral_constantIbLb0EESX_IbLb1EEEEDaST_SU_EUlST_E_NS1_11comp_targetILNS1_3genE8ELNS1_11target_archE1030ELNS1_3gpuE2ELNS1_3repE0EEENS1_30default_config_static_selectorELNS0_4arch9wavefront6targetE1EEEvT1_
; %bb.0:
	.section	.rodata,"a",@progbits
	.p2align	6, 0x0
	.amdhsa_kernel _ZN7rocprim17ROCPRIM_400000_NS6detail17trampoline_kernelINS0_14default_configENS1_20scan_config_selectorIN3c108BFloat16EEEZZNS1_9scan_implILNS1_25lookback_scan_determinismE0ELb0ELb0ES3_PKS6_PS6_S6_ZZZN2at6native31launch_logcumsumexp_cuda_kernelERKNSD_10TensorBaseESH_lENKUlvE_clEvENKUlvE4_clEvEUlS6_S6_E_S6_EEDaPvRmT3_T4_T5_mT6_P12ihipStream_tbENKUlT_T0_E_clISt17integral_constantIbLb0EESX_IbLb1EEEEDaST_SU_EUlST_E_NS1_11comp_targetILNS1_3genE8ELNS1_11target_archE1030ELNS1_3gpuE2ELNS1_3repE0EEENS1_30default_config_static_selectorELNS0_4arch9wavefront6targetE1EEEvT1_
		.amdhsa_group_segment_fixed_size 0
		.amdhsa_private_segment_fixed_size 0
		.amdhsa_kernarg_size 96
		.amdhsa_user_sgpr_count 2
		.amdhsa_user_sgpr_dispatch_ptr 0
		.amdhsa_user_sgpr_queue_ptr 0
		.amdhsa_user_sgpr_kernarg_segment_ptr 1
		.amdhsa_user_sgpr_dispatch_id 0
		.amdhsa_user_sgpr_kernarg_preload_length 0
		.amdhsa_user_sgpr_kernarg_preload_offset 0
		.amdhsa_user_sgpr_private_segment_size 0
		.amdhsa_uses_dynamic_stack 0
		.amdhsa_enable_private_segment 0
		.amdhsa_system_sgpr_workgroup_id_x 1
		.amdhsa_system_sgpr_workgroup_id_y 0
		.amdhsa_system_sgpr_workgroup_id_z 0
		.amdhsa_system_sgpr_workgroup_info 0
		.amdhsa_system_vgpr_workitem_id 0
		.amdhsa_next_free_vgpr 1
		.amdhsa_next_free_sgpr 0
		.amdhsa_accum_offset 4
		.amdhsa_reserve_vcc 0
		.amdhsa_float_round_mode_32 0
		.amdhsa_float_round_mode_16_64 0
		.amdhsa_float_denorm_mode_32 3
		.amdhsa_float_denorm_mode_16_64 3
		.amdhsa_dx10_clamp 1
		.amdhsa_ieee_mode 1
		.amdhsa_fp16_overflow 0
		.amdhsa_tg_split 0
		.amdhsa_exception_fp_ieee_invalid_op 0
		.amdhsa_exception_fp_denorm_src 0
		.amdhsa_exception_fp_ieee_div_zero 0
		.amdhsa_exception_fp_ieee_overflow 0
		.amdhsa_exception_fp_ieee_underflow 0
		.amdhsa_exception_fp_ieee_inexact 0
		.amdhsa_exception_int_div_zero 0
	.end_amdhsa_kernel
	.section	.text._ZN7rocprim17ROCPRIM_400000_NS6detail17trampoline_kernelINS0_14default_configENS1_20scan_config_selectorIN3c108BFloat16EEEZZNS1_9scan_implILNS1_25lookback_scan_determinismE0ELb0ELb0ES3_PKS6_PS6_S6_ZZZN2at6native31launch_logcumsumexp_cuda_kernelERKNSD_10TensorBaseESH_lENKUlvE_clEvENKUlvE4_clEvEUlS6_S6_E_S6_EEDaPvRmT3_T4_T5_mT6_P12ihipStream_tbENKUlT_T0_E_clISt17integral_constantIbLb0EESX_IbLb1EEEEDaST_SU_EUlST_E_NS1_11comp_targetILNS1_3genE8ELNS1_11target_archE1030ELNS1_3gpuE2ELNS1_3repE0EEENS1_30default_config_static_selectorELNS0_4arch9wavefront6targetE1EEEvT1_,"axG",@progbits,_ZN7rocprim17ROCPRIM_400000_NS6detail17trampoline_kernelINS0_14default_configENS1_20scan_config_selectorIN3c108BFloat16EEEZZNS1_9scan_implILNS1_25lookback_scan_determinismE0ELb0ELb0ES3_PKS6_PS6_S6_ZZZN2at6native31launch_logcumsumexp_cuda_kernelERKNSD_10TensorBaseESH_lENKUlvE_clEvENKUlvE4_clEvEUlS6_S6_E_S6_EEDaPvRmT3_T4_T5_mT6_P12ihipStream_tbENKUlT_T0_E_clISt17integral_constantIbLb0EESX_IbLb1EEEEDaST_SU_EUlST_E_NS1_11comp_targetILNS1_3genE8ELNS1_11target_archE1030ELNS1_3gpuE2ELNS1_3repE0EEENS1_30default_config_static_selectorELNS0_4arch9wavefront6targetE1EEEvT1_,comdat
.Lfunc_end511:
	.size	_ZN7rocprim17ROCPRIM_400000_NS6detail17trampoline_kernelINS0_14default_configENS1_20scan_config_selectorIN3c108BFloat16EEEZZNS1_9scan_implILNS1_25lookback_scan_determinismE0ELb0ELb0ES3_PKS6_PS6_S6_ZZZN2at6native31launch_logcumsumexp_cuda_kernelERKNSD_10TensorBaseESH_lENKUlvE_clEvENKUlvE4_clEvEUlS6_S6_E_S6_EEDaPvRmT3_T4_T5_mT6_P12ihipStream_tbENKUlT_T0_E_clISt17integral_constantIbLb0EESX_IbLb1EEEEDaST_SU_EUlST_E_NS1_11comp_targetILNS1_3genE8ELNS1_11target_archE1030ELNS1_3gpuE2ELNS1_3repE0EEENS1_30default_config_static_selectorELNS0_4arch9wavefront6targetE1EEEvT1_, .Lfunc_end511-_ZN7rocprim17ROCPRIM_400000_NS6detail17trampoline_kernelINS0_14default_configENS1_20scan_config_selectorIN3c108BFloat16EEEZZNS1_9scan_implILNS1_25lookback_scan_determinismE0ELb0ELb0ES3_PKS6_PS6_S6_ZZZN2at6native31launch_logcumsumexp_cuda_kernelERKNSD_10TensorBaseESH_lENKUlvE_clEvENKUlvE4_clEvEUlS6_S6_E_S6_EEDaPvRmT3_T4_T5_mT6_P12ihipStream_tbENKUlT_T0_E_clISt17integral_constantIbLb0EESX_IbLb1EEEEDaST_SU_EUlST_E_NS1_11comp_targetILNS1_3genE8ELNS1_11target_archE1030ELNS1_3gpuE2ELNS1_3repE0EEENS1_30default_config_static_selectorELNS0_4arch9wavefront6targetE1EEEvT1_
                                        ; -- End function
	.set _ZN7rocprim17ROCPRIM_400000_NS6detail17trampoline_kernelINS0_14default_configENS1_20scan_config_selectorIN3c108BFloat16EEEZZNS1_9scan_implILNS1_25lookback_scan_determinismE0ELb0ELb0ES3_PKS6_PS6_S6_ZZZN2at6native31launch_logcumsumexp_cuda_kernelERKNSD_10TensorBaseESH_lENKUlvE_clEvENKUlvE4_clEvEUlS6_S6_E_S6_EEDaPvRmT3_T4_T5_mT6_P12ihipStream_tbENKUlT_T0_E_clISt17integral_constantIbLb0EESX_IbLb1EEEEDaST_SU_EUlST_E_NS1_11comp_targetILNS1_3genE8ELNS1_11target_archE1030ELNS1_3gpuE2ELNS1_3repE0EEENS1_30default_config_static_selectorELNS0_4arch9wavefront6targetE1EEEvT1_.num_vgpr, 0
	.set _ZN7rocprim17ROCPRIM_400000_NS6detail17trampoline_kernelINS0_14default_configENS1_20scan_config_selectorIN3c108BFloat16EEEZZNS1_9scan_implILNS1_25lookback_scan_determinismE0ELb0ELb0ES3_PKS6_PS6_S6_ZZZN2at6native31launch_logcumsumexp_cuda_kernelERKNSD_10TensorBaseESH_lENKUlvE_clEvENKUlvE4_clEvEUlS6_S6_E_S6_EEDaPvRmT3_T4_T5_mT6_P12ihipStream_tbENKUlT_T0_E_clISt17integral_constantIbLb0EESX_IbLb1EEEEDaST_SU_EUlST_E_NS1_11comp_targetILNS1_3genE8ELNS1_11target_archE1030ELNS1_3gpuE2ELNS1_3repE0EEENS1_30default_config_static_selectorELNS0_4arch9wavefront6targetE1EEEvT1_.num_agpr, 0
	.set _ZN7rocprim17ROCPRIM_400000_NS6detail17trampoline_kernelINS0_14default_configENS1_20scan_config_selectorIN3c108BFloat16EEEZZNS1_9scan_implILNS1_25lookback_scan_determinismE0ELb0ELb0ES3_PKS6_PS6_S6_ZZZN2at6native31launch_logcumsumexp_cuda_kernelERKNSD_10TensorBaseESH_lENKUlvE_clEvENKUlvE4_clEvEUlS6_S6_E_S6_EEDaPvRmT3_T4_T5_mT6_P12ihipStream_tbENKUlT_T0_E_clISt17integral_constantIbLb0EESX_IbLb1EEEEDaST_SU_EUlST_E_NS1_11comp_targetILNS1_3genE8ELNS1_11target_archE1030ELNS1_3gpuE2ELNS1_3repE0EEENS1_30default_config_static_selectorELNS0_4arch9wavefront6targetE1EEEvT1_.numbered_sgpr, 0
	.set _ZN7rocprim17ROCPRIM_400000_NS6detail17trampoline_kernelINS0_14default_configENS1_20scan_config_selectorIN3c108BFloat16EEEZZNS1_9scan_implILNS1_25lookback_scan_determinismE0ELb0ELb0ES3_PKS6_PS6_S6_ZZZN2at6native31launch_logcumsumexp_cuda_kernelERKNSD_10TensorBaseESH_lENKUlvE_clEvENKUlvE4_clEvEUlS6_S6_E_S6_EEDaPvRmT3_T4_T5_mT6_P12ihipStream_tbENKUlT_T0_E_clISt17integral_constantIbLb0EESX_IbLb1EEEEDaST_SU_EUlST_E_NS1_11comp_targetILNS1_3genE8ELNS1_11target_archE1030ELNS1_3gpuE2ELNS1_3repE0EEENS1_30default_config_static_selectorELNS0_4arch9wavefront6targetE1EEEvT1_.num_named_barrier, 0
	.set _ZN7rocprim17ROCPRIM_400000_NS6detail17trampoline_kernelINS0_14default_configENS1_20scan_config_selectorIN3c108BFloat16EEEZZNS1_9scan_implILNS1_25lookback_scan_determinismE0ELb0ELb0ES3_PKS6_PS6_S6_ZZZN2at6native31launch_logcumsumexp_cuda_kernelERKNSD_10TensorBaseESH_lENKUlvE_clEvENKUlvE4_clEvEUlS6_S6_E_S6_EEDaPvRmT3_T4_T5_mT6_P12ihipStream_tbENKUlT_T0_E_clISt17integral_constantIbLb0EESX_IbLb1EEEEDaST_SU_EUlST_E_NS1_11comp_targetILNS1_3genE8ELNS1_11target_archE1030ELNS1_3gpuE2ELNS1_3repE0EEENS1_30default_config_static_selectorELNS0_4arch9wavefront6targetE1EEEvT1_.private_seg_size, 0
	.set _ZN7rocprim17ROCPRIM_400000_NS6detail17trampoline_kernelINS0_14default_configENS1_20scan_config_selectorIN3c108BFloat16EEEZZNS1_9scan_implILNS1_25lookback_scan_determinismE0ELb0ELb0ES3_PKS6_PS6_S6_ZZZN2at6native31launch_logcumsumexp_cuda_kernelERKNSD_10TensorBaseESH_lENKUlvE_clEvENKUlvE4_clEvEUlS6_S6_E_S6_EEDaPvRmT3_T4_T5_mT6_P12ihipStream_tbENKUlT_T0_E_clISt17integral_constantIbLb0EESX_IbLb1EEEEDaST_SU_EUlST_E_NS1_11comp_targetILNS1_3genE8ELNS1_11target_archE1030ELNS1_3gpuE2ELNS1_3repE0EEENS1_30default_config_static_selectorELNS0_4arch9wavefront6targetE1EEEvT1_.uses_vcc, 0
	.set _ZN7rocprim17ROCPRIM_400000_NS6detail17trampoline_kernelINS0_14default_configENS1_20scan_config_selectorIN3c108BFloat16EEEZZNS1_9scan_implILNS1_25lookback_scan_determinismE0ELb0ELb0ES3_PKS6_PS6_S6_ZZZN2at6native31launch_logcumsumexp_cuda_kernelERKNSD_10TensorBaseESH_lENKUlvE_clEvENKUlvE4_clEvEUlS6_S6_E_S6_EEDaPvRmT3_T4_T5_mT6_P12ihipStream_tbENKUlT_T0_E_clISt17integral_constantIbLb0EESX_IbLb1EEEEDaST_SU_EUlST_E_NS1_11comp_targetILNS1_3genE8ELNS1_11target_archE1030ELNS1_3gpuE2ELNS1_3repE0EEENS1_30default_config_static_selectorELNS0_4arch9wavefront6targetE1EEEvT1_.uses_flat_scratch, 0
	.set _ZN7rocprim17ROCPRIM_400000_NS6detail17trampoline_kernelINS0_14default_configENS1_20scan_config_selectorIN3c108BFloat16EEEZZNS1_9scan_implILNS1_25lookback_scan_determinismE0ELb0ELb0ES3_PKS6_PS6_S6_ZZZN2at6native31launch_logcumsumexp_cuda_kernelERKNSD_10TensorBaseESH_lENKUlvE_clEvENKUlvE4_clEvEUlS6_S6_E_S6_EEDaPvRmT3_T4_T5_mT6_P12ihipStream_tbENKUlT_T0_E_clISt17integral_constantIbLb0EESX_IbLb1EEEEDaST_SU_EUlST_E_NS1_11comp_targetILNS1_3genE8ELNS1_11target_archE1030ELNS1_3gpuE2ELNS1_3repE0EEENS1_30default_config_static_selectorELNS0_4arch9wavefront6targetE1EEEvT1_.has_dyn_sized_stack, 0
	.set _ZN7rocprim17ROCPRIM_400000_NS6detail17trampoline_kernelINS0_14default_configENS1_20scan_config_selectorIN3c108BFloat16EEEZZNS1_9scan_implILNS1_25lookback_scan_determinismE0ELb0ELb0ES3_PKS6_PS6_S6_ZZZN2at6native31launch_logcumsumexp_cuda_kernelERKNSD_10TensorBaseESH_lENKUlvE_clEvENKUlvE4_clEvEUlS6_S6_E_S6_EEDaPvRmT3_T4_T5_mT6_P12ihipStream_tbENKUlT_T0_E_clISt17integral_constantIbLb0EESX_IbLb1EEEEDaST_SU_EUlST_E_NS1_11comp_targetILNS1_3genE8ELNS1_11target_archE1030ELNS1_3gpuE2ELNS1_3repE0EEENS1_30default_config_static_selectorELNS0_4arch9wavefront6targetE1EEEvT1_.has_recursion, 0
	.set _ZN7rocprim17ROCPRIM_400000_NS6detail17trampoline_kernelINS0_14default_configENS1_20scan_config_selectorIN3c108BFloat16EEEZZNS1_9scan_implILNS1_25lookback_scan_determinismE0ELb0ELb0ES3_PKS6_PS6_S6_ZZZN2at6native31launch_logcumsumexp_cuda_kernelERKNSD_10TensorBaseESH_lENKUlvE_clEvENKUlvE4_clEvEUlS6_S6_E_S6_EEDaPvRmT3_T4_T5_mT6_P12ihipStream_tbENKUlT_T0_E_clISt17integral_constantIbLb0EESX_IbLb1EEEEDaST_SU_EUlST_E_NS1_11comp_targetILNS1_3genE8ELNS1_11target_archE1030ELNS1_3gpuE2ELNS1_3repE0EEENS1_30default_config_static_selectorELNS0_4arch9wavefront6targetE1EEEvT1_.has_indirect_call, 0
	.section	.AMDGPU.csdata,"",@progbits
; Kernel info:
; codeLenInByte = 0
; TotalNumSgprs: 6
; NumVgprs: 0
; NumAgprs: 0
; TotalNumVgprs: 0
; ScratchSize: 0
; MemoryBound: 0
; FloatMode: 240
; IeeeMode: 1
; LDSByteSize: 0 bytes/workgroup (compile time only)
; SGPRBlocks: 0
; VGPRBlocks: 0
; NumSGPRsForWavesPerEU: 6
; NumVGPRsForWavesPerEU: 1
; AccumOffset: 4
; Occupancy: 8
; WaveLimiterHint : 0
; COMPUTE_PGM_RSRC2:SCRATCH_EN: 0
; COMPUTE_PGM_RSRC2:USER_SGPR: 2
; COMPUTE_PGM_RSRC2:TRAP_HANDLER: 0
; COMPUTE_PGM_RSRC2:TGID_X_EN: 1
; COMPUTE_PGM_RSRC2:TGID_Y_EN: 0
; COMPUTE_PGM_RSRC2:TGID_Z_EN: 0
; COMPUTE_PGM_RSRC2:TIDIG_COMP_CNT: 0
; COMPUTE_PGM_RSRC3_GFX90A:ACCUM_OFFSET: 0
; COMPUTE_PGM_RSRC3_GFX90A:TG_SPLIT: 0
	.section	.text._ZN7rocprim17ROCPRIM_400000_NS6detail17trampoline_kernelINS0_14default_configENS1_20scan_config_selectorIN3c108BFloat16EEEZZNS1_9scan_implILNS1_25lookback_scan_determinismE0ELb0ELb0ES3_PKS6_PS6_S6_ZZZN2at6native31launch_logcumsumexp_cuda_kernelERKNSD_10TensorBaseESH_lENKUlvE_clEvENKUlvE4_clEvEUlS6_S6_E_S6_EEDaPvRmT3_T4_T5_mT6_P12ihipStream_tbENKUlT_T0_E_clISt17integral_constantIbLb0EESX_IbLb1EEEEDaST_SU_EUlST_E0_NS1_11comp_targetILNS1_3genE0ELNS1_11target_archE4294967295ELNS1_3gpuE0ELNS1_3repE0EEENS1_30default_config_static_selectorELNS0_4arch9wavefront6targetE1EEEvT1_,"axG",@progbits,_ZN7rocprim17ROCPRIM_400000_NS6detail17trampoline_kernelINS0_14default_configENS1_20scan_config_selectorIN3c108BFloat16EEEZZNS1_9scan_implILNS1_25lookback_scan_determinismE0ELb0ELb0ES3_PKS6_PS6_S6_ZZZN2at6native31launch_logcumsumexp_cuda_kernelERKNSD_10TensorBaseESH_lENKUlvE_clEvENKUlvE4_clEvEUlS6_S6_E_S6_EEDaPvRmT3_T4_T5_mT6_P12ihipStream_tbENKUlT_T0_E_clISt17integral_constantIbLb0EESX_IbLb1EEEEDaST_SU_EUlST_E0_NS1_11comp_targetILNS1_3genE0ELNS1_11target_archE4294967295ELNS1_3gpuE0ELNS1_3repE0EEENS1_30default_config_static_selectorELNS0_4arch9wavefront6targetE1EEEvT1_,comdat
	.globl	_ZN7rocprim17ROCPRIM_400000_NS6detail17trampoline_kernelINS0_14default_configENS1_20scan_config_selectorIN3c108BFloat16EEEZZNS1_9scan_implILNS1_25lookback_scan_determinismE0ELb0ELb0ES3_PKS6_PS6_S6_ZZZN2at6native31launch_logcumsumexp_cuda_kernelERKNSD_10TensorBaseESH_lENKUlvE_clEvENKUlvE4_clEvEUlS6_S6_E_S6_EEDaPvRmT3_T4_T5_mT6_P12ihipStream_tbENKUlT_T0_E_clISt17integral_constantIbLb0EESX_IbLb1EEEEDaST_SU_EUlST_E0_NS1_11comp_targetILNS1_3genE0ELNS1_11target_archE4294967295ELNS1_3gpuE0ELNS1_3repE0EEENS1_30default_config_static_selectorELNS0_4arch9wavefront6targetE1EEEvT1_ ; -- Begin function _ZN7rocprim17ROCPRIM_400000_NS6detail17trampoline_kernelINS0_14default_configENS1_20scan_config_selectorIN3c108BFloat16EEEZZNS1_9scan_implILNS1_25lookback_scan_determinismE0ELb0ELb0ES3_PKS6_PS6_S6_ZZZN2at6native31launch_logcumsumexp_cuda_kernelERKNSD_10TensorBaseESH_lENKUlvE_clEvENKUlvE4_clEvEUlS6_S6_E_S6_EEDaPvRmT3_T4_T5_mT6_P12ihipStream_tbENKUlT_T0_E_clISt17integral_constantIbLb0EESX_IbLb1EEEEDaST_SU_EUlST_E0_NS1_11comp_targetILNS1_3genE0ELNS1_11target_archE4294967295ELNS1_3gpuE0ELNS1_3repE0EEENS1_30default_config_static_selectorELNS0_4arch9wavefront6targetE1EEEvT1_
	.p2align	8
	.type	_ZN7rocprim17ROCPRIM_400000_NS6detail17trampoline_kernelINS0_14default_configENS1_20scan_config_selectorIN3c108BFloat16EEEZZNS1_9scan_implILNS1_25lookback_scan_determinismE0ELb0ELb0ES3_PKS6_PS6_S6_ZZZN2at6native31launch_logcumsumexp_cuda_kernelERKNSD_10TensorBaseESH_lENKUlvE_clEvENKUlvE4_clEvEUlS6_S6_E_S6_EEDaPvRmT3_T4_T5_mT6_P12ihipStream_tbENKUlT_T0_E_clISt17integral_constantIbLb0EESX_IbLb1EEEEDaST_SU_EUlST_E0_NS1_11comp_targetILNS1_3genE0ELNS1_11target_archE4294967295ELNS1_3gpuE0ELNS1_3repE0EEENS1_30default_config_static_selectorELNS0_4arch9wavefront6targetE1EEEvT1_,@function
_ZN7rocprim17ROCPRIM_400000_NS6detail17trampoline_kernelINS0_14default_configENS1_20scan_config_selectorIN3c108BFloat16EEEZZNS1_9scan_implILNS1_25lookback_scan_determinismE0ELb0ELb0ES3_PKS6_PS6_S6_ZZZN2at6native31launch_logcumsumexp_cuda_kernelERKNSD_10TensorBaseESH_lENKUlvE_clEvENKUlvE4_clEvEUlS6_S6_E_S6_EEDaPvRmT3_T4_T5_mT6_P12ihipStream_tbENKUlT_T0_E_clISt17integral_constantIbLb0EESX_IbLb1EEEEDaST_SU_EUlST_E0_NS1_11comp_targetILNS1_3genE0ELNS1_11target_archE4294967295ELNS1_3gpuE0ELNS1_3repE0EEENS1_30default_config_static_selectorELNS0_4arch9wavefront6targetE1EEEvT1_: ; @_ZN7rocprim17ROCPRIM_400000_NS6detail17trampoline_kernelINS0_14default_configENS1_20scan_config_selectorIN3c108BFloat16EEEZZNS1_9scan_implILNS1_25lookback_scan_determinismE0ELb0ELb0ES3_PKS6_PS6_S6_ZZZN2at6native31launch_logcumsumexp_cuda_kernelERKNSD_10TensorBaseESH_lENKUlvE_clEvENKUlvE4_clEvEUlS6_S6_E_S6_EEDaPvRmT3_T4_T5_mT6_P12ihipStream_tbENKUlT_T0_E_clISt17integral_constantIbLb0EESX_IbLb1EEEEDaST_SU_EUlST_E0_NS1_11comp_targetILNS1_3genE0ELNS1_11target_archE4294967295ELNS1_3gpuE0ELNS1_3repE0EEENS1_30default_config_static_selectorELNS0_4arch9wavefront6targetE1EEEvT1_
; %bb.0:
	s_load_dwordx4 s[28:31], s[0:1], 0x0
	v_mov_b32_e32 v1, 0
	v_lshlrev_b32_e32 v8, 1, v0
	s_waitcnt lgkmcnt(0)
	global_load_ushort v1, v1, s[28:29]
	v_cmp_gt_u32_e64 s[58:59], s30, v0
	s_waitcnt vmcnt(0)
	v_mov_b32_e32 v2, v1
	s_and_saveexec_b64 s[2:3], s[58:59]
	s_cbranch_execz .LBB512_2
; %bb.1:
	global_load_ushort v2, v8, s[28:29]
.LBB512_2:
	s_or_b64 exec, exec, s[2:3]
	v_or_b32_e32 v3, 0x80, v0
	v_cmp_gt_u32_e64 s[2:3], s30, v3
	v_mov_b32_e32 v3, v1
	s_and_saveexec_b64 s[4:5], s[2:3]
	s_cbranch_execz .LBB512_4
; %bb.3:
	global_load_ushort v3, v8, s[28:29] offset:256
.LBB512_4:
	s_or_b64 exec, exec, s[4:5]
	v_or_b32_e32 v4, 0x100, v0
	v_cmp_gt_u32_e64 s[4:5], s30, v4
	v_mov_b32_e32 v4, v1
	s_and_saveexec_b64 s[6:7], s[4:5]
	s_cbranch_execz .LBB512_6
; %bb.5:
	global_load_ushort v4, v8, s[28:29] offset:512
.LBB512_6:
	;; [unrolled: 9-line block ×12, first 2 shown]
	s_or_b64 exec, exec, s[26:27]
	v_or_b32_e32 v16, 0x680, v0
	v_cmp_gt_u32_e64 s[26:27], s30, v16
	v_cmp_le_u32_e32 vcc, s30, v16
	s_and_saveexec_b64 s[30:31], vcc
	s_xor_b64 s[30:31], exec, s[30:31]
	s_andn2_saveexec_b64 s[30:31], s[30:31]
	s_cbranch_execz .LBB512_28
; %bb.27:
	v_lshlrev_b32_e32 v1, 1, v0
	global_load_ushort v1, v1, s[28:29] offset:3328
.LBB512_28:
	s_or_b64 exec, exec, s[30:31]
	s_waitcnt vmcnt(0)
	ds_write_b16 v8, v2
	ds_write_b16 v8, v3 offset:256
	ds_write_b16 v8, v4 offset:512
	;; [unrolled: 1-line block ×13, first 2 shown]
	v_mad_u32_u24 v1, v0, 26, v8
	s_waitcnt lgkmcnt(0)
	s_barrier
	ds_read2_b32 v[2:3], v1 offset1:1
	ds_read2_b32 v[6:7], v1 offset0:2 offset1:3
	ds_read2_b32 v[4:5], v1 offset0:4 offset1:5
	ds_read_b32 v26, v1 offset:24
	s_movk_i32 s33, 0x1f8
	s_waitcnt lgkmcnt(3)
	v_lshlrev_b32_e32 v29, 16, v2
	v_and_b32_e32 v1, 0xffff0000, v2
	v_max_f32_e32 v16, v1, v1
	v_max_f32_e32 v31, v29, v29
	v_min_f32_e32 v30, v31, v16
	v_cmp_u_f32_e64 s[56:57], v29, v29
	v_cmp_u_f32_e64 s[28:29], v1, v1
	v_max_f32_e32 v32, v31, v16
	v_cndmask_b32_e64 v9, v30, v29, s[56:57]
	v_cndmask_b32_e64 v11, v9, v1, s[28:29]
	v_cndmask_b32_e64 v9, v32, v29, s[56:57]
	v_cndmask_b32_e64 v9, v9, v1, s[28:29]
	v_cmp_neq_f32_e32 vcc, v11, v9
	v_cmp_class_f32_e64 s[30:31], v11, s33
	s_or_b64 s[34:35], vcc, s[30:31]
	v_mov_b32_e32 v10, v29
	s_waitcnt lgkmcnt(0)
	s_barrier
	s_and_saveexec_b64 s[30:31], s[34:35]
	s_cbranch_execz .LBB512_30
; %bb.29:
	v_sub_f32_e32 v10, v11, v9
	s_mov_b32 s34, 0x3fb8aa3b
	v_mul_f32_e32 v11, 0x3fb8aa3b, v10
	v_fma_f32 v12, v10, s34, -v11
	v_rndne_f32_e32 v13, v11
	v_fmamk_f32 v12, v10, 0x32a5705f, v12
	v_sub_f32_e32 v11, v11, v13
	v_add_f32_e32 v11, v11, v12
	v_exp_f32_e32 v11, v11
	v_cvt_i32_f32_e32 v12, v13
	s_mov_b32 s34, 0xc2ce8ed0
	v_cmp_ngt_f32_e32 vcc, s34, v10
	s_mov_b32 s34, 0x42b17218
	v_ldexp_f32 v11, v11, v12
	v_cndmask_b32_e32 v11, 0, v11, vcc
	v_mov_b32_e32 v17, 0x7f800000
	v_cmp_nlt_f32_e32 vcc, s34, v10
	s_mov_b32 s34, 0x3f2aaaab
	s_mov_b32 s35, 0x7f800000
	v_cndmask_b32_e32 v27, v17, v11, vcc
	v_add_f32_e32 v12, 1.0, v27
	v_add_f32_e32 v10, -1.0, v12
	v_sub_f32_e32 v11, v10, v12
	v_add_f32_e32 v11, 1.0, v11
	v_sub_f32_e32 v10, v27, v10
	v_add_f32_e32 v13, v10, v11
	v_frexp_mant_f32_e32 v14, v12
	v_cvt_f64_f32_e32 v[10:11], v12
	v_frexp_exp_i32_f64_e32 v10, v[10:11]
	v_cmp_gt_f32_e32 vcc, s34, v14
	s_mov_b32 s34, 0x3f317218
	s_nop 0
	v_subbrev_co_u32_e32 v20, vcc, 0, v10, vcc
	v_sub_u32_e32 v10, 0, v20
	v_ldexp_f32 v11, v12, v10
	v_add_f32_e32 v12, -1.0, v11
	v_add_f32_e32 v14, 1.0, v11
	v_ldexp_f32 v10, v13, v10
	v_add_f32_e32 v13, 1.0, v12
	v_add_f32_e32 v15, -1.0, v14
	v_sub_f32_e32 v13, v11, v13
	v_sub_f32_e32 v11, v11, v15
	v_add_f32_e32 v13, v10, v13
	v_add_f32_e32 v10, v10, v11
	;; [unrolled: 1-line block ×3, first 2 shown]
	v_rcp_f32_e32 v23, v21
	v_sub_f32_e32 v11, v14, v21
	v_add_f32_e32 v22, v10, v11
	v_add_f32_e32 v11, v12, v13
	v_mul_f32_e32 v25, v11, v23
	v_sub_f32_e32 v10, v12, v11
	v_mul_f32_e32 v12, v21, v25
	v_fma_f32 v14, v25, v21, -v12
	v_fmac_f32_e32 v14, v25, v22
	v_add_f32_e32 v24, v13, v10
	v_add_f32_e32 v10, v12, v14
	v_sub_f32_e32 v13, v11, v10
	v_pk_add_f32 v[18:19], v[10:11], v[12:13] neg_lo:[0,1] neg_hi:[0,1]
	v_mov_b32_e32 v15, v10
	v_pk_add_f32 v[10:11], v[18:19], v[14:15] neg_lo:[0,1] neg_hi:[0,1]
	v_cmp_neq_f32_e32 vcc, s35, v27
	v_add_f32_e32 v11, v24, v11
	v_add_f32_e32 v10, v10, v11
	;; [unrolled: 1-line block ×3, first 2 shown]
	v_mul_f32_e32 v24, v23, v11
	v_mul_f32_e32 v12, v21, v24
	v_fma_f32 v14, v24, v21, -v12
	v_fmac_f32_e32 v14, v24, v22
	v_sub_f32_e32 v13, v13, v11
	v_add_f32_e32 v21, v10, v13
	v_add_f32_e32 v10, v12, v14
	v_sub_f32_e32 v13, v11, v10
	v_pk_add_f32 v[18:19], v[10:11], v[12:13] neg_lo:[0,1] neg_hi:[0,1]
	v_mov_b32_e32 v15, v10
	v_pk_add_f32 v[10:11], v[18:19], v[14:15] neg_lo:[0,1] neg_hi:[0,1]
	v_cvt_f32_i32_e32 v12, v20
	v_add_f32_e32 v11, v21, v11
	v_add_f32_e32 v10, v10, v11
	;; [unrolled: 1-line block ×4, first 2 shown]
	v_sub_f32_e32 v11, v13, v25
	v_mul_f32_e32 v10, v23, v10
	v_sub_f32_e32 v11, v24, v11
	v_add_f32_e32 v10, v11, v10
	v_add_f32_e32 v14, v13, v10
	v_mul_f32_e32 v18, v14, v14
	v_mov_b32_e32 v11, 0x3ecc95a3
	v_sub_f32_e32 v13, v14, v13
	v_fmac_f32_e32 v11, 0x3e9b6dac, v18
	v_sub_f32_e32 v10, v10, v13
	v_fmaak_f32 v11, v18, v11, 0x3f2aaada
	v_ldexp_f32 v19, v10, 1
	v_mul_f32_e32 v13, v14, v18
	v_mov_b32_e32 v10, 0x3f317218
	v_pk_mul_f32 v[10:11], v[12:13], v[10:11]
	v_ldexp_f32 v15, v14, 1
	v_fma_f32 v13, v12, s34, -v10
	v_fmamk_f32 v14, v12, 0xb102e308, v13
	v_pk_add_f32 v[12:13], v[10:11], v[14:15]
	v_mov_b32_e32 v18, v10
	v_sub_f32_e32 v15, v13, v15
	v_sub_f32_e32 v15, v11, v15
	v_add_f32_e32 v19, v19, v15
	v_pk_add_f32 v[10:11], v[12:13], v[10:11] neg_lo:[0,1] neg_hi:[0,1]
	v_pk_add_f32 v[20:21], v[12:13], v[18:19]
	v_mov_b32_e32 v15, v12
	v_mov_b32_e32 v11, v21
	v_pk_add_f32 v[22:23], v[14:15], v[10:11] neg_lo:[0,1] neg_hi:[0,1]
	v_pk_add_f32 v[10:11], v[14:15], v[10:11]
	v_mov_b32_e32 v18, v19
	v_pk_add_f32 v[14:15], v[10:11], v[12:13] op_sel:[1,0] op_sel_hi:[0,1] neg_lo:[0,1] neg_hi:[0,1]
	v_pk_add_f32 v[24:25], v[20:21], v[14:15] op_sel_hi:[1,0] neg_lo:[0,1] neg_hi:[0,1]
	v_mov_b32_e32 v20, v21
	v_mov_b32_e32 v21, v11
	v_pk_mov_b32 v[14:15], v[12:13], v[14:15] op_sel:[1,0]
	v_mov_b32_e32 v19, v12
	v_pk_add_f32 v[14:15], v[20:21], v[14:15] neg_lo:[0,1] neg_hi:[0,1]
	v_mov_b32_e32 v24, v22
	v_pk_add_f32 v[12:13], v[18:19], v[14:15] neg_lo:[0,1] neg_hi:[0,1]
	v_mov_b32_e32 v23, v11
	v_pk_add_f32 v[14:15], v[24:25], v[12:13]
	s_mov_b32 s34, 0x33800000
	v_pk_add_f32 v[18:19], v[14:15], v[14:15] op_sel:[0,1] op_sel_hi:[1,0]
	s_nop 0
	v_pk_add_f32 v[10:11], v[10:11], v[18:19] op_sel:[1,0] op_sel_hi:[0,1]
	v_mov_b32_e32 v15, v10
	v_pk_add_f32 v[20:21], v[14:15], v[22:23] neg_lo:[0,1] neg_hi:[0,1]
	v_mov_b32_e32 v13, v18
	v_sub_f32_e32 v11, v14, v20
	v_pk_add_f32 v[12:13], v[12:13], v[20:21] neg_lo:[0,1] neg_hi:[0,1]
	v_sub_f32_e32 v11, v22, v11
	v_add_f32_e32 v11, v12, v11
	v_add_f32_e32 v11, v11, v13
	;; [unrolled: 1-line block ×3, first 2 shown]
	v_cndmask_b32_e32 v10, v17, v10, vcc
	v_cmp_lt_f32_e64 vcc, |v27|, s34
	s_nop 1
	v_cndmask_b32_e32 v10, v10, v27, vcc
	v_add_f32_e32 v10, v9, v10
.LBB512_30:
	s_or_b64 exec, exec, s[30:31]
	v_bfe_u32 v9, v10, 16, 1
	s_movk_i32 s36, 0x7fff
	v_add3_u32 v9, v10, v9, s36
	v_and_b32_e32 v9, 0xffff0000, v9
	v_mov_b32_e32 v11, 0x7fc00000
	v_cmp_o_f32_e32 vcc, v10, v10
	s_nop 1
	v_cndmask_b32_e32 v13, v11, v9, vcc
	v_lshlrev_b32_e32 v9, 16, v3
	v_max_f32_e32 v12, v13, v13
	v_max_f32_e32 v10, v9, v9
	v_min_f32_e32 v14, v12, v10
	v_cmp_u_f32_e32 vcc, v13, v13
	v_max_f32_e32 v12, v12, v10
	v_cmp_u_f32_e64 s[30:31], v9, v9
	v_cndmask_b32_e32 v14, v14, v13, vcc
	v_cndmask_b32_e32 v12, v12, v13, vcc
	v_cndmask_b32_e64 v14, v14, v9, s[30:31]
	v_cndmask_b32_e64 v12, v12, v9, s[30:31]
	v_cmp_neq_f32_e32 vcc, v14, v12
	v_cmp_class_f32_e64 s[34:35], v14, s33
	s_or_b64 s[38:39], vcc, s[34:35]
	s_and_saveexec_b64 s[34:35], s[38:39]
	s_cbranch_execz .LBB512_32
; %bb.31:
	v_sub_f32_e32 v13, v14, v12
	s_mov_b32 s33, 0x3fb8aa3b
	v_mul_f32_e32 v14, 0x3fb8aa3b, v13
	v_fma_f32 v15, v13, s33, -v14
	v_rndne_f32_e32 v17, v14
	v_fmamk_f32 v15, v13, 0x32a5705f, v15
	v_sub_f32_e32 v14, v14, v17
	v_add_f32_e32 v14, v14, v15
	v_exp_f32_e32 v14, v14
	v_cvt_i32_f32_e32 v15, v17
	s_mov_b32 s33, 0xc2ce8ed0
	v_cmp_ngt_f32_e32 vcc, s33, v13
	s_mov_b32 s33, 0x42b17218
	v_ldexp_f32 v14, v14, v15
	v_cndmask_b32_e32 v14, 0, v14, vcc
	v_mov_b32_e32 v17, 0x7f800000
	v_cmp_nlt_f32_e32 vcc, s33, v13
	s_mov_b32 s33, 0x3f2aaaab
	s_mov_b32 s37, 0x7f800000
	v_cndmask_b32_e32 v13, v17, v14, vcc
	v_add_f32_e32 v18, 1.0, v13
	v_add_f32_e32 v14, -1.0, v18
	v_sub_f32_e32 v15, v14, v18
	v_add_f32_e32 v15, 1.0, v15
	v_sub_f32_e32 v14, v13, v14
	v_add_f32_e32 v19, v14, v15
	v_frexp_mant_f32_e32 v20, v18
	v_cvt_f64_f32_e32 v[14:15], v18
	v_frexp_exp_i32_f64_e32 v14, v[14:15]
	v_cmp_gt_f32_e32 vcc, s33, v20
	s_mov_b32 s33, 0x3f317218
	s_nop 0
	v_subbrev_co_u32_e32 v24, vcc, 0, v14, vcc
	v_sub_u32_e32 v14, 0, v24
	v_ldexp_f32 v15, v18, v14
	v_add_f32_e32 v18, -1.0, v15
	v_add_f32_e32 v20, 1.0, v15
	v_ldexp_f32 v14, v19, v14
	v_add_f32_e32 v19, 1.0, v18
	v_add_f32_e32 v21, -1.0, v20
	v_sub_f32_e32 v19, v15, v19
	v_sub_f32_e32 v15, v15, v21
	v_add_f32_e32 v19, v14, v19
	v_add_f32_e32 v14, v14, v15
	;; [unrolled: 1-line block ×3, first 2 shown]
	v_rcp_f32_e32 v28, v25
	v_sub_f32_e32 v15, v20, v25
	v_add_f32_e32 v27, v14, v15
	v_add_f32_e32 v15, v18, v19
	v_mul_f32_e32 v34, v15, v28
	v_sub_f32_e32 v14, v18, v15
	v_mul_f32_e32 v18, v25, v34
	v_fma_f32 v20, v34, v25, -v18
	v_fmac_f32_e32 v20, v34, v27
	v_add_f32_e32 v33, v19, v14
	v_add_f32_e32 v14, v18, v20
	v_sub_f32_e32 v19, v15, v14
	v_pk_add_f32 v[22:23], v[14:15], v[18:19] neg_lo:[0,1] neg_hi:[0,1]
	v_mov_b32_e32 v21, v14
	v_pk_add_f32 v[14:15], v[22:23], v[20:21] neg_lo:[0,1] neg_hi:[0,1]
	v_cmp_neq_f32_e32 vcc, s37, v13
	v_add_f32_e32 v15, v33, v15
	v_add_f32_e32 v14, v14, v15
	;; [unrolled: 1-line block ×3, first 2 shown]
	v_mul_f32_e32 v33, v28, v15
	v_mul_f32_e32 v18, v25, v33
	v_fma_f32 v20, v33, v25, -v18
	v_fmac_f32_e32 v20, v33, v27
	v_sub_f32_e32 v19, v19, v15
	v_add_f32_e32 v25, v14, v19
	v_add_f32_e32 v14, v18, v20
	v_sub_f32_e32 v19, v15, v14
	v_pk_add_f32 v[22:23], v[14:15], v[18:19] neg_lo:[0,1] neg_hi:[0,1]
	v_mov_b32_e32 v21, v14
	v_pk_add_f32 v[14:15], v[22:23], v[20:21] neg_lo:[0,1] neg_hi:[0,1]
	v_cvt_f32_i32_e32 v18, v24
	v_add_f32_e32 v15, v25, v15
	v_add_f32_e32 v14, v14, v15
	v_add_f32_e32 v14, v19, v14
	v_add_f32_e32 v19, v34, v33
	v_sub_f32_e32 v15, v19, v34
	v_mul_f32_e32 v14, v28, v14
	v_sub_f32_e32 v15, v33, v15
	v_add_f32_e32 v14, v15, v14
	v_add_f32_e32 v20, v19, v14
	v_mul_f32_e32 v22, v20, v20
	v_mov_b32_e32 v15, 0x3ecc95a3
	v_sub_f32_e32 v19, v20, v19
	v_fmac_f32_e32 v15, 0x3e9b6dac, v22
	v_sub_f32_e32 v14, v14, v19
	v_fmaak_f32 v15, v22, v15, 0x3f2aaada
	v_ldexp_f32 v23, v14, 1
	v_mul_f32_e32 v19, v20, v22
	v_mov_b32_e32 v14, 0x3f317218
	v_pk_mul_f32 v[14:15], v[18:19], v[14:15]
	v_ldexp_f32 v21, v20, 1
	v_fma_f32 v19, v18, s33, -v14
	v_fmamk_f32 v20, v18, 0xb102e308, v19
	v_pk_add_f32 v[18:19], v[14:15], v[20:21]
	v_mov_b32_e32 v22, v14
	v_sub_f32_e32 v21, v19, v21
	v_sub_f32_e32 v21, v15, v21
	v_add_f32_e32 v23, v23, v21
	v_pk_add_f32 v[14:15], v[18:19], v[14:15] neg_lo:[0,1] neg_hi:[0,1]
	v_pk_add_f32 v[24:25], v[18:19], v[22:23]
	v_mov_b32_e32 v21, v18
	v_mov_b32_e32 v15, v25
	v_pk_add_f32 v[34:35], v[20:21], v[14:15] neg_lo:[0,1] neg_hi:[0,1]
	v_pk_add_f32 v[14:15], v[20:21], v[14:15]
	v_mov_b32_e32 v22, v23
	v_pk_add_f32 v[20:21], v[14:15], v[18:19] op_sel:[1,0] op_sel_hi:[0,1] neg_lo:[0,1] neg_hi:[0,1]
	v_pk_add_f32 v[36:37], v[24:25], v[20:21] op_sel_hi:[1,0] neg_lo:[0,1] neg_hi:[0,1]
	v_mov_b32_e32 v24, v25
	v_mov_b32_e32 v25, v15
	v_pk_mov_b32 v[20:21], v[18:19], v[20:21] op_sel:[1,0]
	v_mov_b32_e32 v23, v18
	v_pk_add_f32 v[20:21], v[24:25], v[20:21] neg_lo:[0,1] neg_hi:[0,1]
	v_mov_b32_e32 v36, v34
	v_pk_add_f32 v[18:19], v[22:23], v[20:21] neg_lo:[0,1] neg_hi:[0,1]
	v_mov_b32_e32 v35, v15
	v_pk_add_f32 v[20:21], v[36:37], v[18:19]
	s_mov_b32 s33, 0x33800000
	v_pk_add_f32 v[22:23], v[20:21], v[20:21] op_sel:[0,1] op_sel_hi:[1,0]
	s_nop 0
	v_pk_add_f32 v[14:15], v[14:15], v[22:23] op_sel:[1,0] op_sel_hi:[0,1]
	v_mov_b32_e32 v21, v14
	v_pk_add_f32 v[24:25], v[20:21], v[34:35] neg_lo:[0,1] neg_hi:[0,1]
	v_mov_b32_e32 v19, v22
	v_sub_f32_e32 v15, v20, v24
	v_pk_add_f32 v[18:19], v[18:19], v[24:25] neg_lo:[0,1] neg_hi:[0,1]
	v_sub_f32_e32 v15, v34, v15
	v_add_f32_e32 v15, v18, v15
	v_add_f32_e32 v15, v15, v19
	;; [unrolled: 1-line block ×3, first 2 shown]
	v_cndmask_b32_e32 v14, v17, v14, vcc
	v_cmp_lt_f32_e64 vcc, |v13|, s33
	s_nop 1
	v_cndmask_b32_e32 v13, v14, v13, vcc
	v_add_f32_e32 v13, v12, v13
.LBB512_32:
	s_or_b64 exec, exec, s[34:35]
	v_bfe_u32 v12, v13, 16, 1
	v_add3_u32 v12, v13, v12, s36
	v_and_b32_e32 v12, 0xffff0000, v12
	v_cmp_o_f32_e32 vcc, v13, v13
	v_and_b32_e32 v3, 0xffff0000, v3
	v_cmp_u_f32_e64 s[34:35], v3, v3
	v_cndmask_b32_e32 v13, v11, v12, vcc
	v_max_f32_e32 v11, v13, v13
	v_max_f32_e32 v12, v3, v3
	v_min_f32_e32 v14, v11, v12
	v_cmp_u_f32_e32 vcc, v13, v13
	v_max_f32_e32 v11, v11, v12
	s_movk_i32 s33, 0x1f8
	v_cndmask_b32_e32 v14, v14, v13, vcc
	v_cndmask_b32_e32 v11, v11, v13, vcc
	v_cndmask_b32_e64 v14, v14, v3, s[34:35]
	v_cndmask_b32_e64 v11, v11, v3, s[34:35]
	v_cmp_neq_f32_e32 vcc, v14, v11
	v_cmp_class_f32_e64 s[36:37], v14, s33
	s_or_b64 s[38:39], vcc, s[36:37]
	s_and_saveexec_b64 s[36:37], s[38:39]
	s_cbranch_execz .LBB512_34
; %bb.33:
	v_sub_f32_e32 v13, v14, v11
	s_mov_b32 s38, 0x3fb8aa3b
	v_mul_f32_e32 v14, 0x3fb8aa3b, v13
	v_fma_f32 v15, v13, s38, -v14
	v_rndne_f32_e32 v17, v14
	v_fmamk_f32 v15, v13, 0x32a5705f, v15
	v_sub_f32_e32 v14, v14, v17
	v_add_f32_e32 v14, v14, v15
	v_exp_f32_e32 v14, v14
	v_cvt_i32_f32_e32 v15, v17
	s_mov_b32 s38, 0xc2ce8ed0
	v_cmp_ngt_f32_e32 vcc, s38, v13
	s_mov_b32 s38, 0x42b17218
	v_ldexp_f32 v14, v14, v15
	v_cndmask_b32_e32 v14, 0, v14, vcc
	v_mov_b32_e32 v17, 0x7f800000
	v_cmp_nlt_f32_e32 vcc, s38, v13
	s_mov_b32 s38, 0x3f2aaaab
	s_mov_b32 s39, 0x7f800000
	v_cndmask_b32_e32 v13, v17, v14, vcc
	v_add_f32_e32 v18, 1.0, v13
	v_add_f32_e32 v14, -1.0, v18
	v_sub_f32_e32 v15, v14, v18
	v_add_f32_e32 v15, 1.0, v15
	v_sub_f32_e32 v14, v13, v14
	v_add_f32_e32 v19, v14, v15
	v_frexp_mant_f32_e32 v20, v18
	v_cvt_f64_f32_e32 v[14:15], v18
	v_frexp_exp_i32_f64_e32 v14, v[14:15]
	v_cmp_gt_f32_e32 vcc, s38, v20
	s_mov_b32 s38, 0x3f317218
	s_nop 0
	v_subbrev_co_u32_e32 v24, vcc, 0, v14, vcc
	v_sub_u32_e32 v14, 0, v24
	v_ldexp_f32 v15, v18, v14
	v_add_f32_e32 v18, -1.0, v15
	v_add_f32_e32 v20, 1.0, v15
	v_ldexp_f32 v14, v19, v14
	v_add_f32_e32 v19, 1.0, v18
	v_add_f32_e32 v21, -1.0, v20
	v_sub_f32_e32 v19, v15, v19
	v_sub_f32_e32 v15, v15, v21
	v_add_f32_e32 v19, v14, v19
	v_add_f32_e32 v14, v14, v15
	;; [unrolled: 1-line block ×3, first 2 shown]
	v_rcp_f32_e32 v28, v25
	v_sub_f32_e32 v15, v20, v25
	v_add_f32_e32 v27, v14, v15
	v_add_f32_e32 v15, v18, v19
	v_mul_f32_e32 v34, v15, v28
	v_sub_f32_e32 v14, v18, v15
	v_mul_f32_e32 v18, v25, v34
	v_fma_f32 v20, v34, v25, -v18
	v_fmac_f32_e32 v20, v34, v27
	v_add_f32_e32 v33, v19, v14
	v_add_f32_e32 v14, v18, v20
	v_sub_f32_e32 v19, v15, v14
	v_pk_add_f32 v[22:23], v[14:15], v[18:19] neg_lo:[0,1] neg_hi:[0,1]
	v_mov_b32_e32 v21, v14
	v_pk_add_f32 v[14:15], v[22:23], v[20:21] neg_lo:[0,1] neg_hi:[0,1]
	v_cmp_neq_f32_e32 vcc, s39, v13
	v_add_f32_e32 v15, v33, v15
	v_add_f32_e32 v14, v14, v15
	;; [unrolled: 1-line block ×3, first 2 shown]
	v_mul_f32_e32 v33, v28, v15
	v_mul_f32_e32 v18, v25, v33
	v_fma_f32 v20, v33, v25, -v18
	v_fmac_f32_e32 v20, v33, v27
	v_sub_f32_e32 v19, v19, v15
	v_add_f32_e32 v25, v14, v19
	v_add_f32_e32 v14, v18, v20
	v_sub_f32_e32 v19, v15, v14
	v_pk_add_f32 v[22:23], v[14:15], v[18:19] neg_lo:[0,1] neg_hi:[0,1]
	v_mov_b32_e32 v21, v14
	v_pk_add_f32 v[14:15], v[22:23], v[20:21] neg_lo:[0,1] neg_hi:[0,1]
	v_cvt_f32_i32_e32 v18, v24
	v_add_f32_e32 v15, v25, v15
	v_add_f32_e32 v14, v14, v15
	v_add_f32_e32 v14, v19, v14
	v_add_f32_e32 v19, v34, v33
	v_sub_f32_e32 v15, v19, v34
	v_mul_f32_e32 v14, v28, v14
	v_sub_f32_e32 v15, v33, v15
	v_add_f32_e32 v14, v15, v14
	v_add_f32_e32 v20, v19, v14
	v_mul_f32_e32 v22, v20, v20
	v_mov_b32_e32 v15, 0x3ecc95a3
	v_sub_f32_e32 v19, v20, v19
	v_fmac_f32_e32 v15, 0x3e9b6dac, v22
	v_sub_f32_e32 v14, v14, v19
	v_fmaak_f32 v15, v22, v15, 0x3f2aaada
	v_ldexp_f32 v23, v14, 1
	v_mul_f32_e32 v19, v20, v22
	v_mov_b32_e32 v14, 0x3f317218
	v_pk_mul_f32 v[14:15], v[18:19], v[14:15]
	v_ldexp_f32 v21, v20, 1
	v_fma_f32 v19, v18, s38, -v14
	v_fmamk_f32 v20, v18, 0xb102e308, v19
	v_pk_add_f32 v[18:19], v[14:15], v[20:21]
	v_mov_b32_e32 v22, v14
	v_sub_f32_e32 v21, v19, v21
	v_sub_f32_e32 v21, v15, v21
	v_add_f32_e32 v23, v23, v21
	v_pk_add_f32 v[14:15], v[18:19], v[14:15] neg_lo:[0,1] neg_hi:[0,1]
	v_pk_add_f32 v[24:25], v[18:19], v[22:23]
	v_mov_b32_e32 v21, v18
	v_mov_b32_e32 v15, v25
	v_pk_add_f32 v[34:35], v[20:21], v[14:15] neg_lo:[0,1] neg_hi:[0,1]
	v_pk_add_f32 v[14:15], v[20:21], v[14:15]
	v_mov_b32_e32 v22, v23
	v_pk_add_f32 v[20:21], v[14:15], v[18:19] op_sel:[1,0] op_sel_hi:[0,1] neg_lo:[0,1] neg_hi:[0,1]
	v_pk_add_f32 v[36:37], v[24:25], v[20:21] op_sel_hi:[1,0] neg_lo:[0,1] neg_hi:[0,1]
	v_mov_b32_e32 v24, v25
	v_mov_b32_e32 v25, v15
	v_pk_mov_b32 v[20:21], v[18:19], v[20:21] op_sel:[1,0]
	v_mov_b32_e32 v23, v18
	v_pk_add_f32 v[20:21], v[24:25], v[20:21] neg_lo:[0,1] neg_hi:[0,1]
	v_mov_b32_e32 v36, v34
	v_pk_add_f32 v[18:19], v[22:23], v[20:21] neg_lo:[0,1] neg_hi:[0,1]
	v_mov_b32_e32 v35, v15
	v_pk_add_f32 v[20:21], v[36:37], v[18:19]
	s_mov_b32 s38, 0x33800000
	v_pk_add_f32 v[22:23], v[20:21], v[20:21] op_sel:[0,1] op_sel_hi:[1,0]
	s_nop 0
	v_pk_add_f32 v[14:15], v[14:15], v[22:23] op_sel:[1,0] op_sel_hi:[0,1]
	v_mov_b32_e32 v21, v14
	v_pk_add_f32 v[24:25], v[20:21], v[34:35] neg_lo:[0,1] neg_hi:[0,1]
	v_mov_b32_e32 v19, v22
	v_sub_f32_e32 v15, v20, v24
	v_pk_add_f32 v[18:19], v[18:19], v[24:25] neg_lo:[0,1] neg_hi:[0,1]
	v_sub_f32_e32 v15, v34, v15
	v_add_f32_e32 v15, v18, v15
	v_add_f32_e32 v15, v15, v19
	;; [unrolled: 1-line block ×3, first 2 shown]
	v_cndmask_b32_e32 v14, v17, v14, vcc
	v_cmp_lt_f32_e64 vcc, |v13|, s38
	s_nop 1
	v_cndmask_b32_e32 v13, v14, v13, vcc
	v_add_f32_e32 v13, v11, v13
.LBB512_34:
	s_or_b64 exec, exec, s[36:37]
	v_bfe_u32 v11, v13, 16, 1
	s_movk_i32 s40, 0x7fff
	v_add3_u32 v11, v13, v11, s40
	v_and_b32_e32 v11, 0xffff0000, v11
	v_mov_b32_e32 v14, 0x7fc00000
	v_cmp_o_f32_e32 vcc, v13, v13
	s_nop 1
	v_cndmask_b32_e32 v17, v14, v11, vcc
	v_lshlrev_b32_e32 v11, 16, v6
	v_max_f32_e32 v15, v17, v17
	v_max_f32_e32 v13, v11, v11
	v_min_f32_e32 v18, v15, v13
	v_cmp_u_f32_e32 vcc, v17, v17
	v_max_f32_e32 v15, v15, v13
	v_cmp_u_f32_e64 s[36:37], v11, v11
	v_cndmask_b32_e32 v18, v18, v17, vcc
	v_cndmask_b32_e32 v15, v15, v17, vcc
	v_cndmask_b32_e64 v18, v18, v11, s[36:37]
	v_cndmask_b32_e64 v15, v15, v11, s[36:37]
	v_cmp_neq_f32_e32 vcc, v18, v15
	v_cmp_class_f32_e64 s[38:39], v18, s33
	s_or_b64 s[42:43], vcc, s[38:39]
	s_and_saveexec_b64 s[38:39], s[42:43]
	s_cbranch_execz .LBB512_36
; %bb.35:
	v_sub_f32_e32 v17, v18, v15
	s_mov_b32 s33, 0x3fb8aa3b
	v_mul_f32_e32 v18, 0x3fb8aa3b, v17
	v_fma_f32 v19, v17, s33, -v18
	v_rndne_f32_e32 v20, v18
	v_fmamk_f32 v19, v17, 0x32a5705f, v19
	v_sub_f32_e32 v18, v18, v20
	v_add_f32_e32 v18, v18, v19
	v_exp_f32_e32 v18, v18
	v_cvt_i32_f32_e32 v19, v20
	s_mov_b32 s33, 0xc2ce8ed0
	v_cmp_ngt_f32_e32 vcc, s33, v17
	s_mov_b32 s33, 0x42b17218
	v_ldexp_f32 v18, v18, v19
	v_cndmask_b32_e32 v18, 0, v18, vcc
	v_mov_b32_e32 v27, 0x7f800000
	v_cmp_nlt_f32_e32 vcc, s33, v17
	s_mov_b32 s33, 0x3f2aaaab
	s_mov_b32 s41, 0x7f800000
	v_cndmask_b32_e32 v17, v27, v18, vcc
	v_add_f32_e32 v20, 1.0, v17
	v_add_f32_e32 v18, -1.0, v20
	v_sub_f32_e32 v19, v18, v20
	v_add_f32_e32 v19, 1.0, v19
	v_sub_f32_e32 v18, v17, v18
	v_add_f32_e32 v21, v18, v19
	v_frexp_mant_f32_e32 v22, v20
	v_cvt_f64_f32_e32 v[18:19], v20
	v_frexp_exp_i32_f64_e32 v18, v[18:19]
	v_cmp_gt_f32_e32 vcc, s33, v22
	s_mov_b32 s33, 0x3f317218
	s_nop 0
	v_subbrev_co_u32_e32 v28, vcc, 0, v18, vcc
	v_sub_u32_e32 v18, 0, v28
	v_ldexp_f32 v19, v20, v18
	v_add_f32_e32 v20, -1.0, v19
	v_add_f32_e32 v22, 1.0, v19
	v_ldexp_f32 v18, v21, v18
	v_add_f32_e32 v21, 1.0, v20
	v_add_f32_e32 v23, -1.0, v22
	v_sub_f32_e32 v21, v19, v21
	v_sub_f32_e32 v19, v19, v23
	v_add_f32_e32 v21, v18, v21
	v_add_f32_e32 v18, v18, v19
	;; [unrolled: 1-line block ×3, first 2 shown]
	v_rcp_f32_e32 v35, v33
	v_sub_f32_e32 v19, v22, v33
	v_add_f32_e32 v34, v18, v19
	v_add_f32_e32 v19, v20, v21
	v_mul_f32_e32 v37, v19, v35
	v_sub_f32_e32 v18, v20, v19
	v_mul_f32_e32 v20, v33, v37
	v_fma_f32 v22, v37, v33, -v20
	v_fmac_f32_e32 v22, v37, v34
	v_add_f32_e32 v36, v21, v18
	v_add_f32_e32 v18, v20, v22
	v_sub_f32_e32 v21, v19, v18
	v_pk_add_f32 v[24:25], v[18:19], v[20:21] neg_lo:[0,1] neg_hi:[0,1]
	v_mov_b32_e32 v23, v18
	v_pk_add_f32 v[18:19], v[24:25], v[22:23] neg_lo:[0,1] neg_hi:[0,1]
	v_cmp_neq_f32_e32 vcc, s41, v17
	v_add_f32_e32 v19, v36, v19
	v_add_f32_e32 v18, v18, v19
	;; [unrolled: 1-line block ×3, first 2 shown]
	v_mul_f32_e32 v36, v35, v19
	v_mul_f32_e32 v20, v33, v36
	v_fma_f32 v22, v36, v33, -v20
	v_fmac_f32_e32 v22, v36, v34
	v_sub_f32_e32 v21, v21, v19
	v_add_f32_e32 v33, v18, v21
	v_add_f32_e32 v18, v20, v22
	v_sub_f32_e32 v21, v19, v18
	v_pk_add_f32 v[24:25], v[18:19], v[20:21] neg_lo:[0,1] neg_hi:[0,1]
	v_mov_b32_e32 v23, v18
	v_pk_add_f32 v[18:19], v[24:25], v[22:23] neg_lo:[0,1] neg_hi:[0,1]
	v_cvt_f32_i32_e32 v20, v28
	v_add_f32_e32 v19, v33, v19
	v_add_f32_e32 v18, v18, v19
	;; [unrolled: 1-line block ×4, first 2 shown]
	v_sub_f32_e32 v19, v21, v37
	v_mul_f32_e32 v18, v35, v18
	v_sub_f32_e32 v19, v36, v19
	v_add_f32_e32 v18, v19, v18
	v_add_f32_e32 v22, v21, v18
	v_mul_f32_e32 v24, v22, v22
	v_mov_b32_e32 v19, 0x3ecc95a3
	v_sub_f32_e32 v21, v22, v21
	v_fmac_f32_e32 v19, 0x3e9b6dac, v24
	v_sub_f32_e32 v18, v18, v21
	v_fmaak_f32 v19, v24, v19, 0x3f2aaada
	v_ldexp_f32 v25, v18, 1
	v_mul_f32_e32 v21, v22, v24
	v_mov_b32_e32 v18, 0x3f317218
	v_pk_mul_f32 v[18:19], v[20:21], v[18:19]
	v_ldexp_f32 v23, v22, 1
	v_fma_f32 v21, v20, s33, -v18
	v_fmamk_f32 v22, v20, 0xb102e308, v21
	v_pk_add_f32 v[20:21], v[18:19], v[22:23]
	v_mov_b32_e32 v24, v18
	v_sub_f32_e32 v23, v21, v23
	v_sub_f32_e32 v23, v19, v23
	v_add_f32_e32 v25, v25, v23
	v_pk_add_f32 v[18:19], v[20:21], v[18:19] neg_lo:[0,1] neg_hi:[0,1]
	v_pk_add_f32 v[34:35], v[20:21], v[24:25]
	v_mov_b32_e32 v23, v20
	v_mov_b32_e32 v19, v35
	v_pk_add_f32 v[36:37], v[22:23], v[18:19] neg_lo:[0,1] neg_hi:[0,1]
	v_pk_add_f32 v[18:19], v[22:23], v[18:19]
	v_mov_b32_e32 v24, v25
	v_pk_add_f32 v[22:23], v[18:19], v[20:21] op_sel:[1,0] op_sel_hi:[0,1] neg_lo:[0,1] neg_hi:[0,1]
	v_pk_add_f32 v[38:39], v[34:35], v[22:23] op_sel_hi:[1,0] neg_lo:[0,1] neg_hi:[0,1]
	v_mov_b32_e32 v34, v35
	v_mov_b32_e32 v35, v19
	v_pk_mov_b32 v[22:23], v[20:21], v[22:23] op_sel:[1,0]
	v_mov_b32_e32 v25, v20
	v_pk_add_f32 v[22:23], v[34:35], v[22:23] neg_lo:[0,1] neg_hi:[0,1]
	v_mov_b32_e32 v38, v36
	v_pk_add_f32 v[20:21], v[24:25], v[22:23] neg_lo:[0,1] neg_hi:[0,1]
	v_mov_b32_e32 v37, v19
	v_pk_add_f32 v[22:23], v[38:39], v[20:21]
	s_mov_b32 s33, 0x33800000
	v_pk_add_f32 v[24:25], v[22:23], v[22:23] op_sel:[0,1] op_sel_hi:[1,0]
	s_nop 0
	v_pk_add_f32 v[18:19], v[18:19], v[24:25] op_sel:[1,0] op_sel_hi:[0,1]
	v_mov_b32_e32 v23, v18
	v_pk_add_f32 v[34:35], v[22:23], v[36:37] neg_lo:[0,1] neg_hi:[0,1]
	v_mov_b32_e32 v21, v24
	v_sub_f32_e32 v19, v22, v34
	v_pk_add_f32 v[20:21], v[20:21], v[34:35] neg_lo:[0,1] neg_hi:[0,1]
	v_sub_f32_e32 v19, v36, v19
	v_add_f32_e32 v19, v20, v19
	v_add_f32_e32 v19, v19, v21
	;; [unrolled: 1-line block ×3, first 2 shown]
	v_cndmask_b32_e32 v18, v27, v18, vcc
	v_cmp_lt_f32_e64 vcc, |v17|, s33
	s_nop 1
	v_cndmask_b32_e32 v17, v18, v17, vcc
	v_add_f32_e32 v17, v15, v17
.LBB512_36:
	s_or_b64 exec, exec, s[38:39]
	v_bfe_u32 v15, v17, 16, 1
	v_add3_u32 v15, v17, v15, s40
	v_and_b32_e32 v15, 0xffff0000, v15
	v_cmp_o_f32_e32 vcc, v17, v17
	v_and_b32_e32 v6, 0xffff0000, v6
	v_cmp_u_f32_e64 s[38:39], v6, v6
	v_cndmask_b32_e32 v17, v14, v15, vcc
	v_max_f32_e32 v14, v17, v17
	v_max_f32_e32 v15, v6, v6
	v_min_f32_e32 v18, v14, v15
	v_cmp_u_f32_e32 vcc, v17, v17
	v_max_f32_e32 v14, v14, v15
	s_movk_i32 s33, 0x1f8
	v_cndmask_b32_e32 v18, v18, v17, vcc
	v_cndmask_b32_e32 v14, v14, v17, vcc
	v_cndmask_b32_e64 v18, v18, v6, s[38:39]
	v_cndmask_b32_e64 v14, v14, v6, s[38:39]
	v_cmp_neq_f32_e32 vcc, v18, v14
	v_cmp_class_f32_e64 s[40:41], v18, s33
	s_or_b64 s[42:43], vcc, s[40:41]
	s_and_saveexec_b64 s[40:41], s[42:43]
	s_cbranch_execz .LBB512_38
; %bb.37:
	v_sub_f32_e32 v17, v18, v14
	s_mov_b32 s42, 0x3fb8aa3b
	v_mul_f32_e32 v18, 0x3fb8aa3b, v17
	v_fma_f32 v19, v17, s42, -v18
	v_rndne_f32_e32 v20, v18
	v_fmamk_f32 v19, v17, 0x32a5705f, v19
	v_sub_f32_e32 v18, v18, v20
	v_add_f32_e32 v18, v18, v19
	v_exp_f32_e32 v18, v18
	v_cvt_i32_f32_e32 v19, v20
	s_mov_b32 s42, 0xc2ce8ed0
	v_cmp_ngt_f32_e32 vcc, s42, v17
	s_mov_b32 s42, 0x42b17218
	v_ldexp_f32 v18, v18, v19
	v_cndmask_b32_e32 v18, 0, v18, vcc
	v_mov_b32_e32 v27, 0x7f800000
	v_cmp_nlt_f32_e32 vcc, s42, v17
	s_mov_b32 s42, 0x3f2aaaab
	s_mov_b32 s43, 0x7f800000
	v_cndmask_b32_e32 v17, v27, v18, vcc
	v_add_f32_e32 v20, 1.0, v17
	v_add_f32_e32 v18, -1.0, v20
	v_sub_f32_e32 v19, v18, v20
	v_add_f32_e32 v19, 1.0, v19
	v_sub_f32_e32 v18, v17, v18
	v_add_f32_e32 v21, v18, v19
	v_frexp_mant_f32_e32 v22, v20
	v_cvt_f64_f32_e32 v[18:19], v20
	v_frexp_exp_i32_f64_e32 v18, v[18:19]
	v_cmp_gt_f32_e32 vcc, s42, v22
	s_mov_b32 s42, 0x3f317218
	s_nop 0
	v_subbrev_co_u32_e32 v28, vcc, 0, v18, vcc
	v_sub_u32_e32 v18, 0, v28
	v_ldexp_f32 v19, v20, v18
	v_add_f32_e32 v20, -1.0, v19
	v_add_f32_e32 v22, 1.0, v19
	v_ldexp_f32 v18, v21, v18
	v_add_f32_e32 v21, 1.0, v20
	v_add_f32_e32 v23, -1.0, v22
	v_sub_f32_e32 v21, v19, v21
	v_sub_f32_e32 v19, v19, v23
	v_add_f32_e32 v21, v18, v21
	v_add_f32_e32 v18, v18, v19
	;; [unrolled: 1-line block ×3, first 2 shown]
	v_rcp_f32_e32 v35, v33
	v_sub_f32_e32 v19, v22, v33
	v_add_f32_e32 v34, v18, v19
	v_add_f32_e32 v19, v20, v21
	v_mul_f32_e32 v37, v19, v35
	v_sub_f32_e32 v18, v20, v19
	v_mul_f32_e32 v20, v33, v37
	v_fma_f32 v22, v37, v33, -v20
	v_fmac_f32_e32 v22, v37, v34
	v_add_f32_e32 v36, v21, v18
	v_add_f32_e32 v18, v20, v22
	v_sub_f32_e32 v21, v19, v18
	v_pk_add_f32 v[24:25], v[18:19], v[20:21] neg_lo:[0,1] neg_hi:[0,1]
	v_mov_b32_e32 v23, v18
	v_pk_add_f32 v[18:19], v[24:25], v[22:23] neg_lo:[0,1] neg_hi:[0,1]
	v_cmp_neq_f32_e32 vcc, s43, v17
	v_add_f32_e32 v19, v36, v19
	v_add_f32_e32 v18, v18, v19
	;; [unrolled: 1-line block ×3, first 2 shown]
	v_mul_f32_e32 v36, v35, v19
	v_mul_f32_e32 v20, v33, v36
	v_fma_f32 v22, v36, v33, -v20
	v_fmac_f32_e32 v22, v36, v34
	v_sub_f32_e32 v21, v21, v19
	v_add_f32_e32 v33, v18, v21
	v_add_f32_e32 v18, v20, v22
	v_sub_f32_e32 v21, v19, v18
	v_pk_add_f32 v[24:25], v[18:19], v[20:21] neg_lo:[0,1] neg_hi:[0,1]
	v_mov_b32_e32 v23, v18
	v_pk_add_f32 v[18:19], v[24:25], v[22:23] neg_lo:[0,1] neg_hi:[0,1]
	v_cvt_f32_i32_e32 v20, v28
	v_add_f32_e32 v19, v33, v19
	v_add_f32_e32 v18, v18, v19
	;; [unrolled: 1-line block ×4, first 2 shown]
	v_sub_f32_e32 v19, v21, v37
	v_mul_f32_e32 v18, v35, v18
	v_sub_f32_e32 v19, v36, v19
	v_add_f32_e32 v18, v19, v18
	v_add_f32_e32 v22, v21, v18
	v_mul_f32_e32 v24, v22, v22
	v_mov_b32_e32 v19, 0x3ecc95a3
	v_sub_f32_e32 v21, v22, v21
	v_fmac_f32_e32 v19, 0x3e9b6dac, v24
	v_sub_f32_e32 v18, v18, v21
	v_fmaak_f32 v19, v24, v19, 0x3f2aaada
	v_ldexp_f32 v25, v18, 1
	v_mul_f32_e32 v21, v22, v24
	v_mov_b32_e32 v18, 0x3f317218
	v_pk_mul_f32 v[18:19], v[20:21], v[18:19]
	v_ldexp_f32 v23, v22, 1
	v_fma_f32 v21, v20, s42, -v18
	v_fmamk_f32 v22, v20, 0xb102e308, v21
	v_pk_add_f32 v[20:21], v[18:19], v[22:23]
	v_mov_b32_e32 v24, v18
	v_sub_f32_e32 v23, v21, v23
	v_sub_f32_e32 v23, v19, v23
	v_add_f32_e32 v25, v25, v23
	v_pk_add_f32 v[18:19], v[20:21], v[18:19] neg_lo:[0,1] neg_hi:[0,1]
	v_pk_add_f32 v[34:35], v[20:21], v[24:25]
	v_mov_b32_e32 v23, v20
	v_mov_b32_e32 v19, v35
	v_pk_add_f32 v[36:37], v[22:23], v[18:19] neg_lo:[0,1] neg_hi:[0,1]
	v_pk_add_f32 v[18:19], v[22:23], v[18:19]
	v_mov_b32_e32 v24, v25
	v_pk_add_f32 v[22:23], v[18:19], v[20:21] op_sel:[1,0] op_sel_hi:[0,1] neg_lo:[0,1] neg_hi:[0,1]
	v_pk_add_f32 v[38:39], v[34:35], v[22:23] op_sel_hi:[1,0] neg_lo:[0,1] neg_hi:[0,1]
	v_mov_b32_e32 v34, v35
	v_mov_b32_e32 v35, v19
	v_pk_mov_b32 v[22:23], v[20:21], v[22:23] op_sel:[1,0]
	v_mov_b32_e32 v25, v20
	v_pk_add_f32 v[22:23], v[34:35], v[22:23] neg_lo:[0,1] neg_hi:[0,1]
	v_mov_b32_e32 v38, v36
	v_pk_add_f32 v[20:21], v[24:25], v[22:23] neg_lo:[0,1] neg_hi:[0,1]
	v_mov_b32_e32 v37, v19
	v_pk_add_f32 v[22:23], v[38:39], v[20:21]
	s_mov_b32 s42, 0x33800000
	v_pk_add_f32 v[24:25], v[22:23], v[22:23] op_sel:[0,1] op_sel_hi:[1,0]
	s_nop 0
	v_pk_add_f32 v[18:19], v[18:19], v[24:25] op_sel:[1,0] op_sel_hi:[0,1]
	v_mov_b32_e32 v23, v18
	v_pk_add_f32 v[34:35], v[22:23], v[36:37] neg_lo:[0,1] neg_hi:[0,1]
	v_mov_b32_e32 v21, v24
	v_sub_f32_e32 v19, v22, v34
	v_pk_add_f32 v[20:21], v[20:21], v[34:35] neg_lo:[0,1] neg_hi:[0,1]
	v_sub_f32_e32 v19, v36, v19
	v_add_f32_e32 v19, v20, v19
	v_add_f32_e32 v19, v19, v21
	;; [unrolled: 1-line block ×3, first 2 shown]
	v_cndmask_b32_e32 v18, v27, v18, vcc
	v_cmp_lt_f32_e64 vcc, |v17|, s42
	s_nop 1
	v_cndmask_b32_e32 v17, v18, v17, vcc
	v_add_f32_e32 v17, v14, v17
.LBB512_38:
	s_or_b64 exec, exec, s[40:41]
	v_bfe_u32 v14, v17, 16, 1
	s_movk_i32 s44, 0x7fff
	v_add3_u32 v14, v17, v14, s44
	v_and_b32_e32 v14, 0xffff0000, v14
	v_mov_b32_e32 v18, 0x7fc00000
	v_cmp_o_f32_e32 vcc, v17, v17
	s_nop 1
	v_cndmask_b32_e32 v20, v18, v14, vcc
	v_lshlrev_b32_e32 v14, 16, v7
	v_max_f32_e32 v19, v20, v20
	v_max_f32_e32 v17, v14, v14
	v_min_f32_e32 v21, v19, v17
	v_cmp_u_f32_e32 vcc, v20, v20
	v_max_f32_e32 v19, v19, v17
	v_cmp_u_f32_e64 s[40:41], v14, v14
	v_cndmask_b32_e32 v21, v21, v20, vcc
	v_cndmask_b32_e32 v19, v19, v20, vcc
	v_cndmask_b32_e64 v21, v21, v14, s[40:41]
	v_cndmask_b32_e64 v19, v19, v14, s[40:41]
	v_cmp_neq_f32_e32 vcc, v21, v19
	v_cmp_class_f32_e64 s[42:43], v21, s33
	s_or_b64 s[46:47], vcc, s[42:43]
	s_and_saveexec_b64 s[42:43], s[46:47]
	s_cbranch_execz .LBB512_40
; %bb.39:
	v_sub_f32_e32 v20, v21, v19
	s_mov_b32 s33, 0x3fb8aa3b
	v_mul_f32_e32 v21, 0x3fb8aa3b, v20
	v_fma_f32 v22, v20, s33, -v21
	v_rndne_f32_e32 v23, v21
	v_fmamk_f32 v22, v20, 0x32a5705f, v22
	v_sub_f32_e32 v21, v21, v23
	v_add_f32_e32 v21, v21, v22
	v_exp_f32_e32 v21, v21
	v_cvt_i32_f32_e32 v22, v23
	s_mov_b32 s33, 0xc2ce8ed0
	v_cmp_ngt_f32_e32 vcc, s33, v20
	s_mov_b32 s33, 0x42b17218
	v_ldexp_f32 v21, v21, v22
	v_cndmask_b32_e32 v21, 0, v21, vcc
	v_mov_b32_e32 v27, 0x7f800000
	v_cmp_nlt_f32_e32 vcc, s33, v20
	s_mov_b32 s33, 0x3f2aaaab
	s_mov_b32 s45, 0x7f800000
	v_cndmask_b32_e32 v28, v27, v21, vcc
	v_add_f32_e32 v22, 1.0, v28
	v_add_f32_e32 v20, -1.0, v22
	v_sub_f32_e32 v21, v20, v22
	v_add_f32_e32 v21, 1.0, v21
	v_sub_f32_e32 v20, v28, v20
	v_add_f32_e32 v23, v20, v21
	v_frexp_mant_f32_e32 v24, v22
	v_cvt_f64_f32_e32 v[20:21], v22
	v_frexp_exp_i32_f64_e32 v20, v[20:21]
	v_cmp_gt_f32_e32 vcc, s33, v24
	s_mov_b32 s33, 0x3f317218
	s_nop 0
	v_subbrev_co_u32_e32 v33, vcc, 0, v20, vcc
	v_sub_u32_e32 v20, 0, v33
	v_ldexp_f32 v21, v22, v20
	v_add_f32_e32 v22, -1.0, v21
	v_add_f32_e32 v24, 1.0, v21
	v_ldexp_f32 v20, v23, v20
	v_add_f32_e32 v23, 1.0, v22
	v_add_f32_e32 v25, -1.0, v24
	v_sub_f32_e32 v23, v21, v23
	v_sub_f32_e32 v21, v21, v25
	v_add_f32_e32 v23, v20, v23
	v_add_f32_e32 v20, v20, v21
	v_add_f32_e32 v36, v24, v20
	v_rcp_f32_e32 v38, v36
	v_sub_f32_e32 v21, v24, v36
	v_add_f32_e32 v37, v20, v21
	v_add_f32_e32 v21, v22, v23
	v_mul_f32_e32 v40, v21, v38
	v_sub_f32_e32 v20, v22, v21
	v_mul_f32_e32 v22, v36, v40
	v_fma_f32 v24, v40, v36, -v22
	v_fmac_f32_e32 v24, v40, v37
	v_add_f32_e32 v39, v23, v20
	v_add_f32_e32 v20, v22, v24
	v_sub_f32_e32 v23, v21, v20
	v_pk_add_f32 v[34:35], v[20:21], v[22:23] neg_lo:[0,1] neg_hi:[0,1]
	v_mov_b32_e32 v25, v20
	v_pk_add_f32 v[20:21], v[34:35], v[24:25] neg_lo:[0,1] neg_hi:[0,1]
	v_cmp_neq_f32_e32 vcc, s45, v28
	v_add_f32_e32 v21, v39, v21
	v_add_f32_e32 v20, v20, v21
	;; [unrolled: 1-line block ×3, first 2 shown]
	v_mul_f32_e32 v39, v38, v21
	v_mul_f32_e32 v22, v36, v39
	v_fma_f32 v24, v39, v36, -v22
	v_fmac_f32_e32 v24, v39, v37
	v_sub_f32_e32 v23, v23, v21
	v_add_f32_e32 v36, v20, v23
	v_add_f32_e32 v20, v22, v24
	v_sub_f32_e32 v23, v21, v20
	v_pk_add_f32 v[34:35], v[20:21], v[22:23] neg_lo:[0,1] neg_hi:[0,1]
	v_mov_b32_e32 v25, v20
	v_pk_add_f32 v[20:21], v[34:35], v[24:25] neg_lo:[0,1] neg_hi:[0,1]
	v_cvt_f32_i32_e32 v22, v33
	v_add_f32_e32 v21, v36, v21
	v_add_f32_e32 v20, v20, v21
	;; [unrolled: 1-line block ×4, first 2 shown]
	v_sub_f32_e32 v21, v23, v40
	v_mul_f32_e32 v20, v38, v20
	v_sub_f32_e32 v21, v39, v21
	v_add_f32_e32 v20, v21, v20
	v_add_f32_e32 v24, v23, v20
	v_mul_f32_e32 v34, v24, v24
	v_mov_b32_e32 v21, 0x3ecc95a3
	v_sub_f32_e32 v23, v24, v23
	v_fmac_f32_e32 v21, 0x3e9b6dac, v34
	v_sub_f32_e32 v20, v20, v23
	v_fmaak_f32 v21, v34, v21, 0x3f2aaada
	v_ldexp_f32 v33, v20, 1
	v_mul_f32_e32 v23, v24, v34
	v_mov_b32_e32 v20, 0x3f317218
	v_pk_mul_f32 v[20:21], v[22:23], v[20:21]
	v_ldexp_f32 v25, v24, 1
	v_fma_f32 v23, v22, s33, -v20
	v_fmamk_f32 v24, v22, 0xb102e308, v23
	v_pk_add_f32 v[22:23], v[20:21], v[24:25]
	v_mov_b32_e32 v34, v20
	v_sub_f32_e32 v25, v23, v25
	v_sub_f32_e32 v25, v21, v25
	v_add_f32_e32 v35, v33, v25
	v_pk_add_f32 v[20:21], v[22:23], v[20:21] neg_lo:[0,1] neg_hi:[0,1]
	v_pk_add_f32 v[36:37], v[22:23], v[34:35]
	v_mov_b32_e32 v25, v22
	v_mov_b32_e32 v21, v37
	v_pk_add_f32 v[38:39], v[24:25], v[20:21] neg_lo:[0,1] neg_hi:[0,1]
	v_pk_add_f32 v[20:21], v[24:25], v[20:21]
	v_mov_b32_e32 v34, v35
	v_pk_add_f32 v[24:25], v[20:21], v[22:23] op_sel:[1,0] op_sel_hi:[0,1] neg_lo:[0,1] neg_hi:[0,1]
	v_pk_add_f32 v[40:41], v[36:37], v[24:25] op_sel_hi:[1,0] neg_lo:[0,1] neg_hi:[0,1]
	v_mov_b32_e32 v36, v37
	v_mov_b32_e32 v37, v21
	v_pk_mov_b32 v[24:25], v[22:23], v[24:25] op_sel:[1,0]
	v_mov_b32_e32 v35, v22
	v_pk_add_f32 v[24:25], v[36:37], v[24:25] neg_lo:[0,1] neg_hi:[0,1]
	v_mov_b32_e32 v40, v38
	v_pk_add_f32 v[22:23], v[34:35], v[24:25] neg_lo:[0,1] neg_hi:[0,1]
	v_mov_b32_e32 v39, v21
	v_pk_add_f32 v[24:25], v[40:41], v[22:23]
	s_mov_b32 s33, 0x33800000
	v_pk_add_f32 v[34:35], v[24:25], v[24:25] op_sel:[0,1] op_sel_hi:[1,0]
	s_nop 0
	v_pk_add_f32 v[20:21], v[20:21], v[34:35] op_sel:[1,0] op_sel_hi:[0,1]
	v_mov_b32_e32 v25, v20
	v_pk_add_f32 v[36:37], v[24:25], v[38:39] neg_lo:[0,1] neg_hi:[0,1]
	v_mov_b32_e32 v23, v34
	v_sub_f32_e32 v21, v24, v36
	v_pk_add_f32 v[22:23], v[22:23], v[36:37] neg_lo:[0,1] neg_hi:[0,1]
	v_sub_f32_e32 v21, v38, v21
	v_add_f32_e32 v21, v22, v21
	v_add_f32_e32 v21, v21, v23
	;; [unrolled: 1-line block ×3, first 2 shown]
	v_cndmask_b32_e32 v20, v27, v20, vcc
	v_cmp_lt_f32_e64 vcc, |v28|, s33
	s_nop 1
	v_cndmask_b32_e32 v20, v20, v28, vcc
	v_add_f32_e32 v20, v19, v20
.LBB512_40:
	s_or_b64 exec, exec, s[42:43]
	v_bfe_u32 v19, v20, 16, 1
	v_add3_u32 v19, v20, v19, s44
	v_and_b32_e32 v19, 0xffff0000, v19
	v_cmp_o_f32_e32 vcc, v20, v20
	v_and_b32_e32 v7, 0xffff0000, v7
	v_cmp_u_f32_e64 s[42:43], v7, v7
	v_cndmask_b32_e32 v20, v18, v19, vcc
	v_max_f32_e32 v18, v20, v20
	v_max_f32_e32 v19, v7, v7
	v_min_f32_e32 v21, v18, v19
	v_cmp_u_f32_e32 vcc, v20, v20
	v_max_f32_e32 v18, v18, v19
	s_movk_i32 s33, 0x1f8
	v_cndmask_b32_e32 v21, v21, v20, vcc
	v_cndmask_b32_e32 v18, v18, v20, vcc
	v_cndmask_b32_e64 v21, v21, v7, s[42:43]
	v_cndmask_b32_e64 v18, v18, v7, s[42:43]
	v_cmp_neq_f32_e32 vcc, v21, v18
	v_cmp_class_f32_e64 s[44:45], v21, s33
	s_or_b64 s[46:47], vcc, s[44:45]
	s_and_saveexec_b64 s[44:45], s[46:47]
	s_cbranch_execz .LBB512_42
; %bb.41:
	v_sub_f32_e32 v20, v21, v18
	s_mov_b32 s46, 0x3fb8aa3b
	v_mul_f32_e32 v21, 0x3fb8aa3b, v20
	v_fma_f32 v22, v20, s46, -v21
	v_rndne_f32_e32 v23, v21
	v_fmamk_f32 v22, v20, 0x32a5705f, v22
	v_sub_f32_e32 v21, v21, v23
	v_add_f32_e32 v21, v21, v22
	v_exp_f32_e32 v21, v21
	v_cvt_i32_f32_e32 v22, v23
	s_mov_b32 s46, 0xc2ce8ed0
	v_cmp_ngt_f32_e32 vcc, s46, v20
	s_mov_b32 s46, 0x42b17218
	v_ldexp_f32 v21, v21, v22
	v_cndmask_b32_e32 v21, 0, v21, vcc
	v_mov_b32_e32 v27, 0x7f800000
	v_cmp_nlt_f32_e32 vcc, s46, v20
	s_mov_b32 s46, 0x3f2aaaab
	s_mov_b32 s47, 0x7f800000
	v_cndmask_b32_e32 v28, v27, v21, vcc
	v_add_f32_e32 v22, 1.0, v28
	v_add_f32_e32 v20, -1.0, v22
	v_sub_f32_e32 v21, v20, v22
	v_add_f32_e32 v21, 1.0, v21
	v_sub_f32_e32 v20, v28, v20
	v_add_f32_e32 v23, v20, v21
	v_frexp_mant_f32_e32 v24, v22
	v_cvt_f64_f32_e32 v[20:21], v22
	v_frexp_exp_i32_f64_e32 v20, v[20:21]
	v_cmp_gt_f32_e32 vcc, s46, v24
	s_mov_b32 s46, 0x3f317218
	s_nop 0
	v_subbrev_co_u32_e32 v33, vcc, 0, v20, vcc
	v_sub_u32_e32 v20, 0, v33
	v_ldexp_f32 v21, v22, v20
	v_add_f32_e32 v22, -1.0, v21
	v_add_f32_e32 v24, 1.0, v21
	v_ldexp_f32 v20, v23, v20
	v_add_f32_e32 v23, 1.0, v22
	v_add_f32_e32 v25, -1.0, v24
	v_sub_f32_e32 v23, v21, v23
	v_sub_f32_e32 v21, v21, v25
	v_add_f32_e32 v23, v20, v23
	v_add_f32_e32 v20, v20, v21
	;; [unrolled: 1-line block ×3, first 2 shown]
	v_rcp_f32_e32 v38, v36
	v_sub_f32_e32 v21, v24, v36
	v_add_f32_e32 v37, v20, v21
	v_add_f32_e32 v21, v22, v23
	v_mul_f32_e32 v40, v21, v38
	v_sub_f32_e32 v20, v22, v21
	v_mul_f32_e32 v22, v36, v40
	v_fma_f32 v24, v40, v36, -v22
	v_fmac_f32_e32 v24, v40, v37
	v_add_f32_e32 v39, v23, v20
	v_add_f32_e32 v20, v22, v24
	v_sub_f32_e32 v23, v21, v20
	v_pk_add_f32 v[34:35], v[20:21], v[22:23] neg_lo:[0,1] neg_hi:[0,1]
	v_mov_b32_e32 v25, v20
	v_pk_add_f32 v[20:21], v[34:35], v[24:25] neg_lo:[0,1] neg_hi:[0,1]
	v_cmp_neq_f32_e32 vcc, s47, v28
	v_add_f32_e32 v21, v39, v21
	v_add_f32_e32 v20, v20, v21
	;; [unrolled: 1-line block ×3, first 2 shown]
	v_mul_f32_e32 v39, v38, v21
	v_mul_f32_e32 v22, v36, v39
	v_fma_f32 v24, v39, v36, -v22
	v_fmac_f32_e32 v24, v39, v37
	v_sub_f32_e32 v23, v23, v21
	v_add_f32_e32 v36, v20, v23
	v_add_f32_e32 v20, v22, v24
	v_sub_f32_e32 v23, v21, v20
	v_pk_add_f32 v[34:35], v[20:21], v[22:23] neg_lo:[0,1] neg_hi:[0,1]
	v_mov_b32_e32 v25, v20
	v_pk_add_f32 v[20:21], v[34:35], v[24:25] neg_lo:[0,1] neg_hi:[0,1]
	v_cvt_f32_i32_e32 v22, v33
	v_add_f32_e32 v21, v36, v21
	v_add_f32_e32 v20, v20, v21
	;; [unrolled: 1-line block ×4, first 2 shown]
	v_sub_f32_e32 v21, v23, v40
	v_mul_f32_e32 v20, v38, v20
	v_sub_f32_e32 v21, v39, v21
	v_add_f32_e32 v20, v21, v20
	v_add_f32_e32 v24, v23, v20
	v_mul_f32_e32 v34, v24, v24
	v_mov_b32_e32 v21, 0x3ecc95a3
	v_sub_f32_e32 v23, v24, v23
	v_fmac_f32_e32 v21, 0x3e9b6dac, v34
	v_sub_f32_e32 v20, v20, v23
	v_fmaak_f32 v21, v34, v21, 0x3f2aaada
	v_ldexp_f32 v33, v20, 1
	v_mul_f32_e32 v23, v24, v34
	v_mov_b32_e32 v20, 0x3f317218
	v_pk_mul_f32 v[20:21], v[22:23], v[20:21]
	v_ldexp_f32 v25, v24, 1
	v_fma_f32 v23, v22, s46, -v20
	v_fmamk_f32 v24, v22, 0xb102e308, v23
	v_pk_add_f32 v[22:23], v[20:21], v[24:25]
	v_mov_b32_e32 v34, v20
	v_sub_f32_e32 v25, v23, v25
	v_sub_f32_e32 v25, v21, v25
	v_add_f32_e32 v35, v33, v25
	v_pk_add_f32 v[20:21], v[22:23], v[20:21] neg_lo:[0,1] neg_hi:[0,1]
	v_pk_add_f32 v[36:37], v[22:23], v[34:35]
	v_mov_b32_e32 v25, v22
	v_mov_b32_e32 v21, v37
	v_pk_add_f32 v[38:39], v[24:25], v[20:21] neg_lo:[0,1] neg_hi:[0,1]
	v_pk_add_f32 v[20:21], v[24:25], v[20:21]
	v_mov_b32_e32 v34, v35
	v_pk_add_f32 v[24:25], v[20:21], v[22:23] op_sel:[1,0] op_sel_hi:[0,1] neg_lo:[0,1] neg_hi:[0,1]
	v_pk_add_f32 v[40:41], v[36:37], v[24:25] op_sel_hi:[1,0] neg_lo:[0,1] neg_hi:[0,1]
	v_mov_b32_e32 v36, v37
	v_mov_b32_e32 v37, v21
	v_pk_mov_b32 v[24:25], v[22:23], v[24:25] op_sel:[1,0]
	v_mov_b32_e32 v35, v22
	v_pk_add_f32 v[24:25], v[36:37], v[24:25] neg_lo:[0,1] neg_hi:[0,1]
	v_mov_b32_e32 v40, v38
	v_pk_add_f32 v[22:23], v[34:35], v[24:25] neg_lo:[0,1] neg_hi:[0,1]
	v_mov_b32_e32 v39, v21
	v_pk_add_f32 v[24:25], v[40:41], v[22:23]
	s_mov_b32 s46, 0x33800000
	v_pk_add_f32 v[34:35], v[24:25], v[24:25] op_sel:[0,1] op_sel_hi:[1,0]
	s_nop 0
	v_pk_add_f32 v[20:21], v[20:21], v[34:35] op_sel:[1,0] op_sel_hi:[0,1]
	v_mov_b32_e32 v25, v20
	v_pk_add_f32 v[36:37], v[24:25], v[38:39] neg_lo:[0,1] neg_hi:[0,1]
	v_mov_b32_e32 v23, v34
	v_sub_f32_e32 v21, v24, v36
	v_pk_add_f32 v[22:23], v[22:23], v[36:37] neg_lo:[0,1] neg_hi:[0,1]
	v_sub_f32_e32 v21, v38, v21
	v_add_f32_e32 v21, v22, v21
	v_add_f32_e32 v21, v21, v23
	;; [unrolled: 1-line block ×3, first 2 shown]
	v_cndmask_b32_e32 v20, v27, v20, vcc
	v_cmp_lt_f32_e64 vcc, |v28|, s46
	s_nop 1
	v_cndmask_b32_e32 v20, v20, v28, vcc
	v_add_f32_e32 v20, v18, v20
.LBB512_42:
	s_or_b64 exec, exec, s[44:45]
	v_bfe_u32 v18, v20, 16, 1
	s_movk_i32 s48, 0x7fff
	v_add3_u32 v18, v20, v18, s48
	v_and_b32_e32 v18, 0xffff0000, v18
	v_mov_b32_e32 v21, 0x7fc00000
	v_cmp_o_f32_e32 vcc, v20, v20
	s_nop 1
	v_cndmask_b32_e32 v23, v21, v18, vcc
	v_lshlrev_b32_e32 v18, 16, v4
	v_max_f32_e32 v22, v23, v23
	v_max_f32_e32 v20, v18, v18
	v_min_f32_e32 v24, v22, v20
	v_cmp_u_f32_e32 vcc, v23, v23
	v_max_f32_e32 v22, v22, v20
	v_cmp_u_f32_e64 s[44:45], v18, v18
	v_cndmask_b32_e32 v24, v24, v23, vcc
	v_cndmask_b32_e32 v22, v22, v23, vcc
	v_cndmask_b32_e64 v24, v24, v18, s[44:45]
	v_cndmask_b32_e64 v22, v22, v18, s[44:45]
	v_cmp_neq_f32_e32 vcc, v24, v22
	v_cmp_class_f32_e64 s[46:47], v24, s33
	s_or_b64 s[50:51], vcc, s[46:47]
	s_and_saveexec_b64 s[46:47], s[50:51]
	s_cbranch_execz .LBB512_44
; %bb.43:
	v_sub_f32_e32 v23, v24, v22
	s_mov_b32 s33, 0x3fb8aa3b
	v_mul_f32_e32 v24, 0x3fb8aa3b, v23
	v_fma_f32 v25, v23, s33, -v24
	v_rndne_f32_e32 v27, v24
	v_fmamk_f32 v25, v23, 0x32a5705f, v25
	v_sub_f32_e32 v24, v24, v27
	v_add_f32_e32 v24, v24, v25
	v_exp_f32_e32 v24, v24
	v_cvt_i32_f32_e32 v25, v27
	s_mov_b32 s33, 0xc2ce8ed0
	v_cmp_ngt_f32_e32 vcc, s33, v23
	s_mov_b32 s33, 0x42b17218
	v_ldexp_f32 v24, v24, v25
	v_cndmask_b32_e32 v24, 0, v24, vcc
	v_mov_b32_e32 v27, 0x7f800000
	v_cmp_nlt_f32_e32 vcc, s33, v23
	s_mov_b32 s33, 0x3f2aaaab
	s_mov_b32 s49, 0x7f800000
	v_cndmask_b32_e32 v23, v27, v24, vcc
	v_add_f32_e32 v28, 1.0, v23
	v_add_f32_e32 v24, -1.0, v28
	v_sub_f32_e32 v25, v24, v28
	v_add_f32_e32 v25, 1.0, v25
	v_sub_f32_e32 v24, v23, v24
	v_add_f32_e32 v33, v24, v25
	v_frexp_mant_f32_e32 v34, v28
	v_cvt_f64_f32_e32 v[24:25], v28
	v_frexp_exp_i32_f64_e32 v24, v[24:25]
	v_cmp_gt_f32_e32 vcc, s33, v34
	s_mov_b32 s33, 0x3f317218
	s_nop 0
	v_subbrev_co_u32_e32 v40, vcc, 0, v24, vcc
	v_sub_u32_e32 v24, 0, v40
	v_ldexp_f32 v25, v28, v24
	v_add_f32_e32 v28, -1.0, v25
	v_add_f32_e32 v34, 1.0, v25
	v_ldexp_f32 v24, v33, v24
	v_add_f32_e32 v33, 1.0, v28
	v_add_f32_e32 v35, -1.0, v34
	v_sub_f32_e32 v33, v25, v33
	v_sub_f32_e32 v25, v25, v35
	v_add_f32_e32 v33, v24, v33
	v_add_f32_e32 v24, v24, v25
	;; [unrolled: 1-line block ×3, first 2 shown]
	v_rcp_f32_e32 v43, v41
	v_sub_f32_e32 v25, v34, v41
	v_add_f32_e32 v42, v24, v25
	v_add_f32_e32 v25, v28, v33
	v_sub_f32_e32 v24, v28, v25
	v_add_f32_e32 v28, v33, v24
	v_mul_f32_e32 v33, v25, v43
	v_mul_f32_e32 v34, v41, v33
	v_fma_f32 v36, v33, v41, -v34
	v_fmac_f32_e32 v36, v33, v42
	v_add_f32_e32 v24, v34, v36
	v_sub_f32_e32 v35, v25, v24
	v_pk_add_f32 v[38:39], v[24:25], v[34:35] neg_lo:[0,1] neg_hi:[0,1]
	v_mov_b32_e32 v37, v24
	v_pk_add_f32 v[24:25], v[38:39], v[36:37] neg_lo:[0,1] neg_hi:[0,1]
	v_cmp_neq_f32_e32 vcc, s49, v23
	v_add_f32_e32 v25, v28, v25
	v_add_f32_e32 v24, v24, v25
	;; [unrolled: 1-line block ×3, first 2 shown]
	v_mul_f32_e32 v28, v43, v25
	v_mul_f32_e32 v34, v41, v28
	v_fma_f32 v36, v28, v41, -v34
	v_fmac_f32_e32 v36, v28, v42
	v_sub_f32_e32 v35, v35, v25
	v_add_f32_e32 v41, v24, v35
	v_add_f32_e32 v24, v34, v36
	v_sub_f32_e32 v35, v25, v24
	v_pk_add_f32 v[38:39], v[24:25], v[34:35] neg_lo:[0,1] neg_hi:[0,1]
	v_mov_b32_e32 v37, v24
	v_pk_add_f32 v[24:25], v[38:39], v[36:37] neg_lo:[0,1] neg_hi:[0,1]
	v_cvt_f32_i32_e32 v34, v40
	v_add_f32_e32 v25, v41, v25
	v_add_f32_e32 v24, v24, v25
	;; [unrolled: 1-line block ×4, first 2 shown]
	v_sub_f32_e32 v25, v35, v33
	v_mul_f32_e32 v24, v43, v24
	v_sub_f32_e32 v25, v28, v25
	v_add_f32_e32 v24, v25, v24
	v_add_f32_e32 v28, v35, v24
	v_mul_f32_e32 v33, v28, v28
	v_mov_b32_e32 v25, 0x3ecc95a3
	v_sub_f32_e32 v35, v28, v35
	v_fmac_f32_e32 v25, 0x3e9b6dac, v33
	v_sub_f32_e32 v24, v24, v35
	v_fmaak_f32 v25, v33, v25, 0x3f2aaada
	v_ldexp_f32 v38, v24, 1
	v_mul_f32_e32 v35, v28, v33
	v_mov_b32_e32 v24, 0x3f317218
	v_pk_mul_f32 v[24:25], v[34:35], v[24:25]
	v_ldexp_f32 v37, v28, 1
	v_fma_f32 v28, v34, s33, -v24
	v_fmamk_f32 v36, v34, 0xb102e308, v28
	v_pk_add_f32 v[34:35], v[24:25], v[36:37]
	s_mov_b32 s33, 0x33800000
	v_sub_f32_e32 v28, v35, v37
	v_sub_f32_e32 v28, v25, v28
	v_add_f32_e32 v39, v38, v28
	v_mov_b32_e32 v38, v24
	v_pk_add_f32 v[24:25], v[34:35], v[24:25] neg_lo:[0,1] neg_hi:[0,1]
	v_pk_add_f32 v[40:41], v[34:35], v[38:39]
	v_mov_b32_e32 v37, v34
	v_mov_b32_e32 v25, v41
	v_pk_add_f32 v[42:43], v[36:37], v[24:25] neg_lo:[0,1] neg_hi:[0,1]
	v_pk_add_f32 v[24:25], v[36:37], v[24:25]
	v_mov_b32_e32 v38, v39
	v_pk_add_f32 v[36:37], v[24:25], v[34:35] op_sel:[1,0] op_sel_hi:[0,1] neg_lo:[0,1] neg_hi:[0,1]
	v_pk_add_f32 v[44:45], v[40:41], v[36:37] op_sel_hi:[1,0] neg_lo:[0,1] neg_hi:[0,1]
	v_mov_b32_e32 v40, v41
	v_mov_b32_e32 v41, v25
	v_pk_mov_b32 v[36:37], v[34:35], v[36:37] op_sel:[1,0]
	v_mov_b32_e32 v39, v34
	v_pk_add_f32 v[36:37], v[40:41], v[36:37] neg_lo:[0,1] neg_hi:[0,1]
	v_mov_b32_e32 v44, v42
	v_pk_add_f32 v[34:35], v[38:39], v[36:37] neg_lo:[0,1] neg_hi:[0,1]
	v_mov_b32_e32 v43, v25
	v_pk_add_f32 v[36:37], v[44:45], v[34:35]
	s_nop 0
	v_pk_add_f32 v[38:39], v[36:37], v[36:37] op_sel:[0,1] op_sel_hi:[1,0]
	s_nop 0
	v_pk_add_f32 v[24:25], v[24:25], v[38:39] op_sel:[1,0] op_sel_hi:[0,1]
	v_mov_b32_e32 v37, v24
	v_pk_add_f32 v[40:41], v[36:37], v[42:43] neg_lo:[0,1] neg_hi:[0,1]
	v_mov_b32_e32 v35, v38
	v_sub_f32_e32 v25, v36, v40
	v_pk_add_f32 v[34:35], v[34:35], v[40:41] neg_lo:[0,1] neg_hi:[0,1]
	v_sub_f32_e32 v25, v42, v25
	v_add_f32_e32 v25, v34, v25
	v_add_f32_e32 v25, v25, v35
	;; [unrolled: 1-line block ×3, first 2 shown]
	v_cndmask_b32_e32 v24, v27, v24, vcc
	v_cmp_lt_f32_e64 vcc, |v23|, s33
	s_nop 1
	v_cndmask_b32_e32 v23, v24, v23, vcc
	v_add_f32_e32 v23, v22, v23
.LBB512_44:
	s_or_b64 exec, exec, s[46:47]
	v_bfe_u32 v22, v23, 16, 1
	v_add3_u32 v22, v23, v22, s48
	v_and_b32_e32 v22, 0xffff0000, v22
	v_cmp_o_f32_e32 vcc, v23, v23
	v_and_b32_e32 v4, 0xffff0000, v4
	v_cmp_u_f32_e64 s[46:47], v4, v4
	v_cndmask_b32_e32 v23, v21, v22, vcc
	v_max_f32_e32 v21, v23, v23
	v_max_f32_e32 v22, v4, v4
	v_min_f32_e32 v24, v21, v22
	v_cmp_u_f32_e32 vcc, v23, v23
	v_max_f32_e32 v21, v21, v22
	s_movk_i32 s33, 0x1f8
	v_cndmask_b32_e32 v24, v24, v23, vcc
	v_cndmask_b32_e32 v21, v21, v23, vcc
	v_cndmask_b32_e64 v24, v24, v4, s[46:47]
	v_cndmask_b32_e64 v21, v21, v4, s[46:47]
	v_cmp_neq_f32_e32 vcc, v24, v21
	v_cmp_class_f32_e64 s[48:49], v24, s33
	s_or_b64 s[50:51], vcc, s[48:49]
	s_and_saveexec_b64 s[48:49], s[50:51]
	s_cbranch_execz .LBB512_46
; %bb.45:
	v_sub_f32_e32 v23, v24, v21
	s_mov_b32 s50, 0x3fb8aa3b
	v_mul_f32_e32 v24, 0x3fb8aa3b, v23
	v_fma_f32 v25, v23, s50, -v24
	v_rndne_f32_e32 v27, v24
	v_fmamk_f32 v25, v23, 0x32a5705f, v25
	v_sub_f32_e32 v24, v24, v27
	v_add_f32_e32 v24, v24, v25
	v_exp_f32_e32 v24, v24
	v_cvt_i32_f32_e32 v25, v27
	s_mov_b32 s50, 0xc2ce8ed0
	v_cmp_ngt_f32_e32 vcc, s50, v23
	s_mov_b32 s50, 0x42b17218
	v_ldexp_f32 v24, v24, v25
	v_cndmask_b32_e32 v24, 0, v24, vcc
	v_mov_b32_e32 v27, 0x7f800000
	v_cmp_nlt_f32_e32 vcc, s50, v23
	s_mov_b32 s50, 0x3f2aaaab
	s_mov_b32 s51, 0x7f800000
	v_cndmask_b32_e32 v23, v27, v24, vcc
	v_add_f32_e32 v28, 1.0, v23
	v_add_f32_e32 v24, -1.0, v28
	v_sub_f32_e32 v25, v24, v28
	v_add_f32_e32 v25, 1.0, v25
	v_sub_f32_e32 v24, v23, v24
	v_add_f32_e32 v33, v24, v25
	v_frexp_mant_f32_e32 v34, v28
	v_cvt_f64_f32_e32 v[24:25], v28
	v_frexp_exp_i32_f64_e32 v24, v[24:25]
	v_cmp_gt_f32_e32 vcc, s50, v34
	s_mov_b32 s50, 0x3f317218
	s_nop 0
	v_subbrev_co_u32_e32 v40, vcc, 0, v24, vcc
	v_sub_u32_e32 v24, 0, v40
	v_ldexp_f32 v25, v28, v24
	v_add_f32_e32 v28, -1.0, v25
	v_add_f32_e32 v34, 1.0, v25
	v_ldexp_f32 v24, v33, v24
	v_add_f32_e32 v33, 1.0, v28
	v_add_f32_e32 v35, -1.0, v34
	v_sub_f32_e32 v33, v25, v33
	v_sub_f32_e32 v25, v25, v35
	v_add_f32_e32 v33, v24, v33
	v_add_f32_e32 v24, v24, v25
	;; [unrolled: 1-line block ×3, first 2 shown]
	v_rcp_f32_e32 v43, v41
	v_sub_f32_e32 v25, v34, v41
	v_add_f32_e32 v42, v24, v25
	v_add_f32_e32 v25, v28, v33
	v_sub_f32_e32 v24, v28, v25
	v_add_f32_e32 v28, v33, v24
	v_mul_f32_e32 v33, v25, v43
	v_mul_f32_e32 v34, v41, v33
	v_fma_f32 v36, v33, v41, -v34
	v_fmac_f32_e32 v36, v33, v42
	v_add_f32_e32 v24, v34, v36
	v_sub_f32_e32 v35, v25, v24
	v_pk_add_f32 v[38:39], v[24:25], v[34:35] neg_lo:[0,1] neg_hi:[0,1]
	v_mov_b32_e32 v37, v24
	v_pk_add_f32 v[24:25], v[38:39], v[36:37] neg_lo:[0,1] neg_hi:[0,1]
	v_cmp_neq_f32_e32 vcc, s51, v23
	v_add_f32_e32 v25, v28, v25
	v_add_f32_e32 v24, v24, v25
	;; [unrolled: 1-line block ×3, first 2 shown]
	v_mul_f32_e32 v28, v43, v25
	v_mul_f32_e32 v34, v41, v28
	v_fma_f32 v36, v28, v41, -v34
	v_fmac_f32_e32 v36, v28, v42
	v_sub_f32_e32 v35, v35, v25
	v_add_f32_e32 v41, v24, v35
	v_add_f32_e32 v24, v34, v36
	v_sub_f32_e32 v35, v25, v24
	v_pk_add_f32 v[38:39], v[24:25], v[34:35] neg_lo:[0,1] neg_hi:[0,1]
	v_mov_b32_e32 v37, v24
	v_pk_add_f32 v[24:25], v[38:39], v[36:37] neg_lo:[0,1] neg_hi:[0,1]
	v_cvt_f32_i32_e32 v34, v40
	v_add_f32_e32 v25, v41, v25
	v_add_f32_e32 v24, v24, v25
	;; [unrolled: 1-line block ×4, first 2 shown]
	v_sub_f32_e32 v25, v35, v33
	v_mul_f32_e32 v24, v43, v24
	v_sub_f32_e32 v25, v28, v25
	v_add_f32_e32 v24, v25, v24
	v_add_f32_e32 v28, v35, v24
	v_mul_f32_e32 v33, v28, v28
	v_mov_b32_e32 v25, 0x3ecc95a3
	v_sub_f32_e32 v35, v28, v35
	v_fmac_f32_e32 v25, 0x3e9b6dac, v33
	v_sub_f32_e32 v24, v24, v35
	v_fmaak_f32 v25, v33, v25, 0x3f2aaada
	v_ldexp_f32 v38, v24, 1
	v_mul_f32_e32 v35, v28, v33
	v_mov_b32_e32 v24, 0x3f317218
	v_pk_mul_f32 v[24:25], v[34:35], v[24:25]
	v_ldexp_f32 v37, v28, 1
	v_fma_f32 v28, v34, s50, -v24
	v_fmamk_f32 v36, v34, 0xb102e308, v28
	v_pk_add_f32 v[34:35], v[24:25], v[36:37]
	s_mov_b32 s50, 0x33800000
	v_sub_f32_e32 v28, v35, v37
	v_sub_f32_e32 v28, v25, v28
	v_add_f32_e32 v39, v38, v28
	v_mov_b32_e32 v38, v24
	v_pk_add_f32 v[24:25], v[34:35], v[24:25] neg_lo:[0,1] neg_hi:[0,1]
	v_pk_add_f32 v[40:41], v[34:35], v[38:39]
	v_mov_b32_e32 v37, v34
	v_mov_b32_e32 v25, v41
	v_pk_add_f32 v[42:43], v[36:37], v[24:25] neg_lo:[0,1] neg_hi:[0,1]
	v_pk_add_f32 v[24:25], v[36:37], v[24:25]
	v_mov_b32_e32 v38, v39
	v_pk_add_f32 v[36:37], v[24:25], v[34:35] op_sel:[1,0] op_sel_hi:[0,1] neg_lo:[0,1] neg_hi:[0,1]
	v_pk_add_f32 v[44:45], v[40:41], v[36:37] op_sel_hi:[1,0] neg_lo:[0,1] neg_hi:[0,1]
	v_mov_b32_e32 v40, v41
	v_mov_b32_e32 v41, v25
	v_pk_mov_b32 v[36:37], v[34:35], v[36:37] op_sel:[1,0]
	v_mov_b32_e32 v39, v34
	v_pk_add_f32 v[36:37], v[40:41], v[36:37] neg_lo:[0,1] neg_hi:[0,1]
	v_mov_b32_e32 v44, v42
	v_pk_add_f32 v[34:35], v[38:39], v[36:37] neg_lo:[0,1] neg_hi:[0,1]
	v_mov_b32_e32 v43, v25
	v_pk_add_f32 v[36:37], v[44:45], v[34:35]
	s_nop 0
	v_pk_add_f32 v[38:39], v[36:37], v[36:37] op_sel:[0,1] op_sel_hi:[1,0]
	s_nop 0
	v_pk_add_f32 v[24:25], v[24:25], v[38:39] op_sel:[1,0] op_sel_hi:[0,1]
	v_mov_b32_e32 v37, v24
	v_pk_add_f32 v[40:41], v[36:37], v[42:43] neg_lo:[0,1] neg_hi:[0,1]
	v_mov_b32_e32 v35, v38
	v_sub_f32_e32 v25, v36, v40
	v_pk_add_f32 v[34:35], v[34:35], v[40:41] neg_lo:[0,1] neg_hi:[0,1]
	v_sub_f32_e32 v25, v42, v25
	v_add_f32_e32 v25, v34, v25
	v_add_f32_e32 v25, v25, v35
	;; [unrolled: 1-line block ×3, first 2 shown]
	v_cndmask_b32_e32 v24, v27, v24, vcc
	v_cmp_lt_f32_e64 vcc, |v23|, s50
	s_nop 1
	v_cndmask_b32_e32 v23, v24, v23, vcc
	v_add_f32_e32 v23, v21, v23
.LBB512_46:
	s_or_b64 exec, exec, s[48:49]
	v_bfe_u32 v21, v23, 16, 1
	s_movk_i32 s52, 0x7fff
	v_add3_u32 v21, v23, v21, s52
	v_and_b32_e32 v21, 0xffff0000, v21
	v_mov_b32_e32 v24, 0x7fc00000
	v_cmp_o_f32_e32 vcc, v23, v23
	s_nop 1
	v_cndmask_b32_e32 v27, v24, v21, vcc
	v_lshlrev_b32_e32 v21, 16, v5
	v_max_f32_e32 v25, v27, v27
	v_max_f32_e32 v23, v21, v21
	v_min_f32_e32 v28, v25, v23
	v_cmp_u_f32_e32 vcc, v27, v27
	v_max_f32_e32 v25, v25, v23
	v_cmp_u_f32_e64 s[48:49], v21, v21
	v_cndmask_b32_e32 v28, v28, v27, vcc
	v_cndmask_b32_e32 v25, v25, v27, vcc
	v_cndmask_b32_e64 v28, v28, v21, s[48:49]
	v_cndmask_b32_e64 v25, v25, v21, s[48:49]
	v_cmp_neq_f32_e32 vcc, v28, v25
	v_cmp_class_f32_e64 s[50:51], v28, s33
	s_or_b64 s[54:55], vcc, s[50:51]
	s_and_saveexec_b64 s[50:51], s[54:55]
	s_cbranch_execz .LBB512_48
; %bb.47:
	v_sub_f32_e32 v27, v28, v25
	s_mov_b32 s33, 0x3fb8aa3b
	v_mul_f32_e32 v28, 0x3fb8aa3b, v27
	v_fma_f32 v33, v27, s33, -v28
	v_rndne_f32_e32 v34, v28
	v_fmamk_f32 v33, v27, 0x32a5705f, v33
	v_sub_f32_e32 v28, v28, v34
	v_add_f32_e32 v28, v28, v33
	v_exp_f32_e32 v28, v28
	v_cvt_i32_f32_e32 v33, v34
	s_mov_b32 s33, 0xc2ce8ed0
	v_cmp_ngt_f32_e32 vcc, s33, v27
	s_mov_b32 s33, 0x42b17218
	v_ldexp_f32 v28, v28, v33
	v_cndmask_b32_e32 v28, 0, v28, vcc
	v_mov_b32_e32 v33, 0x7f800000
	v_cmp_nlt_f32_e32 vcc, s33, v27
	s_mov_b32 s33, 0x3f2aaaab
	s_mov_b32 s53, 0x7f800000
	v_cndmask_b32_e32 v27, v33, v28, vcc
	v_add_f32_e32 v28, 1.0, v27
	v_add_f32_e32 v34, -1.0, v28
	v_sub_f32_e32 v35, v34, v28
	v_add_f32_e32 v35, 1.0, v35
	v_sub_f32_e32 v34, v27, v34
	v_add_f32_e32 v36, v34, v35
	v_frexp_mant_f32_e32 v37, v28
	v_cvt_f64_f32_e32 v[34:35], v28
	v_frexp_exp_i32_f64_e32 v34, v[34:35]
	v_cmp_gt_f32_e32 vcc, s33, v37
	s_mov_b32 s33, 0x3f317218
	s_nop 0
	v_subbrev_co_u32_e32 v42, vcc, 0, v34, vcc
	v_sub_u32_e32 v34, 0, v42
	v_ldexp_f32 v28, v28, v34
	v_ldexp_f32 v34, v36, v34
	v_add_f32_e32 v36, -1.0, v28
	v_add_f32_e32 v35, 1.0, v36
	v_sub_f32_e32 v35, v28, v35
	v_add_f32_e32 v37, v34, v35
	v_add_f32_e32 v35, 1.0, v28
	v_add_f32_e32 v38, -1.0, v35
	v_sub_f32_e32 v28, v28, v38
	v_add_f32_e32 v28, v34, v28
	v_add_f32_e32 v43, v35, v28
	v_rcp_f32_e32 v44, v43
	v_sub_f32_e32 v34, v35, v43
	v_add_f32_e32 v35, v36, v37
	v_add_f32_e32 v28, v28, v34
	v_mul_f32_e32 v46, v35, v44
	v_sub_f32_e32 v34, v36, v35
	v_mul_f32_e32 v36, v43, v46
	v_fma_f32 v38, v46, v43, -v36
	v_fmac_f32_e32 v38, v46, v28
	v_add_f32_e32 v45, v37, v34
	v_add_f32_e32 v34, v36, v38
	v_sub_f32_e32 v37, v35, v34
	v_pk_add_f32 v[40:41], v[34:35], v[36:37] neg_lo:[0,1] neg_hi:[0,1]
	v_mov_b32_e32 v39, v34
	v_pk_add_f32 v[34:35], v[40:41], v[38:39] neg_lo:[0,1] neg_hi:[0,1]
	v_cmp_neq_f32_e32 vcc, s53, v27
	v_add_f32_e32 v35, v45, v35
	v_add_f32_e32 v34, v34, v35
	;; [unrolled: 1-line block ×3, first 2 shown]
	v_mul_f32_e32 v45, v44, v35
	v_mul_f32_e32 v36, v43, v45
	v_fma_f32 v38, v45, v43, -v36
	v_fmac_f32_e32 v38, v45, v28
	v_sub_f32_e32 v28, v37, v35
	v_add_f32_e32 v28, v34, v28
	v_add_f32_e32 v34, v36, v38
	v_sub_f32_e32 v37, v35, v34
	v_pk_add_f32 v[40:41], v[34:35], v[36:37] neg_lo:[0,1] neg_hi:[0,1]
	v_mov_b32_e32 v39, v34
	v_pk_add_f32 v[34:35], v[40:41], v[38:39] neg_lo:[0,1] neg_hi:[0,1]
	v_cvt_f32_i32_e32 v36, v42
	v_add_f32_e32 v28, v28, v35
	v_add_f32_e32 v28, v34, v28
	;; [unrolled: 1-line block ×4, first 2 shown]
	v_sub_f32_e32 v35, v34, v46
	v_mul_f32_e32 v28, v44, v28
	v_sub_f32_e32 v35, v45, v35
	v_add_f32_e32 v28, v35, v28
	v_add_f32_e32 v37, v34, v28
	v_mul_f32_e32 v38, v37, v37
	v_mov_b32_e32 v35, 0x3ecc95a3
	v_fmac_f32_e32 v35, 0x3e9b6dac, v38
	v_sub_f32_e32 v34, v37, v34
	v_fmaak_f32 v35, v38, v35, 0x3f2aaada
	v_sub_f32_e32 v28, v28, v34
	v_ldexp_f32 v39, v37, 1
	v_mul_f32_e32 v37, v37, v38
	v_mov_b32_e32 v34, 0x3f317218
	v_pk_mul_f32 v[34:35], v[36:37], v[34:35]
	v_ldexp_f32 v28, v28, 1
	v_fma_f32 v37, v36, s33, -v34
	v_fmamk_f32 v38, v36, 0xb102e308, v37
	v_pk_add_f32 v[36:37], v[34:35], v[38:39]
	v_mov_b32_e32 v40, v34
	v_sub_f32_e32 v39, v37, v39
	v_sub_f32_e32 v39, v35, v39
	v_add_f32_e32 v41, v28, v39
	v_pk_add_f32 v[34:35], v[36:37], v[34:35] neg_lo:[0,1] neg_hi:[0,1]
	v_pk_add_f32 v[42:43], v[36:37], v[40:41]
	v_mov_b32_e32 v39, v36
	v_mov_b32_e32 v35, v43
	v_pk_add_f32 v[44:45], v[38:39], v[34:35] neg_lo:[0,1] neg_hi:[0,1]
	v_pk_add_f32 v[34:35], v[38:39], v[34:35]
	v_mov_b32_e32 v40, v41
	v_pk_add_f32 v[38:39], v[34:35], v[36:37] op_sel:[1,0] op_sel_hi:[0,1] neg_lo:[0,1] neg_hi:[0,1]
	v_pk_add_f32 v[46:47], v[42:43], v[38:39] op_sel_hi:[1,0] neg_lo:[0,1] neg_hi:[0,1]
	v_mov_b32_e32 v42, v43
	v_mov_b32_e32 v43, v35
	v_pk_mov_b32 v[38:39], v[36:37], v[38:39] op_sel:[1,0]
	v_mov_b32_e32 v41, v36
	v_pk_add_f32 v[38:39], v[42:43], v[38:39] neg_lo:[0,1] neg_hi:[0,1]
	v_mov_b32_e32 v46, v44
	v_pk_add_f32 v[36:37], v[40:41], v[38:39] neg_lo:[0,1] neg_hi:[0,1]
	v_mov_b32_e32 v45, v35
	v_pk_add_f32 v[38:39], v[46:47], v[36:37]
	s_mov_b32 s33, 0x33800000
	v_pk_add_f32 v[40:41], v[38:39], v[38:39] op_sel:[0,1] op_sel_hi:[1,0]
	s_nop 0
	v_pk_add_f32 v[34:35], v[34:35], v[40:41] op_sel:[1,0] op_sel_hi:[0,1]
	v_mov_b32_e32 v39, v34
	v_pk_add_f32 v[42:43], v[38:39], v[44:45] neg_lo:[0,1] neg_hi:[0,1]
	v_mov_b32_e32 v37, v40
	v_sub_f32_e32 v28, v38, v42
	v_pk_add_f32 v[36:37], v[36:37], v[42:43] neg_lo:[0,1] neg_hi:[0,1]
	v_sub_f32_e32 v28, v44, v28
	v_add_f32_e32 v28, v36, v28
	v_add_f32_e32 v28, v28, v37
	v_add_f32_e32 v28, v34, v28
	v_cndmask_b32_e32 v28, v33, v28, vcc
	v_cmp_lt_f32_e64 vcc, |v27|, s33
	s_nop 1
	v_cndmask_b32_e32 v27, v28, v27, vcc
	v_add_f32_e32 v27, v25, v27
.LBB512_48:
	s_or_b64 exec, exec, s[50:51]
	v_bfe_u32 v25, v27, 16, 1
	v_add3_u32 v25, v27, v25, s52
	v_and_b32_e32 v25, 0xffff0000, v25
	v_cmp_o_f32_e32 vcc, v27, v27
	v_and_b32_e32 v5, 0xffff0000, v5
	v_cmp_u_f32_e64 s[50:51], v5, v5
	v_cndmask_b32_e32 v27, v24, v25, vcc
	v_max_f32_e32 v24, v27, v27
	v_max_f32_e32 v25, v5, v5
	v_min_f32_e32 v28, v24, v25
	v_cmp_u_f32_e32 vcc, v27, v27
	v_max_f32_e32 v24, v24, v25
	s_movk_i32 s33, 0x1f8
	v_cndmask_b32_e32 v28, v28, v27, vcc
	v_cndmask_b32_e32 v24, v24, v27, vcc
	v_cndmask_b32_e64 v28, v28, v5, s[50:51]
	v_cndmask_b32_e64 v24, v24, v5, s[50:51]
	v_cmp_neq_f32_e32 vcc, v28, v24
	v_cmp_class_f32_e64 s[52:53], v28, s33
	s_or_b64 s[54:55], vcc, s[52:53]
	s_and_saveexec_b64 s[52:53], s[54:55]
	s_cbranch_execz .LBB512_50
; %bb.49:
	v_sub_f32_e32 v27, v28, v24
	s_mov_b32 s54, 0x3fb8aa3b
	v_mul_f32_e32 v28, 0x3fb8aa3b, v27
	v_fma_f32 v33, v27, s54, -v28
	v_rndne_f32_e32 v34, v28
	v_fmamk_f32 v33, v27, 0x32a5705f, v33
	v_sub_f32_e32 v28, v28, v34
	v_add_f32_e32 v28, v28, v33
	v_exp_f32_e32 v28, v28
	v_cvt_i32_f32_e32 v33, v34
	s_mov_b32 s54, 0xc2ce8ed0
	v_cmp_ngt_f32_e32 vcc, s54, v27
	s_mov_b32 s54, 0x42b17218
	v_ldexp_f32 v28, v28, v33
	v_cndmask_b32_e32 v28, 0, v28, vcc
	v_mov_b32_e32 v33, 0x7f800000
	v_cmp_nlt_f32_e32 vcc, s54, v27
	s_mov_b32 s54, 0x3f2aaaab
	s_mov_b32 s55, 0x7f800000
	v_cndmask_b32_e32 v27, v33, v28, vcc
	v_add_f32_e32 v28, 1.0, v27
	v_add_f32_e32 v34, -1.0, v28
	v_sub_f32_e32 v35, v34, v28
	v_add_f32_e32 v35, 1.0, v35
	v_sub_f32_e32 v34, v27, v34
	v_add_f32_e32 v36, v34, v35
	v_frexp_mant_f32_e32 v37, v28
	v_cvt_f64_f32_e32 v[34:35], v28
	v_frexp_exp_i32_f64_e32 v34, v[34:35]
	v_cmp_gt_f32_e32 vcc, s54, v37
	s_mov_b32 s54, 0x3f317218
	s_nop 0
	v_subbrev_co_u32_e32 v42, vcc, 0, v34, vcc
	v_sub_u32_e32 v34, 0, v42
	v_ldexp_f32 v28, v28, v34
	v_ldexp_f32 v34, v36, v34
	v_add_f32_e32 v36, -1.0, v28
	v_add_f32_e32 v35, 1.0, v36
	v_sub_f32_e32 v35, v28, v35
	v_add_f32_e32 v37, v34, v35
	v_add_f32_e32 v35, 1.0, v28
	v_add_f32_e32 v38, -1.0, v35
	v_sub_f32_e32 v28, v28, v38
	v_add_f32_e32 v28, v34, v28
	v_add_f32_e32 v43, v35, v28
	v_rcp_f32_e32 v44, v43
	v_sub_f32_e32 v34, v35, v43
	v_add_f32_e32 v35, v36, v37
	v_add_f32_e32 v28, v28, v34
	v_mul_f32_e32 v46, v35, v44
	v_sub_f32_e32 v34, v36, v35
	v_mul_f32_e32 v36, v43, v46
	v_fma_f32 v38, v46, v43, -v36
	v_fmac_f32_e32 v38, v46, v28
	v_add_f32_e32 v45, v37, v34
	v_add_f32_e32 v34, v36, v38
	v_sub_f32_e32 v37, v35, v34
	v_pk_add_f32 v[40:41], v[34:35], v[36:37] neg_lo:[0,1] neg_hi:[0,1]
	v_mov_b32_e32 v39, v34
	v_pk_add_f32 v[34:35], v[40:41], v[38:39] neg_lo:[0,1] neg_hi:[0,1]
	v_cmp_neq_f32_e32 vcc, s55, v27
	v_add_f32_e32 v35, v45, v35
	v_add_f32_e32 v34, v34, v35
	;; [unrolled: 1-line block ×3, first 2 shown]
	v_mul_f32_e32 v45, v44, v35
	v_mul_f32_e32 v36, v43, v45
	v_fma_f32 v38, v45, v43, -v36
	v_fmac_f32_e32 v38, v45, v28
	v_sub_f32_e32 v28, v37, v35
	v_add_f32_e32 v28, v34, v28
	v_add_f32_e32 v34, v36, v38
	v_sub_f32_e32 v37, v35, v34
	v_pk_add_f32 v[40:41], v[34:35], v[36:37] neg_lo:[0,1] neg_hi:[0,1]
	v_mov_b32_e32 v39, v34
	v_pk_add_f32 v[34:35], v[40:41], v[38:39] neg_lo:[0,1] neg_hi:[0,1]
	v_cvt_f32_i32_e32 v36, v42
	v_add_f32_e32 v28, v28, v35
	v_add_f32_e32 v28, v34, v28
	;; [unrolled: 1-line block ×4, first 2 shown]
	v_sub_f32_e32 v35, v34, v46
	v_mul_f32_e32 v28, v44, v28
	v_sub_f32_e32 v35, v45, v35
	v_add_f32_e32 v28, v35, v28
	v_add_f32_e32 v37, v34, v28
	v_mul_f32_e32 v38, v37, v37
	v_mov_b32_e32 v35, 0x3ecc95a3
	v_fmac_f32_e32 v35, 0x3e9b6dac, v38
	v_sub_f32_e32 v34, v37, v34
	v_fmaak_f32 v35, v38, v35, 0x3f2aaada
	v_sub_f32_e32 v28, v28, v34
	v_ldexp_f32 v39, v37, 1
	v_mul_f32_e32 v37, v37, v38
	v_mov_b32_e32 v34, 0x3f317218
	v_pk_mul_f32 v[34:35], v[36:37], v[34:35]
	v_ldexp_f32 v28, v28, 1
	v_fma_f32 v37, v36, s54, -v34
	v_fmamk_f32 v38, v36, 0xb102e308, v37
	v_pk_add_f32 v[36:37], v[34:35], v[38:39]
	v_mov_b32_e32 v40, v34
	v_sub_f32_e32 v39, v37, v39
	v_sub_f32_e32 v39, v35, v39
	v_add_f32_e32 v41, v28, v39
	v_pk_add_f32 v[34:35], v[36:37], v[34:35] neg_lo:[0,1] neg_hi:[0,1]
	v_pk_add_f32 v[42:43], v[36:37], v[40:41]
	v_mov_b32_e32 v39, v36
	v_mov_b32_e32 v35, v43
	v_pk_add_f32 v[44:45], v[38:39], v[34:35] neg_lo:[0,1] neg_hi:[0,1]
	v_pk_add_f32 v[34:35], v[38:39], v[34:35]
	v_mov_b32_e32 v40, v41
	v_pk_add_f32 v[38:39], v[34:35], v[36:37] op_sel:[1,0] op_sel_hi:[0,1] neg_lo:[0,1] neg_hi:[0,1]
	v_pk_add_f32 v[46:47], v[42:43], v[38:39] op_sel_hi:[1,0] neg_lo:[0,1] neg_hi:[0,1]
	v_mov_b32_e32 v42, v43
	v_mov_b32_e32 v43, v35
	v_pk_mov_b32 v[38:39], v[36:37], v[38:39] op_sel:[1,0]
	v_mov_b32_e32 v41, v36
	v_pk_add_f32 v[38:39], v[42:43], v[38:39] neg_lo:[0,1] neg_hi:[0,1]
	v_mov_b32_e32 v46, v44
	v_pk_add_f32 v[36:37], v[40:41], v[38:39] neg_lo:[0,1] neg_hi:[0,1]
	v_mov_b32_e32 v45, v35
	v_pk_add_f32 v[38:39], v[46:47], v[36:37]
	s_mov_b32 s54, 0x33800000
	v_pk_add_f32 v[40:41], v[38:39], v[38:39] op_sel:[0,1] op_sel_hi:[1,0]
	s_nop 0
	v_pk_add_f32 v[34:35], v[34:35], v[40:41] op_sel:[1,0] op_sel_hi:[0,1]
	v_mov_b32_e32 v39, v34
	v_pk_add_f32 v[42:43], v[38:39], v[44:45] neg_lo:[0,1] neg_hi:[0,1]
	v_mov_b32_e32 v37, v40
	v_sub_f32_e32 v28, v38, v42
	v_pk_add_f32 v[36:37], v[36:37], v[42:43] neg_lo:[0,1] neg_hi:[0,1]
	v_sub_f32_e32 v28, v44, v28
	v_add_f32_e32 v28, v36, v28
	v_add_f32_e32 v28, v28, v37
	;; [unrolled: 1-line block ×3, first 2 shown]
	v_cndmask_b32_e32 v28, v33, v28, vcc
	v_cmp_lt_f32_e64 vcc, |v27|, s54
	s_nop 1
	v_cndmask_b32_e32 v27, v28, v27, vcc
	v_add_f32_e32 v27, v24, v27
.LBB512_50:
	s_or_b64 exec, exec, s[52:53]
	v_bfe_u32 v24, v27, 16, 1
	s_movk_i32 s60, 0x7fff
	v_add3_u32 v24, v27, v24, s60
	v_and_b32_e32 v24, 0xffff0000, v24
	v_mov_b32_e32 v28, 0x7fc00000
	v_cmp_o_f32_e32 vcc, v27, v27
	s_nop 1
	v_cndmask_b32_e32 v34, v28, v24, vcc
	v_lshlrev_b32_e32 v24, 16, v26
	v_max_f32_e32 v33, v34, v34
	v_max_f32_e32 v27, v24, v24
	v_min_f32_e32 v35, v33, v27
	v_cmp_u_f32_e32 vcc, v34, v34
	v_max_f32_e32 v33, v33, v27
	v_cmp_u_f32_e64 s[52:53], v24, v24
	v_cndmask_b32_e32 v35, v35, v34, vcc
	v_cndmask_b32_e32 v33, v33, v34, vcc
	v_cndmask_b32_e64 v35, v35, v24, s[52:53]
	v_cndmask_b32_e64 v33, v33, v24, s[52:53]
	v_cmp_neq_f32_e32 vcc, v35, v33
	v_cmp_class_f32_e64 s[54:55], v35, s33
	s_or_b64 s[62:63], vcc, s[54:55]
	s_and_saveexec_b64 s[54:55], s[62:63]
	s_cbranch_execz .LBB512_52
; %bb.51:
	v_sub_f32_e32 v34, v35, v33
	s_mov_b32 s33, 0x3fb8aa3b
	v_mul_f32_e32 v35, 0x3fb8aa3b, v34
	v_fma_f32 v36, v34, s33, -v35
	v_rndne_f32_e32 v37, v35
	v_fmamk_f32 v36, v34, 0x32a5705f, v36
	v_sub_f32_e32 v35, v35, v37
	v_add_f32_e32 v35, v35, v36
	v_exp_f32_e32 v35, v35
	v_cvt_i32_f32_e32 v36, v37
	s_mov_b32 s33, 0xc2ce8ed0
	v_cmp_ngt_f32_e32 vcc, s33, v34
	s_mov_b32 s33, 0x42b17218
	v_ldexp_f32 v35, v35, v36
	v_cndmask_b32_e32 v35, 0, v35, vcc
	v_mov_b32_e32 v48, 0x7f800000
	v_cmp_nlt_f32_e32 vcc, s33, v34
	s_mov_b32 s33, 0x3f2aaaab
	s_mov_b32 s61, 0x7f800000
	v_cndmask_b32_e32 v49, v48, v35, vcc
	v_add_f32_e32 v36, 1.0, v49
	v_add_f32_e32 v34, -1.0, v36
	v_sub_f32_e32 v35, v34, v36
	v_add_f32_e32 v35, 1.0, v35
	v_sub_f32_e32 v34, v49, v34
	v_add_f32_e32 v37, v34, v35
	v_frexp_mant_f32_e32 v38, v36
	v_cvt_f64_f32_e32 v[34:35], v36
	v_frexp_exp_i32_f64_e32 v34, v[34:35]
	v_cmp_gt_f32_e32 vcc, s33, v38
	s_mov_b32 s33, 0x3f317218
	s_nop 0
	v_subbrev_co_u32_e32 v42, vcc, 0, v34, vcc
	v_sub_u32_e32 v34, 0, v42
	v_ldexp_f32 v35, v36, v34
	v_add_f32_e32 v36, -1.0, v35
	v_add_f32_e32 v38, 1.0, v35
	v_ldexp_f32 v34, v37, v34
	v_add_f32_e32 v37, 1.0, v36
	v_add_f32_e32 v39, -1.0, v38
	v_sub_f32_e32 v37, v35, v37
	v_sub_f32_e32 v35, v35, v39
	v_add_f32_e32 v37, v34, v37
	v_add_f32_e32 v34, v34, v35
	;; [unrolled: 1-line block ×3, first 2 shown]
	v_rcp_f32_e32 v45, v43
	v_sub_f32_e32 v35, v38, v43
	v_add_f32_e32 v44, v34, v35
	v_add_f32_e32 v35, v36, v37
	v_mul_f32_e32 v47, v35, v45
	v_sub_f32_e32 v34, v36, v35
	v_mul_f32_e32 v36, v43, v47
	v_fma_f32 v38, v47, v43, -v36
	v_fmac_f32_e32 v38, v47, v44
	v_add_f32_e32 v46, v37, v34
	v_add_f32_e32 v34, v36, v38
	v_sub_f32_e32 v37, v35, v34
	v_pk_add_f32 v[40:41], v[34:35], v[36:37] neg_lo:[0,1] neg_hi:[0,1]
	v_mov_b32_e32 v39, v34
	v_pk_add_f32 v[34:35], v[40:41], v[38:39] neg_lo:[0,1] neg_hi:[0,1]
	v_cmp_neq_f32_e32 vcc, s61, v49
	v_add_f32_e32 v35, v46, v35
	v_add_f32_e32 v34, v34, v35
	;; [unrolled: 1-line block ×3, first 2 shown]
	v_mul_f32_e32 v46, v45, v35
	v_mul_f32_e32 v36, v43, v46
	v_fma_f32 v38, v46, v43, -v36
	v_fmac_f32_e32 v38, v46, v44
	v_sub_f32_e32 v37, v37, v35
	v_add_f32_e32 v43, v34, v37
	v_add_f32_e32 v34, v36, v38
	v_sub_f32_e32 v37, v35, v34
	v_pk_add_f32 v[40:41], v[34:35], v[36:37] neg_lo:[0,1] neg_hi:[0,1]
	v_mov_b32_e32 v39, v34
	v_pk_add_f32 v[34:35], v[40:41], v[38:39] neg_lo:[0,1] neg_hi:[0,1]
	v_cvt_f32_i32_e32 v36, v42
	v_add_f32_e32 v35, v43, v35
	v_add_f32_e32 v34, v34, v35
	;; [unrolled: 1-line block ×4, first 2 shown]
	v_sub_f32_e32 v35, v37, v47
	v_mul_f32_e32 v34, v45, v34
	v_sub_f32_e32 v35, v46, v35
	v_add_f32_e32 v34, v35, v34
	v_add_f32_e32 v38, v37, v34
	v_mul_f32_e32 v40, v38, v38
	v_mov_b32_e32 v35, 0x3ecc95a3
	v_sub_f32_e32 v37, v38, v37
	v_fmac_f32_e32 v35, 0x3e9b6dac, v40
	v_sub_f32_e32 v34, v34, v37
	v_fmaak_f32 v35, v40, v35, 0x3f2aaada
	v_ldexp_f32 v41, v34, 1
	v_mul_f32_e32 v37, v38, v40
	v_mov_b32_e32 v34, 0x3f317218
	v_pk_mul_f32 v[34:35], v[36:37], v[34:35]
	v_ldexp_f32 v39, v38, 1
	v_fma_f32 v37, v36, s33, -v34
	v_fmamk_f32 v38, v36, 0xb102e308, v37
	v_pk_add_f32 v[36:37], v[34:35], v[38:39]
	v_mov_b32_e32 v40, v34
	v_sub_f32_e32 v39, v37, v39
	v_sub_f32_e32 v39, v35, v39
	v_add_f32_e32 v41, v41, v39
	v_pk_add_f32 v[34:35], v[36:37], v[34:35] neg_lo:[0,1] neg_hi:[0,1]
	v_pk_add_f32 v[42:43], v[36:37], v[40:41]
	v_mov_b32_e32 v39, v36
	v_mov_b32_e32 v35, v43
	v_pk_add_f32 v[44:45], v[38:39], v[34:35] neg_lo:[0,1] neg_hi:[0,1]
	v_pk_add_f32 v[34:35], v[38:39], v[34:35]
	v_mov_b32_e32 v40, v41
	v_pk_add_f32 v[38:39], v[34:35], v[36:37] op_sel:[1,0] op_sel_hi:[0,1] neg_lo:[0,1] neg_hi:[0,1]
	v_pk_add_f32 v[46:47], v[42:43], v[38:39] op_sel_hi:[1,0] neg_lo:[0,1] neg_hi:[0,1]
	v_mov_b32_e32 v42, v43
	v_mov_b32_e32 v43, v35
	v_pk_mov_b32 v[38:39], v[36:37], v[38:39] op_sel:[1,0]
	v_mov_b32_e32 v41, v36
	v_pk_add_f32 v[38:39], v[42:43], v[38:39] neg_lo:[0,1] neg_hi:[0,1]
	v_mov_b32_e32 v46, v44
	v_pk_add_f32 v[36:37], v[40:41], v[38:39] neg_lo:[0,1] neg_hi:[0,1]
	v_mov_b32_e32 v45, v35
	v_pk_add_f32 v[38:39], v[46:47], v[36:37]
	s_mov_b32 s33, 0x33800000
	v_pk_add_f32 v[40:41], v[38:39], v[38:39] op_sel:[0,1] op_sel_hi:[1,0]
	s_nop 0
	v_pk_add_f32 v[34:35], v[34:35], v[40:41] op_sel:[1,0] op_sel_hi:[0,1]
	v_mov_b32_e32 v39, v34
	v_pk_add_f32 v[42:43], v[38:39], v[44:45] neg_lo:[0,1] neg_hi:[0,1]
	v_mov_b32_e32 v37, v40
	v_sub_f32_e32 v35, v38, v42
	v_pk_add_f32 v[36:37], v[36:37], v[42:43] neg_lo:[0,1] neg_hi:[0,1]
	v_sub_f32_e32 v35, v44, v35
	v_add_f32_e32 v35, v36, v35
	v_add_f32_e32 v35, v35, v37
	v_add_f32_e32 v34, v34, v35
	v_cndmask_b32_e32 v34, v48, v34, vcc
	v_cmp_lt_f32_e64 vcc, |v49|, s33
	s_nop 1
	v_cndmask_b32_e32 v34, v34, v49, vcc
	v_add_f32_e32 v34, v33, v34
.LBB512_52:
	s_or_b64 exec, exec, s[54:55]
	v_bfe_u32 v33, v34, 16, 1
	v_add3_u32 v33, v34, v33, s60
	v_and_b32_e32 v33, 0xffff0000, v33
	v_cmp_o_f32_e32 vcc, v34, v34
	v_and_b32_e32 v26, 0xffff0000, v26
	v_cmp_u_f32_e64 s[54:55], v26, v26
	v_cndmask_b32_e32 v34, v28, v33, vcc
	v_max_f32_e32 v33, v34, v34
	v_max_f32_e32 v28, v26, v26
	v_min_f32_e32 v35, v33, v28
	v_cmp_u_f32_e32 vcc, v34, v34
	v_max_f32_e32 v33, v33, v28
	s_movk_i32 s33, 0x1f8
	v_cndmask_b32_e32 v35, v35, v34, vcc
	v_cndmask_b32_e32 v33, v33, v34, vcc
	v_cndmask_b32_e64 v35, v35, v26, s[54:55]
	v_cndmask_b32_e64 v33, v33, v26, s[54:55]
	v_cmp_neq_f32_e32 vcc, v35, v33
	v_cmp_class_f32_e64 s[60:61], v35, s33
	s_or_b64 s[62:63], vcc, s[60:61]
	s_and_saveexec_b64 s[60:61], s[62:63]
	s_cbranch_execz .LBB512_54
; %bb.53:
	v_sub_f32_e32 v34, v35, v33
	s_mov_b32 s33, 0x3fb8aa3b
	v_mul_f32_e32 v35, 0x3fb8aa3b, v34
	v_fma_f32 v36, v34, s33, -v35
	v_rndne_f32_e32 v37, v35
	v_fmamk_f32 v36, v34, 0x32a5705f, v36
	v_sub_f32_e32 v35, v35, v37
	v_add_f32_e32 v35, v35, v36
	v_exp_f32_e32 v35, v35
	v_cvt_i32_f32_e32 v36, v37
	s_mov_b32 s33, 0xc2ce8ed0
	v_cmp_ngt_f32_e32 vcc, s33, v34
	s_mov_b32 s33, 0x42b17218
	v_ldexp_f32 v35, v35, v36
	v_cndmask_b32_e32 v35, 0, v35, vcc
	v_mov_b32_e32 v48, 0x7f800000
	v_cmp_nlt_f32_e32 vcc, s33, v34
	s_mov_b32 s33, 0x3f2aaaab
	s_mov_b32 s62, 0x7f800000
	v_cndmask_b32_e32 v49, v48, v35, vcc
	v_add_f32_e32 v36, 1.0, v49
	v_add_f32_e32 v34, -1.0, v36
	v_sub_f32_e32 v35, v34, v36
	v_add_f32_e32 v35, 1.0, v35
	v_sub_f32_e32 v34, v49, v34
	v_add_f32_e32 v37, v34, v35
	v_frexp_mant_f32_e32 v38, v36
	v_cvt_f64_f32_e32 v[34:35], v36
	v_frexp_exp_i32_f64_e32 v34, v[34:35]
	v_cmp_gt_f32_e32 vcc, s33, v38
	s_mov_b32 s33, 0x3f317218
	s_nop 0
	v_subbrev_co_u32_e32 v42, vcc, 0, v34, vcc
	v_sub_u32_e32 v34, 0, v42
	v_ldexp_f32 v35, v36, v34
	v_add_f32_e32 v36, -1.0, v35
	v_add_f32_e32 v38, 1.0, v35
	v_ldexp_f32 v34, v37, v34
	v_add_f32_e32 v37, 1.0, v36
	v_add_f32_e32 v39, -1.0, v38
	v_sub_f32_e32 v37, v35, v37
	v_sub_f32_e32 v35, v35, v39
	v_add_f32_e32 v37, v34, v37
	v_add_f32_e32 v34, v34, v35
	;; [unrolled: 1-line block ×3, first 2 shown]
	v_rcp_f32_e32 v45, v43
	v_sub_f32_e32 v35, v38, v43
	v_add_f32_e32 v44, v34, v35
	v_add_f32_e32 v35, v36, v37
	v_mul_f32_e32 v47, v35, v45
	v_sub_f32_e32 v34, v36, v35
	v_mul_f32_e32 v36, v43, v47
	v_fma_f32 v38, v47, v43, -v36
	v_fmac_f32_e32 v38, v47, v44
	v_add_f32_e32 v46, v37, v34
	v_add_f32_e32 v34, v36, v38
	v_sub_f32_e32 v37, v35, v34
	v_pk_add_f32 v[40:41], v[34:35], v[36:37] neg_lo:[0,1] neg_hi:[0,1]
	v_mov_b32_e32 v39, v34
	v_pk_add_f32 v[34:35], v[40:41], v[38:39] neg_lo:[0,1] neg_hi:[0,1]
	v_cmp_neq_f32_e32 vcc, s62, v49
	v_add_f32_e32 v35, v46, v35
	v_add_f32_e32 v34, v34, v35
	;; [unrolled: 1-line block ×3, first 2 shown]
	v_mul_f32_e32 v46, v45, v35
	v_mul_f32_e32 v36, v43, v46
	v_fma_f32 v38, v46, v43, -v36
	v_fmac_f32_e32 v38, v46, v44
	v_sub_f32_e32 v37, v37, v35
	v_add_f32_e32 v43, v34, v37
	v_add_f32_e32 v34, v36, v38
	v_sub_f32_e32 v37, v35, v34
	v_pk_add_f32 v[40:41], v[34:35], v[36:37] neg_lo:[0,1] neg_hi:[0,1]
	v_mov_b32_e32 v39, v34
	v_pk_add_f32 v[34:35], v[40:41], v[38:39] neg_lo:[0,1] neg_hi:[0,1]
	v_cvt_f32_i32_e32 v36, v42
	v_add_f32_e32 v35, v43, v35
	v_add_f32_e32 v34, v34, v35
	;; [unrolled: 1-line block ×4, first 2 shown]
	v_sub_f32_e32 v35, v37, v47
	v_mul_f32_e32 v34, v45, v34
	v_sub_f32_e32 v35, v46, v35
	v_add_f32_e32 v34, v35, v34
	v_add_f32_e32 v38, v37, v34
	v_mul_f32_e32 v40, v38, v38
	v_mov_b32_e32 v35, 0x3ecc95a3
	v_sub_f32_e32 v37, v38, v37
	v_fmac_f32_e32 v35, 0x3e9b6dac, v40
	v_sub_f32_e32 v34, v34, v37
	v_fmaak_f32 v35, v40, v35, 0x3f2aaada
	v_ldexp_f32 v41, v34, 1
	v_mul_f32_e32 v37, v38, v40
	v_mov_b32_e32 v34, 0x3f317218
	v_pk_mul_f32 v[34:35], v[36:37], v[34:35]
	v_ldexp_f32 v39, v38, 1
	v_fma_f32 v37, v36, s33, -v34
	v_fmamk_f32 v38, v36, 0xb102e308, v37
	v_pk_add_f32 v[36:37], v[34:35], v[38:39]
	v_mov_b32_e32 v40, v34
	v_sub_f32_e32 v39, v37, v39
	v_sub_f32_e32 v39, v35, v39
	v_add_f32_e32 v41, v41, v39
	v_pk_add_f32 v[34:35], v[36:37], v[34:35] neg_lo:[0,1] neg_hi:[0,1]
	v_pk_add_f32 v[42:43], v[36:37], v[40:41]
	v_mov_b32_e32 v39, v36
	v_mov_b32_e32 v35, v43
	v_pk_add_f32 v[44:45], v[38:39], v[34:35] neg_lo:[0,1] neg_hi:[0,1]
	v_pk_add_f32 v[34:35], v[38:39], v[34:35]
	v_mov_b32_e32 v40, v41
	v_pk_add_f32 v[38:39], v[34:35], v[36:37] op_sel:[1,0] op_sel_hi:[0,1] neg_lo:[0,1] neg_hi:[0,1]
	v_pk_add_f32 v[46:47], v[42:43], v[38:39] op_sel_hi:[1,0] neg_lo:[0,1] neg_hi:[0,1]
	v_mov_b32_e32 v42, v43
	v_mov_b32_e32 v43, v35
	v_pk_mov_b32 v[38:39], v[36:37], v[38:39] op_sel:[1,0]
	v_mov_b32_e32 v41, v36
	v_pk_add_f32 v[38:39], v[42:43], v[38:39] neg_lo:[0,1] neg_hi:[0,1]
	v_mov_b32_e32 v46, v44
	v_pk_add_f32 v[36:37], v[40:41], v[38:39] neg_lo:[0,1] neg_hi:[0,1]
	v_mov_b32_e32 v45, v35
	v_pk_add_f32 v[38:39], v[46:47], v[36:37]
	s_mov_b32 s33, 0x33800000
	v_pk_add_f32 v[40:41], v[38:39], v[38:39] op_sel:[0,1] op_sel_hi:[1,0]
	s_nop 0
	v_pk_add_f32 v[34:35], v[34:35], v[40:41] op_sel:[1,0] op_sel_hi:[0,1]
	v_mov_b32_e32 v39, v34
	v_pk_add_f32 v[42:43], v[38:39], v[44:45] neg_lo:[0,1] neg_hi:[0,1]
	v_mov_b32_e32 v37, v40
	v_sub_f32_e32 v35, v38, v42
	v_pk_add_f32 v[36:37], v[36:37], v[42:43] neg_lo:[0,1] neg_hi:[0,1]
	v_sub_f32_e32 v35, v44, v35
	v_add_f32_e32 v35, v36, v35
	v_add_f32_e32 v35, v35, v37
	;; [unrolled: 1-line block ×3, first 2 shown]
	v_cndmask_b32_e32 v34, v48, v34, vcc
	v_cmp_lt_f32_e64 vcc, |v49|, s33
	s_nop 1
	v_cndmask_b32_e32 v34, v34, v49, vcc
	v_add_f32_e32 v34, v33, v34
.LBB512_54:
	s_or_b64 exec, exec, s[60:61]
	v_bfe_u32 v33, v34, 16, 1
	s_movk_i32 s33, 0x7fff
	v_add3_u32 v33, v34, v33, s33
	v_cmp_o_f32_e32 vcc, v34, v34
	v_mov_b32_e32 v34, 0x7fc0
	s_nop 0
	v_cndmask_b32_sdwa v36, v34, v33, vcc dst_sel:DWORD dst_unused:UNUSED_PAD src0_sel:DWORD src1_sel:WORD_1
	v_mbcnt_lo_u32_b32 v33, -1, 0
	v_mbcnt_hi_u32_b32 v34, -1, v33
	v_and_b32_e32 v35, 15, v34
	v_and_b32_e32 v37, 0xffff, v36
	v_cmp_ne_u32_e32 vcc, 0, v35
	s_nop 0
	v_mov_b32_dpp v33, v37 row_shr:1 row_mask:0xf bank_mask:0xf
	s_and_saveexec_b64 s[62:63], vcc
	s_cbranch_execz .LBB512_58
; %bb.55:
	v_lshlrev_b32_e32 v36, 16, v33
	v_lshlrev_b32_e32 v33, 16, v37
	v_max_f32_e32 v38, v33, v33
	v_max_f32_e32 v39, v36, v36
	v_min_f32_e32 v37, v39, v38
	v_cmp_u_f32_e32 vcc, v36, v36
	v_max_f32_e32 v38, v39, v38
	v_cmp_u_f32_e64 s[60:61], v33, v33
	v_cndmask_b32_e32 v37, v37, v36, vcc
	v_cndmask_b32_e32 v38, v38, v36, vcc
	v_cndmask_b32_e64 v37, v37, v33, s[60:61]
	v_cndmask_b32_e64 v33, v38, v33, s[60:61]
	s_movk_i32 s33, 0x1f8
	v_cmp_neq_f32_e32 vcc, v37, v33
	v_cmp_class_f32_e64 s[60:61], v37, s33
	s_or_b64 s[64:65], vcc, s[60:61]
	s_and_saveexec_b64 s[60:61], s[64:65]
	s_cbranch_execz .LBB512_57
; %bb.56:
	v_sub_f32_e32 v36, v37, v33
	s_mov_b32 s33, 0x3fb8aa3b
	v_mul_f32_e32 v37, 0x3fb8aa3b, v36
	v_fma_f32 v38, v36, s33, -v37
	v_rndne_f32_e32 v39, v37
	v_fmamk_f32 v38, v36, 0x32a5705f, v38
	v_sub_f32_e32 v37, v37, v39
	v_add_f32_e32 v37, v37, v38
	v_exp_f32_e32 v37, v37
	v_cvt_i32_f32_e32 v38, v39
	s_mov_b32 s33, 0xc2ce8ed0
	v_cmp_ngt_f32_e32 vcc, s33, v36
	s_mov_b32 s33, 0x42b17218
	v_ldexp_f32 v37, v37, v38
	v_cndmask_b32_e32 v37, 0, v37, vcc
	v_mov_b32_e32 v50, 0x7f800000
	v_cmp_nlt_f32_e32 vcc, s33, v36
	s_mov_b32 s33, 0x3f2aaaab
	s_mov_b32 s64, 0x7f800000
	v_cndmask_b32_e32 v51, v50, v37, vcc
	v_add_f32_e32 v38, 1.0, v51
	v_add_f32_e32 v36, -1.0, v38
	v_sub_f32_e32 v37, v36, v38
	v_add_f32_e32 v37, 1.0, v37
	v_sub_f32_e32 v36, v51, v36
	v_add_f32_e32 v39, v36, v37
	v_frexp_mant_f32_e32 v40, v38
	v_cvt_f64_f32_e32 v[36:37], v38
	v_frexp_exp_i32_f64_e32 v36, v[36:37]
	v_cmp_gt_f32_e32 vcc, s33, v40
	s_mov_b32 s33, 0x3f317218
	s_nop 0
	v_subbrev_co_u32_e32 v44, vcc, 0, v36, vcc
	v_sub_u32_e32 v36, 0, v44
	v_ldexp_f32 v37, v38, v36
	v_add_f32_e32 v38, -1.0, v37
	v_add_f32_e32 v40, 1.0, v37
	v_ldexp_f32 v36, v39, v36
	v_add_f32_e32 v39, 1.0, v38
	v_add_f32_e32 v41, -1.0, v40
	v_sub_f32_e32 v39, v37, v39
	v_sub_f32_e32 v37, v37, v41
	v_add_f32_e32 v39, v36, v39
	v_add_f32_e32 v36, v36, v37
	;; [unrolled: 1-line block ×3, first 2 shown]
	v_rcp_f32_e32 v47, v45
	v_sub_f32_e32 v37, v40, v45
	v_add_f32_e32 v46, v36, v37
	v_add_f32_e32 v37, v38, v39
	v_mul_f32_e32 v49, v37, v47
	v_sub_f32_e32 v36, v38, v37
	v_mul_f32_e32 v38, v45, v49
	v_fma_f32 v40, v49, v45, -v38
	v_fmac_f32_e32 v40, v49, v46
	v_add_f32_e32 v48, v39, v36
	v_add_f32_e32 v36, v38, v40
	v_sub_f32_e32 v39, v37, v36
	v_pk_add_f32 v[42:43], v[36:37], v[38:39] neg_lo:[0,1] neg_hi:[0,1]
	v_mov_b32_e32 v41, v36
	v_pk_add_f32 v[36:37], v[42:43], v[40:41] neg_lo:[0,1] neg_hi:[0,1]
	v_cmp_neq_f32_e32 vcc, s64, v51
	v_add_f32_e32 v37, v48, v37
	v_add_f32_e32 v36, v36, v37
	;; [unrolled: 1-line block ×3, first 2 shown]
	v_mul_f32_e32 v48, v47, v37
	v_mul_f32_e32 v38, v45, v48
	v_fma_f32 v40, v48, v45, -v38
	v_fmac_f32_e32 v40, v48, v46
	v_sub_f32_e32 v39, v39, v37
	v_add_f32_e32 v45, v36, v39
	v_add_f32_e32 v36, v38, v40
	v_sub_f32_e32 v39, v37, v36
	v_pk_add_f32 v[42:43], v[36:37], v[38:39] neg_lo:[0,1] neg_hi:[0,1]
	v_mov_b32_e32 v41, v36
	v_pk_add_f32 v[36:37], v[42:43], v[40:41] neg_lo:[0,1] neg_hi:[0,1]
	v_cvt_f32_i32_e32 v38, v44
	v_add_f32_e32 v37, v45, v37
	v_add_f32_e32 v36, v36, v37
	;; [unrolled: 1-line block ×4, first 2 shown]
	v_sub_f32_e32 v37, v39, v49
	v_mul_f32_e32 v36, v47, v36
	v_sub_f32_e32 v37, v48, v37
	v_add_f32_e32 v36, v37, v36
	v_add_f32_e32 v40, v39, v36
	v_mul_f32_e32 v42, v40, v40
	v_mov_b32_e32 v37, 0x3ecc95a3
	v_sub_f32_e32 v39, v40, v39
	v_fmac_f32_e32 v37, 0x3e9b6dac, v42
	v_sub_f32_e32 v36, v36, v39
	v_fmaak_f32 v37, v42, v37, 0x3f2aaada
	v_ldexp_f32 v43, v36, 1
	v_mul_f32_e32 v39, v40, v42
	v_mov_b32_e32 v36, 0x3f317218
	v_pk_mul_f32 v[36:37], v[38:39], v[36:37]
	v_ldexp_f32 v41, v40, 1
	v_fma_f32 v39, v38, s33, -v36
	v_fmamk_f32 v40, v38, 0xb102e308, v39
	v_pk_add_f32 v[38:39], v[36:37], v[40:41]
	v_mov_b32_e32 v42, v36
	v_sub_f32_e32 v41, v39, v41
	v_sub_f32_e32 v41, v37, v41
	v_add_f32_e32 v43, v43, v41
	v_pk_add_f32 v[36:37], v[38:39], v[36:37] neg_lo:[0,1] neg_hi:[0,1]
	v_pk_add_f32 v[44:45], v[38:39], v[42:43]
	v_mov_b32_e32 v41, v38
	v_mov_b32_e32 v37, v45
	v_pk_add_f32 v[46:47], v[40:41], v[36:37] neg_lo:[0,1] neg_hi:[0,1]
	v_pk_add_f32 v[36:37], v[40:41], v[36:37]
	v_mov_b32_e32 v42, v43
	v_pk_add_f32 v[40:41], v[36:37], v[38:39] op_sel:[1,0] op_sel_hi:[0,1] neg_lo:[0,1] neg_hi:[0,1]
	v_pk_add_f32 v[48:49], v[44:45], v[40:41] op_sel_hi:[1,0] neg_lo:[0,1] neg_hi:[0,1]
	v_mov_b32_e32 v44, v45
	v_mov_b32_e32 v45, v37
	v_pk_mov_b32 v[40:41], v[38:39], v[40:41] op_sel:[1,0]
	v_mov_b32_e32 v43, v38
	v_pk_add_f32 v[40:41], v[44:45], v[40:41] neg_lo:[0,1] neg_hi:[0,1]
	v_mov_b32_e32 v48, v46
	v_pk_add_f32 v[38:39], v[42:43], v[40:41] neg_lo:[0,1] neg_hi:[0,1]
	v_mov_b32_e32 v47, v37
	v_pk_add_f32 v[40:41], v[48:49], v[38:39]
	s_mov_b32 s33, 0x33800000
	v_pk_add_f32 v[42:43], v[40:41], v[40:41] op_sel:[0,1] op_sel_hi:[1,0]
	s_nop 0
	v_pk_add_f32 v[36:37], v[36:37], v[42:43] op_sel:[1,0] op_sel_hi:[0,1]
	v_mov_b32_e32 v41, v36
	v_pk_add_f32 v[44:45], v[40:41], v[46:47] neg_lo:[0,1] neg_hi:[0,1]
	v_mov_b32_e32 v39, v42
	v_sub_f32_e32 v37, v40, v44
	v_pk_add_f32 v[38:39], v[38:39], v[44:45] neg_lo:[0,1] neg_hi:[0,1]
	v_sub_f32_e32 v37, v46, v37
	v_add_f32_e32 v37, v38, v37
	v_add_f32_e32 v37, v37, v39
	;; [unrolled: 1-line block ×3, first 2 shown]
	v_cndmask_b32_e32 v36, v50, v36, vcc
	v_cmp_lt_f32_e64 vcc, |v51|, s33
	s_nop 1
	v_cndmask_b32_e32 v36, v36, v51, vcc
	v_add_f32_e32 v36, v33, v36
.LBB512_57:
	s_or_b64 exec, exec, s[60:61]
	v_bfe_u32 v33, v36, 16, 1
	s_movk_i32 s33, 0x7fff
	v_add3_u32 v33, v36, v33, s33
	v_cmp_o_f32_e32 vcc, v36, v36
	v_mov_b32_e32 v36, 0x7fc0
	s_nop 0
	v_cndmask_b32_sdwa v36, v36, v33, vcc dst_sel:DWORD dst_unused:UNUSED_PAD src0_sel:DWORD src1_sel:WORD_1
	v_and_b32_e32 v37, 0xffff, v36
.LBB512_58:
	s_or_b64 exec, exec, s[62:63]
	s_load_dwordx2 s[60:61], s[0:1], 0x18
	v_mul_u32_u24_e32 v33, 26, v0
	v_mov_b32_dpp v38, v37 row_shr:2 row_mask:0xf bank_mask:0xf
	v_cmp_lt_u32_e32 vcc, 1, v35
	s_and_saveexec_b64 s[62:63], vcc
	s_cbranch_execz .LBB512_62
; %bb.59:
	v_lshlrev_b32_e32 v38, 16, v38
	v_lshlrev_b32_e32 v36, 16, v37
	v_max_f32_e32 v39, v36, v36
	v_max_f32_e32 v40, v38, v38
	v_min_f32_e32 v37, v40, v39
	v_cmp_u_f32_e32 vcc, v38, v38
	v_max_f32_e32 v39, v40, v39
	v_cmp_u_f32_e64 s[0:1], v36, v36
	v_cndmask_b32_e32 v37, v37, v38, vcc
	v_cndmask_b32_e32 v39, v39, v38, vcc
	v_cndmask_b32_e64 v37, v37, v36, s[0:1]
	v_cndmask_b32_e64 v36, v39, v36, s[0:1]
	s_movk_i32 s0, 0x1f8
	v_cmp_neq_f32_e32 vcc, v37, v36
	v_cmp_class_f32_e64 s[0:1], v37, s0
	s_or_b64 s[64:65], vcc, s[0:1]
	s_and_saveexec_b64 s[0:1], s[64:65]
	s_cbranch_execz .LBB512_61
; %bb.60:
	v_sub_f32_e32 v37, v37, v36
	s_mov_b32 s33, 0x3fb8aa3b
	v_mul_f32_e32 v38, 0x3fb8aa3b, v37
	v_fma_f32 v39, v37, s33, -v38
	v_rndne_f32_e32 v40, v38
	v_fmamk_f32 v39, v37, 0x32a5705f, v39
	v_sub_f32_e32 v38, v38, v40
	v_add_f32_e32 v38, v38, v39
	v_exp_f32_e32 v38, v38
	v_cvt_i32_f32_e32 v39, v40
	s_mov_b32 s33, 0xc2ce8ed0
	v_cmp_ngt_f32_e32 vcc, s33, v37
	s_mov_b32 s33, 0x42b17218
	v_ldexp_f32 v38, v38, v39
	v_cndmask_b32_e32 v38, 0, v38, vcc
	v_mov_b32_e32 v52, 0x7f800000
	v_cmp_nlt_f32_e32 vcc, s33, v37
	s_mov_b32 s33, 0x3f2aaaab
	s_mov_b32 s64, 0x7f800000
	v_cndmask_b32_e32 v37, v52, v38, vcc
	v_add_f32_e32 v40, 1.0, v37
	v_add_f32_e32 v38, -1.0, v40
	v_sub_f32_e32 v39, v38, v40
	v_add_f32_e32 v39, 1.0, v39
	v_sub_f32_e32 v38, v37, v38
	v_add_f32_e32 v41, v38, v39
	v_frexp_mant_f32_e32 v42, v40
	v_cvt_f64_f32_e32 v[38:39], v40
	v_frexp_exp_i32_f64_e32 v38, v[38:39]
	v_cmp_gt_f32_e32 vcc, s33, v42
	s_mov_b32 s33, 0x3f317218
	s_nop 0
	v_subbrev_co_u32_e32 v46, vcc, 0, v38, vcc
	v_sub_u32_e32 v38, 0, v46
	v_ldexp_f32 v39, v40, v38
	v_add_f32_e32 v40, -1.0, v39
	v_add_f32_e32 v42, 1.0, v39
	v_ldexp_f32 v38, v41, v38
	v_add_f32_e32 v41, 1.0, v40
	v_add_f32_e32 v43, -1.0, v42
	v_sub_f32_e32 v41, v39, v41
	v_sub_f32_e32 v39, v39, v43
	v_add_f32_e32 v41, v38, v41
	v_add_f32_e32 v38, v38, v39
	;; [unrolled: 1-line block ×3, first 2 shown]
	v_rcp_f32_e32 v49, v47
	v_sub_f32_e32 v39, v42, v47
	v_add_f32_e32 v48, v38, v39
	v_add_f32_e32 v39, v40, v41
	v_mul_f32_e32 v51, v39, v49
	v_sub_f32_e32 v38, v40, v39
	v_mul_f32_e32 v40, v47, v51
	v_fma_f32 v42, v51, v47, -v40
	v_fmac_f32_e32 v42, v51, v48
	v_add_f32_e32 v50, v41, v38
	v_add_f32_e32 v38, v40, v42
	v_sub_f32_e32 v41, v39, v38
	v_pk_add_f32 v[44:45], v[38:39], v[40:41] neg_lo:[0,1] neg_hi:[0,1]
	v_mov_b32_e32 v43, v38
	v_pk_add_f32 v[38:39], v[44:45], v[42:43] neg_lo:[0,1] neg_hi:[0,1]
	v_cmp_neq_f32_e32 vcc, s64, v37
	v_add_f32_e32 v39, v50, v39
	v_add_f32_e32 v38, v38, v39
	;; [unrolled: 1-line block ×3, first 2 shown]
	v_mul_f32_e32 v50, v49, v39
	v_mul_f32_e32 v40, v47, v50
	v_fma_f32 v42, v50, v47, -v40
	v_fmac_f32_e32 v42, v50, v48
	v_sub_f32_e32 v41, v41, v39
	v_add_f32_e32 v47, v38, v41
	v_add_f32_e32 v38, v40, v42
	v_sub_f32_e32 v41, v39, v38
	v_pk_add_f32 v[44:45], v[38:39], v[40:41] neg_lo:[0,1] neg_hi:[0,1]
	v_mov_b32_e32 v43, v38
	v_pk_add_f32 v[38:39], v[44:45], v[42:43] neg_lo:[0,1] neg_hi:[0,1]
	v_cvt_f32_i32_e32 v40, v46
	v_add_f32_e32 v39, v47, v39
	v_add_f32_e32 v38, v38, v39
	;; [unrolled: 1-line block ×4, first 2 shown]
	v_sub_f32_e32 v39, v41, v51
	v_mul_f32_e32 v38, v49, v38
	v_sub_f32_e32 v39, v50, v39
	v_add_f32_e32 v38, v39, v38
	v_add_f32_e32 v42, v41, v38
	v_mul_f32_e32 v44, v42, v42
	v_mov_b32_e32 v39, 0x3ecc95a3
	v_sub_f32_e32 v41, v42, v41
	v_fmac_f32_e32 v39, 0x3e9b6dac, v44
	v_sub_f32_e32 v38, v38, v41
	v_fmaak_f32 v39, v44, v39, 0x3f2aaada
	v_ldexp_f32 v45, v38, 1
	v_mul_f32_e32 v41, v42, v44
	v_mov_b32_e32 v38, 0x3f317218
	v_pk_mul_f32 v[38:39], v[40:41], v[38:39]
	v_ldexp_f32 v43, v42, 1
	v_fma_f32 v41, v40, s33, -v38
	v_fmamk_f32 v42, v40, 0xb102e308, v41
	v_pk_add_f32 v[40:41], v[38:39], v[42:43]
	v_mov_b32_e32 v44, v38
	v_sub_f32_e32 v43, v41, v43
	v_sub_f32_e32 v43, v39, v43
	v_add_f32_e32 v45, v45, v43
	v_pk_add_f32 v[38:39], v[40:41], v[38:39] neg_lo:[0,1] neg_hi:[0,1]
	v_pk_add_f32 v[46:47], v[40:41], v[44:45]
	v_mov_b32_e32 v43, v40
	v_mov_b32_e32 v39, v47
	v_pk_add_f32 v[48:49], v[42:43], v[38:39] neg_lo:[0,1] neg_hi:[0,1]
	v_pk_add_f32 v[38:39], v[42:43], v[38:39]
	v_mov_b32_e32 v44, v45
	v_pk_add_f32 v[42:43], v[38:39], v[40:41] op_sel:[1,0] op_sel_hi:[0,1] neg_lo:[0,1] neg_hi:[0,1]
	v_pk_add_f32 v[50:51], v[46:47], v[42:43] op_sel_hi:[1,0] neg_lo:[0,1] neg_hi:[0,1]
	v_mov_b32_e32 v46, v47
	v_mov_b32_e32 v47, v39
	v_pk_mov_b32 v[42:43], v[40:41], v[42:43] op_sel:[1,0]
	v_mov_b32_e32 v45, v40
	v_pk_add_f32 v[42:43], v[46:47], v[42:43] neg_lo:[0,1] neg_hi:[0,1]
	v_mov_b32_e32 v50, v48
	v_pk_add_f32 v[40:41], v[44:45], v[42:43] neg_lo:[0,1] neg_hi:[0,1]
	v_mov_b32_e32 v49, v39
	v_pk_add_f32 v[42:43], v[50:51], v[40:41]
	s_mov_b32 s33, 0x33800000
	v_pk_add_f32 v[44:45], v[42:43], v[42:43] op_sel:[0,1] op_sel_hi:[1,0]
	s_nop 0
	v_pk_add_f32 v[38:39], v[38:39], v[44:45] op_sel:[1,0] op_sel_hi:[0,1]
	v_mov_b32_e32 v43, v38
	v_pk_add_f32 v[46:47], v[42:43], v[48:49] neg_lo:[0,1] neg_hi:[0,1]
	v_mov_b32_e32 v41, v44
	v_sub_f32_e32 v39, v42, v46
	v_pk_add_f32 v[40:41], v[40:41], v[46:47] neg_lo:[0,1] neg_hi:[0,1]
	v_sub_f32_e32 v39, v48, v39
	v_add_f32_e32 v39, v40, v39
	v_add_f32_e32 v39, v39, v41
	;; [unrolled: 1-line block ×3, first 2 shown]
	v_cndmask_b32_e32 v38, v52, v38, vcc
	v_cmp_lt_f32_e64 vcc, |v37|, s33
	s_nop 1
	v_cndmask_b32_e32 v37, v38, v37, vcc
	v_add_f32_e32 v38, v36, v37
.LBB512_61:
	s_or_b64 exec, exec, s[0:1]
	v_bfe_u32 v36, v38, 16, 1
	s_movk_i32 s0, 0x7fff
	v_add3_u32 v36, v38, v36, s0
	v_cmp_o_f32_e32 vcc, v38, v38
	v_mov_b32_e32 v37, 0x7fc0
	s_nop 0
	v_cndmask_b32_sdwa v36, v37, v36, vcc dst_sel:DWORD dst_unused:UNUSED_PAD src0_sel:DWORD src1_sel:WORD_1
	v_and_b32_e32 v37, 0xffff, v36
.LBB512_62:
	s_or_b64 exec, exec, s[62:63]
	s_nop 0
	v_mov_b32_dpp v38, v37 row_shr:4 row_mask:0xf bank_mask:0xf
	v_cmp_lt_u32_e32 vcc, 3, v35
	s_and_saveexec_b64 s[62:63], vcc
	s_cbranch_execz .LBB512_66
; %bb.63:
	v_lshlrev_b32_e32 v38, 16, v38
	v_lshlrev_b32_e32 v36, 16, v37
	v_max_f32_e32 v39, v36, v36
	v_max_f32_e32 v40, v38, v38
	v_min_f32_e32 v37, v40, v39
	v_cmp_u_f32_e32 vcc, v38, v38
	v_max_f32_e32 v39, v40, v39
	v_cmp_u_f32_e64 s[0:1], v36, v36
	v_cndmask_b32_e32 v37, v37, v38, vcc
	v_cndmask_b32_e32 v39, v39, v38, vcc
	v_cndmask_b32_e64 v37, v37, v36, s[0:1]
	v_cndmask_b32_e64 v36, v39, v36, s[0:1]
	s_movk_i32 s0, 0x1f8
	v_cmp_neq_f32_e32 vcc, v37, v36
	v_cmp_class_f32_e64 s[0:1], v37, s0
	s_or_b64 s[64:65], vcc, s[0:1]
	s_and_saveexec_b64 s[0:1], s[64:65]
	s_cbranch_execz .LBB512_65
; %bb.64:
	v_sub_f32_e32 v37, v37, v36
	s_mov_b32 s33, 0x3fb8aa3b
	v_mul_f32_e32 v38, 0x3fb8aa3b, v37
	v_fma_f32 v39, v37, s33, -v38
	v_rndne_f32_e32 v40, v38
	v_fmamk_f32 v39, v37, 0x32a5705f, v39
	v_sub_f32_e32 v38, v38, v40
	v_add_f32_e32 v38, v38, v39
	v_exp_f32_e32 v38, v38
	v_cvt_i32_f32_e32 v39, v40
	s_mov_b32 s33, 0xc2ce8ed0
	v_cmp_ngt_f32_e32 vcc, s33, v37
	s_mov_b32 s33, 0x42b17218
	v_ldexp_f32 v38, v38, v39
	v_cndmask_b32_e32 v38, 0, v38, vcc
	v_mov_b32_e32 v52, 0x7f800000
	v_cmp_nlt_f32_e32 vcc, s33, v37
	s_mov_b32 s33, 0x3f2aaaab
	s_mov_b32 s64, 0x7f800000
	v_cndmask_b32_e32 v37, v52, v38, vcc
	v_add_f32_e32 v40, 1.0, v37
	v_add_f32_e32 v38, -1.0, v40
	v_sub_f32_e32 v39, v38, v40
	v_add_f32_e32 v39, 1.0, v39
	v_sub_f32_e32 v38, v37, v38
	v_add_f32_e32 v41, v38, v39
	v_frexp_mant_f32_e32 v42, v40
	v_cvt_f64_f32_e32 v[38:39], v40
	v_frexp_exp_i32_f64_e32 v38, v[38:39]
	v_cmp_gt_f32_e32 vcc, s33, v42
	s_mov_b32 s33, 0x3f317218
	s_nop 0
	v_subbrev_co_u32_e32 v46, vcc, 0, v38, vcc
	v_sub_u32_e32 v38, 0, v46
	v_ldexp_f32 v39, v40, v38
	v_add_f32_e32 v40, -1.0, v39
	v_add_f32_e32 v42, 1.0, v39
	v_ldexp_f32 v38, v41, v38
	v_add_f32_e32 v41, 1.0, v40
	v_add_f32_e32 v43, -1.0, v42
	v_sub_f32_e32 v41, v39, v41
	v_sub_f32_e32 v39, v39, v43
	v_add_f32_e32 v41, v38, v41
	v_add_f32_e32 v38, v38, v39
	;; [unrolled: 1-line block ×3, first 2 shown]
	v_rcp_f32_e32 v49, v47
	v_sub_f32_e32 v39, v42, v47
	v_add_f32_e32 v48, v38, v39
	v_add_f32_e32 v39, v40, v41
	v_mul_f32_e32 v51, v39, v49
	v_sub_f32_e32 v38, v40, v39
	v_mul_f32_e32 v40, v47, v51
	v_fma_f32 v42, v51, v47, -v40
	v_fmac_f32_e32 v42, v51, v48
	v_add_f32_e32 v50, v41, v38
	v_add_f32_e32 v38, v40, v42
	v_sub_f32_e32 v41, v39, v38
	v_pk_add_f32 v[44:45], v[38:39], v[40:41] neg_lo:[0,1] neg_hi:[0,1]
	v_mov_b32_e32 v43, v38
	v_pk_add_f32 v[38:39], v[44:45], v[42:43] neg_lo:[0,1] neg_hi:[0,1]
	v_cmp_neq_f32_e32 vcc, s64, v37
	v_add_f32_e32 v39, v50, v39
	v_add_f32_e32 v38, v38, v39
	;; [unrolled: 1-line block ×3, first 2 shown]
	v_mul_f32_e32 v50, v49, v39
	v_mul_f32_e32 v40, v47, v50
	v_fma_f32 v42, v50, v47, -v40
	v_fmac_f32_e32 v42, v50, v48
	v_sub_f32_e32 v41, v41, v39
	v_add_f32_e32 v47, v38, v41
	v_add_f32_e32 v38, v40, v42
	v_sub_f32_e32 v41, v39, v38
	v_pk_add_f32 v[44:45], v[38:39], v[40:41] neg_lo:[0,1] neg_hi:[0,1]
	v_mov_b32_e32 v43, v38
	v_pk_add_f32 v[38:39], v[44:45], v[42:43] neg_lo:[0,1] neg_hi:[0,1]
	v_cvt_f32_i32_e32 v40, v46
	v_add_f32_e32 v39, v47, v39
	v_add_f32_e32 v38, v38, v39
	;; [unrolled: 1-line block ×4, first 2 shown]
	v_sub_f32_e32 v39, v41, v51
	v_mul_f32_e32 v38, v49, v38
	v_sub_f32_e32 v39, v50, v39
	v_add_f32_e32 v38, v39, v38
	v_add_f32_e32 v42, v41, v38
	v_mul_f32_e32 v44, v42, v42
	v_mov_b32_e32 v39, 0x3ecc95a3
	v_sub_f32_e32 v41, v42, v41
	v_fmac_f32_e32 v39, 0x3e9b6dac, v44
	v_sub_f32_e32 v38, v38, v41
	v_fmaak_f32 v39, v44, v39, 0x3f2aaada
	v_ldexp_f32 v45, v38, 1
	v_mul_f32_e32 v41, v42, v44
	v_mov_b32_e32 v38, 0x3f317218
	v_pk_mul_f32 v[38:39], v[40:41], v[38:39]
	v_ldexp_f32 v43, v42, 1
	v_fma_f32 v41, v40, s33, -v38
	v_fmamk_f32 v42, v40, 0xb102e308, v41
	v_pk_add_f32 v[40:41], v[38:39], v[42:43]
	v_mov_b32_e32 v44, v38
	v_sub_f32_e32 v43, v41, v43
	v_sub_f32_e32 v43, v39, v43
	v_add_f32_e32 v45, v45, v43
	v_pk_add_f32 v[38:39], v[40:41], v[38:39] neg_lo:[0,1] neg_hi:[0,1]
	v_pk_add_f32 v[46:47], v[40:41], v[44:45]
	v_mov_b32_e32 v43, v40
	v_mov_b32_e32 v39, v47
	v_pk_add_f32 v[48:49], v[42:43], v[38:39] neg_lo:[0,1] neg_hi:[0,1]
	v_pk_add_f32 v[38:39], v[42:43], v[38:39]
	v_mov_b32_e32 v44, v45
	v_pk_add_f32 v[42:43], v[38:39], v[40:41] op_sel:[1,0] op_sel_hi:[0,1] neg_lo:[0,1] neg_hi:[0,1]
	v_pk_add_f32 v[50:51], v[46:47], v[42:43] op_sel_hi:[1,0] neg_lo:[0,1] neg_hi:[0,1]
	v_mov_b32_e32 v46, v47
	v_mov_b32_e32 v47, v39
	v_pk_mov_b32 v[42:43], v[40:41], v[42:43] op_sel:[1,0]
	v_mov_b32_e32 v45, v40
	v_pk_add_f32 v[42:43], v[46:47], v[42:43] neg_lo:[0,1] neg_hi:[0,1]
	v_mov_b32_e32 v50, v48
	v_pk_add_f32 v[40:41], v[44:45], v[42:43] neg_lo:[0,1] neg_hi:[0,1]
	v_mov_b32_e32 v49, v39
	v_pk_add_f32 v[42:43], v[50:51], v[40:41]
	s_mov_b32 s33, 0x33800000
	v_pk_add_f32 v[44:45], v[42:43], v[42:43] op_sel:[0,1] op_sel_hi:[1,0]
	s_nop 0
	v_pk_add_f32 v[38:39], v[38:39], v[44:45] op_sel:[1,0] op_sel_hi:[0,1]
	v_mov_b32_e32 v43, v38
	v_pk_add_f32 v[46:47], v[42:43], v[48:49] neg_lo:[0,1] neg_hi:[0,1]
	v_mov_b32_e32 v41, v44
	v_sub_f32_e32 v39, v42, v46
	v_pk_add_f32 v[40:41], v[40:41], v[46:47] neg_lo:[0,1] neg_hi:[0,1]
	v_sub_f32_e32 v39, v48, v39
	v_add_f32_e32 v39, v40, v39
	v_add_f32_e32 v39, v39, v41
	;; [unrolled: 1-line block ×3, first 2 shown]
	v_cndmask_b32_e32 v38, v52, v38, vcc
	v_cmp_lt_f32_e64 vcc, |v37|, s33
	s_nop 1
	v_cndmask_b32_e32 v37, v38, v37, vcc
	v_add_f32_e32 v38, v36, v37
.LBB512_65:
	s_or_b64 exec, exec, s[0:1]
	v_bfe_u32 v36, v38, 16, 1
	s_movk_i32 s0, 0x7fff
	v_add3_u32 v36, v38, v36, s0
	v_cmp_o_f32_e32 vcc, v38, v38
	v_mov_b32_e32 v37, 0x7fc0
	s_nop 0
	v_cndmask_b32_sdwa v36, v37, v36, vcc dst_sel:DWORD dst_unused:UNUSED_PAD src0_sel:DWORD src1_sel:WORD_1
	v_and_b32_e32 v37, 0xffff, v36
.LBB512_66:
	s_or_b64 exec, exec, s[62:63]
	s_nop 0
	v_mov_b32_dpp v38, v37 row_shr:8 row_mask:0xf bank_mask:0xf
	v_cmp_lt_u32_e32 vcc, 7, v35
	s_and_saveexec_b64 s[62:63], vcc
	s_cbranch_execz .LBB512_70
; %bb.67:
	v_lshlrev_b32_e32 v36, 16, v38
	v_lshlrev_b32_e32 v35, 16, v37
	v_max_f32_e32 v38, v35, v35
	v_max_f32_e32 v39, v36, v36
	v_min_f32_e32 v37, v39, v38
	v_cmp_u_f32_e32 vcc, v36, v36
	v_max_f32_e32 v38, v39, v38
	v_cmp_u_f32_e64 s[0:1], v35, v35
	v_cndmask_b32_e32 v37, v37, v36, vcc
	v_cndmask_b32_e32 v38, v38, v36, vcc
	v_cndmask_b32_e64 v37, v37, v35, s[0:1]
	v_cndmask_b32_e64 v35, v38, v35, s[0:1]
	s_movk_i32 s0, 0x1f8
	v_cmp_neq_f32_e32 vcc, v37, v35
	v_cmp_class_f32_e64 s[0:1], v37, s0
	s_or_b64 s[64:65], vcc, s[0:1]
	s_and_saveexec_b64 s[0:1], s[64:65]
	s_cbranch_execz .LBB512_69
; %bb.68:
	v_sub_f32_e32 v36, v37, v35
	s_mov_b32 s33, 0x3fb8aa3b
	v_mul_f32_e32 v37, 0x3fb8aa3b, v36
	v_fma_f32 v38, v36, s33, -v37
	v_rndne_f32_e32 v39, v37
	v_fmamk_f32 v38, v36, 0x32a5705f, v38
	v_sub_f32_e32 v37, v37, v39
	v_add_f32_e32 v37, v37, v38
	v_exp_f32_e32 v37, v37
	v_cvt_i32_f32_e32 v38, v39
	s_mov_b32 s33, 0xc2ce8ed0
	v_cmp_ngt_f32_e32 vcc, s33, v36
	s_mov_b32 s33, 0x42b17218
	v_ldexp_f32 v37, v37, v38
	v_cndmask_b32_e32 v37, 0, v37, vcc
	v_mov_b32_e32 v50, 0x7f800000
	v_cmp_nlt_f32_e32 vcc, s33, v36
	s_mov_b32 s33, 0x3f2aaaab
	s_mov_b32 s64, 0x7f800000
	v_cndmask_b32_e32 v51, v50, v37, vcc
	v_add_f32_e32 v38, 1.0, v51
	v_add_f32_e32 v36, -1.0, v38
	v_sub_f32_e32 v37, v36, v38
	v_add_f32_e32 v37, 1.0, v37
	v_sub_f32_e32 v36, v51, v36
	v_add_f32_e32 v39, v36, v37
	v_frexp_mant_f32_e32 v40, v38
	v_cvt_f64_f32_e32 v[36:37], v38
	v_frexp_exp_i32_f64_e32 v36, v[36:37]
	v_cmp_gt_f32_e32 vcc, s33, v40
	s_mov_b32 s33, 0x3f317218
	s_nop 0
	v_subbrev_co_u32_e32 v44, vcc, 0, v36, vcc
	v_sub_u32_e32 v36, 0, v44
	v_ldexp_f32 v37, v38, v36
	v_add_f32_e32 v38, -1.0, v37
	v_add_f32_e32 v40, 1.0, v37
	v_ldexp_f32 v36, v39, v36
	v_add_f32_e32 v39, 1.0, v38
	v_add_f32_e32 v41, -1.0, v40
	v_sub_f32_e32 v39, v37, v39
	v_sub_f32_e32 v37, v37, v41
	v_add_f32_e32 v39, v36, v39
	v_add_f32_e32 v36, v36, v37
	;; [unrolled: 1-line block ×3, first 2 shown]
	v_rcp_f32_e32 v47, v45
	v_sub_f32_e32 v37, v40, v45
	v_add_f32_e32 v46, v36, v37
	v_add_f32_e32 v37, v38, v39
	v_mul_f32_e32 v49, v37, v47
	v_sub_f32_e32 v36, v38, v37
	v_mul_f32_e32 v38, v45, v49
	v_fma_f32 v40, v49, v45, -v38
	v_fmac_f32_e32 v40, v49, v46
	v_add_f32_e32 v48, v39, v36
	v_add_f32_e32 v36, v38, v40
	v_sub_f32_e32 v39, v37, v36
	v_pk_add_f32 v[42:43], v[36:37], v[38:39] neg_lo:[0,1] neg_hi:[0,1]
	v_mov_b32_e32 v41, v36
	v_pk_add_f32 v[36:37], v[42:43], v[40:41] neg_lo:[0,1] neg_hi:[0,1]
	v_cmp_neq_f32_e32 vcc, s64, v51
	v_add_f32_e32 v37, v48, v37
	v_add_f32_e32 v36, v36, v37
	;; [unrolled: 1-line block ×3, first 2 shown]
	v_mul_f32_e32 v48, v47, v37
	v_mul_f32_e32 v38, v45, v48
	v_fma_f32 v40, v48, v45, -v38
	v_fmac_f32_e32 v40, v48, v46
	v_sub_f32_e32 v39, v39, v37
	v_add_f32_e32 v45, v36, v39
	v_add_f32_e32 v36, v38, v40
	v_sub_f32_e32 v39, v37, v36
	v_pk_add_f32 v[42:43], v[36:37], v[38:39] neg_lo:[0,1] neg_hi:[0,1]
	v_mov_b32_e32 v41, v36
	v_pk_add_f32 v[36:37], v[42:43], v[40:41] neg_lo:[0,1] neg_hi:[0,1]
	v_cvt_f32_i32_e32 v38, v44
	v_add_f32_e32 v37, v45, v37
	v_add_f32_e32 v36, v36, v37
	;; [unrolled: 1-line block ×4, first 2 shown]
	v_sub_f32_e32 v37, v39, v49
	v_mul_f32_e32 v36, v47, v36
	v_sub_f32_e32 v37, v48, v37
	v_add_f32_e32 v36, v37, v36
	v_add_f32_e32 v40, v39, v36
	v_mul_f32_e32 v42, v40, v40
	v_mov_b32_e32 v37, 0x3ecc95a3
	v_sub_f32_e32 v39, v40, v39
	v_fmac_f32_e32 v37, 0x3e9b6dac, v42
	v_sub_f32_e32 v36, v36, v39
	v_fmaak_f32 v37, v42, v37, 0x3f2aaada
	v_ldexp_f32 v43, v36, 1
	v_mul_f32_e32 v39, v40, v42
	v_mov_b32_e32 v36, 0x3f317218
	v_pk_mul_f32 v[36:37], v[38:39], v[36:37]
	v_ldexp_f32 v41, v40, 1
	v_fma_f32 v39, v38, s33, -v36
	v_fmamk_f32 v40, v38, 0xb102e308, v39
	v_pk_add_f32 v[38:39], v[36:37], v[40:41]
	v_mov_b32_e32 v42, v36
	v_sub_f32_e32 v41, v39, v41
	v_sub_f32_e32 v41, v37, v41
	v_add_f32_e32 v43, v43, v41
	v_pk_add_f32 v[36:37], v[38:39], v[36:37] neg_lo:[0,1] neg_hi:[0,1]
	v_pk_add_f32 v[44:45], v[38:39], v[42:43]
	v_mov_b32_e32 v41, v38
	v_mov_b32_e32 v37, v45
	v_pk_add_f32 v[46:47], v[40:41], v[36:37] neg_lo:[0,1] neg_hi:[0,1]
	v_pk_add_f32 v[36:37], v[40:41], v[36:37]
	v_mov_b32_e32 v42, v43
	v_pk_add_f32 v[40:41], v[36:37], v[38:39] op_sel:[1,0] op_sel_hi:[0,1] neg_lo:[0,1] neg_hi:[0,1]
	v_pk_add_f32 v[48:49], v[44:45], v[40:41] op_sel_hi:[1,0] neg_lo:[0,1] neg_hi:[0,1]
	v_mov_b32_e32 v44, v45
	v_mov_b32_e32 v45, v37
	v_pk_mov_b32 v[40:41], v[38:39], v[40:41] op_sel:[1,0]
	v_mov_b32_e32 v43, v38
	v_pk_add_f32 v[40:41], v[44:45], v[40:41] neg_lo:[0,1] neg_hi:[0,1]
	v_mov_b32_e32 v48, v46
	v_pk_add_f32 v[38:39], v[42:43], v[40:41] neg_lo:[0,1] neg_hi:[0,1]
	v_mov_b32_e32 v47, v37
	v_pk_add_f32 v[40:41], v[48:49], v[38:39]
	s_mov_b32 s33, 0x33800000
	v_pk_add_f32 v[42:43], v[40:41], v[40:41] op_sel:[0,1] op_sel_hi:[1,0]
	s_nop 0
	v_pk_add_f32 v[36:37], v[36:37], v[42:43] op_sel:[1,0] op_sel_hi:[0,1]
	v_mov_b32_e32 v41, v36
	v_pk_add_f32 v[44:45], v[40:41], v[46:47] neg_lo:[0,1] neg_hi:[0,1]
	v_mov_b32_e32 v39, v42
	v_sub_f32_e32 v37, v40, v44
	v_pk_add_f32 v[38:39], v[38:39], v[44:45] neg_lo:[0,1] neg_hi:[0,1]
	v_sub_f32_e32 v37, v46, v37
	v_add_f32_e32 v37, v38, v37
	v_add_f32_e32 v37, v37, v39
	;; [unrolled: 1-line block ×3, first 2 shown]
	v_cndmask_b32_e32 v36, v50, v36, vcc
	v_cmp_lt_f32_e64 vcc, |v51|, s33
	s_nop 1
	v_cndmask_b32_e32 v36, v36, v51, vcc
	v_add_f32_e32 v36, v35, v36
.LBB512_69:
	s_or_b64 exec, exec, s[0:1]
	v_bfe_u32 v35, v36, 16, 1
	s_movk_i32 s0, 0x7fff
	v_add3_u32 v35, v36, v35, s0
	v_cmp_o_f32_e32 vcc, v36, v36
	v_mov_b32_e32 v36, 0x7fc0
	s_nop 0
	v_cndmask_b32_sdwa v36, v36, v35, vcc dst_sel:DWORD dst_unused:UNUSED_PAD src0_sel:DWORD src1_sel:WORD_1
	v_and_b32_e32 v37, 0xffff, v36
.LBB512_70:
	s_or_b64 exec, exec, s[62:63]
	v_and_b32_e32 v38, 16, v34
	v_mov_b32_dpp v35, v37 row_bcast:15 row_mask:0xf bank_mask:0xf
	v_cmp_ne_u32_e32 vcc, 0, v38
	s_and_saveexec_b64 s[62:63], vcc
	s_cbranch_execz .LBB512_74
; %bb.71:
	v_lshlrev_b32_e32 v36, 16, v35
	v_lshlrev_b32_e32 v35, 16, v37
	v_max_f32_e32 v38, v35, v35
	v_max_f32_e32 v39, v36, v36
	v_min_f32_e32 v37, v39, v38
	v_cmp_u_f32_e32 vcc, v36, v36
	v_max_f32_e32 v38, v39, v38
	v_cmp_u_f32_e64 s[0:1], v35, v35
	v_cndmask_b32_e32 v37, v37, v36, vcc
	v_cndmask_b32_e32 v38, v38, v36, vcc
	v_cndmask_b32_e64 v37, v37, v35, s[0:1]
	v_cndmask_b32_e64 v35, v38, v35, s[0:1]
	s_movk_i32 s0, 0x1f8
	v_cmp_neq_f32_e32 vcc, v37, v35
	v_cmp_class_f32_e64 s[0:1], v37, s0
	s_or_b64 s[64:65], vcc, s[0:1]
	s_and_saveexec_b64 s[0:1], s[64:65]
	s_cbranch_execz .LBB512_73
; %bb.72:
	v_sub_f32_e32 v36, v37, v35
	s_mov_b32 s33, 0x3fb8aa3b
	v_mul_f32_e32 v37, 0x3fb8aa3b, v36
	v_fma_f32 v38, v36, s33, -v37
	v_rndne_f32_e32 v39, v37
	v_fmamk_f32 v38, v36, 0x32a5705f, v38
	v_sub_f32_e32 v37, v37, v39
	v_add_f32_e32 v37, v37, v38
	v_exp_f32_e32 v37, v37
	v_cvt_i32_f32_e32 v38, v39
	s_mov_b32 s33, 0xc2ce8ed0
	v_cmp_ngt_f32_e32 vcc, s33, v36
	s_mov_b32 s33, 0x42b17218
	v_ldexp_f32 v37, v37, v38
	v_cndmask_b32_e32 v37, 0, v37, vcc
	v_mov_b32_e32 v50, 0x7f800000
	v_cmp_nlt_f32_e32 vcc, s33, v36
	s_mov_b32 s33, 0x3f2aaaab
	s_mov_b32 s64, 0x7f800000
	v_cndmask_b32_e32 v51, v50, v37, vcc
	v_add_f32_e32 v38, 1.0, v51
	v_add_f32_e32 v36, -1.0, v38
	v_sub_f32_e32 v37, v36, v38
	v_add_f32_e32 v37, 1.0, v37
	v_sub_f32_e32 v36, v51, v36
	v_add_f32_e32 v39, v36, v37
	v_frexp_mant_f32_e32 v40, v38
	v_cvt_f64_f32_e32 v[36:37], v38
	v_frexp_exp_i32_f64_e32 v36, v[36:37]
	v_cmp_gt_f32_e32 vcc, s33, v40
	s_mov_b32 s33, 0x3f317218
	s_nop 0
	v_subbrev_co_u32_e32 v44, vcc, 0, v36, vcc
	v_sub_u32_e32 v36, 0, v44
	v_ldexp_f32 v37, v38, v36
	v_add_f32_e32 v38, -1.0, v37
	v_add_f32_e32 v40, 1.0, v37
	v_ldexp_f32 v36, v39, v36
	v_add_f32_e32 v39, 1.0, v38
	v_add_f32_e32 v41, -1.0, v40
	v_sub_f32_e32 v39, v37, v39
	v_sub_f32_e32 v37, v37, v41
	v_add_f32_e32 v39, v36, v39
	v_add_f32_e32 v36, v36, v37
	;; [unrolled: 1-line block ×3, first 2 shown]
	v_rcp_f32_e32 v47, v45
	v_sub_f32_e32 v37, v40, v45
	v_add_f32_e32 v46, v36, v37
	v_add_f32_e32 v37, v38, v39
	v_mul_f32_e32 v49, v37, v47
	v_sub_f32_e32 v36, v38, v37
	v_mul_f32_e32 v38, v45, v49
	v_fma_f32 v40, v49, v45, -v38
	v_fmac_f32_e32 v40, v49, v46
	v_add_f32_e32 v48, v39, v36
	v_add_f32_e32 v36, v38, v40
	v_sub_f32_e32 v39, v37, v36
	v_pk_add_f32 v[42:43], v[36:37], v[38:39] neg_lo:[0,1] neg_hi:[0,1]
	v_mov_b32_e32 v41, v36
	v_pk_add_f32 v[36:37], v[42:43], v[40:41] neg_lo:[0,1] neg_hi:[0,1]
	v_cmp_neq_f32_e32 vcc, s64, v51
	v_add_f32_e32 v37, v48, v37
	v_add_f32_e32 v36, v36, v37
	;; [unrolled: 1-line block ×3, first 2 shown]
	v_mul_f32_e32 v48, v47, v37
	v_mul_f32_e32 v38, v45, v48
	v_fma_f32 v40, v48, v45, -v38
	v_fmac_f32_e32 v40, v48, v46
	v_sub_f32_e32 v39, v39, v37
	v_add_f32_e32 v45, v36, v39
	v_add_f32_e32 v36, v38, v40
	v_sub_f32_e32 v39, v37, v36
	v_pk_add_f32 v[42:43], v[36:37], v[38:39] neg_lo:[0,1] neg_hi:[0,1]
	v_mov_b32_e32 v41, v36
	v_pk_add_f32 v[36:37], v[42:43], v[40:41] neg_lo:[0,1] neg_hi:[0,1]
	v_cvt_f32_i32_e32 v38, v44
	v_add_f32_e32 v37, v45, v37
	v_add_f32_e32 v36, v36, v37
	;; [unrolled: 1-line block ×4, first 2 shown]
	v_sub_f32_e32 v37, v39, v49
	v_mul_f32_e32 v36, v47, v36
	v_sub_f32_e32 v37, v48, v37
	v_add_f32_e32 v36, v37, v36
	v_add_f32_e32 v40, v39, v36
	v_mul_f32_e32 v42, v40, v40
	v_mov_b32_e32 v37, 0x3ecc95a3
	v_sub_f32_e32 v39, v40, v39
	v_fmac_f32_e32 v37, 0x3e9b6dac, v42
	v_sub_f32_e32 v36, v36, v39
	v_fmaak_f32 v37, v42, v37, 0x3f2aaada
	v_ldexp_f32 v43, v36, 1
	v_mul_f32_e32 v39, v40, v42
	v_mov_b32_e32 v36, 0x3f317218
	v_pk_mul_f32 v[36:37], v[38:39], v[36:37]
	v_ldexp_f32 v41, v40, 1
	v_fma_f32 v39, v38, s33, -v36
	v_fmamk_f32 v40, v38, 0xb102e308, v39
	v_pk_add_f32 v[38:39], v[36:37], v[40:41]
	v_mov_b32_e32 v42, v36
	v_sub_f32_e32 v41, v39, v41
	v_sub_f32_e32 v41, v37, v41
	v_add_f32_e32 v43, v43, v41
	v_pk_add_f32 v[36:37], v[38:39], v[36:37] neg_lo:[0,1] neg_hi:[0,1]
	v_pk_add_f32 v[44:45], v[38:39], v[42:43]
	v_mov_b32_e32 v41, v38
	v_mov_b32_e32 v37, v45
	v_pk_add_f32 v[46:47], v[40:41], v[36:37] neg_lo:[0,1] neg_hi:[0,1]
	v_pk_add_f32 v[36:37], v[40:41], v[36:37]
	v_mov_b32_e32 v42, v43
	v_pk_add_f32 v[40:41], v[36:37], v[38:39] op_sel:[1,0] op_sel_hi:[0,1] neg_lo:[0,1] neg_hi:[0,1]
	v_pk_add_f32 v[48:49], v[44:45], v[40:41] op_sel_hi:[1,0] neg_lo:[0,1] neg_hi:[0,1]
	v_mov_b32_e32 v44, v45
	v_mov_b32_e32 v45, v37
	v_pk_mov_b32 v[40:41], v[38:39], v[40:41] op_sel:[1,0]
	v_mov_b32_e32 v43, v38
	v_pk_add_f32 v[40:41], v[44:45], v[40:41] neg_lo:[0,1] neg_hi:[0,1]
	v_mov_b32_e32 v48, v46
	v_pk_add_f32 v[38:39], v[42:43], v[40:41] neg_lo:[0,1] neg_hi:[0,1]
	v_mov_b32_e32 v47, v37
	v_pk_add_f32 v[40:41], v[48:49], v[38:39]
	s_mov_b32 s33, 0x33800000
	v_pk_add_f32 v[42:43], v[40:41], v[40:41] op_sel:[0,1] op_sel_hi:[1,0]
	s_nop 0
	v_pk_add_f32 v[36:37], v[36:37], v[42:43] op_sel:[1,0] op_sel_hi:[0,1]
	v_mov_b32_e32 v41, v36
	v_pk_add_f32 v[44:45], v[40:41], v[46:47] neg_lo:[0,1] neg_hi:[0,1]
	v_mov_b32_e32 v39, v42
	v_sub_f32_e32 v37, v40, v44
	v_pk_add_f32 v[38:39], v[38:39], v[44:45] neg_lo:[0,1] neg_hi:[0,1]
	v_sub_f32_e32 v37, v46, v37
	v_add_f32_e32 v37, v38, v37
	v_add_f32_e32 v37, v37, v39
	;; [unrolled: 1-line block ×3, first 2 shown]
	v_cndmask_b32_e32 v36, v50, v36, vcc
	v_cmp_lt_f32_e64 vcc, |v51|, s33
	s_nop 1
	v_cndmask_b32_e32 v36, v36, v51, vcc
	v_add_f32_e32 v36, v35, v36
.LBB512_73:
	s_or_b64 exec, exec, s[0:1]
	v_bfe_u32 v35, v36, 16, 1
	s_movk_i32 s0, 0x7fff
	v_add3_u32 v35, v36, v35, s0
	v_cmp_o_f32_e32 vcc, v36, v36
	v_mov_b32_e32 v36, 0x7fc0
	s_nop 0
	v_cndmask_b32_sdwa v36, v36, v35, vcc dst_sel:DWORD dst_unused:UNUSED_PAD src0_sel:DWORD src1_sel:WORD_1
	v_and_b32_e32 v37, 0xffff, v36
.LBB512_74:
	s_or_b64 exec, exec, s[62:63]
	s_nop 0
	v_mov_b32_dpp v35, v37 row_bcast:31 row_mask:0xf bank_mask:0xf
	v_cmp_lt_u32_e32 vcc, 31, v34
	s_and_saveexec_b64 s[62:63], vcc
	s_cbranch_execz .LBB512_78
; %bb.75:
	v_lshlrev_b32_e32 v36, 16, v35
	v_lshlrev_b32_e32 v35, 16, v37
	v_max_f32_e32 v38, v35, v35
	v_max_f32_e32 v39, v36, v36
	v_min_f32_e32 v37, v39, v38
	v_cmp_u_f32_e32 vcc, v36, v36
	v_max_f32_e32 v38, v39, v38
	v_cmp_u_f32_e64 s[0:1], v35, v35
	v_cndmask_b32_e32 v37, v37, v36, vcc
	v_cndmask_b32_e32 v38, v38, v36, vcc
	v_cndmask_b32_e64 v37, v37, v35, s[0:1]
	v_cndmask_b32_e64 v35, v38, v35, s[0:1]
	s_movk_i32 s0, 0x1f8
	v_cmp_neq_f32_e32 vcc, v37, v35
	v_cmp_class_f32_e64 s[0:1], v37, s0
	s_or_b64 s[64:65], vcc, s[0:1]
	s_and_saveexec_b64 s[0:1], s[64:65]
	s_cbranch_execz .LBB512_77
; %bb.76:
	v_sub_f32_e32 v36, v37, v35
	s_mov_b32 s33, 0x3fb8aa3b
	v_mul_f32_e32 v37, 0x3fb8aa3b, v36
	v_fma_f32 v38, v36, s33, -v37
	v_rndne_f32_e32 v39, v37
	v_fmamk_f32 v38, v36, 0x32a5705f, v38
	v_sub_f32_e32 v37, v37, v39
	v_add_f32_e32 v37, v37, v38
	v_exp_f32_e32 v37, v37
	v_cvt_i32_f32_e32 v38, v39
	s_mov_b32 s33, 0xc2ce8ed0
	v_cmp_ngt_f32_e32 vcc, s33, v36
	s_mov_b32 s33, 0x42b17218
	v_ldexp_f32 v37, v37, v38
	v_cndmask_b32_e32 v37, 0, v37, vcc
	v_mov_b32_e32 v50, 0x7f800000
	v_cmp_nlt_f32_e32 vcc, s33, v36
	s_mov_b32 s33, 0x3f2aaaab
	s_mov_b32 s64, 0x7f800000
	v_cndmask_b32_e32 v51, v50, v37, vcc
	v_add_f32_e32 v38, 1.0, v51
	v_add_f32_e32 v36, -1.0, v38
	v_sub_f32_e32 v37, v36, v38
	v_add_f32_e32 v37, 1.0, v37
	v_sub_f32_e32 v36, v51, v36
	v_add_f32_e32 v39, v36, v37
	v_frexp_mant_f32_e32 v40, v38
	v_cvt_f64_f32_e32 v[36:37], v38
	v_frexp_exp_i32_f64_e32 v36, v[36:37]
	v_cmp_gt_f32_e32 vcc, s33, v40
	s_mov_b32 s33, 0x3f317218
	s_nop 0
	v_subbrev_co_u32_e32 v44, vcc, 0, v36, vcc
	v_sub_u32_e32 v36, 0, v44
	v_ldexp_f32 v37, v38, v36
	v_add_f32_e32 v38, -1.0, v37
	v_add_f32_e32 v40, 1.0, v37
	v_ldexp_f32 v36, v39, v36
	v_add_f32_e32 v39, 1.0, v38
	v_add_f32_e32 v41, -1.0, v40
	v_sub_f32_e32 v39, v37, v39
	v_sub_f32_e32 v37, v37, v41
	v_add_f32_e32 v39, v36, v39
	v_add_f32_e32 v36, v36, v37
	;; [unrolled: 1-line block ×3, first 2 shown]
	v_rcp_f32_e32 v47, v45
	v_sub_f32_e32 v37, v40, v45
	v_add_f32_e32 v46, v36, v37
	v_add_f32_e32 v37, v38, v39
	v_mul_f32_e32 v49, v37, v47
	v_sub_f32_e32 v36, v38, v37
	v_mul_f32_e32 v38, v45, v49
	v_fma_f32 v40, v49, v45, -v38
	v_fmac_f32_e32 v40, v49, v46
	v_add_f32_e32 v48, v39, v36
	v_add_f32_e32 v36, v38, v40
	v_sub_f32_e32 v39, v37, v36
	v_pk_add_f32 v[42:43], v[36:37], v[38:39] neg_lo:[0,1] neg_hi:[0,1]
	v_mov_b32_e32 v41, v36
	v_pk_add_f32 v[36:37], v[42:43], v[40:41] neg_lo:[0,1] neg_hi:[0,1]
	v_cmp_neq_f32_e32 vcc, s64, v51
	v_add_f32_e32 v37, v48, v37
	v_add_f32_e32 v36, v36, v37
	;; [unrolled: 1-line block ×3, first 2 shown]
	v_mul_f32_e32 v48, v47, v37
	v_mul_f32_e32 v38, v45, v48
	v_fma_f32 v40, v48, v45, -v38
	v_fmac_f32_e32 v40, v48, v46
	v_sub_f32_e32 v39, v39, v37
	v_add_f32_e32 v45, v36, v39
	v_add_f32_e32 v36, v38, v40
	v_sub_f32_e32 v39, v37, v36
	v_pk_add_f32 v[42:43], v[36:37], v[38:39] neg_lo:[0,1] neg_hi:[0,1]
	v_mov_b32_e32 v41, v36
	v_pk_add_f32 v[36:37], v[42:43], v[40:41] neg_lo:[0,1] neg_hi:[0,1]
	v_cvt_f32_i32_e32 v38, v44
	v_add_f32_e32 v37, v45, v37
	v_add_f32_e32 v36, v36, v37
	;; [unrolled: 1-line block ×4, first 2 shown]
	v_sub_f32_e32 v37, v39, v49
	v_mul_f32_e32 v36, v47, v36
	v_sub_f32_e32 v37, v48, v37
	v_add_f32_e32 v36, v37, v36
	v_add_f32_e32 v40, v39, v36
	v_mul_f32_e32 v42, v40, v40
	v_mov_b32_e32 v37, 0x3ecc95a3
	v_sub_f32_e32 v39, v40, v39
	v_fmac_f32_e32 v37, 0x3e9b6dac, v42
	v_sub_f32_e32 v36, v36, v39
	v_fmaak_f32 v37, v42, v37, 0x3f2aaada
	v_ldexp_f32 v43, v36, 1
	v_mul_f32_e32 v39, v40, v42
	v_mov_b32_e32 v36, 0x3f317218
	v_pk_mul_f32 v[36:37], v[38:39], v[36:37]
	v_ldexp_f32 v41, v40, 1
	v_fma_f32 v39, v38, s33, -v36
	v_fmamk_f32 v40, v38, 0xb102e308, v39
	v_pk_add_f32 v[38:39], v[36:37], v[40:41]
	v_mov_b32_e32 v42, v36
	v_sub_f32_e32 v41, v39, v41
	v_sub_f32_e32 v41, v37, v41
	v_add_f32_e32 v43, v43, v41
	v_pk_add_f32 v[36:37], v[38:39], v[36:37] neg_lo:[0,1] neg_hi:[0,1]
	v_pk_add_f32 v[44:45], v[38:39], v[42:43]
	v_mov_b32_e32 v41, v38
	v_mov_b32_e32 v37, v45
	v_pk_add_f32 v[46:47], v[40:41], v[36:37] neg_lo:[0,1] neg_hi:[0,1]
	v_pk_add_f32 v[36:37], v[40:41], v[36:37]
	v_mov_b32_e32 v42, v43
	v_pk_add_f32 v[40:41], v[36:37], v[38:39] op_sel:[1,0] op_sel_hi:[0,1] neg_lo:[0,1] neg_hi:[0,1]
	v_pk_add_f32 v[48:49], v[44:45], v[40:41] op_sel_hi:[1,0] neg_lo:[0,1] neg_hi:[0,1]
	v_mov_b32_e32 v44, v45
	v_mov_b32_e32 v45, v37
	v_pk_mov_b32 v[40:41], v[38:39], v[40:41] op_sel:[1,0]
	v_mov_b32_e32 v43, v38
	v_pk_add_f32 v[40:41], v[44:45], v[40:41] neg_lo:[0,1] neg_hi:[0,1]
	v_mov_b32_e32 v48, v46
	v_pk_add_f32 v[38:39], v[42:43], v[40:41] neg_lo:[0,1] neg_hi:[0,1]
	v_mov_b32_e32 v47, v37
	v_pk_add_f32 v[40:41], v[48:49], v[38:39]
	s_mov_b32 s33, 0x33800000
	v_pk_add_f32 v[42:43], v[40:41], v[40:41] op_sel:[0,1] op_sel_hi:[1,0]
	s_nop 0
	v_pk_add_f32 v[36:37], v[36:37], v[42:43] op_sel:[1,0] op_sel_hi:[0,1]
	v_mov_b32_e32 v41, v36
	v_pk_add_f32 v[44:45], v[40:41], v[46:47] neg_lo:[0,1] neg_hi:[0,1]
	v_mov_b32_e32 v39, v42
	v_sub_f32_e32 v37, v40, v44
	v_pk_add_f32 v[38:39], v[38:39], v[44:45] neg_lo:[0,1] neg_hi:[0,1]
	v_sub_f32_e32 v37, v46, v37
	v_add_f32_e32 v37, v38, v37
	v_add_f32_e32 v37, v37, v39
	;; [unrolled: 1-line block ×3, first 2 shown]
	v_cndmask_b32_e32 v36, v50, v36, vcc
	v_cmp_lt_f32_e64 vcc, |v51|, s33
	s_nop 1
	v_cndmask_b32_e32 v36, v36, v51, vcc
	v_add_f32_e32 v36, v35, v36
.LBB512_77:
	s_or_b64 exec, exec, s[0:1]
	v_bfe_u32 v35, v36, 16, 1
	s_movk_i32 s0, 0x7fff
	v_add3_u32 v35, v36, v35, s0
	v_cmp_o_f32_e32 vcc, v36, v36
	v_mov_b32_e32 v36, 0x7fc0
	s_nop 0
	v_cndmask_b32_sdwa v36, v36, v35, vcc dst_sel:DWORD dst_unused:UNUSED_PAD src0_sel:DWORD src1_sel:WORD_1
.LBB512_78:
	s_or_b64 exec, exec, s[62:63]
	v_or_b32_e32 v37, 63, v0
	v_lshrrev_b32_e32 v35, 6, v0
	v_cmp_eq_u32_e32 vcc, v0, v37
	s_and_saveexec_b64 s[0:1], vcc
; %bb.79:
	v_lshlrev_b32_e32 v37, 1, v35
	ds_write_b16 v37, v36
; %bb.80:
	s_or_b64 exec, exec, s[0:1]
	v_cmp_gt_u32_e32 vcc, 2, v0
	s_waitcnt lgkmcnt(0)
	s_barrier
	s_and_saveexec_b64 s[62:63], vcc
	s_cbranch_execz .LBB512_86
; %bb.81:
	ds_read_u16 v37, v8
	v_and_b32_e32 v40, 1, v34
	v_cmp_eq_u32_e32 vcc, 1, v40
	s_waitcnt lgkmcnt(0)
	v_and_b32_e32 v39, 0xffff, v37
	s_nop 1
	v_mov_b32_dpp v38, v39 row_shr:1 row_mask:0xf bank_mask:0xf
	s_and_saveexec_b64 s[64:65], vcc
	s_cbranch_execz .LBB512_85
; %bb.82:
	v_lshlrev_b32_e32 v38, 16, v38
	v_lshlrev_b32_e32 v37, 16, v39
	v_max_f32_e32 v40, v37, v37
	v_max_f32_e32 v41, v38, v38
	v_min_f32_e32 v39, v41, v40
	v_cmp_u_f32_e32 vcc, v38, v38
	v_max_f32_e32 v40, v41, v40
	v_cmp_u_f32_e64 s[0:1], v37, v37
	v_cndmask_b32_e32 v39, v39, v38, vcc
	v_cndmask_b32_e32 v40, v40, v38, vcc
	v_cndmask_b32_e64 v39, v39, v37, s[0:1]
	v_cndmask_b32_e64 v37, v40, v37, s[0:1]
	s_movk_i32 s0, 0x1f8
	v_cmp_neq_f32_e32 vcc, v39, v37
	v_cmp_class_f32_e64 s[0:1], v39, s0
	s_or_b64 s[66:67], vcc, s[0:1]
	s_and_saveexec_b64 s[0:1], s[66:67]
	s_cbranch_execz .LBB512_84
; %bb.83:
	v_sub_f32_e32 v38, v39, v37
	s_mov_b32 s33, 0x3fb8aa3b
	v_mul_f32_e32 v39, 0x3fb8aa3b, v38
	v_fma_f32 v40, v38, s33, -v39
	v_rndne_f32_e32 v41, v39
	v_fmamk_f32 v40, v38, 0x32a5705f, v40
	v_sub_f32_e32 v39, v39, v41
	v_add_f32_e32 v39, v39, v40
	v_exp_f32_e32 v39, v39
	v_cvt_i32_f32_e32 v40, v41
	s_mov_b32 s33, 0xc2ce8ed0
	v_cmp_ngt_f32_e32 vcc, s33, v38
	s_mov_b32 s33, 0x42b17218
	v_ldexp_f32 v39, v39, v40
	v_cndmask_b32_e32 v39, 0, v39, vcc
	v_mov_b32_e32 v52, 0x7f800000
	v_cmp_nlt_f32_e32 vcc, s33, v38
	s_mov_b32 s33, 0x3f2aaaab
	s_mov_b32 s66, 0x7f800000
	v_cndmask_b32_e32 v53, v52, v39, vcc
	v_add_f32_e32 v40, 1.0, v53
	v_add_f32_e32 v38, -1.0, v40
	v_sub_f32_e32 v39, v38, v40
	v_add_f32_e32 v39, 1.0, v39
	v_sub_f32_e32 v38, v53, v38
	v_add_f32_e32 v41, v38, v39
	v_frexp_mant_f32_e32 v42, v40
	v_cvt_f64_f32_e32 v[38:39], v40
	v_frexp_exp_i32_f64_e32 v38, v[38:39]
	v_cmp_gt_f32_e32 vcc, s33, v42
	s_mov_b32 s33, 0x3f317218
	s_nop 0
	v_subbrev_co_u32_e32 v46, vcc, 0, v38, vcc
	v_sub_u32_e32 v38, 0, v46
	v_ldexp_f32 v39, v40, v38
	v_add_f32_e32 v40, -1.0, v39
	v_add_f32_e32 v42, 1.0, v39
	v_ldexp_f32 v38, v41, v38
	v_add_f32_e32 v41, 1.0, v40
	v_add_f32_e32 v43, -1.0, v42
	v_sub_f32_e32 v41, v39, v41
	v_sub_f32_e32 v39, v39, v43
	v_add_f32_e32 v41, v38, v41
	v_add_f32_e32 v38, v38, v39
	;; [unrolled: 1-line block ×3, first 2 shown]
	v_rcp_f32_e32 v49, v47
	v_sub_f32_e32 v39, v42, v47
	v_add_f32_e32 v48, v38, v39
	v_add_f32_e32 v39, v40, v41
	v_mul_f32_e32 v51, v39, v49
	v_sub_f32_e32 v38, v40, v39
	v_mul_f32_e32 v40, v47, v51
	v_fma_f32 v42, v51, v47, -v40
	v_fmac_f32_e32 v42, v51, v48
	v_add_f32_e32 v50, v41, v38
	v_add_f32_e32 v38, v40, v42
	v_sub_f32_e32 v41, v39, v38
	v_pk_add_f32 v[44:45], v[38:39], v[40:41] neg_lo:[0,1] neg_hi:[0,1]
	v_mov_b32_e32 v43, v38
	v_pk_add_f32 v[38:39], v[44:45], v[42:43] neg_lo:[0,1] neg_hi:[0,1]
	v_cmp_neq_f32_e32 vcc, s66, v53
	v_add_f32_e32 v39, v50, v39
	v_add_f32_e32 v38, v38, v39
	;; [unrolled: 1-line block ×3, first 2 shown]
	v_mul_f32_e32 v50, v49, v39
	v_mul_f32_e32 v40, v47, v50
	v_fma_f32 v42, v50, v47, -v40
	v_fmac_f32_e32 v42, v50, v48
	v_sub_f32_e32 v41, v41, v39
	v_add_f32_e32 v47, v38, v41
	v_add_f32_e32 v38, v40, v42
	v_sub_f32_e32 v41, v39, v38
	v_pk_add_f32 v[44:45], v[38:39], v[40:41] neg_lo:[0,1] neg_hi:[0,1]
	v_mov_b32_e32 v43, v38
	v_pk_add_f32 v[38:39], v[44:45], v[42:43] neg_lo:[0,1] neg_hi:[0,1]
	v_cvt_f32_i32_e32 v40, v46
	v_add_f32_e32 v39, v47, v39
	v_add_f32_e32 v38, v38, v39
	;; [unrolled: 1-line block ×4, first 2 shown]
	v_sub_f32_e32 v39, v41, v51
	v_mul_f32_e32 v38, v49, v38
	v_sub_f32_e32 v39, v50, v39
	v_add_f32_e32 v38, v39, v38
	v_add_f32_e32 v42, v41, v38
	v_mul_f32_e32 v44, v42, v42
	v_mov_b32_e32 v39, 0x3ecc95a3
	v_sub_f32_e32 v41, v42, v41
	v_fmac_f32_e32 v39, 0x3e9b6dac, v44
	v_sub_f32_e32 v38, v38, v41
	v_fmaak_f32 v39, v44, v39, 0x3f2aaada
	v_ldexp_f32 v45, v38, 1
	v_mul_f32_e32 v41, v42, v44
	v_mov_b32_e32 v38, 0x3f317218
	v_pk_mul_f32 v[38:39], v[40:41], v[38:39]
	v_ldexp_f32 v43, v42, 1
	v_fma_f32 v41, v40, s33, -v38
	v_fmamk_f32 v42, v40, 0xb102e308, v41
	v_pk_add_f32 v[40:41], v[38:39], v[42:43]
	v_mov_b32_e32 v44, v38
	v_sub_f32_e32 v43, v41, v43
	v_sub_f32_e32 v43, v39, v43
	v_add_f32_e32 v45, v45, v43
	v_pk_add_f32 v[38:39], v[40:41], v[38:39] neg_lo:[0,1] neg_hi:[0,1]
	v_pk_add_f32 v[46:47], v[40:41], v[44:45]
	v_mov_b32_e32 v43, v40
	v_mov_b32_e32 v39, v47
	v_pk_add_f32 v[48:49], v[42:43], v[38:39] neg_lo:[0,1] neg_hi:[0,1]
	v_pk_add_f32 v[38:39], v[42:43], v[38:39]
	v_mov_b32_e32 v44, v45
	v_pk_add_f32 v[42:43], v[38:39], v[40:41] op_sel:[1,0] op_sel_hi:[0,1] neg_lo:[0,1] neg_hi:[0,1]
	v_pk_add_f32 v[50:51], v[46:47], v[42:43] op_sel_hi:[1,0] neg_lo:[0,1] neg_hi:[0,1]
	v_mov_b32_e32 v46, v47
	v_mov_b32_e32 v47, v39
	v_pk_mov_b32 v[42:43], v[40:41], v[42:43] op_sel:[1,0]
	v_mov_b32_e32 v45, v40
	v_pk_add_f32 v[42:43], v[46:47], v[42:43] neg_lo:[0,1] neg_hi:[0,1]
	v_mov_b32_e32 v50, v48
	v_pk_add_f32 v[40:41], v[44:45], v[42:43] neg_lo:[0,1] neg_hi:[0,1]
	v_mov_b32_e32 v49, v39
	v_pk_add_f32 v[42:43], v[50:51], v[40:41]
	s_mov_b32 s33, 0x33800000
	v_pk_add_f32 v[44:45], v[42:43], v[42:43] op_sel:[0,1] op_sel_hi:[1,0]
	s_nop 0
	v_pk_add_f32 v[38:39], v[38:39], v[44:45] op_sel:[1,0] op_sel_hi:[0,1]
	v_mov_b32_e32 v43, v38
	v_pk_add_f32 v[46:47], v[42:43], v[48:49] neg_lo:[0,1] neg_hi:[0,1]
	v_mov_b32_e32 v41, v44
	v_sub_f32_e32 v39, v42, v46
	v_pk_add_f32 v[40:41], v[40:41], v[46:47] neg_lo:[0,1] neg_hi:[0,1]
	v_sub_f32_e32 v39, v48, v39
	v_add_f32_e32 v39, v40, v39
	v_add_f32_e32 v39, v39, v41
	;; [unrolled: 1-line block ×3, first 2 shown]
	v_cndmask_b32_e32 v38, v52, v38, vcc
	v_cmp_lt_f32_e64 vcc, |v53|, s33
	s_nop 1
	v_cndmask_b32_e32 v38, v38, v53, vcc
	v_add_f32_e32 v38, v37, v38
.LBB512_84:
	s_or_b64 exec, exec, s[0:1]
	v_bfe_u32 v37, v38, 16, 1
	s_movk_i32 s0, 0x7fff
	v_add3_u32 v37, v38, v37, s0
	v_cmp_o_f32_e32 vcc, v38, v38
	v_mov_b32_e32 v38, 0x7fc0
	s_nop 0
	v_cndmask_b32_sdwa v37, v38, v37, vcc dst_sel:DWORD dst_unused:UNUSED_PAD src0_sel:DWORD src1_sel:WORD_1
.LBB512_85:
	s_or_b64 exec, exec, s[64:65]
	ds_write_b16 v8, v37
.LBB512_86:
	s_or_b64 exec, exec, s[62:63]
	v_cmp_lt_u32_e32 vcc, 63, v0
	s_waitcnt lgkmcnt(0)
	s_barrier
                                        ; implicit-def: $vgpr37
	s_and_saveexec_b64 s[62:63], vcc
	s_cbranch_execz .LBB512_90
; %bb.87:
	v_lshl_add_u32 v35, v35, 1, -2
	ds_read_u16 v37, v35
	v_lshlrev_b32_e32 v35, 16, v36
	v_max_f32_e32 v39, v35, v35
	v_cmp_u_f32_e64 s[0:1], v35, v35
	s_waitcnt lgkmcnt(0)
	v_lshlrev_b32_e32 v36, 16, v37
	v_max_f32_e32 v40, v36, v36
	v_min_f32_e32 v38, v40, v39
	v_cmp_u_f32_e32 vcc, v36, v36
	v_max_f32_e32 v39, v40, v39
	s_nop 0
	v_cndmask_b32_e32 v38, v38, v36, vcc
	v_cndmask_b32_e32 v39, v39, v36, vcc
	v_cndmask_b32_e64 v38, v38, v35, s[0:1]
	v_cndmask_b32_e64 v35, v39, v35, s[0:1]
	s_movk_i32 s0, 0x1f8
	v_cmp_neq_f32_e32 vcc, v38, v35
	v_cmp_class_f32_e64 s[0:1], v38, s0
	s_or_b64 s[64:65], vcc, s[0:1]
	s_and_saveexec_b64 s[0:1], s[64:65]
	s_cbranch_execz .LBB512_89
; %bb.88:
	v_sub_f32_e32 v36, v38, v35
	s_mov_b32 s33, 0x3fb8aa3b
	v_mul_f32_e32 v38, 0x3fb8aa3b, v36
	v_fma_f32 v39, v36, s33, -v38
	v_rndne_f32_e32 v40, v38
	v_fmamk_f32 v39, v36, 0x32a5705f, v39
	v_sub_f32_e32 v38, v38, v40
	v_add_f32_e32 v38, v38, v39
	v_exp_f32_e32 v38, v38
	v_cvt_i32_f32_e32 v39, v40
	s_mov_b32 s33, 0xc2ce8ed0
	v_cmp_ngt_f32_e32 vcc, s33, v36
	s_mov_b32 s33, 0x42b17218
	v_ldexp_f32 v38, v38, v39
	v_cndmask_b32_e32 v38, 0, v38, vcc
	v_mov_b32_e32 v52, 0x7f800000
	v_cmp_nlt_f32_e32 vcc, s33, v36
	s_mov_b32 s33, 0x3f2aaaab
	s_mov_b32 s64, 0x7f800000
	v_cndmask_b32_e32 v36, v52, v38, vcc
	v_add_f32_e32 v40, 1.0, v36
	v_add_f32_e32 v38, -1.0, v40
	v_sub_f32_e32 v39, v38, v40
	v_add_f32_e32 v39, 1.0, v39
	v_sub_f32_e32 v38, v36, v38
	v_add_f32_e32 v41, v38, v39
	v_frexp_mant_f32_e32 v42, v40
	v_cvt_f64_f32_e32 v[38:39], v40
	v_frexp_exp_i32_f64_e32 v38, v[38:39]
	v_cmp_gt_f32_e32 vcc, s33, v42
	s_mov_b32 s33, 0x3f317218
	s_nop 0
	v_subbrev_co_u32_e32 v46, vcc, 0, v38, vcc
	v_sub_u32_e32 v38, 0, v46
	v_ldexp_f32 v39, v40, v38
	v_add_f32_e32 v40, -1.0, v39
	v_add_f32_e32 v42, 1.0, v39
	v_ldexp_f32 v38, v41, v38
	v_add_f32_e32 v41, 1.0, v40
	v_add_f32_e32 v43, -1.0, v42
	v_sub_f32_e32 v41, v39, v41
	v_sub_f32_e32 v39, v39, v43
	v_add_f32_e32 v41, v38, v41
	v_add_f32_e32 v38, v38, v39
	;; [unrolled: 1-line block ×3, first 2 shown]
	v_rcp_f32_e32 v49, v47
	v_sub_f32_e32 v39, v42, v47
	v_add_f32_e32 v48, v38, v39
	v_add_f32_e32 v39, v40, v41
	v_mul_f32_e32 v51, v39, v49
	v_sub_f32_e32 v38, v40, v39
	v_mul_f32_e32 v40, v47, v51
	v_fma_f32 v42, v51, v47, -v40
	v_fmac_f32_e32 v42, v51, v48
	v_add_f32_e32 v50, v41, v38
	v_add_f32_e32 v38, v40, v42
	v_sub_f32_e32 v41, v39, v38
	v_pk_add_f32 v[44:45], v[38:39], v[40:41] neg_lo:[0,1] neg_hi:[0,1]
	v_mov_b32_e32 v43, v38
	v_pk_add_f32 v[38:39], v[44:45], v[42:43] neg_lo:[0,1] neg_hi:[0,1]
	v_cmp_neq_f32_e32 vcc, s64, v36
	v_add_f32_e32 v39, v50, v39
	v_add_f32_e32 v38, v38, v39
	;; [unrolled: 1-line block ×3, first 2 shown]
	v_mul_f32_e32 v50, v49, v39
	v_mul_f32_e32 v40, v47, v50
	v_fma_f32 v42, v50, v47, -v40
	v_fmac_f32_e32 v42, v50, v48
	v_sub_f32_e32 v41, v41, v39
	v_add_f32_e32 v47, v38, v41
	v_add_f32_e32 v38, v40, v42
	v_sub_f32_e32 v41, v39, v38
	v_pk_add_f32 v[44:45], v[38:39], v[40:41] neg_lo:[0,1] neg_hi:[0,1]
	v_mov_b32_e32 v43, v38
	v_pk_add_f32 v[38:39], v[44:45], v[42:43] neg_lo:[0,1] neg_hi:[0,1]
	v_cvt_f32_i32_e32 v40, v46
	v_add_f32_e32 v39, v47, v39
	v_add_f32_e32 v38, v38, v39
	;; [unrolled: 1-line block ×4, first 2 shown]
	v_sub_f32_e32 v39, v41, v51
	v_mul_f32_e32 v38, v49, v38
	v_sub_f32_e32 v39, v50, v39
	v_add_f32_e32 v38, v39, v38
	v_add_f32_e32 v42, v41, v38
	v_mul_f32_e32 v44, v42, v42
	v_mov_b32_e32 v39, 0x3ecc95a3
	v_sub_f32_e32 v41, v42, v41
	v_fmac_f32_e32 v39, 0x3e9b6dac, v44
	v_sub_f32_e32 v38, v38, v41
	v_fmaak_f32 v39, v44, v39, 0x3f2aaada
	v_ldexp_f32 v45, v38, 1
	v_mul_f32_e32 v41, v42, v44
	v_mov_b32_e32 v38, 0x3f317218
	v_pk_mul_f32 v[38:39], v[40:41], v[38:39]
	v_ldexp_f32 v43, v42, 1
	v_fma_f32 v41, v40, s33, -v38
	v_fmamk_f32 v42, v40, 0xb102e308, v41
	v_pk_add_f32 v[40:41], v[38:39], v[42:43]
	v_mov_b32_e32 v44, v38
	v_sub_f32_e32 v43, v41, v43
	v_sub_f32_e32 v43, v39, v43
	v_add_f32_e32 v45, v45, v43
	v_pk_add_f32 v[38:39], v[40:41], v[38:39] neg_lo:[0,1] neg_hi:[0,1]
	v_pk_add_f32 v[46:47], v[40:41], v[44:45]
	v_mov_b32_e32 v43, v40
	v_mov_b32_e32 v39, v47
	v_pk_add_f32 v[48:49], v[42:43], v[38:39] neg_lo:[0,1] neg_hi:[0,1]
	v_pk_add_f32 v[38:39], v[42:43], v[38:39]
	v_mov_b32_e32 v44, v45
	v_pk_add_f32 v[42:43], v[38:39], v[40:41] op_sel:[1,0] op_sel_hi:[0,1] neg_lo:[0,1] neg_hi:[0,1]
	v_pk_add_f32 v[50:51], v[46:47], v[42:43] op_sel_hi:[1,0] neg_lo:[0,1] neg_hi:[0,1]
	v_mov_b32_e32 v46, v47
	v_mov_b32_e32 v47, v39
	v_pk_mov_b32 v[42:43], v[40:41], v[42:43] op_sel:[1,0]
	v_mov_b32_e32 v45, v40
	v_pk_add_f32 v[42:43], v[46:47], v[42:43] neg_lo:[0,1] neg_hi:[0,1]
	v_mov_b32_e32 v50, v48
	v_pk_add_f32 v[40:41], v[44:45], v[42:43] neg_lo:[0,1] neg_hi:[0,1]
	v_mov_b32_e32 v49, v39
	v_pk_add_f32 v[42:43], v[50:51], v[40:41]
	s_mov_b32 s33, 0x33800000
	v_pk_add_f32 v[44:45], v[42:43], v[42:43] op_sel:[0,1] op_sel_hi:[1,0]
	s_nop 0
	v_pk_add_f32 v[38:39], v[38:39], v[44:45] op_sel:[1,0] op_sel_hi:[0,1]
	v_mov_b32_e32 v43, v38
	v_pk_add_f32 v[46:47], v[42:43], v[48:49] neg_lo:[0,1] neg_hi:[0,1]
	v_mov_b32_e32 v41, v44
	v_sub_f32_e32 v39, v42, v46
	v_pk_add_f32 v[40:41], v[40:41], v[46:47] neg_lo:[0,1] neg_hi:[0,1]
	v_sub_f32_e32 v39, v48, v39
	v_add_f32_e32 v39, v40, v39
	v_add_f32_e32 v39, v39, v41
	v_add_f32_e32 v38, v38, v39
	v_cndmask_b32_e32 v38, v52, v38, vcc
	v_cmp_lt_f32_e64 vcc, |v36|, s33
	s_nop 1
	v_cndmask_b32_e32 v36, v38, v36, vcc
	v_add_f32_e32 v36, v35, v36
.LBB512_89:
	s_or_b64 exec, exec, s[0:1]
	v_bfe_u32 v35, v36, 16, 1
	s_movk_i32 s0, 0x7fff
	v_add3_u32 v35, v36, v35, s0
	v_cmp_o_f32_e32 vcc, v36, v36
	v_mov_b32_e32 v36, 0x7fc0
	s_nop 0
	v_cndmask_b32_sdwa v36, v36, v35, vcc dst_sel:DWORD dst_unused:UNUSED_PAD src0_sel:DWORD src1_sel:WORD_1
.LBB512_90:
	s_or_b64 exec, exec, s[62:63]
	v_add_u32_e32 v35, -1, v34
	v_and_b32_e32 v38, 64, v34
	v_cmp_lt_i32_e32 vcc, v35, v38
	v_and_b32_e32 v36, 0xffff, v36
	s_nop 0
	v_cndmask_b32_e32 v35, v35, v34, vcc
	v_lshlrev_b32_e32 v35, 2, v35
	ds_bpermute_b32 v35, v35, v36
	v_cmp_ne_u32_e32 vcc, 0, v0
	s_and_saveexec_b64 s[0:1], vcc
	s_cbranch_execz .LBB512_94
; %bb.91:
	v_cmp_eq_u32_e32 vcc, 0, v34
	s_movk_i32 s33, 0x1f8
	s_waitcnt lgkmcnt(0)
	v_cndmask_b32_sdwa v30, v35, v37, vcc dst_sel:WORD_1 dst_unused:UNUSED_PAD src0_sel:DWORD src1_sel:DWORD
	s_nop 0
	v_max_f32_e32 v2, v30, v30
	v_min_f32_e32 v32, v2, v31
	v_cmp_u_f32_e32 vcc, v30, v30
	v_max_f32_e32 v2, v2, v31
	s_nop 0
	v_cndmask_b32_e32 v32, v32, v30, vcc
	v_cndmask_b32_e32 v2, v2, v30, vcc
	v_cndmask_b32_e64 v32, v32, v29, s[56:57]
	v_cndmask_b32_e64 v2, v2, v29, s[56:57]
	v_cmp_neq_f32_e32 vcc, v32, v2
	v_cmp_class_f32_e64 s[56:57], v32, s33
	s_or_b64 s[62:63], vcc, s[56:57]
	s_and_saveexec_b64 s[56:57], s[62:63]
	s_cbranch_execz .LBB512_93
; %bb.92:
	v_sub_f32_e32 v29, v32, v2
	s_mov_b32 s33, 0x3fb8aa3b
	v_mul_f32_e32 v30, 0x3fb8aa3b, v29
	v_fma_f32 v31, v29, s33, -v30
	v_rndne_f32_e32 v32, v30
	v_fmamk_f32 v31, v29, 0x32a5705f, v31
	v_sub_f32_e32 v30, v30, v32
	v_add_f32_e32 v30, v30, v31
	v_exp_f32_e32 v30, v30
	v_cvt_i32_f32_e32 v31, v32
	s_mov_b32 s33, 0xc2ce8ed0
	v_cmp_ngt_f32_e32 vcc, s33, v29
	s_mov_b32 s33, 0x42b17218
	v_ldexp_f32 v30, v30, v31
	v_cndmask_b32_e32 v30, 0, v30, vcc
	v_mov_b32_e32 v32, 0x7f800000
	v_cmp_nlt_f32_e32 vcc, s33, v29
	s_mov_b32 s33, 0x3f2aaaab
	s_mov_b32 s62, 0x7f800000
	v_cndmask_b32_e32 v29, v32, v30, vcc
	v_add_f32_e32 v34, 1.0, v29
	v_add_f32_e32 v30, -1.0, v34
	v_sub_f32_e32 v31, v30, v34
	v_add_f32_e32 v31, 1.0, v31
	v_sub_f32_e32 v30, v29, v30
	v_add_f32_e32 v35, v30, v31
	v_frexp_mant_f32_e32 v36, v34
	v_cvt_f64_f32_e32 v[30:31], v34
	v_frexp_exp_i32_f64_e32 v30, v[30:31]
	v_cmp_gt_f32_e32 vcc, s33, v36
	s_mov_b32 s33, 0x3f317218
	s_nop 0
	v_subbrev_co_u32_e32 v40, vcc, 0, v30, vcc
	v_sub_u32_e32 v30, 0, v40
	v_ldexp_f32 v31, v34, v30
	v_add_f32_e32 v34, -1.0, v31
	v_add_f32_e32 v36, 1.0, v31
	v_ldexp_f32 v30, v35, v30
	v_add_f32_e32 v35, 1.0, v34
	v_add_f32_e32 v37, -1.0, v36
	v_sub_f32_e32 v35, v31, v35
	v_sub_f32_e32 v31, v31, v37
	v_add_f32_e32 v35, v30, v35
	v_add_f32_e32 v30, v30, v31
	;; [unrolled: 1-line block ×3, first 2 shown]
	v_rcp_f32_e32 v43, v41
	v_sub_f32_e32 v31, v36, v41
	v_add_f32_e32 v42, v30, v31
	v_add_f32_e32 v31, v34, v35
	v_mul_f32_e32 v45, v31, v43
	v_sub_f32_e32 v30, v34, v31
	v_mul_f32_e32 v34, v41, v45
	v_fma_f32 v36, v45, v41, -v34
	v_fmac_f32_e32 v36, v45, v42
	v_add_f32_e32 v44, v35, v30
	v_add_f32_e32 v30, v34, v36
	v_sub_f32_e32 v35, v31, v30
	v_pk_add_f32 v[38:39], v[30:31], v[34:35] neg_lo:[0,1] neg_hi:[0,1]
	v_mov_b32_e32 v37, v30
	v_pk_add_f32 v[30:31], v[38:39], v[36:37] neg_lo:[0,1] neg_hi:[0,1]
	v_cmp_neq_f32_e32 vcc, s62, v29
	v_add_f32_e32 v31, v44, v31
	v_add_f32_e32 v30, v30, v31
	;; [unrolled: 1-line block ×3, first 2 shown]
	v_mul_f32_e32 v44, v43, v31
	v_mul_f32_e32 v34, v41, v44
	v_fma_f32 v36, v44, v41, -v34
	v_fmac_f32_e32 v36, v44, v42
	v_sub_f32_e32 v35, v35, v31
	v_add_f32_e32 v41, v30, v35
	v_add_f32_e32 v30, v34, v36
	v_sub_f32_e32 v35, v31, v30
	v_pk_add_f32 v[38:39], v[30:31], v[34:35] neg_lo:[0,1] neg_hi:[0,1]
	v_mov_b32_e32 v37, v30
	v_pk_add_f32 v[30:31], v[38:39], v[36:37] neg_lo:[0,1] neg_hi:[0,1]
	v_cvt_f32_i32_e32 v34, v40
	v_add_f32_e32 v31, v41, v31
	v_add_f32_e32 v30, v30, v31
	;; [unrolled: 1-line block ×4, first 2 shown]
	v_sub_f32_e32 v31, v35, v45
	v_mul_f32_e32 v30, v43, v30
	v_sub_f32_e32 v31, v44, v31
	v_add_f32_e32 v30, v31, v30
	v_add_f32_e32 v36, v35, v30
	v_mul_f32_e32 v38, v36, v36
	v_mov_b32_e32 v31, 0x3ecc95a3
	v_sub_f32_e32 v35, v36, v35
	v_fmac_f32_e32 v31, 0x3e9b6dac, v38
	v_sub_f32_e32 v30, v30, v35
	v_fmaak_f32 v31, v38, v31, 0x3f2aaada
	v_ldexp_f32 v39, v30, 1
	v_mul_f32_e32 v35, v36, v38
	v_mov_b32_e32 v30, 0x3f317218
	v_pk_mul_f32 v[30:31], v[34:35], v[30:31]
	v_ldexp_f32 v37, v36, 1
	v_fma_f32 v35, v34, s33, -v30
	v_fmamk_f32 v36, v34, 0xb102e308, v35
	v_pk_add_f32 v[34:35], v[30:31], v[36:37]
	v_mov_b32_e32 v38, v30
	v_sub_f32_e32 v37, v35, v37
	v_sub_f32_e32 v37, v31, v37
	v_add_f32_e32 v39, v39, v37
	v_pk_add_f32 v[30:31], v[34:35], v[30:31] neg_lo:[0,1] neg_hi:[0,1]
	v_pk_add_f32 v[40:41], v[34:35], v[38:39]
	v_mov_b32_e32 v37, v34
	v_mov_b32_e32 v31, v41
	v_pk_add_f32 v[42:43], v[36:37], v[30:31] neg_lo:[0,1] neg_hi:[0,1]
	v_pk_add_f32 v[30:31], v[36:37], v[30:31]
	v_mov_b32_e32 v38, v39
	v_pk_add_f32 v[36:37], v[30:31], v[34:35] op_sel:[1,0] op_sel_hi:[0,1] neg_lo:[0,1] neg_hi:[0,1]
	v_pk_add_f32 v[44:45], v[40:41], v[36:37] op_sel_hi:[1,0] neg_lo:[0,1] neg_hi:[0,1]
	v_mov_b32_e32 v40, v41
	v_mov_b32_e32 v41, v31
	v_pk_mov_b32 v[36:37], v[34:35], v[36:37] op_sel:[1,0]
	v_mov_b32_e32 v39, v34
	v_pk_add_f32 v[36:37], v[40:41], v[36:37] neg_lo:[0,1] neg_hi:[0,1]
	v_mov_b32_e32 v44, v42
	v_pk_add_f32 v[34:35], v[38:39], v[36:37] neg_lo:[0,1] neg_hi:[0,1]
	v_mov_b32_e32 v43, v31
	v_pk_add_f32 v[36:37], v[44:45], v[34:35]
	s_mov_b32 s33, 0x33800000
	v_pk_add_f32 v[38:39], v[36:37], v[36:37] op_sel:[0,1] op_sel_hi:[1,0]
	s_nop 0
	v_pk_add_f32 v[30:31], v[30:31], v[38:39] op_sel:[1,0] op_sel_hi:[0,1]
	v_mov_b32_e32 v37, v30
	v_pk_add_f32 v[40:41], v[36:37], v[42:43] neg_lo:[0,1] neg_hi:[0,1]
	v_mov_b32_e32 v35, v38
	v_sub_f32_e32 v31, v36, v40
	v_pk_add_f32 v[34:35], v[34:35], v[40:41] neg_lo:[0,1] neg_hi:[0,1]
	v_sub_f32_e32 v31, v42, v31
	v_add_f32_e32 v31, v34, v31
	v_add_f32_e32 v31, v31, v35
	v_add_f32_e32 v30, v30, v31
	v_cndmask_b32_e32 v30, v32, v30, vcc
	v_cmp_lt_f32_e64 vcc, |v29|, s33
	s_nop 1
	v_cndmask_b32_e32 v29, v30, v29, vcc
	v_add_f32_e32 v30, v2, v29
.LBB512_93:
	s_or_b64 exec, exec, s[56:57]
	v_bfe_u32 v2, v30, 16, 1
	s_movk_i32 s33, 0x7fff
	v_add3_u32 v2, v30, v2, s33
	v_cmp_o_f32_e32 vcc, v30, v30
	v_mov_b32_e32 v29, 0x7fc0
	;;#ASMSTART
	;;#ASMEND
	s_nop 0
	v_cndmask_b32_sdwa v2, v29, v2, vcc dst_sel:DWORD dst_unused:UNUSED_PAD src0_sel:DWORD src1_sel:WORD_1
	v_lshlrev_b32_e32 v29, 16, v2
	v_max_f32_e32 v31, v29, v29
	v_min_f32_e32 v30, v31, v16
	v_max_f32_e32 v32, v31, v16
.LBB512_94:
	s_or_b64 exec, exec, s[0:1]
	v_cmp_u_f32_e32 vcc, v29, v29
	s_nop 1
	v_cndmask_b32_e32 v16, v30, v29, vcc
	v_cndmask_b32_e32 v30, v32, v29, vcc
	v_cndmask_b32_e64 v16, v16, v1, s[28:29]
	v_cndmask_b32_e64 v1, v30, v1, s[28:29]
	s_movk_i32 s28, 0x1f8
	v_cmp_neq_f32_e32 vcc, v16, v1
	v_cmp_class_f32_e64 s[0:1], v16, s28
	s_or_b64 s[56:57], vcc, s[0:1]
	s_and_saveexec_b64 s[0:1], s[56:57]
	s_cbranch_execz .LBB512_96
; %bb.95:
	v_sub_f32_e32 v16, v16, v1
	s_mov_b32 s29, 0x3fb8aa3b
	v_mul_f32_e32 v29, 0x3fb8aa3b, v16
	v_fma_f32 v30, v16, s29, -v29
	v_rndne_f32_e32 v31, v29
	v_fmamk_f32 v30, v16, 0x32a5705f, v30
	v_sub_f32_e32 v29, v29, v31
	v_add_f32_e32 v29, v29, v30
	v_exp_f32_e32 v29, v29
	v_cvt_i32_f32_e32 v30, v31
	s_mov_b32 s29, 0xc2ce8ed0
	v_cmp_ngt_f32_e32 vcc, s29, v16
	s_mov_b32 s29, 0x42b17218
	v_ldexp_f32 v29, v29, v30
	v_cndmask_b32_e32 v29, 0, v29, vcc
	v_mov_b32_e32 v32, 0x7f800000
	v_cmp_nlt_f32_e32 vcc, s29, v16
	s_mov_b32 s29, 0x3f2aaaab
	s_mov_b32 s33, 0x7f800000
	v_cndmask_b32_e32 v16, v32, v29, vcc
	v_add_f32_e32 v29, 1.0, v16
	v_add_f32_e32 v30, -1.0, v29
	v_sub_f32_e32 v31, v30, v29
	v_add_f32_e32 v31, 1.0, v31
	v_sub_f32_e32 v30, v16, v30
	v_add_f32_e32 v34, v30, v31
	s_waitcnt lgkmcnt(0)
	v_frexp_mant_f32_e32 v35, v29
	v_cvt_f64_f32_e32 v[30:31], v29
	v_frexp_exp_i32_f64_e32 v30, v[30:31]
	v_cmp_gt_f32_e32 vcc, s29, v35
	s_mov_b32 s29, 0x3f317218
	s_nop 0
	v_subbrev_co_u32_e32 v40, vcc, 0, v30, vcc
	v_sub_u32_e32 v30, 0, v40
	v_ldexp_f32 v29, v29, v30
	v_ldexp_f32 v30, v34, v30
	v_add_f32_e32 v34, -1.0, v29
	v_add_f32_e32 v31, 1.0, v34
	v_sub_f32_e32 v31, v29, v31
	v_add_f32_e32 v35, v30, v31
	v_add_f32_e32 v31, 1.0, v29
	v_add_f32_e32 v36, -1.0, v31
	v_sub_f32_e32 v29, v29, v36
	v_add_f32_e32 v29, v30, v29
	v_add_f32_e32 v41, v31, v29
	v_rcp_f32_e32 v42, v41
	v_sub_f32_e32 v30, v31, v41
	v_add_f32_e32 v31, v34, v35
	v_add_f32_e32 v29, v29, v30
	v_mul_f32_e32 v44, v31, v42
	v_sub_f32_e32 v30, v34, v31
	v_mul_f32_e32 v34, v41, v44
	v_fma_f32 v36, v44, v41, -v34
	v_fmac_f32_e32 v36, v44, v29
	v_add_f32_e32 v43, v35, v30
	v_add_f32_e32 v30, v34, v36
	v_sub_f32_e32 v35, v31, v30
	v_pk_add_f32 v[38:39], v[30:31], v[34:35] neg_lo:[0,1] neg_hi:[0,1]
	v_mov_b32_e32 v37, v30
	v_pk_add_f32 v[30:31], v[38:39], v[36:37] neg_lo:[0,1] neg_hi:[0,1]
	v_cmp_neq_f32_e32 vcc, s33, v16
	v_add_f32_e32 v31, v43, v31
	v_add_f32_e32 v30, v30, v31
	;; [unrolled: 1-line block ×3, first 2 shown]
	v_mul_f32_e32 v43, v42, v31
	v_mul_f32_e32 v34, v41, v43
	v_fma_f32 v36, v43, v41, -v34
	v_fmac_f32_e32 v36, v43, v29
	v_sub_f32_e32 v29, v35, v31
	v_add_f32_e32 v29, v30, v29
	v_add_f32_e32 v30, v34, v36
	v_sub_f32_e32 v35, v31, v30
	v_pk_add_f32 v[38:39], v[30:31], v[34:35] neg_lo:[0,1] neg_hi:[0,1]
	v_mov_b32_e32 v37, v30
	v_pk_add_f32 v[30:31], v[38:39], v[36:37] neg_lo:[0,1] neg_hi:[0,1]
	v_cvt_f32_i32_e32 v34, v40
	v_add_f32_e32 v29, v29, v31
	v_add_f32_e32 v29, v30, v29
	;; [unrolled: 1-line block ×4, first 2 shown]
	v_sub_f32_e32 v31, v30, v44
	v_mul_f32_e32 v29, v42, v29
	v_sub_f32_e32 v31, v43, v31
	v_add_f32_e32 v29, v31, v29
	v_add_f32_e32 v35, v30, v29
	v_mul_f32_e32 v36, v35, v35
	v_mov_b32_e32 v31, 0x3ecc95a3
	v_fmac_f32_e32 v31, 0x3e9b6dac, v36
	v_sub_f32_e32 v30, v35, v30
	v_fmaak_f32 v31, v36, v31, 0x3f2aaada
	v_sub_f32_e32 v29, v29, v30
	v_ldexp_f32 v37, v35, 1
	v_mul_f32_e32 v35, v35, v36
	v_mov_b32_e32 v30, 0x3f317218
	v_pk_mul_f32 v[30:31], v[34:35], v[30:31]
	v_ldexp_f32 v29, v29, 1
	v_fma_f32 v35, v34, s29, -v30
	v_fmamk_f32 v36, v34, 0xb102e308, v35
	v_pk_add_f32 v[34:35], v[30:31], v[36:37]
	v_mov_b32_e32 v38, v30
	v_sub_f32_e32 v37, v35, v37
	v_sub_f32_e32 v37, v31, v37
	v_add_f32_e32 v39, v29, v37
	v_pk_add_f32 v[30:31], v[34:35], v[30:31] neg_lo:[0,1] neg_hi:[0,1]
	v_pk_add_f32 v[40:41], v[34:35], v[38:39]
	v_mov_b32_e32 v37, v34
	v_mov_b32_e32 v31, v41
	v_pk_add_f32 v[42:43], v[36:37], v[30:31] neg_lo:[0,1] neg_hi:[0,1]
	v_pk_add_f32 v[30:31], v[36:37], v[30:31]
	v_mov_b32_e32 v38, v39
	v_pk_add_f32 v[36:37], v[30:31], v[34:35] op_sel:[1,0] op_sel_hi:[0,1] neg_lo:[0,1] neg_hi:[0,1]
	v_pk_add_f32 v[44:45], v[40:41], v[36:37] op_sel_hi:[1,0] neg_lo:[0,1] neg_hi:[0,1]
	v_mov_b32_e32 v40, v41
	v_mov_b32_e32 v41, v31
	v_pk_mov_b32 v[36:37], v[34:35], v[36:37] op_sel:[1,0]
	v_mov_b32_e32 v39, v34
	v_pk_add_f32 v[36:37], v[40:41], v[36:37] neg_lo:[0,1] neg_hi:[0,1]
	v_mov_b32_e32 v44, v42
	v_pk_add_f32 v[34:35], v[38:39], v[36:37] neg_lo:[0,1] neg_hi:[0,1]
	v_mov_b32_e32 v43, v31
	v_pk_add_f32 v[36:37], v[44:45], v[34:35]
	s_mov_b32 s29, 0x33800000
	v_pk_add_f32 v[38:39], v[36:37], v[36:37] op_sel:[0,1] op_sel_hi:[1,0]
	s_nop 0
	v_pk_add_f32 v[30:31], v[30:31], v[38:39] op_sel:[1,0] op_sel_hi:[0,1]
	v_mov_b32_e32 v37, v30
	v_pk_add_f32 v[40:41], v[36:37], v[42:43] neg_lo:[0,1] neg_hi:[0,1]
	v_mov_b32_e32 v35, v38
	v_sub_f32_e32 v29, v36, v40
	v_pk_add_f32 v[34:35], v[34:35], v[40:41] neg_lo:[0,1] neg_hi:[0,1]
	v_sub_f32_e32 v29, v42, v29
	v_add_f32_e32 v29, v34, v29
	v_add_f32_e32 v29, v29, v35
	;; [unrolled: 1-line block ×3, first 2 shown]
	v_cndmask_b32_e32 v29, v32, v29, vcc
	v_cmp_lt_f32_e64 vcc, |v16|, s29
	s_nop 1
	v_cndmask_b32_e32 v16, v29, v16, vcc
	v_add_f32_e32 v29, v1, v16
.LBB512_96:
	s_or_b64 exec, exec, s[0:1]
	v_bfe_u32 v1, v29, 16, 1
	s_movk_i32 s29, 0x7fff
	v_add3_u32 v1, v29, v1, s29
	v_cmp_o_f32_e32 vcc, v29, v29
	v_mov_b32_e32 v16, 0x7fc0
	s_nop 0
	v_cndmask_b32_sdwa v1, v16, v1, vcc dst_sel:DWORD dst_unused:UNUSED_PAD src0_sel:DWORD src1_sel:WORD_1
	v_lshlrev_b32_e32 v29, 16, v1
	v_max_f32_e32 v31, v29, v29
	v_min_f32_e32 v30, v31, v10
	v_cmp_u_f32_e32 vcc, v29, v29
	v_max_f32_e32 v10, v31, v10
	s_nop 0
	v_cndmask_b32_e32 v30, v30, v29, vcc
	v_cndmask_b32_e32 v10, v10, v29, vcc
	v_cndmask_b32_e64 v30, v30, v9, s[30:31]
	v_cndmask_b32_e64 v9, v10, v9, s[30:31]
	v_cmp_neq_f32_e32 vcc, v30, v9
	v_cmp_class_f32_e64 s[0:1], v30, s28
	s_or_b64 s[30:31], vcc, s[0:1]
	s_and_saveexec_b64 s[0:1], s[30:31]
	s_cbranch_execz .LBB512_98
; %bb.97:
	v_sub_f32_e32 v10, v30, v9
	s_mov_b32 s28, 0x3fb8aa3b
	v_mul_f32_e32 v29, 0x3fb8aa3b, v10
	v_fma_f32 v30, v10, s28, -v29
	v_rndne_f32_e32 v31, v29
	v_fmamk_f32 v30, v10, 0x32a5705f, v30
	v_sub_f32_e32 v29, v29, v31
	v_add_f32_e32 v29, v29, v30
	v_exp_f32_e32 v29, v29
	v_cvt_i32_f32_e32 v30, v31
	s_mov_b32 s28, 0xc2ce8ed0
	v_cmp_ngt_f32_e32 vcc, s28, v10
	s_mov_b32 s28, 0x42b17218
	v_ldexp_f32 v29, v29, v30
	v_cndmask_b32_e32 v29, 0, v29, vcc
	v_mov_b32_e32 v32, 0x7f800000
	v_cmp_nlt_f32_e32 vcc, s28, v10
	s_mov_b32 s28, 0x3f2aaaab
	s_mov_b32 s30, 0x7f800000
	v_cndmask_b32_e32 v10, v32, v29, vcc
	v_add_f32_e32 v29, 1.0, v10
	v_add_f32_e32 v30, -1.0, v29
	v_sub_f32_e32 v31, v30, v29
	v_add_f32_e32 v31, 1.0, v31
	v_sub_f32_e32 v30, v10, v30
	v_add_f32_e32 v34, v30, v31
	s_waitcnt lgkmcnt(0)
	v_frexp_mant_f32_e32 v35, v29
	v_cvt_f64_f32_e32 v[30:31], v29
	v_frexp_exp_i32_f64_e32 v30, v[30:31]
	v_cmp_gt_f32_e32 vcc, s28, v35
	s_mov_b32 s28, 0x3f317218
	s_nop 0
	v_subbrev_co_u32_e32 v40, vcc, 0, v30, vcc
	v_sub_u32_e32 v30, 0, v40
	v_ldexp_f32 v29, v29, v30
	v_ldexp_f32 v30, v34, v30
	v_add_f32_e32 v34, -1.0, v29
	v_add_f32_e32 v31, 1.0, v34
	v_sub_f32_e32 v31, v29, v31
	v_add_f32_e32 v35, v30, v31
	v_add_f32_e32 v31, 1.0, v29
	v_add_f32_e32 v36, -1.0, v31
	v_sub_f32_e32 v29, v29, v36
	v_add_f32_e32 v29, v30, v29
	v_add_f32_e32 v41, v31, v29
	v_rcp_f32_e32 v42, v41
	v_sub_f32_e32 v30, v31, v41
	v_add_f32_e32 v31, v34, v35
	v_add_f32_e32 v29, v29, v30
	v_mul_f32_e32 v44, v31, v42
	v_sub_f32_e32 v30, v34, v31
	v_mul_f32_e32 v34, v41, v44
	v_fma_f32 v36, v44, v41, -v34
	v_fmac_f32_e32 v36, v44, v29
	v_add_f32_e32 v43, v35, v30
	v_add_f32_e32 v30, v34, v36
	v_sub_f32_e32 v35, v31, v30
	v_pk_add_f32 v[38:39], v[30:31], v[34:35] neg_lo:[0,1] neg_hi:[0,1]
	v_mov_b32_e32 v37, v30
	v_pk_add_f32 v[30:31], v[38:39], v[36:37] neg_lo:[0,1] neg_hi:[0,1]
	v_cmp_neq_f32_e32 vcc, s30, v10
	v_add_f32_e32 v31, v43, v31
	v_add_f32_e32 v30, v30, v31
	;; [unrolled: 1-line block ×3, first 2 shown]
	v_mul_f32_e32 v43, v42, v31
	v_mul_f32_e32 v34, v41, v43
	v_fma_f32 v36, v43, v41, -v34
	v_fmac_f32_e32 v36, v43, v29
	v_sub_f32_e32 v29, v35, v31
	v_add_f32_e32 v29, v30, v29
	v_add_f32_e32 v30, v34, v36
	v_sub_f32_e32 v35, v31, v30
	v_pk_add_f32 v[38:39], v[30:31], v[34:35] neg_lo:[0,1] neg_hi:[0,1]
	v_mov_b32_e32 v37, v30
	v_pk_add_f32 v[30:31], v[38:39], v[36:37] neg_lo:[0,1] neg_hi:[0,1]
	v_cvt_f32_i32_e32 v34, v40
	v_add_f32_e32 v29, v29, v31
	v_add_f32_e32 v29, v30, v29
	;; [unrolled: 1-line block ×4, first 2 shown]
	v_sub_f32_e32 v31, v30, v44
	v_mul_f32_e32 v29, v42, v29
	v_sub_f32_e32 v31, v43, v31
	v_add_f32_e32 v29, v31, v29
	v_add_f32_e32 v35, v30, v29
	v_mul_f32_e32 v36, v35, v35
	v_mov_b32_e32 v31, 0x3ecc95a3
	v_fmac_f32_e32 v31, 0x3e9b6dac, v36
	v_sub_f32_e32 v30, v35, v30
	v_fmaak_f32 v31, v36, v31, 0x3f2aaada
	v_sub_f32_e32 v29, v29, v30
	v_ldexp_f32 v37, v35, 1
	v_mul_f32_e32 v35, v35, v36
	v_mov_b32_e32 v30, 0x3f317218
	v_pk_mul_f32 v[30:31], v[34:35], v[30:31]
	v_ldexp_f32 v29, v29, 1
	v_fma_f32 v35, v34, s28, -v30
	v_fmamk_f32 v36, v34, 0xb102e308, v35
	v_pk_add_f32 v[34:35], v[30:31], v[36:37]
	v_mov_b32_e32 v38, v30
	v_sub_f32_e32 v37, v35, v37
	v_sub_f32_e32 v37, v31, v37
	v_add_f32_e32 v39, v29, v37
	v_pk_add_f32 v[30:31], v[34:35], v[30:31] neg_lo:[0,1] neg_hi:[0,1]
	v_pk_add_f32 v[40:41], v[34:35], v[38:39]
	v_mov_b32_e32 v37, v34
	v_mov_b32_e32 v31, v41
	v_pk_add_f32 v[42:43], v[36:37], v[30:31] neg_lo:[0,1] neg_hi:[0,1]
	v_pk_add_f32 v[30:31], v[36:37], v[30:31]
	v_mov_b32_e32 v38, v39
	v_pk_add_f32 v[36:37], v[30:31], v[34:35] op_sel:[1,0] op_sel_hi:[0,1] neg_lo:[0,1] neg_hi:[0,1]
	v_pk_add_f32 v[44:45], v[40:41], v[36:37] op_sel_hi:[1,0] neg_lo:[0,1] neg_hi:[0,1]
	v_mov_b32_e32 v40, v41
	v_mov_b32_e32 v41, v31
	v_pk_mov_b32 v[36:37], v[34:35], v[36:37] op_sel:[1,0]
	v_mov_b32_e32 v39, v34
	v_pk_add_f32 v[36:37], v[40:41], v[36:37] neg_lo:[0,1] neg_hi:[0,1]
	v_mov_b32_e32 v44, v42
	v_pk_add_f32 v[34:35], v[38:39], v[36:37] neg_lo:[0,1] neg_hi:[0,1]
	v_mov_b32_e32 v43, v31
	v_pk_add_f32 v[36:37], v[44:45], v[34:35]
	s_mov_b32 s28, 0x33800000
	v_pk_add_f32 v[38:39], v[36:37], v[36:37] op_sel:[0,1] op_sel_hi:[1,0]
	s_nop 0
	v_pk_add_f32 v[30:31], v[30:31], v[38:39] op_sel:[1,0] op_sel_hi:[0,1]
	v_mov_b32_e32 v37, v30
	v_pk_add_f32 v[40:41], v[36:37], v[42:43] neg_lo:[0,1] neg_hi:[0,1]
	v_mov_b32_e32 v35, v38
	v_sub_f32_e32 v29, v36, v40
	v_pk_add_f32 v[34:35], v[34:35], v[40:41] neg_lo:[0,1] neg_hi:[0,1]
	v_sub_f32_e32 v29, v42, v29
	v_add_f32_e32 v29, v34, v29
	v_add_f32_e32 v29, v29, v35
	;; [unrolled: 1-line block ×3, first 2 shown]
	v_cndmask_b32_e32 v29, v32, v29, vcc
	v_cmp_lt_f32_e64 vcc, |v10|, s28
	s_nop 1
	v_cndmask_b32_e32 v10, v29, v10, vcc
	v_add_f32_e32 v29, v9, v10
.LBB512_98:
	s_or_b64 exec, exec, s[0:1]
	v_bfe_u32 v9, v29, 16, 1
	v_add3_u32 v9, v29, v9, s29
	v_cmp_o_f32_e32 vcc, v29, v29
	s_movk_i32 s28, 0x1f8
	s_nop 0
	v_cndmask_b32_sdwa v9, v16, v9, vcc dst_sel:DWORD dst_unused:UNUSED_PAD src0_sel:DWORD src1_sel:WORD_1
	v_lshlrev_b32_e32 v10, 16, v9
	v_max_f32_e32 v29, v10, v10
	v_min_f32_e32 v16, v29, v12
	v_cmp_u_f32_e32 vcc, v10, v10
	v_max_f32_e32 v12, v29, v12
	s_nop 0
	v_cndmask_b32_e32 v16, v16, v10, vcc
	v_cndmask_b32_e32 v12, v12, v10, vcc
	v_cndmask_b32_e64 v16, v16, v3, s[34:35]
	v_cndmask_b32_e64 v3, v12, v3, s[34:35]
	v_cmp_neq_f32_e32 vcc, v16, v3
	v_cmp_class_f32_e64 s[0:1], v16, s28
	s_or_b64 s[30:31], vcc, s[0:1]
	s_and_saveexec_b64 s[0:1], s[30:31]
	s_cbranch_execz .LBB512_100
; %bb.99:
	v_sub_f32_e32 v10, v16, v3
	s_mov_b32 s29, 0x3fb8aa3b
	v_mul_f32_e32 v12, 0x3fb8aa3b, v10
	v_fma_f32 v16, v10, s29, -v12
	v_rndne_f32_e32 v29, v12
	v_fmamk_f32 v16, v10, 0x32a5705f, v16
	v_sub_f32_e32 v12, v12, v29
	v_add_f32_e32 v12, v12, v16
	v_exp_f32_e32 v12, v12
	v_cvt_i32_f32_e32 v16, v29
	s_mov_b32 s29, 0xc2ce8ed0
	v_cmp_ngt_f32_e32 vcc, s29, v10
	s_mov_b32 s29, 0x42b17218
	v_ldexp_f32 v12, v12, v16
	v_cndmask_b32_e32 v12, 0, v12, vcc
	v_mov_b32_e32 v16, 0x7f800000
	v_cmp_nlt_f32_e32 vcc, s29, v10
	s_mov_b32 s29, 0x3f2aaaab
	s_mov_b32 s30, 0x7f800000
	v_cndmask_b32_e32 v10, v16, v12, vcc
	v_add_f32_e32 v12, 1.0, v10
	v_add_f32_e32 v29, -1.0, v12
	v_sub_f32_e32 v30, v29, v12
	v_add_f32_e32 v30, 1.0, v30
	v_sub_f32_e32 v29, v10, v29
	v_add_f32_e32 v29, v29, v30
	v_frexp_mant_f32_e32 v32, v12
	v_cvt_f64_f32_e32 v[30:31], v12
	v_frexp_exp_i32_f64_e32 v30, v[30:31]
	v_cmp_gt_f32_e32 vcc, s29, v32
	s_mov_b32 s29, 0x3f317218
	s_nop 0
	v_subbrev_co_u32_e32 v32, vcc, 0, v30, vcc
	v_sub_u32_e32 v30, 0, v32
	v_ldexp_f32 v12, v12, v30
	v_ldexp_f32 v29, v29, v30
	v_add_f32_e32 v30, -1.0, v12
	v_add_f32_e32 v31, 1.0, v30
	v_sub_f32_e32 v31, v12, v31
	v_add_f32_e32 v34, v29, v31
	v_add_f32_e32 v31, 1.0, v12
	s_waitcnt lgkmcnt(0)
	v_add_f32_e32 v35, -1.0, v31
	v_sub_f32_e32 v12, v12, v35
	v_add_f32_e32 v12, v29, v12
	v_add_f32_e32 v29, v31, v12
	v_rcp_f32_e32 v40, v29
	v_sub_f32_e32 v31, v31, v29
	v_add_f32_e32 v12, v12, v31
	v_add_f32_e32 v31, v30, v34
	v_sub_f32_e32 v30, v30, v31
	v_mul_f32_e32 v42, v31, v40
	v_add_f32_e32 v41, v34, v30
	v_mul_f32_e32 v34, v29, v42
	v_fma_f32 v36, v42, v29, -v34
	v_fmac_f32_e32 v36, v42, v12
	v_add_f32_e32 v30, v34, v36
	v_sub_f32_e32 v35, v31, v30
	v_pk_add_f32 v[38:39], v[30:31], v[34:35] neg_lo:[0,1] neg_hi:[0,1]
	v_mov_b32_e32 v37, v30
	v_pk_add_f32 v[30:31], v[38:39], v[36:37] neg_lo:[0,1] neg_hi:[0,1]
	v_cmp_neq_f32_e32 vcc, s30, v10
	v_add_f32_e32 v31, v41, v31
	v_add_f32_e32 v30, v30, v31
	;; [unrolled: 1-line block ×3, first 2 shown]
	v_mul_f32_e32 v41, v40, v31
	v_mul_f32_e32 v34, v29, v41
	v_fma_f32 v36, v41, v29, -v34
	v_fmac_f32_e32 v36, v41, v12
	v_sub_f32_e32 v12, v35, v31
	v_add_f32_e32 v12, v30, v12
	v_add_f32_e32 v30, v34, v36
	v_sub_f32_e32 v35, v31, v30
	v_pk_add_f32 v[38:39], v[30:31], v[34:35] neg_lo:[0,1] neg_hi:[0,1]
	v_mov_b32_e32 v37, v30
	v_pk_add_f32 v[30:31], v[38:39], v[36:37] neg_lo:[0,1] neg_hi:[0,1]
	v_add_f32_e32 v29, v42, v41
	v_add_f32_e32 v12, v12, v31
	;; [unrolled: 1-line block ×4, first 2 shown]
	v_sub_f32_e32 v30, v29, v42
	v_mul_f32_e32 v12, v40, v12
	v_sub_f32_e32 v30, v41, v30
	v_add_f32_e32 v12, v30, v12
	v_add_f32_e32 v30, v29, v12
	v_cvt_f32_i32_e32 v34, v32
	v_mul_f32_e32 v35, v30, v30
	v_mov_b32_e32 v31, 0x3ecc95a3
	v_fmac_f32_e32 v31, 0x3e9b6dac, v35
	v_fmaak_f32 v31, v35, v31, 0x3f2aaada
	v_sub_f32_e32 v29, v30, v29
	v_ldexp_f32 v37, v30, 1
	v_mul_f32_e32 v35, v30, v35
	v_mov_b32_e32 v30, 0x3f317218
	v_pk_mul_f32 v[30:31], v[34:35], v[30:31]
	v_sub_f32_e32 v12, v12, v29
	v_fma_f32 v29, v34, s29, -v30
	v_fmamk_f32 v36, v34, 0xb102e308, v29
	v_pk_add_f32 v[34:35], v[30:31], v[36:37]
	v_ldexp_f32 v12, v12, 1
	v_sub_f32_e32 v29, v35, v37
	v_sub_f32_e32 v29, v31, v29
	v_add_f32_e32 v39, v12, v29
	v_mov_b32_e32 v38, v30
	v_pk_add_f32 v[30:31], v[34:35], v[30:31] neg_lo:[0,1] neg_hi:[0,1]
	v_pk_add_f32 v[40:41], v[34:35], v[38:39]
	v_mov_b32_e32 v37, v34
	v_mov_b32_e32 v31, v41
	v_pk_add_f32 v[42:43], v[36:37], v[30:31] neg_lo:[0,1] neg_hi:[0,1]
	v_pk_add_f32 v[30:31], v[36:37], v[30:31]
	v_mov_b32_e32 v38, v39
	v_pk_add_f32 v[36:37], v[30:31], v[34:35] op_sel:[1,0] op_sel_hi:[0,1] neg_lo:[0,1] neg_hi:[0,1]
	v_pk_add_f32 v[44:45], v[40:41], v[36:37] op_sel_hi:[1,0] neg_lo:[0,1] neg_hi:[0,1]
	v_mov_b32_e32 v40, v41
	v_mov_b32_e32 v41, v31
	v_pk_mov_b32 v[36:37], v[34:35], v[36:37] op_sel:[1,0]
	v_mov_b32_e32 v39, v34
	v_pk_add_f32 v[36:37], v[40:41], v[36:37] neg_lo:[0,1] neg_hi:[0,1]
	v_mov_b32_e32 v44, v42
	v_pk_add_f32 v[34:35], v[38:39], v[36:37] neg_lo:[0,1] neg_hi:[0,1]
	v_mov_b32_e32 v43, v31
	v_pk_add_f32 v[36:37], v[44:45], v[34:35]
	s_mov_b32 s29, 0x33800000
	v_pk_add_f32 v[38:39], v[36:37], v[36:37] op_sel:[0,1] op_sel_hi:[1,0]
	s_nop 0
	v_pk_add_f32 v[30:31], v[30:31], v[38:39] op_sel:[1,0] op_sel_hi:[0,1]
	v_mov_b32_e32 v37, v30
	v_pk_add_f32 v[40:41], v[36:37], v[42:43] neg_lo:[0,1] neg_hi:[0,1]
	v_mov_b32_e32 v35, v38
	v_sub_f32_e32 v12, v36, v40
	v_pk_add_f32 v[34:35], v[34:35], v[40:41] neg_lo:[0,1] neg_hi:[0,1]
	v_sub_f32_e32 v12, v42, v12
	v_add_f32_e32 v12, v34, v12
	v_add_f32_e32 v12, v12, v35
	;; [unrolled: 1-line block ×3, first 2 shown]
	v_cndmask_b32_e32 v12, v16, v12, vcc
	v_cmp_lt_f32_e64 vcc, |v10|, s29
	s_nop 1
	v_cndmask_b32_e32 v10, v12, v10, vcc
	v_add_f32_e32 v10, v3, v10
.LBB512_100:
	s_or_b64 exec, exec, s[0:1]
	v_bfe_u32 v3, v10, 16, 1
	s_movk_i32 s29, 0x7fff
	v_add3_u32 v3, v10, v3, s29
	v_cmp_o_f32_e32 vcc, v10, v10
	v_mov_b32_e32 v10, 0x7fc0
	s_nop 0
	v_cndmask_b32_sdwa v3, v10, v3, vcc dst_sel:DWORD dst_unused:UNUSED_PAD src0_sel:DWORD src1_sel:WORD_1
	v_lshlrev_b32_e32 v12, 16, v3
	v_max_f32_e32 v29, v12, v12
	v_min_f32_e32 v16, v29, v13
	v_cmp_u_f32_e32 vcc, v12, v12
	v_max_f32_e32 v13, v29, v13
	s_nop 0
	v_cndmask_b32_e32 v16, v16, v12, vcc
	v_cndmask_b32_e32 v13, v13, v12, vcc
	v_cndmask_b32_e64 v16, v16, v11, s[36:37]
	v_cndmask_b32_e64 v11, v13, v11, s[36:37]
	v_cmp_neq_f32_e32 vcc, v16, v11
	v_cmp_class_f32_e64 s[0:1], v16, s28
	s_or_b64 s[30:31], vcc, s[0:1]
	s_and_saveexec_b64 s[0:1], s[30:31]
	s_cbranch_execz .LBB512_102
; %bb.101:
	v_sub_f32_e32 v12, v16, v11
	s_mov_b32 s28, 0x3fb8aa3b
	v_mul_f32_e32 v13, 0x3fb8aa3b, v12
	v_fma_f32 v16, v12, s28, -v13
	v_rndne_f32_e32 v29, v13
	v_fmamk_f32 v16, v12, 0x32a5705f, v16
	v_sub_f32_e32 v13, v13, v29
	v_add_f32_e32 v13, v13, v16
	v_exp_f32_e32 v13, v13
	v_cvt_i32_f32_e32 v16, v29
	s_mov_b32 s28, 0xc2ce8ed0
	v_cmp_ngt_f32_e32 vcc, s28, v12
	s_mov_b32 s28, 0x42b17218
	v_ldexp_f32 v13, v13, v16
	v_cndmask_b32_e32 v13, 0, v13, vcc
	v_mov_b32_e32 v16, 0x7f800000
	v_cmp_nlt_f32_e32 vcc, s28, v12
	s_mov_b32 s28, 0x3f2aaaab
	s_mov_b32 s30, 0x7f800000
	v_cndmask_b32_e32 v29, v16, v13, vcc
	v_add_f32_e32 v30, 1.0, v29
	v_add_f32_e32 v12, -1.0, v30
	v_sub_f32_e32 v13, v12, v30
	v_add_f32_e32 v13, 1.0, v13
	v_sub_f32_e32 v12, v29, v12
	v_add_f32_e32 v31, v12, v13
	v_frexp_mant_f32_e32 v32, v30
	v_cvt_f64_f32_e32 v[12:13], v30
	v_frexp_exp_i32_f64_e32 v12, v[12:13]
	v_cmp_gt_f32_e32 vcc, s28, v32
	s_mov_b32 s28, 0x3f317218
	s_nop 0
	v_subbrev_co_u32_e32 v32, vcc, 0, v12, vcc
	v_sub_u32_e32 v12, 0, v32
	v_ldexp_f32 v13, v30, v12
	v_add_f32_e32 v30, -1.0, v13
	v_add_f32_e32 v34, 1.0, v13
	v_ldexp_f32 v12, v31, v12
	v_add_f32_e32 v31, 1.0, v30
	s_waitcnt lgkmcnt(0)
	v_add_f32_e32 v35, -1.0, v34
	v_sub_f32_e32 v31, v13, v31
	v_sub_f32_e32 v13, v13, v35
	v_add_f32_e32 v31, v12, v31
	v_add_f32_e32 v12, v12, v13
	;; [unrolled: 1-line block ×3, first 2 shown]
	v_rcp_f32_e32 v40, v38
	v_sub_f32_e32 v13, v34, v38
	v_add_f32_e32 v39, v12, v13
	v_add_f32_e32 v13, v30, v31
	v_mul_f32_e32 v42, v13, v40
	v_sub_f32_e32 v12, v30, v13
	v_mul_f32_e32 v30, v38, v42
	v_fma_f32 v34, v42, v38, -v30
	v_fmac_f32_e32 v34, v42, v39
	v_add_f32_e32 v41, v31, v12
	v_add_f32_e32 v12, v30, v34
	v_sub_f32_e32 v31, v13, v12
	v_pk_add_f32 v[36:37], v[12:13], v[30:31] neg_lo:[0,1] neg_hi:[0,1]
	v_mov_b32_e32 v35, v12
	v_pk_add_f32 v[12:13], v[36:37], v[34:35] neg_lo:[0,1] neg_hi:[0,1]
	v_cmp_neq_f32_e32 vcc, s30, v29
	v_add_f32_e32 v13, v41, v13
	v_add_f32_e32 v12, v12, v13
	;; [unrolled: 1-line block ×3, first 2 shown]
	v_mul_f32_e32 v41, v40, v13
	v_mul_f32_e32 v30, v38, v41
	v_fma_f32 v34, v41, v38, -v30
	v_fmac_f32_e32 v34, v41, v39
	v_sub_f32_e32 v31, v31, v13
	v_add_f32_e32 v38, v12, v31
	v_add_f32_e32 v12, v30, v34
	v_sub_f32_e32 v31, v13, v12
	v_pk_add_f32 v[36:37], v[12:13], v[30:31] neg_lo:[0,1] neg_hi:[0,1]
	v_mov_b32_e32 v35, v12
	v_pk_add_f32 v[12:13], v[36:37], v[34:35] neg_lo:[0,1] neg_hi:[0,1]
	v_cvt_f32_i32_e32 v30, v32
	v_add_f32_e32 v13, v38, v13
	v_add_f32_e32 v12, v12, v13
	;; [unrolled: 1-line block ×4, first 2 shown]
	v_sub_f32_e32 v13, v31, v42
	v_mul_f32_e32 v12, v40, v12
	v_sub_f32_e32 v13, v41, v13
	v_add_f32_e32 v12, v13, v12
	v_add_f32_e32 v34, v31, v12
	v_mul_f32_e32 v36, v34, v34
	v_mov_b32_e32 v13, 0x3ecc95a3
	v_sub_f32_e32 v31, v34, v31
	v_fmac_f32_e32 v13, 0x3e9b6dac, v36
	v_sub_f32_e32 v12, v12, v31
	v_fmaak_f32 v13, v36, v13, 0x3f2aaada
	v_ldexp_f32 v32, v12, 1
	v_mul_f32_e32 v31, v34, v36
	v_mov_b32_e32 v12, 0x3f317218
	v_pk_mul_f32 v[12:13], v[30:31], v[12:13]
	v_ldexp_f32 v35, v34, 1
	v_fma_f32 v31, v30, s28, -v12
	v_fmamk_f32 v34, v30, 0xb102e308, v31
	v_pk_add_f32 v[30:31], v[12:13], v[34:35]
	v_mov_b32_e32 v36, v12
	v_sub_f32_e32 v35, v31, v35
	v_sub_f32_e32 v35, v13, v35
	v_add_f32_e32 v37, v32, v35
	v_pk_add_f32 v[12:13], v[30:31], v[12:13] neg_lo:[0,1] neg_hi:[0,1]
	v_pk_add_f32 v[38:39], v[30:31], v[36:37]
	v_mov_b32_e32 v35, v30
	v_mov_b32_e32 v13, v39
	v_pk_add_f32 v[40:41], v[34:35], v[12:13] neg_lo:[0,1] neg_hi:[0,1]
	v_pk_add_f32 v[12:13], v[34:35], v[12:13]
	v_mov_b32_e32 v36, v37
	v_pk_add_f32 v[34:35], v[12:13], v[30:31] op_sel:[1,0] op_sel_hi:[0,1] neg_lo:[0,1] neg_hi:[0,1]
	v_pk_add_f32 v[42:43], v[38:39], v[34:35] op_sel_hi:[1,0] neg_lo:[0,1] neg_hi:[0,1]
	v_mov_b32_e32 v38, v39
	v_mov_b32_e32 v39, v13
	v_pk_mov_b32 v[34:35], v[30:31], v[34:35] op_sel:[1,0]
	v_mov_b32_e32 v37, v30
	v_pk_add_f32 v[34:35], v[38:39], v[34:35] neg_lo:[0,1] neg_hi:[0,1]
	v_mov_b32_e32 v42, v40
	v_pk_add_f32 v[30:31], v[36:37], v[34:35] neg_lo:[0,1] neg_hi:[0,1]
	v_mov_b32_e32 v41, v13
	v_pk_add_f32 v[34:35], v[42:43], v[30:31]
	s_mov_b32 s28, 0x33800000
	v_pk_add_f32 v[36:37], v[34:35], v[34:35] op_sel:[0,1] op_sel_hi:[1,0]
	s_nop 0
	v_pk_add_f32 v[12:13], v[12:13], v[36:37] op_sel:[1,0] op_sel_hi:[0,1]
	v_mov_b32_e32 v35, v12
	v_pk_add_f32 v[38:39], v[34:35], v[40:41] neg_lo:[0,1] neg_hi:[0,1]
	v_mov_b32_e32 v31, v36
	v_sub_f32_e32 v13, v34, v38
	v_pk_add_f32 v[30:31], v[30:31], v[38:39] neg_lo:[0,1] neg_hi:[0,1]
	v_sub_f32_e32 v13, v40, v13
	v_add_f32_e32 v13, v30, v13
	v_add_f32_e32 v13, v13, v31
	;; [unrolled: 1-line block ×3, first 2 shown]
	v_cndmask_b32_e32 v12, v16, v12, vcc
	v_cmp_lt_f32_e64 vcc, |v29|, s28
	s_nop 1
	v_cndmask_b32_e32 v12, v12, v29, vcc
	v_add_f32_e32 v12, v11, v12
.LBB512_102:
	s_or_b64 exec, exec, s[0:1]
	v_bfe_u32 v11, v12, 16, 1
	v_add3_u32 v11, v12, v11, s29
	v_cmp_o_f32_e32 vcc, v12, v12
	s_movk_i32 s28, 0x1f8
	s_nop 0
	v_cndmask_b32_sdwa v10, v10, v11, vcc dst_sel:DWORD dst_unused:UNUSED_PAD src0_sel:DWORD src1_sel:WORD_1
	v_lshlrev_b32_e32 v11, 16, v10
	v_max_f32_e32 v13, v11, v11
	v_min_f32_e32 v12, v13, v15
	v_cmp_u_f32_e32 vcc, v11, v11
	v_max_f32_e32 v13, v13, v15
	s_nop 0
	v_cndmask_b32_e32 v12, v12, v11, vcc
	v_cndmask_b32_e32 v13, v13, v11, vcc
	v_cndmask_b32_e64 v12, v12, v6, s[38:39]
	v_cndmask_b32_e64 v6, v13, v6, s[38:39]
	v_cmp_neq_f32_e32 vcc, v12, v6
	v_cmp_class_f32_e64 s[0:1], v12, s28
	s_or_b64 s[30:31], vcc, s[0:1]
	s_and_saveexec_b64 s[0:1], s[30:31]
	s_cbranch_execz .LBB512_104
; %bb.103:
	v_sub_f32_e32 v11, v12, v6
	s_mov_b32 s29, 0x3fb8aa3b
	v_mul_f32_e32 v12, 0x3fb8aa3b, v11
	v_fma_f32 v13, v11, s29, -v12
	v_rndne_f32_e32 v15, v12
	v_fmamk_f32 v13, v11, 0x32a5705f, v13
	v_sub_f32_e32 v12, v12, v15
	v_add_f32_e32 v12, v12, v13
	v_exp_f32_e32 v12, v12
	v_cvt_i32_f32_e32 v13, v15
	s_mov_b32 s29, 0xc2ce8ed0
	v_cmp_ngt_f32_e32 vcc, s29, v11
	s_mov_b32 s29, 0x42b17218
	v_ldexp_f32 v12, v12, v13
	v_cndmask_b32_e32 v12, 0, v12, vcc
	v_mov_b32_e32 v15, 0x7f800000
	v_cmp_nlt_f32_e32 vcc, s29, v11
	s_mov_b32 s29, 0x3f2aaaab
	s_mov_b32 s30, 0x7f800000
	v_cndmask_b32_e32 v11, v15, v12, vcc
	v_add_f32_e32 v16, 1.0, v11
	v_add_f32_e32 v12, -1.0, v16
	v_sub_f32_e32 v13, v12, v16
	v_add_f32_e32 v13, 1.0, v13
	v_sub_f32_e32 v12, v11, v12
	v_add_f32_e32 v29, v12, v13
	v_frexp_mant_f32_e32 v30, v16
	v_cvt_f64_f32_e32 v[12:13], v16
	v_frexp_exp_i32_f64_e32 v12, v[12:13]
	v_cmp_gt_f32_e32 vcc, s29, v30
	s_mov_b32 s29, 0x3f317218
	s_nop 0
	v_subbrev_co_u32_e32 v32, vcc, 0, v12, vcc
	v_sub_u32_e32 v12, 0, v32
	v_ldexp_f32 v13, v16, v12
	v_add_f32_e32 v16, -1.0, v13
	v_add_f32_e32 v30, 1.0, v13
	v_ldexp_f32 v12, v29, v12
	v_add_f32_e32 v29, 1.0, v16
	v_add_f32_e32 v31, -1.0, v30
	v_sub_f32_e32 v29, v13, v29
	v_sub_f32_e32 v13, v13, v31
	v_add_f32_e32 v29, v12, v29
	v_add_f32_e32 v12, v12, v13
	;; [unrolled: 1-line block ×3, first 2 shown]
	v_rcp_f32_e32 v40, v38
	v_sub_f32_e32 v13, v30, v38
	v_add_f32_e32 v39, v12, v13
	v_add_f32_e32 v13, v16, v29
	v_sub_f32_e32 v12, v16, v13
	v_add_f32_e32 v16, v29, v12
	v_mul_f32_e32 v29, v13, v40
	v_mul_f32_e32 v30, v38, v29
	v_fma_f32 v34, v29, v38, -v30
	v_fmac_f32_e32 v34, v29, v39
	v_add_f32_e32 v12, v30, v34
	v_sub_f32_e32 v31, v13, v12
	v_pk_add_f32 v[36:37], v[12:13], v[30:31] neg_lo:[0,1] neg_hi:[0,1]
	s_waitcnt lgkmcnt(0)
	v_mov_b32_e32 v35, v12
	v_pk_add_f32 v[12:13], v[36:37], v[34:35] neg_lo:[0,1] neg_hi:[0,1]
	v_cmp_neq_f32_e32 vcc, s30, v11
	v_add_f32_e32 v13, v16, v13
	v_add_f32_e32 v12, v12, v13
	;; [unrolled: 1-line block ×3, first 2 shown]
	v_mul_f32_e32 v16, v40, v13
	v_mul_f32_e32 v30, v38, v16
	v_fma_f32 v34, v16, v38, -v30
	v_fmac_f32_e32 v34, v16, v39
	v_sub_f32_e32 v31, v31, v13
	v_add_f32_e32 v38, v12, v31
	v_add_f32_e32 v12, v30, v34
	v_sub_f32_e32 v31, v13, v12
	v_pk_add_f32 v[36:37], v[12:13], v[30:31] neg_lo:[0,1] neg_hi:[0,1]
	v_mov_b32_e32 v35, v12
	v_pk_add_f32 v[12:13], v[36:37], v[34:35] neg_lo:[0,1] neg_hi:[0,1]
	v_cvt_f32_i32_e32 v30, v32
	v_add_f32_e32 v13, v38, v13
	v_add_f32_e32 v12, v12, v13
	;; [unrolled: 1-line block ×4, first 2 shown]
	v_sub_f32_e32 v13, v31, v29
	v_mul_f32_e32 v12, v40, v12
	v_sub_f32_e32 v13, v16, v13
	v_add_f32_e32 v12, v13, v12
	v_add_f32_e32 v16, v31, v12
	v_mul_f32_e32 v29, v16, v16
	v_mov_b32_e32 v13, 0x3ecc95a3
	v_sub_f32_e32 v31, v16, v31
	v_fmac_f32_e32 v13, 0x3e9b6dac, v29
	v_sub_f32_e32 v12, v12, v31
	v_fmaak_f32 v13, v29, v13, 0x3f2aaada
	v_ldexp_f32 v32, v12, 1
	v_mul_f32_e32 v31, v16, v29
	v_mov_b32_e32 v12, 0x3f317218
	v_pk_mul_f32 v[12:13], v[30:31], v[12:13]
	v_ldexp_f32 v35, v16, 1
	v_fma_f32 v16, v30, s29, -v12
	v_fmamk_f32 v34, v30, 0xb102e308, v16
	v_pk_add_f32 v[30:31], v[12:13], v[34:35]
	v_mov_b32_e32 v36, v12
	v_sub_f32_e32 v16, v31, v35
	v_sub_f32_e32 v16, v13, v16
	v_add_f32_e32 v37, v32, v16
	v_pk_add_f32 v[12:13], v[30:31], v[12:13] neg_lo:[0,1] neg_hi:[0,1]
	v_pk_add_f32 v[38:39], v[30:31], v[36:37]
	v_mov_b32_e32 v35, v30
	v_mov_b32_e32 v13, v39
	v_pk_add_f32 v[40:41], v[34:35], v[12:13] neg_lo:[0,1] neg_hi:[0,1]
	v_pk_add_f32 v[12:13], v[34:35], v[12:13]
	v_mov_b32_e32 v36, v37
	v_pk_add_f32 v[34:35], v[12:13], v[30:31] op_sel:[1,0] op_sel_hi:[0,1] neg_lo:[0,1] neg_hi:[0,1]
	v_pk_add_f32 v[42:43], v[38:39], v[34:35] op_sel_hi:[1,0] neg_lo:[0,1] neg_hi:[0,1]
	v_mov_b32_e32 v38, v39
	v_mov_b32_e32 v39, v13
	v_pk_mov_b32 v[34:35], v[30:31], v[34:35] op_sel:[1,0]
	v_mov_b32_e32 v37, v30
	v_pk_add_f32 v[34:35], v[38:39], v[34:35] neg_lo:[0,1] neg_hi:[0,1]
	v_mov_b32_e32 v42, v40
	v_pk_add_f32 v[30:31], v[36:37], v[34:35] neg_lo:[0,1] neg_hi:[0,1]
	v_mov_b32_e32 v41, v13
	v_pk_add_f32 v[34:35], v[42:43], v[30:31]
	s_mov_b32 s29, 0x33800000
	v_pk_add_f32 v[36:37], v[34:35], v[34:35] op_sel:[0,1] op_sel_hi:[1,0]
	s_nop 0
	v_pk_add_f32 v[12:13], v[12:13], v[36:37] op_sel:[1,0] op_sel_hi:[0,1]
	v_mov_b32_e32 v35, v12
	v_pk_add_f32 v[38:39], v[34:35], v[40:41] neg_lo:[0,1] neg_hi:[0,1]
	v_mov_b32_e32 v31, v36
	v_sub_f32_e32 v13, v34, v38
	v_pk_add_f32 v[30:31], v[30:31], v[38:39] neg_lo:[0,1] neg_hi:[0,1]
	v_sub_f32_e32 v13, v40, v13
	v_add_f32_e32 v13, v30, v13
	v_add_f32_e32 v13, v13, v31
	;; [unrolled: 1-line block ×3, first 2 shown]
	v_cndmask_b32_e32 v12, v15, v12, vcc
	v_cmp_lt_f32_e64 vcc, |v11|, s29
	s_nop 1
	v_cndmask_b32_e32 v11, v12, v11, vcc
	v_add_f32_e32 v11, v6, v11
.LBB512_104:
	s_or_b64 exec, exec, s[0:1]
	v_bfe_u32 v6, v11, 16, 1
	s_movk_i32 s29, 0x7fff
	v_add3_u32 v6, v11, v6, s29
	v_cmp_o_f32_e32 vcc, v11, v11
	v_mov_b32_e32 v11, 0x7fc0
	s_nop 0
	v_cndmask_b32_sdwa v6, v11, v6, vcc dst_sel:DWORD dst_unused:UNUSED_PAD src0_sel:DWORD src1_sel:WORD_1
	v_lshlrev_b32_e32 v13, 16, v6
	v_max_f32_e32 v12, v13, v13
	v_min_f32_e32 v15, v12, v17
	v_cmp_u_f32_e32 vcc, v13, v13
	v_max_f32_e32 v12, v12, v17
	s_nop 0
	v_cndmask_b32_e32 v15, v15, v13, vcc
	v_cndmask_b32_e32 v12, v12, v13, vcc
	v_cndmask_b32_e64 v15, v15, v14, s[40:41]
	v_cndmask_b32_e64 v12, v12, v14, s[40:41]
	v_cmp_neq_f32_e32 vcc, v15, v12
	v_cmp_class_f32_e64 s[0:1], v15, s28
	s_or_b64 s[30:31], vcc, s[0:1]
	s_and_saveexec_b64 s[0:1], s[30:31]
	s_cbranch_execz .LBB512_106
; %bb.105:
	v_sub_f32_e32 v13, v15, v12
	s_mov_b32 s28, 0x3fb8aa3b
	v_mul_f32_e32 v14, 0x3fb8aa3b, v13
	v_fma_f32 v15, v13, s28, -v14
	v_rndne_f32_e32 v16, v14
	v_fmamk_f32 v15, v13, 0x32a5705f, v15
	v_sub_f32_e32 v14, v14, v16
	v_add_f32_e32 v14, v14, v15
	v_exp_f32_e32 v14, v14
	v_cvt_i32_f32_e32 v15, v16
	s_mov_b32 s28, 0xc2ce8ed0
	v_cmp_ngt_f32_e32 vcc, s28, v13
	s_mov_b32 s28, 0x42b17218
	v_ldexp_f32 v14, v14, v15
	v_cndmask_b32_e32 v14, 0, v14, vcc
	v_mov_b32_e32 v29, 0x7f800000
	v_cmp_nlt_f32_e32 vcc, s28, v13
	s_mov_b32 s28, 0x3f2aaaab
	s_mov_b32 s30, 0x7f800000
	v_cndmask_b32_e32 v13, v29, v14, vcc
	v_add_f32_e32 v16, 1.0, v13
	v_add_f32_e32 v14, -1.0, v16
	v_sub_f32_e32 v15, v14, v16
	v_add_f32_e32 v15, 1.0, v15
	v_sub_f32_e32 v14, v13, v14
	v_add_f32_e32 v17, v14, v15
	v_frexp_mant_f32_e32 v30, v16
	v_cvt_f64_f32_e32 v[14:15], v16
	v_frexp_exp_i32_f64_e32 v14, v[14:15]
	v_cmp_gt_f32_e32 vcc, s28, v30
	s_mov_b32 s28, 0x3f317218
	s_nop 0
	v_subbrev_co_u32_e32 v32, vcc, 0, v14, vcc
	v_sub_u32_e32 v14, 0, v32
	v_ldexp_f32 v15, v16, v14
	v_add_f32_e32 v16, -1.0, v15
	v_add_f32_e32 v30, 1.0, v15
	v_ldexp_f32 v14, v17, v14
	v_add_f32_e32 v17, 1.0, v16
	v_add_f32_e32 v31, -1.0, v30
	v_sub_f32_e32 v17, v15, v17
	v_sub_f32_e32 v15, v15, v31
	v_add_f32_e32 v17, v14, v17
	v_add_f32_e32 v14, v14, v15
	;; [unrolled: 1-line block ×3, first 2 shown]
	v_rcp_f32_e32 v38, v36
	v_sub_f32_e32 v15, v30, v36
	v_add_f32_e32 v37, v14, v15
	v_add_f32_e32 v15, v16, v17
	v_mul_f32_e32 v40, v15, v38
	v_sub_f32_e32 v14, v16, v15
	v_mul_f32_e32 v16, v36, v40
	v_fma_f32 v30, v40, v36, -v16
	v_fmac_f32_e32 v30, v40, v37
	v_add_f32_e32 v39, v17, v14
	v_add_f32_e32 v14, v16, v30
	v_sub_f32_e32 v17, v15, v14
	s_waitcnt lgkmcnt(0)
	v_pk_add_f32 v[34:35], v[14:15], v[16:17] neg_lo:[0,1] neg_hi:[0,1]
	v_mov_b32_e32 v31, v14
	v_pk_add_f32 v[14:15], v[34:35], v[30:31] neg_lo:[0,1] neg_hi:[0,1]
	v_cmp_neq_f32_e32 vcc, s30, v13
	v_add_f32_e32 v15, v39, v15
	v_add_f32_e32 v14, v14, v15
	;; [unrolled: 1-line block ×3, first 2 shown]
	v_mul_f32_e32 v39, v38, v15
	v_mul_f32_e32 v16, v36, v39
	v_fma_f32 v30, v39, v36, -v16
	v_fmac_f32_e32 v30, v39, v37
	v_sub_f32_e32 v17, v17, v15
	v_add_f32_e32 v36, v14, v17
	v_add_f32_e32 v14, v16, v30
	v_sub_f32_e32 v17, v15, v14
	v_pk_add_f32 v[34:35], v[14:15], v[16:17] neg_lo:[0,1] neg_hi:[0,1]
	v_mov_b32_e32 v31, v14
	v_pk_add_f32 v[14:15], v[34:35], v[30:31] neg_lo:[0,1] neg_hi:[0,1]
	v_cvt_f32_i32_e32 v16, v32
	v_add_f32_e32 v15, v36, v15
	v_add_f32_e32 v14, v14, v15
	;; [unrolled: 1-line block ×4, first 2 shown]
	v_sub_f32_e32 v15, v17, v40
	v_mul_f32_e32 v14, v38, v14
	v_sub_f32_e32 v15, v39, v15
	v_add_f32_e32 v14, v15, v14
	v_add_f32_e32 v30, v17, v14
	v_mul_f32_e32 v34, v30, v30
	v_mov_b32_e32 v15, 0x3ecc95a3
	v_sub_f32_e32 v17, v30, v17
	v_fmac_f32_e32 v15, 0x3e9b6dac, v34
	v_sub_f32_e32 v14, v14, v17
	v_fmaak_f32 v15, v34, v15, 0x3f2aaada
	v_ldexp_f32 v32, v14, 1
	v_mul_f32_e32 v17, v30, v34
	v_mov_b32_e32 v14, 0x3f317218
	v_pk_mul_f32 v[14:15], v[16:17], v[14:15]
	v_ldexp_f32 v31, v30, 1
	v_fma_f32 v17, v16, s28, -v14
	v_fmamk_f32 v30, v16, 0xb102e308, v17
	v_pk_add_f32 v[16:17], v[14:15], v[30:31]
	v_mov_b32_e32 v34, v14
	v_sub_f32_e32 v31, v17, v31
	v_sub_f32_e32 v31, v15, v31
	v_add_f32_e32 v35, v32, v31
	v_pk_add_f32 v[14:15], v[16:17], v[14:15] neg_lo:[0,1] neg_hi:[0,1]
	v_pk_add_f32 v[36:37], v[16:17], v[34:35]
	v_mov_b32_e32 v31, v16
	v_mov_b32_e32 v15, v37
	v_pk_add_f32 v[38:39], v[30:31], v[14:15] neg_lo:[0,1] neg_hi:[0,1]
	v_pk_add_f32 v[14:15], v[30:31], v[14:15]
	v_mov_b32_e32 v34, v35
	v_pk_add_f32 v[30:31], v[14:15], v[16:17] op_sel:[1,0] op_sel_hi:[0,1] neg_lo:[0,1] neg_hi:[0,1]
	v_pk_add_f32 v[40:41], v[36:37], v[30:31] op_sel_hi:[1,0] neg_lo:[0,1] neg_hi:[0,1]
	v_mov_b32_e32 v36, v37
	v_mov_b32_e32 v37, v15
	v_pk_mov_b32 v[30:31], v[16:17], v[30:31] op_sel:[1,0]
	v_mov_b32_e32 v35, v16
	v_pk_add_f32 v[30:31], v[36:37], v[30:31] neg_lo:[0,1] neg_hi:[0,1]
	v_mov_b32_e32 v40, v38
	v_pk_add_f32 v[16:17], v[34:35], v[30:31] neg_lo:[0,1] neg_hi:[0,1]
	v_mov_b32_e32 v39, v15
	v_pk_add_f32 v[30:31], v[40:41], v[16:17]
	s_mov_b32 s28, 0x33800000
	v_pk_add_f32 v[34:35], v[30:31], v[30:31] op_sel:[0,1] op_sel_hi:[1,0]
	s_nop 0
	v_pk_add_f32 v[14:15], v[14:15], v[34:35] op_sel:[1,0] op_sel_hi:[0,1]
	v_mov_b32_e32 v31, v14
	v_pk_add_f32 v[36:37], v[30:31], v[38:39] neg_lo:[0,1] neg_hi:[0,1]
	v_mov_b32_e32 v17, v34
	v_sub_f32_e32 v15, v30, v36
	v_pk_add_f32 v[16:17], v[16:17], v[36:37] neg_lo:[0,1] neg_hi:[0,1]
	v_sub_f32_e32 v15, v38, v15
	v_add_f32_e32 v15, v16, v15
	v_add_f32_e32 v15, v15, v17
	;; [unrolled: 1-line block ×3, first 2 shown]
	v_cndmask_b32_e32 v14, v29, v14, vcc
	v_cmp_lt_f32_e64 vcc, |v13|, s28
	s_nop 1
	v_cndmask_b32_e32 v13, v14, v13, vcc
	v_add_f32_e32 v13, v12, v13
.LBB512_106:
	s_or_b64 exec, exec, s[0:1]
	v_bfe_u32 v12, v13, 16, 1
	v_add3_u32 v12, v13, v12, s29
	v_cmp_o_f32_e32 vcc, v13, v13
	s_movk_i32 s28, 0x1f8
	s_nop 0
	v_cndmask_b32_sdwa v11, v11, v12, vcc dst_sel:DWORD dst_unused:UNUSED_PAD src0_sel:DWORD src1_sel:WORD_1
	v_lshlrev_b32_e32 v12, 16, v11
	v_max_f32_e32 v14, v12, v12
	v_min_f32_e32 v13, v14, v19
	v_cmp_u_f32_e32 vcc, v12, v12
	v_max_f32_e32 v14, v14, v19
	s_nop 0
	v_cndmask_b32_e32 v13, v13, v12, vcc
	v_cndmask_b32_e32 v14, v14, v12, vcc
	v_cndmask_b32_e64 v13, v13, v7, s[42:43]
	v_cndmask_b32_e64 v7, v14, v7, s[42:43]
	v_cmp_neq_f32_e32 vcc, v13, v7
	v_cmp_class_f32_e64 s[0:1], v13, s28
	s_or_b64 s[30:31], vcc, s[0:1]
	s_and_saveexec_b64 s[0:1], s[30:31]
	s_cbranch_execz .LBB512_108
; %bb.107:
	v_sub_f32_e32 v12, v13, v7
	s_mov_b32 s29, 0x3fb8aa3b
	v_mul_f32_e32 v13, 0x3fb8aa3b, v12
	v_fma_f32 v14, v12, s29, -v13
	v_rndne_f32_e32 v15, v13
	v_fmamk_f32 v14, v12, 0x32a5705f, v14
	v_sub_f32_e32 v13, v13, v15
	v_add_f32_e32 v13, v13, v14
	v_exp_f32_e32 v13, v13
	v_cvt_i32_f32_e32 v14, v15
	s_mov_b32 s29, 0xc2ce8ed0
	v_cmp_ngt_f32_e32 vcc, s29, v12
	s_mov_b32 s29, 0x42b17218
	v_ldexp_f32 v13, v13, v14
	v_cndmask_b32_e32 v13, 0, v13, vcc
	v_mov_b32_e32 v19, 0x7f800000
	v_cmp_nlt_f32_e32 vcc, s29, v12
	s_mov_b32 s29, 0x3f2aaaab
	s_mov_b32 s30, 0x7f800000
	v_cndmask_b32_e32 v29, v19, v13, vcc
	v_add_f32_e32 v14, 1.0, v29
	v_add_f32_e32 v12, -1.0, v14
	v_sub_f32_e32 v13, v12, v14
	v_add_f32_e32 v13, 1.0, v13
	v_sub_f32_e32 v12, v29, v12
	v_add_f32_e32 v15, v12, v13
	v_frexp_mant_f32_e32 v16, v14
	v_cvt_f64_f32_e32 v[12:13], v14
	v_frexp_exp_i32_f64_e32 v12, v[12:13]
	v_cmp_gt_f32_e32 vcc, s29, v16
	s_mov_b32 s29, 0x3f317218
	s_nop 0
	v_subbrev_co_u32_e32 v32, vcc, 0, v12, vcc
	v_sub_u32_e32 v12, 0, v32
	v_ldexp_f32 v13, v14, v12
	v_add_f32_e32 v14, -1.0, v13
	v_add_f32_e32 v16, 1.0, v13
	v_ldexp_f32 v12, v15, v12
	v_add_f32_e32 v15, 1.0, v14
	v_add_f32_e32 v17, -1.0, v16
	v_sub_f32_e32 v15, v13, v15
	v_sub_f32_e32 v13, v13, v17
	v_add_f32_e32 v15, v12, v15
	v_add_f32_e32 v12, v12, v13
	;; [unrolled: 1-line block ×3, first 2 shown]
	v_rcp_f32_e32 v36, v34
	v_sub_f32_e32 v13, v16, v34
	s_waitcnt lgkmcnt(0)
	v_add_f32_e32 v35, v12, v13
	v_add_f32_e32 v13, v14, v15
	v_mul_f32_e32 v38, v13, v36
	v_sub_f32_e32 v12, v14, v13
	v_mul_f32_e32 v14, v34, v38
	v_fma_f32 v16, v38, v34, -v14
	v_fmac_f32_e32 v16, v38, v35
	v_add_f32_e32 v37, v15, v12
	v_add_f32_e32 v12, v14, v16
	v_sub_f32_e32 v15, v13, v12
	v_pk_add_f32 v[30:31], v[12:13], v[14:15] neg_lo:[0,1] neg_hi:[0,1]
	v_mov_b32_e32 v17, v12
	v_pk_add_f32 v[12:13], v[30:31], v[16:17] neg_lo:[0,1] neg_hi:[0,1]
	v_cmp_neq_f32_e32 vcc, s30, v29
	v_add_f32_e32 v13, v37, v13
	v_add_f32_e32 v12, v12, v13
	;; [unrolled: 1-line block ×3, first 2 shown]
	v_mul_f32_e32 v37, v36, v13
	v_mul_f32_e32 v14, v34, v37
	v_fma_f32 v16, v37, v34, -v14
	v_fmac_f32_e32 v16, v37, v35
	v_sub_f32_e32 v15, v15, v13
	v_add_f32_e32 v34, v12, v15
	v_add_f32_e32 v12, v14, v16
	v_sub_f32_e32 v15, v13, v12
	v_pk_add_f32 v[30:31], v[12:13], v[14:15] neg_lo:[0,1] neg_hi:[0,1]
	v_mov_b32_e32 v17, v12
	v_pk_add_f32 v[12:13], v[30:31], v[16:17] neg_lo:[0,1] neg_hi:[0,1]
	v_cvt_f32_i32_e32 v14, v32
	v_add_f32_e32 v13, v34, v13
	v_add_f32_e32 v12, v12, v13
	;; [unrolled: 1-line block ×4, first 2 shown]
	v_sub_f32_e32 v13, v15, v38
	v_mul_f32_e32 v12, v36, v12
	v_sub_f32_e32 v13, v37, v13
	v_add_f32_e32 v12, v13, v12
	v_add_f32_e32 v16, v15, v12
	v_mul_f32_e32 v30, v16, v16
	v_mov_b32_e32 v13, 0x3ecc95a3
	v_sub_f32_e32 v15, v16, v15
	v_fmac_f32_e32 v13, 0x3e9b6dac, v30
	v_sub_f32_e32 v12, v12, v15
	v_fmaak_f32 v13, v30, v13, 0x3f2aaada
	v_ldexp_f32 v31, v12, 1
	v_mul_f32_e32 v15, v16, v30
	v_mov_b32_e32 v12, 0x3f317218
	v_pk_mul_f32 v[12:13], v[14:15], v[12:13]
	v_ldexp_f32 v17, v16, 1
	v_fma_f32 v15, v14, s29, -v12
	v_fmamk_f32 v16, v14, 0xb102e308, v15
	v_pk_add_f32 v[14:15], v[12:13], v[16:17]
	v_mov_b32_e32 v30, v12
	v_sub_f32_e32 v17, v15, v17
	v_sub_f32_e32 v17, v13, v17
	v_add_f32_e32 v31, v31, v17
	v_pk_add_f32 v[12:13], v[14:15], v[12:13] neg_lo:[0,1] neg_hi:[0,1]
	v_pk_add_f32 v[34:35], v[14:15], v[30:31]
	v_mov_b32_e32 v17, v14
	v_mov_b32_e32 v13, v35
	v_pk_add_f32 v[36:37], v[16:17], v[12:13] neg_lo:[0,1] neg_hi:[0,1]
	v_pk_add_f32 v[12:13], v[16:17], v[12:13]
	v_mov_b32_e32 v30, v31
	v_pk_add_f32 v[16:17], v[12:13], v[14:15] op_sel:[1,0] op_sel_hi:[0,1] neg_lo:[0,1] neg_hi:[0,1]
	v_pk_add_f32 v[38:39], v[34:35], v[16:17] op_sel_hi:[1,0] neg_lo:[0,1] neg_hi:[0,1]
	v_mov_b32_e32 v34, v35
	v_mov_b32_e32 v35, v13
	v_pk_mov_b32 v[16:17], v[14:15], v[16:17] op_sel:[1,0]
	v_mov_b32_e32 v31, v14
	v_pk_add_f32 v[16:17], v[34:35], v[16:17] neg_lo:[0,1] neg_hi:[0,1]
	v_mov_b32_e32 v38, v36
	v_pk_add_f32 v[14:15], v[30:31], v[16:17] neg_lo:[0,1] neg_hi:[0,1]
	v_mov_b32_e32 v37, v13
	v_pk_add_f32 v[16:17], v[38:39], v[14:15]
	s_mov_b32 s29, 0x33800000
	v_pk_add_f32 v[30:31], v[16:17], v[16:17] op_sel:[0,1] op_sel_hi:[1,0]
	s_nop 0
	v_pk_add_f32 v[12:13], v[12:13], v[30:31] op_sel:[1,0] op_sel_hi:[0,1]
	v_mov_b32_e32 v17, v12
	v_pk_add_f32 v[34:35], v[16:17], v[36:37] neg_lo:[0,1] neg_hi:[0,1]
	v_mov_b32_e32 v15, v30
	v_sub_f32_e32 v13, v16, v34
	v_pk_add_f32 v[14:15], v[14:15], v[34:35] neg_lo:[0,1] neg_hi:[0,1]
	v_sub_f32_e32 v13, v36, v13
	v_add_f32_e32 v13, v14, v13
	v_add_f32_e32 v13, v13, v15
	;; [unrolled: 1-line block ×3, first 2 shown]
	v_cndmask_b32_e32 v12, v19, v12, vcc
	v_cmp_lt_f32_e64 vcc, |v29|, s29
	s_nop 1
	v_cndmask_b32_e32 v12, v12, v29, vcc
	v_add_f32_e32 v12, v7, v12
.LBB512_108:
	s_or_b64 exec, exec, s[0:1]
	v_bfe_u32 v7, v12, 16, 1
	s_movk_i32 s29, 0x7fff
	v_add3_u32 v7, v12, v7, s29
	v_cmp_o_f32_e32 vcc, v12, v12
	v_mov_b32_e32 v12, 0x7fc0
	s_nop 0
	v_cndmask_b32_sdwa v7, v12, v7, vcc dst_sel:DWORD dst_unused:UNUSED_PAD src0_sel:DWORD src1_sel:WORD_1
	v_lshlrev_b32_e32 v14, 16, v7
	v_max_f32_e32 v13, v14, v14
	v_min_f32_e32 v15, v13, v20
	v_cmp_u_f32_e32 vcc, v14, v14
	v_max_f32_e32 v13, v13, v20
	s_nop 0
	v_cndmask_b32_e32 v15, v15, v14, vcc
	v_cndmask_b32_e32 v13, v13, v14, vcc
	v_cndmask_b32_e64 v15, v15, v18, s[44:45]
	v_cndmask_b32_e64 v13, v13, v18, s[44:45]
	v_cmp_neq_f32_e32 vcc, v15, v13
	v_cmp_class_f32_e64 s[0:1], v15, s28
	s_or_b64 s[30:31], vcc, s[0:1]
	s_and_saveexec_b64 s[0:1], s[30:31]
	s_cbranch_execz .LBB512_110
; %bb.109:
	v_sub_f32_e32 v14, v15, v13
	s_mov_b32 s28, 0x3fb8aa3b
	v_mul_f32_e32 v15, 0x3fb8aa3b, v14
	v_fma_f32 v16, v14, s28, -v15
	v_rndne_f32_e32 v17, v15
	v_fmamk_f32 v16, v14, 0x32a5705f, v16
	v_sub_f32_e32 v15, v15, v17
	v_add_f32_e32 v15, v15, v16
	v_exp_f32_e32 v15, v15
	v_cvt_i32_f32_e32 v16, v17
	s_mov_b32 s28, 0xc2ce8ed0
	v_cmp_ngt_f32_e32 vcc, s28, v14
	s_mov_b32 s28, 0x42b17218
	v_ldexp_f32 v15, v15, v16
	v_cndmask_b32_e32 v15, 0, v15, vcc
	v_mov_b32_e32 v20, 0x7f800000
	v_cmp_nlt_f32_e32 vcc, s28, v14
	s_mov_b32 s28, 0x3f2aaaab
	s_mov_b32 s30, 0x7f800000
	v_cndmask_b32_e32 v29, v20, v15, vcc
	v_add_f32_e32 v16, 1.0, v29
	v_add_f32_e32 v14, -1.0, v16
	v_sub_f32_e32 v15, v14, v16
	v_add_f32_e32 v15, 1.0, v15
	v_sub_f32_e32 v14, v29, v14
	v_add_f32_e32 v17, v14, v15
	v_frexp_mant_f32_e32 v18, v16
	v_cvt_f64_f32_e32 v[14:15], v16
	v_frexp_exp_i32_f64_e32 v14, v[14:15]
	v_cmp_gt_f32_e32 vcc, s28, v18
	s_mov_b32 s28, 0x3f317218
	s_nop 0
	v_subbrev_co_u32_e32 v32, vcc, 0, v14, vcc
	v_sub_u32_e32 v14, 0, v32
	v_ldexp_f32 v15, v16, v14
	v_add_f32_e32 v16, -1.0, v15
	v_add_f32_e32 v18, 1.0, v15
	v_ldexp_f32 v14, v17, v14
	v_add_f32_e32 v17, 1.0, v16
	v_add_f32_e32 v19, -1.0, v18
	v_sub_f32_e32 v17, v15, v17
	v_sub_f32_e32 v15, v15, v19
	v_add_f32_e32 v17, v14, v17
	v_add_f32_e32 v14, v14, v15
	;; [unrolled: 1-line block ×3, first 2 shown]
	v_rcp_f32_e32 v36, v34
	v_sub_f32_e32 v15, v18, v34
	s_waitcnt lgkmcnt(0)
	v_add_f32_e32 v35, v14, v15
	v_add_f32_e32 v15, v16, v17
	v_mul_f32_e32 v38, v15, v36
	v_sub_f32_e32 v14, v16, v15
	v_mul_f32_e32 v16, v34, v38
	v_fma_f32 v18, v38, v34, -v16
	v_fmac_f32_e32 v18, v38, v35
	v_add_f32_e32 v37, v17, v14
	v_add_f32_e32 v14, v16, v18
	v_sub_f32_e32 v17, v15, v14
	v_pk_add_f32 v[30:31], v[14:15], v[16:17] neg_lo:[0,1] neg_hi:[0,1]
	v_mov_b32_e32 v19, v14
	v_pk_add_f32 v[14:15], v[30:31], v[18:19] neg_lo:[0,1] neg_hi:[0,1]
	v_cmp_neq_f32_e32 vcc, s30, v29
	v_add_f32_e32 v15, v37, v15
	v_add_f32_e32 v14, v14, v15
	;; [unrolled: 1-line block ×3, first 2 shown]
	v_mul_f32_e32 v37, v36, v15
	v_mul_f32_e32 v16, v34, v37
	v_fma_f32 v18, v37, v34, -v16
	v_fmac_f32_e32 v18, v37, v35
	v_sub_f32_e32 v17, v17, v15
	v_add_f32_e32 v34, v14, v17
	v_add_f32_e32 v14, v16, v18
	v_sub_f32_e32 v17, v15, v14
	v_pk_add_f32 v[30:31], v[14:15], v[16:17] neg_lo:[0,1] neg_hi:[0,1]
	v_mov_b32_e32 v19, v14
	v_pk_add_f32 v[14:15], v[30:31], v[18:19] neg_lo:[0,1] neg_hi:[0,1]
	v_cvt_f32_i32_e32 v16, v32
	v_add_f32_e32 v15, v34, v15
	v_add_f32_e32 v14, v14, v15
	;; [unrolled: 1-line block ×4, first 2 shown]
	v_sub_f32_e32 v15, v17, v38
	v_mul_f32_e32 v14, v36, v14
	v_sub_f32_e32 v15, v37, v15
	v_add_f32_e32 v14, v15, v14
	v_add_f32_e32 v18, v17, v14
	v_mul_f32_e32 v30, v18, v18
	v_mov_b32_e32 v15, 0x3ecc95a3
	v_sub_f32_e32 v17, v18, v17
	v_fmac_f32_e32 v15, 0x3e9b6dac, v30
	v_sub_f32_e32 v14, v14, v17
	v_fmaak_f32 v15, v30, v15, 0x3f2aaada
	v_ldexp_f32 v31, v14, 1
	v_mul_f32_e32 v17, v18, v30
	v_mov_b32_e32 v14, 0x3f317218
	v_pk_mul_f32 v[14:15], v[16:17], v[14:15]
	v_ldexp_f32 v19, v18, 1
	v_fma_f32 v17, v16, s28, -v14
	v_fmamk_f32 v18, v16, 0xb102e308, v17
	v_pk_add_f32 v[16:17], v[14:15], v[18:19]
	v_mov_b32_e32 v30, v14
	v_sub_f32_e32 v19, v17, v19
	v_sub_f32_e32 v19, v15, v19
	v_add_f32_e32 v31, v31, v19
	v_pk_add_f32 v[14:15], v[16:17], v[14:15] neg_lo:[0,1] neg_hi:[0,1]
	v_pk_add_f32 v[34:35], v[16:17], v[30:31]
	v_mov_b32_e32 v19, v16
	v_mov_b32_e32 v15, v35
	v_pk_add_f32 v[36:37], v[18:19], v[14:15] neg_lo:[0,1] neg_hi:[0,1]
	v_pk_add_f32 v[14:15], v[18:19], v[14:15]
	v_mov_b32_e32 v30, v31
	v_pk_add_f32 v[18:19], v[14:15], v[16:17] op_sel:[1,0] op_sel_hi:[0,1] neg_lo:[0,1] neg_hi:[0,1]
	v_pk_add_f32 v[38:39], v[34:35], v[18:19] op_sel_hi:[1,0] neg_lo:[0,1] neg_hi:[0,1]
	v_mov_b32_e32 v34, v35
	v_mov_b32_e32 v35, v15
	v_pk_mov_b32 v[18:19], v[16:17], v[18:19] op_sel:[1,0]
	v_mov_b32_e32 v31, v16
	v_pk_add_f32 v[18:19], v[34:35], v[18:19] neg_lo:[0,1] neg_hi:[0,1]
	v_mov_b32_e32 v38, v36
	v_pk_add_f32 v[16:17], v[30:31], v[18:19] neg_lo:[0,1] neg_hi:[0,1]
	v_mov_b32_e32 v37, v15
	v_pk_add_f32 v[18:19], v[38:39], v[16:17]
	s_mov_b32 s28, 0x33800000
	v_pk_add_f32 v[30:31], v[18:19], v[18:19] op_sel:[0,1] op_sel_hi:[1,0]
	s_nop 0
	v_pk_add_f32 v[14:15], v[14:15], v[30:31] op_sel:[1,0] op_sel_hi:[0,1]
	v_mov_b32_e32 v19, v14
	v_pk_add_f32 v[34:35], v[18:19], v[36:37] neg_lo:[0,1] neg_hi:[0,1]
	v_mov_b32_e32 v17, v30
	v_sub_f32_e32 v15, v18, v34
	v_pk_add_f32 v[16:17], v[16:17], v[34:35] neg_lo:[0,1] neg_hi:[0,1]
	v_sub_f32_e32 v15, v36, v15
	v_add_f32_e32 v15, v16, v15
	v_add_f32_e32 v15, v15, v17
	v_add_f32_e32 v14, v14, v15
	v_cndmask_b32_e32 v14, v20, v14, vcc
	v_cmp_lt_f32_e64 vcc, |v29|, s28
	s_nop 1
	v_cndmask_b32_e32 v14, v14, v29, vcc
	v_add_f32_e32 v14, v13, v14
.LBB512_110:
	s_or_b64 exec, exec, s[0:1]
	v_bfe_u32 v13, v14, 16, 1
	v_add3_u32 v13, v14, v13, s29
	v_cmp_o_f32_e32 vcc, v14, v14
	s_movk_i32 s28, 0x1f8
	s_nop 0
	v_cndmask_b32_sdwa v12, v12, v13, vcc dst_sel:DWORD dst_unused:UNUSED_PAD src0_sel:DWORD src1_sel:WORD_1
	v_lshlrev_b32_e32 v13, 16, v12
	v_max_f32_e32 v15, v13, v13
	v_min_f32_e32 v14, v15, v22
	v_cmp_u_f32_e32 vcc, v13, v13
	v_max_f32_e32 v15, v15, v22
	s_nop 0
	v_cndmask_b32_e32 v14, v14, v13, vcc
	v_cndmask_b32_e32 v15, v15, v13, vcc
	v_cndmask_b32_e64 v14, v14, v4, s[46:47]
	v_cndmask_b32_e64 v4, v15, v4, s[46:47]
	v_cmp_neq_f32_e32 vcc, v14, v4
	v_cmp_class_f32_e64 s[0:1], v14, s28
	s_or_b64 s[30:31], vcc, s[0:1]
	s_and_saveexec_b64 s[0:1], s[30:31]
	s_cbranch_execz .LBB512_112
; %bb.111:
	v_sub_f32_e32 v13, v14, v4
	s_mov_b32 s29, 0x3fb8aa3b
	v_mul_f32_e32 v14, 0x3fb8aa3b, v13
	v_fma_f32 v15, v13, s29, -v14
	v_rndne_f32_e32 v16, v14
	v_fmamk_f32 v15, v13, 0x32a5705f, v15
	v_sub_f32_e32 v14, v14, v16
	v_add_f32_e32 v14, v14, v15
	v_exp_f32_e32 v14, v14
	v_cvt_i32_f32_e32 v15, v16
	s_mov_b32 s29, 0xc2ce8ed0
	v_cmp_ngt_f32_e32 vcc, s29, v13
	s_mov_b32 s29, 0x42b17218
	v_ldexp_f32 v14, v14, v15
	v_cndmask_b32_e32 v14, 0, v14, vcc
	v_mov_b32_e32 v20, 0x7f800000
	v_cmp_nlt_f32_e32 vcc, s29, v13
	s_mov_b32 s29, 0x3f2aaaab
	s_mov_b32 s30, 0x7f800000
	v_cndmask_b32_e32 v13, v20, v14, vcc
	v_add_f32_e32 v16, 1.0, v13
	v_add_f32_e32 v14, -1.0, v16
	v_sub_f32_e32 v15, v14, v16
	v_add_f32_e32 v15, 1.0, v15
	v_sub_f32_e32 v14, v13, v14
	v_add_f32_e32 v17, v14, v15
	v_frexp_mant_f32_e32 v18, v16
	v_cvt_f64_f32_e32 v[14:15], v16
	v_frexp_exp_i32_f64_e32 v14, v[14:15]
	v_cmp_gt_f32_e32 vcc, s29, v18
	s_mov_b32 s29, 0x3f317218
	s_nop 0
	v_subbrev_co_u32_e32 v22, vcc, 0, v14, vcc
	v_sub_u32_e32 v14, 0, v22
	v_ldexp_f32 v15, v16, v14
	v_add_f32_e32 v16, -1.0, v15
	v_add_f32_e32 v18, 1.0, v15
	v_ldexp_f32 v14, v17, v14
	v_add_f32_e32 v17, 1.0, v16
	v_add_f32_e32 v19, -1.0, v18
	v_sub_f32_e32 v17, v15, v17
	v_sub_f32_e32 v15, v15, v19
	v_add_f32_e32 v17, v14, v17
	v_add_f32_e32 v14, v14, v15
	;; [unrolled: 1-line block ×3, first 2 shown]
	v_rcp_f32_e32 v34, v29
	v_sub_f32_e32 v15, v18, v29
	v_add_f32_e32 v32, v14, v15
	v_add_f32_e32 v15, v16, v17
	v_mul_f32_e32 v36, v15, v34
	v_sub_f32_e32 v14, v16, v15
	v_mul_f32_e32 v16, v29, v36
	v_fma_f32 v18, v36, v29, -v16
	v_fmac_f32_e32 v18, v36, v32
	s_waitcnt lgkmcnt(0)
	v_add_f32_e32 v35, v17, v14
	v_add_f32_e32 v14, v16, v18
	v_sub_f32_e32 v17, v15, v14
	v_pk_add_f32 v[30:31], v[14:15], v[16:17] neg_lo:[0,1] neg_hi:[0,1]
	v_mov_b32_e32 v19, v14
	v_pk_add_f32 v[14:15], v[30:31], v[18:19] neg_lo:[0,1] neg_hi:[0,1]
	v_cmp_neq_f32_e32 vcc, s30, v13
	v_add_f32_e32 v15, v35, v15
	v_add_f32_e32 v14, v14, v15
	;; [unrolled: 1-line block ×3, first 2 shown]
	v_mul_f32_e32 v35, v34, v15
	v_mul_f32_e32 v16, v29, v35
	v_fma_f32 v18, v35, v29, -v16
	v_fmac_f32_e32 v18, v35, v32
	v_sub_f32_e32 v17, v17, v15
	v_add_f32_e32 v29, v14, v17
	v_add_f32_e32 v14, v16, v18
	v_sub_f32_e32 v17, v15, v14
	v_pk_add_f32 v[30:31], v[14:15], v[16:17] neg_lo:[0,1] neg_hi:[0,1]
	v_mov_b32_e32 v19, v14
	v_pk_add_f32 v[14:15], v[30:31], v[18:19] neg_lo:[0,1] neg_hi:[0,1]
	v_cvt_f32_i32_e32 v16, v22
	v_add_f32_e32 v15, v29, v15
	v_add_f32_e32 v14, v14, v15
	;; [unrolled: 1-line block ×4, first 2 shown]
	v_sub_f32_e32 v15, v17, v36
	v_mul_f32_e32 v14, v34, v14
	v_sub_f32_e32 v15, v35, v15
	v_add_f32_e32 v14, v15, v14
	v_add_f32_e32 v18, v17, v14
	v_mul_f32_e32 v29, v18, v18
	v_mov_b32_e32 v15, 0x3ecc95a3
	v_sub_f32_e32 v17, v18, v17
	v_fmac_f32_e32 v15, 0x3e9b6dac, v29
	v_sub_f32_e32 v14, v14, v17
	v_fmaak_f32 v15, v29, v15, 0x3f2aaada
	v_ldexp_f32 v22, v14, 1
	v_mul_f32_e32 v17, v18, v29
	v_mov_b32_e32 v14, 0x3f317218
	v_pk_mul_f32 v[14:15], v[16:17], v[14:15]
	v_ldexp_f32 v19, v18, 1
	v_fma_f32 v17, v16, s29, -v14
	v_fmamk_f32 v18, v16, 0xb102e308, v17
	v_pk_add_f32 v[16:17], v[14:15], v[18:19]
	v_mov_b32_e32 v30, v14
	v_sub_f32_e32 v19, v17, v19
	v_sub_f32_e32 v19, v15, v19
	v_add_f32_e32 v31, v22, v19
	v_pk_add_f32 v[14:15], v[16:17], v[14:15] neg_lo:[0,1] neg_hi:[0,1]
	v_pk_add_f32 v[34:35], v[16:17], v[30:31]
	v_mov_b32_e32 v19, v16
	v_mov_b32_e32 v15, v35
	v_pk_add_f32 v[36:37], v[18:19], v[14:15] neg_lo:[0,1] neg_hi:[0,1]
	v_pk_add_f32 v[14:15], v[18:19], v[14:15]
	v_mov_b32_e32 v30, v31
	v_pk_add_f32 v[18:19], v[14:15], v[16:17] op_sel:[1,0] op_sel_hi:[0,1] neg_lo:[0,1] neg_hi:[0,1]
	v_pk_add_f32 v[38:39], v[34:35], v[18:19] op_sel_hi:[1,0] neg_lo:[0,1] neg_hi:[0,1]
	v_mov_b32_e32 v34, v35
	v_mov_b32_e32 v35, v15
	v_pk_mov_b32 v[18:19], v[16:17], v[18:19] op_sel:[1,0]
	v_mov_b32_e32 v31, v16
	v_pk_add_f32 v[18:19], v[34:35], v[18:19] neg_lo:[0,1] neg_hi:[0,1]
	v_mov_b32_e32 v38, v36
	v_pk_add_f32 v[16:17], v[30:31], v[18:19] neg_lo:[0,1] neg_hi:[0,1]
	v_mov_b32_e32 v37, v15
	v_pk_add_f32 v[18:19], v[38:39], v[16:17]
	s_mov_b32 s29, 0x33800000
	v_pk_add_f32 v[30:31], v[18:19], v[18:19] op_sel:[0,1] op_sel_hi:[1,0]
	s_nop 0
	v_pk_add_f32 v[14:15], v[14:15], v[30:31] op_sel:[1,0] op_sel_hi:[0,1]
	v_mov_b32_e32 v19, v14
	v_pk_add_f32 v[34:35], v[18:19], v[36:37] neg_lo:[0,1] neg_hi:[0,1]
	v_mov_b32_e32 v17, v30
	v_sub_f32_e32 v15, v18, v34
	v_pk_add_f32 v[16:17], v[16:17], v[34:35] neg_lo:[0,1] neg_hi:[0,1]
	v_sub_f32_e32 v15, v36, v15
	v_add_f32_e32 v15, v16, v15
	v_add_f32_e32 v15, v15, v17
	;; [unrolled: 1-line block ×3, first 2 shown]
	v_cndmask_b32_e32 v14, v20, v14, vcc
	v_cmp_lt_f32_e64 vcc, |v13|, s29
	s_nop 1
	v_cndmask_b32_e32 v13, v14, v13, vcc
	v_add_f32_e32 v13, v4, v13
.LBB512_112:
	s_or_b64 exec, exec, s[0:1]
	v_bfe_u32 v4, v13, 16, 1
	s_movk_i32 s29, 0x7fff
	v_add3_u32 v4, v13, v4, s29
	v_cmp_o_f32_e32 vcc, v13, v13
	v_mov_b32_e32 v13, 0x7fc0
	s_nop 0
	v_cndmask_b32_sdwa v4, v13, v4, vcc dst_sel:DWORD dst_unused:UNUSED_PAD src0_sel:DWORD src1_sel:WORD_1
	v_lshlrev_b32_e32 v15, 16, v4
	v_max_f32_e32 v14, v15, v15
	v_min_f32_e32 v16, v14, v23
	v_cmp_u_f32_e32 vcc, v15, v15
	v_max_f32_e32 v14, v14, v23
	s_nop 0
	v_cndmask_b32_e32 v16, v16, v15, vcc
	v_cndmask_b32_e32 v14, v14, v15, vcc
	v_cndmask_b32_e64 v16, v16, v21, s[48:49]
	v_cndmask_b32_e64 v14, v14, v21, s[48:49]
	v_cmp_neq_f32_e32 vcc, v16, v14
	v_cmp_class_f32_e64 s[0:1], v16, s28
	s_or_b64 s[30:31], vcc, s[0:1]
	s_and_saveexec_b64 s[0:1], s[30:31]
	s_cbranch_execz .LBB512_114
; %bb.113:
	v_sub_f32_e32 v15, v16, v14
	s_mov_b32 s28, 0x3fb8aa3b
	v_mul_f32_e32 v16, 0x3fb8aa3b, v15
	v_fma_f32 v17, v15, s28, -v16
	v_rndne_f32_e32 v18, v16
	v_fmamk_f32 v17, v15, 0x32a5705f, v17
	v_sub_f32_e32 v16, v16, v18
	v_add_f32_e32 v16, v16, v17
	v_exp_f32_e32 v16, v16
	v_cvt_i32_f32_e32 v17, v18
	s_mov_b32 s28, 0xc2ce8ed0
	v_cmp_ngt_f32_e32 vcc, s28, v15
	s_mov_b32 s28, 0x42b17218
	v_ldexp_f32 v16, v16, v17
	v_cndmask_b32_e32 v16, 0, v16, vcc
	v_mov_b32_e32 v29, 0x7f800000
	v_cmp_nlt_f32_e32 vcc, s28, v15
	s_mov_b32 s28, 0x3f2aaaab
	s_mov_b32 s30, 0x7f800000
	v_cndmask_b32_e32 v15, v29, v16, vcc
	v_add_f32_e32 v18, 1.0, v15
	v_add_f32_e32 v16, -1.0, v18
	v_sub_f32_e32 v17, v16, v18
	v_add_f32_e32 v17, 1.0, v17
	v_sub_f32_e32 v16, v15, v16
	v_add_f32_e32 v19, v16, v17
	v_frexp_mant_f32_e32 v20, v18
	v_cvt_f64_f32_e32 v[16:17], v18
	v_frexp_exp_i32_f64_e32 v16, v[16:17]
	v_cmp_gt_f32_e32 vcc, s28, v20
	s_mov_b32 s28, 0x3f317218
	s_nop 0
	v_subbrev_co_u32_e32 v30, vcc, 0, v16, vcc
	v_sub_u32_e32 v16, 0, v30
	v_ldexp_f32 v17, v18, v16
	v_add_f32_e32 v18, -1.0, v17
	v_add_f32_e32 v20, 1.0, v17
	v_ldexp_f32 v16, v19, v16
	v_add_f32_e32 v19, 1.0, v18
	v_add_f32_e32 v21, -1.0, v20
	v_sub_f32_e32 v19, v17, v19
	v_sub_f32_e32 v17, v17, v21
	v_add_f32_e32 v19, v16, v19
	v_add_f32_e32 v16, v16, v17
	;; [unrolled: 1-line block ×3, first 2 shown]
	v_rcp_f32_e32 v34, v31
	v_sub_f32_e32 v17, v20, v31
	v_add_f32_e32 v32, v16, v17
	v_add_f32_e32 v17, v18, v19
	v_mul_f32_e32 v36, v17, v34
	v_sub_f32_e32 v16, v18, v17
	v_mul_f32_e32 v18, v31, v36
	v_fma_f32 v20, v36, v31, -v18
	v_fmac_f32_e32 v20, v36, v32
	s_waitcnt lgkmcnt(0)
	v_add_f32_e32 v35, v19, v16
	v_add_f32_e32 v16, v18, v20
	v_sub_f32_e32 v19, v17, v16
	v_pk_add_f32 v[22:23], v[16:17], v[18:19] neg_lo:[0,1] neg_hi:[0,1]
	v_mov_b32_e32 v21, v16
	v_pk_add_f32 v[16:17], v[22:23], v[20:21] neg_lo:[0,1] neg_hi:[0,1]
	v_cmp_neq_f32_e32 vcc, s30, v15
	v_add_f32_e32 v17, v35, v17
	v_add_f32_e32 v16, v16, v17
	;; [unrolled: 1-line block ×3, first 2 shown]
	v_mul_f32_e32 v35, v34, v17
	v_mul_f32_e32 v18, v31, v35
	v_fma_f32 v20, v35, v31, -v18
	v_fmac_f32_e32 v20, v35, v32
	v_sub_f32_e32 v19, v19, v17
	v_add_f32_e32 v31, v16, v19
	v_add_f32_e32 v16, v18, v20
	v_sub_f32_e32 v19, v17, v16
	v_pk_add_f32 v[22:23], v[16:17], v[18:19] neg_lo:[0,1] neg_hi:[0,1]
	v_mov_b32_e32 v21, v16
	v_pk_add_f32 v[16:17], v[22:23], v[20:21] neg_lo:[0,1] neg_hi:[0,1]
	v_cvt_f32_i32_e32 v18, v30
	v_add_f32_e32 v17, v31, v17
	v_add_f32_e32 v16, v16, v17
	;; [unrolled: 1-line block ×4, first 2 shown]
	v_sub_f32_e32 v17, v19, v36
	v_mul_f32_e32 v16, v34, v16
	v_sub_f32_e32 v17, v35, v17
	v_add_f32_e32 v16, v17, v16
	v_add_f32_e32 v20, v19, v16
	v_mul_f32_e32 v22, v20, v20
	v_mov_b32_e32 v17, 0x3ecc95a3
	v_sub_f32_e32 v19, v20, v19
	v_fmac_f32_e32 v17, 0x3e9b6dac, v22
	v_sub_f32_e32 v16, v16, v19
	v_fmaak_f32 v17, v22, v17, 0x3f2aaada
	v_ldexp_f32 v23, v16, 1
	v_mul_f32_e32 v19, v20, v22
	v_mov_b32_e32 v16, 0x3f317218
	v_pk_mul_f32 v[16:17], v[18:19], v[16:17]
	v_ldexp_f32 v21, v20, 1
	v_fma_f32 v19, v18, s28, -v16
	v_fmamk_f32 v20, v18, 0xb102e308, v19
	v_pk_add_f32 v[18:19], v[16:17], v[20:21]
	v_mov_b32_e32 v22, v16
	v_sub_f32_e32 v21, v19, v21
	v_sub_f32_e32 v21, v17, v21
	v_add_f32_e32 v23, v23, v21
	v_pk_add_f32 v[16:17], v[18:19], v[16:17] neg_lo:[0,1] neg_hi:[0,1]
	v_pk_add_f32 v[30:31], v[18:19], v[22:23]
	v_mov_b32_e32 v21, v18
	v_mov_b32_e32 v17, v31
	v_pk_add_f32 v[34:35], v[20:21], v[16:17] neg_lo:[0,1] neg_hi:[0,1]
	v_pk_add_f32 v[16:17], v[20:21], v[16:17]
	v_mov_b32_e32 v22, v23
	v_pk_add_f32 v[20:21], v[16:17], v[18:19] op_sel:[1,0] op_sel_hi:[0,1] neg_lo:[0,1] neg_hi:[0,1]
	v_pk_add_f32 v[36:37], v[30:31], v[20:21] op_sel_hi:[1,0] neg_lo:[0,1] neg_hi:[0,1]
	v_mov_b32_e32 v30, v31
	v_mov_b32_e32 v31, v17
	v_pk_mov_b32 v[20:21], v[18:19], v[20:21] op_sel:[1,0]
	v_mov_b32_e32 v23, v18
	v_pk_add_f32 v[20:21], v[30:31], v[20:21] neg_lo:[0,1] neg_hi:[0,1]
	v_mov_b32_e32 v36, v34
	v_pk_add_f32 v[18:19], v[22:23], v[20:21] neg_lo:[0,1] neg_hi:[0,1]
	v_mov_b32_e32 v35, v17
	v_pk_add_f32 v[20:21], v[36:37], v[18:19]
	s_mov_b32 s28, 0x33800000
	v_pk_add_f32 v[22:23], v[20:21], v[20:21] op_sel:[0,1] op_sel_hi:[1,0]
	s_nop 0
	v_pk_add_f32 v[16:17], v[16:17], v[22:23] op_sel:[1,0] op_sel_hi:[0,1]
	v_mov_b32_e32 v21, v16
	v_pk_add_f32 v[30:31], v[20:21], v[34:35] neg_lo:[0,1] neg_hi:[0,1]
	v_mov_b32_e32 v19, v22
	v_sub_f32_e32 v17, v20, v30
	v_pk_add_f32 v[18:19], v[18:19], v[30:31] neg_lo:[0,1] neg_hi:[0,1]
	v_sub_f32_e32 v17, v34, v17
	v_add_f32_e32 v17, v18, v17
	v_add_f32_e32 v17, v17, v19
	;; [unrolled: 1-line block ×3, first 2 shown]
	v_cndmask_b32_e32 v16, v29, v16, vcc
	v_cmp_lt_f32_e64 vcc, |v15|, s28
	s_nop 1
	v_cndmask_b32_e32 v15, v16, v15, vcc
	v_add_f32_e32 v15, v14, v15
.LBB512_114:
	s_or_b64 exec, exec, s[0:1]
	v_bfe_u32 v14, v15, 16, 1
	v_add3_u32 v14, v15, v14, s29
	v_cmp_o_f32_e32 vcc, v15, v15
	s_movk_i32 s28, 0x1f8
	s_nop 0
	v_cndmask_b32_sdwa v13, v13, v14, vcc dst_sel:DWORD dst_unused:UNUSED_PAD src0_sel:DWORD src1_sel:WORD_1
	v_lshlrev_b32_e32 v14, 16, v13
	v_max_f32_e32 v16, v14, v14
	v_min_f32_e32 v15, v16, v25
	v_cmp_u_f32_e32 vcc, v14, v14
	v_max_f32_e32 v16, v16, v25
	s_nop 0
	v_cndmask_b32_e32 v15, v15, v14, vcc
	v_cndmask_b32_e32 v16, v16, v14, vcc
	v_cndmask_b32_e64 v15, v15, v5, s[50:51]
	v_cndmask_b32_e64 v5, v16, v5, s[50:51]
	v_cmp_neq_f32_e32 vcc, v15, v5
	v_cmp_class_f32_e64 s[0:1], v15, s28
	s_or_b64 s[30:31], vcc, s[0:1]
	s_and_saveexec_b64 s[0:1], s[30:31]
	s_cbranch_execz .LBB512_116
; %bb.115:
	v_sub_f32_e32 v14, v15, v5
	s_mov_b32 s29, 0x3fb8aa3b
	v_mul_f32_e32 v15, 0x3fb8aa3b, v14
	v_fma_f32 v16, v14, s29, -v15
	v_rndne_f32_e32 v17, v15
	v_fmamk_f32 v16, v14, 0x32a5705f, v16
	v_sub_f32_e32 v15, v15, v17
	v_add_f32_e32 v15, v15, v16
	v_exp_f32_e32 v15, v15
	v_cvt_i32_f32_e32 v16, v17
	s_mov_b32 s29, 0xc2ce8ed0
	v_cmp_ngt_f32_e32 vcc, s29, v14
	s_mov_b32 s29, 0x42b17218
	v_ldexp_f32 v15, v15, v16
	v_cndmask_b32_e32 v15, 0, v15, vcc
	v_mov_b32_e32 v25, 0x7f800000
	v_cmp_nlt_f32_e32 vcc, s29, v14
	s_mov_b32 s29, 0x3f2aaaab
	s_mov_b32 s30, 0x7f800000
	v_cndmask_b32_e32 v29, v25, v15, vcc
	v_add_f32_e32 v16, 1.0, v29
	v_add_f32_e32 v14, -1.0, v16
	v_sub_f32_e32 v15, v14, v16
	v_add_f32_e32 v15, 1.0, v15
	v_sub_f32_e32 v14, v29, v14
	v_add_f32_e32 v17, v14, v15
	v_frexp_mant_f32_e32 v18, v16
	v_cvt_f64_f32_e32 v[14:15], v16
	v_frexp_exp_i32_f64_e32 v14, v[14:15]
	v_cmp_gt_f32_e32 vcc, s29, v18
	s_mov_b32 s29, 0x3f317218
	s_nop 0
	v_subbrev_co_u32_e32 v22, vcc, 0, v14, vcc
	v_sub_u32_e32 v14, 0, v22
	v_ldexp_f32 v15, v16, v14
	v_add_f32_e32 v16, -1.0, v15
	v_add_f32_e32 v18, 1.0, v15
	v_ldexp_f32 v14, v17, v14
	v_add_f32_e32 v17, 1.0, v16
	v_add_f32_e32 v19, -1.0, v18
	v_sub_f32_e32 v17, v15, v17
	v_sub_f32_e32 v15, v15, v19
	v_add_f32_e32 v17, v14, v17
	v_add_f32_e32 v14, v14, v15
	;; [unrolled: 1-line block ×3, first 2 shown]
	v_rcp_f32_e32 v31, v23
	v_sub_f32_e32 v15, v18, v23
	v_add_f32_e32 v30, v14, v15
	v_add_f32_e32 v15, v16, v17
	v_mul_f32_e32 v34, v15, v31
	v_sub_f32_e32 v14, v16, v15
	v_mul_f32_e32 v16, v23, v34
	v_fma_f32 v18, v34, v23, -v16
	v_fmac_f32_e32 v18, v34, v30
	v_add_f32_e32 v32, v17, v14
	v_add_f32_e32 v14, v16, v18
	v_sub_f32_e32 v17, v15, v14
	v_pk_add_f32 v[20:21], v[14:15], v[16:17] neg_lo:[0,1] neg_hi:[0,1]
	v_mov_b32_e32 v19, v14
	v_pk_add_f32 v[14:15], v[20:21], v[18:19] neg_lo:[0,1] neg_hi:[0,1]
	v_cmp_neq_f32_e32 vcc, s30, v29
	v_add_f32_e32 v15, v32, v15
	v_add_f32_e32 v14, v14, v15
	;; [unrolled: 1-line block ×3, first 2 shown]
	v_mul_f32_e32 v32, v31, v15
	v_mul_f32_e32 v16, v23, v32
	v_fma_f32 v18, v32, v23, -v16
	v_fmac_f32_e32 v18, v32, v30
	v_sub_f32_e32 v17, v17, v15
	v_add_f32_e32 v23, v14, v17
	v_add_f32_e32 v14, v16, v18
	v_sub_f32_e32 v17, v15, v14
	v_pk_add_f32 v[20:21], v[14:15], v[16:17] neg_lo:[0,1] neg_hi:[0,1]
	v_mov_b32_e32 v19, v14
	v_pk_add_f32 v[14:15], v[20:21], v[18:19] neg_lo:[0,1] neg_hi:[0,1]
	v_cvt_f32_i32_e32 v16, v22
	v_add_f32_e32 v15, v23, v15
	v_add_f32_e32 v14, v14, v15
	;; [unrolled: 1-line block ×4, first 2 shown]
	v_sub_f32_e32 v15, v17, v34
	v_mul_f32_e32 v14, v31, v14
	v_sub_f32_e32 v15, v32, v15
	v_add_f32_e32 v14, v15, v14
	v_add_f32_e32 v18, v17, v14
	v_mul_f32_e32 v20, v18, v18
	v_mov_b32_e32 v15, 0x3ecc95a3
	v_sub_f32_e32 v17, v18, v17
	v_fmac_f32_e32 v15, 0x3e9b6dac, v20
	v_sub_f32_e32 v14, v14, v17
	v_fmaak_f32 v15, v20, v15, 0x3f2aaada
	v_ldexp_f32 v21, v14, 1
	v_mul_f32_e32 v17, v18, v20
	v_mov_b32_e32 v14, 0x3f317218
	v_pk_mul_f32 v[14:15], v[16:17], v[14:15]
	v_ldexp_f32 v19, v18, 1
	v_fma_f32 v17, v16, s29, -v14
	v_fmamk_f32 v18, v16, 0xb102e308, v17
	v_pk_add_f32 v[16:17], v[14:15], v[18:19]
	v_mov_b32_e32 v20, v14
	v_sub_f32_e32 v19, v17, v19
	v_sub_f32_e32 v19, v15, v19
	v_add_f32_e32 v21, v21, v19
	v_pk_add_f32 v[14:15], v[16:17], v[14:15] neg_lo:[0,1] neg_hi:[0,1]
	v_pk_add_f32 v[22:23], v[16:17], v[20:21]
	v_mov_b32_e32 v19, v16
	v_mov_b32_e32 v15, v23
	v_pk_add_f32 v[30:31], v[18:19], v[14:15] neg_lo:[0,1] neg_hi:[0,1]
	v_pk_add_f32 v[14:15], v[18:19], v[14:15]
	v_mov_b32_e32 v20, v21
	v_pk_add_f32 v[18:19], v[14:15], v[16:17] op_sel:[1,0] op_sel_hi:[0,1] neg_lo:[0,1] neg_hi:[0,1]
	s_waitcnt lgkmcnt(0)
	v_pk_add_f32 v[34:35], v[22:23], v[18:19] op_sel_hi:[1,0] neg_lo:[0,1] neg_hi:[0,1]
	v_mov_b32_e32 v22, v23
	v_mov_b32_e32 v23, v15
	v_pk_mov_b32 v[18:19], v[16:17], v[18:19] op_sel:[1,0]
	v_mov_b32_e32 v21, v16
	v_pk_add_f32 v[18:19], v[22:23], v[18:19] neg_lo:[0,1] neg_hi:[0,1]
	v_mov_b32_e32 v34, v30
	v_pk_add_f32 v[16:17], v[20:21], v[18:19] neg_lo:[0,1] neg_hi:[0,1]
	v_mov_b32_e32 v31, v15
	v_pk_add_f32 v[18:19], v[34:35], v[16:17]
	s_mov_b32 s29, 0x33800000
	v_pk_add_f32 v[20:21], v[18:19], v[18:19] op_sel:[0,1] op_sel_hi:[1,0]
	s_nop 0
	v_pk_add_f32 v[14:15], v[14:15], v[20:21] op_sel:[1,0] op_sel_hi:[0,1]
	v_mov_b32_e32 v19, v14
	v_pk_add_f32 v[22:23], v[18:19], v[30:31] neg_lo:[0,1] neg_hi:[0,1]
	v_mov_b32_e32 v17, v20
	v_sub_f32_e32 v15, v18, v22
	v_pk_add_f32 v[16:17], v[16:17], v[22:23] neg_lo:[0,1] neg_hi:[0,1]
	v_sub_f32_e32 v15, v30, v15
	v_add_f32_e32 v15, v16, v15
	v_add_f32_e32 v15, v15, v17
	;; [unrolled: 1-line block ×3, first 2 shown]
	v_cndmask_b32_e32 v14, v25, v14, vcc
	v_cmp_lt_f32_e64 vcc, |v29|, s29
	s_nop 1
	v_cndmask_b32_e32 v14, v14, v29, vcc
	v_add_f32_e32 v14, v5, v14
.LBB512_116:
	s_or_b64 exec, exec, s[0:1]
	v_bfe_u32 v5, v14, 16, 1
	s_movk_i32 s29, 0x7fff
	v_add3_u32 v5, v14, v5, s29
	v_cmp_o_f32_e32 vcc, v14, v14
	v_mov_b32_e32 v14, 0x7fc0
	s_nop 0
	v_cndmask_b32_sdwa v5, v14, v5, vcc dst_sel:DWORD dst_unused:UNUSED_PAD src0_sel:DWORD src1_sel:WORD_1
	v_lshlrev_b32_e32 v16, 16, v5
	v_max_f32_e32 v15, v16, v16
	v_min_f32_e32 v17, v15, v27
	v_cmp_u_f32_e32 vcc, v16, v16
	v_max_f32_e32 v15, v15, v27
	s_nop 0
	v_cndmask_b32_e32 v17, v17, v16, vcc
	v_cndmask_b32_e32 v15, v15, v16, vcc
	v_cndmask_b32_e64 v17, v17, v24, s[52:53]
	v_cndmask_b32_e64 v15, v15, v24, s[52:53]
	v_cmp_neq_f32_e32 vcc, v17, v15
	v_cmp_class_f32_e64 s[0:1], v17, s28
	s_or_b64 s[30:31], vcc, s[0:1]
	s_and_saveexec_b64 s[0:1], s[30:31]
	s_cbranch_execz .LBB512_118
; %bb.117:
	v_sub_f32_e32 v16, v17, v15
	s_mov_b32 s28, 0x3fb8aa3b
	v_mul_f32_e32 v17, 0x3fb8aa3b, v16
	v_fma_f32 v18, v16, s28, -v17
	v_rndne_f32_e32 v19, v17
	v_fmamk_f32 v18, v16, 0x32a5705f, v18
	v_sub_f32_e32 v17, v17, v19
	v_add_f32_e32 v17, v17, v18
	v_exp_f32_e32 v17, v17
	v_cvt_i32_f32_e32 v18, v19
	s_mov_b32 s28, 0xc2ce8ed0
	v_cmp_ngt_f32_e32 vcc, s28, v16
	s_mov_b32 s28, 0x42b17218
	v_ldexp_f32 v17, v17, v18
	v_cndmask_b32_e32 v17, 0, v17, vcc
	v_mov_b32_e32 v27, 0x7f800000
	v_cmp_nlt_f32_e32 vcc, s28, v16
	s_mov_b32 s28, 0x3f2aaaab
	s_mov_b32 s30, 0x7f800000
	v_cndmask_b32_e32 v29, v27, v17, vcc
	v_add_f32_e32 v18, 1.0, v29
	v_add_f32_e32 v16, -1.0, v18
	v_sub_f32_e32 v17, v16, v18
	v_add_f32_e32 v17, 1.0, v17
	v_sub_f32_e32 v16, v29, v16
	v_add_f32_e32 v19, v16, v17
	v_frexp_mant_f32_e32 v20, v18
	v_cvt_f64_f32_e32 v[16:17], v18
	v_frexp_exp_i32_f64_e32 v16, v[16:17]
	v_cmp_gt_f32_e32 vcc, s28, v20
	s_mov_b32 s28, 0x3f317218
	s_nop 0
	v_subbrev_co_u32_e32 v24, vcc, 0, v16, vcc
	v_sub_u32_e32 v16, 0, v24
	v_ldexp_f32 v17, v18, v16
	v_add_f32_e32 v18, -1.0, v17
	v_add_f32_e32 v20, 1.0, v17
	v_ldexp_f32 v16, v19, v16
	v_add_f32_e32 v19, 1.0, v18
	v_add_f32_e32 v21, -1.0, v20
	v_sub_f32_e32 v19, v17, v19
	v_sub_f32_e32 v17, v17, v21
	v_add_f32_e32 v19, v16, v19
	v_add_f32_e32 v16, v16, v17
	;; [unrolled: 1-line block ×3, first 2 shown]
	v_rcp_f32_e32 v31, v25
	v_sub_f32_e32 v17, v20, v25
	v_add_f32_e32 v30, v16, v17
	v_add_f32_e32 v17, v18, v19
	v_mul_f32_e32 v34, v17, v31
	v_sub_f32_e32 v16, v18, v17
	v_mul_f32_e32 v18, v25, v34
	v_fma_f32 v20, v34, v25, -v18
	v_fmac_f32_e32 v20, v34, v30
	v_add_f32_e32 v32, v19, v16
	v_add_f32_e32 v16, v18, v20
	v_sub_f32_e32 v19, v17, v16
	v_pk_add_f32 v[22:23], v[16:17], v[18:19] neg_lo:[0,1] neg_hi:[0,1]
	v_mov_b32_e32 v21, v16
	v_pk_add_f32 v[16:17], v[22:23], v[20:21] neg_lo:[0,1] neg_hi:[0,1]
	v_cmp_neq_f32_e32 vcc, s30, v29
	v_add_f32_e32 v17, v32, v17
	v_add_f32_e32 v16, v16, v17
	;; [unrolled: 1-line block ×3, first 2 shown]
	v_mul_f32_e32 v32, v31, v17
	v_mul_f32_e32 v18, v25, v32
	v_fma_f32 v20, v32, v25, -v18
	v_fmac_f32_e32 v20, v32, v30
	v_sub_f32_e32 v19, v19, v17
	v_add_f32_e32 v25, v16, v19
	v_add_f32_e32 v16, v18, v20
	v_sub_f32_e32 v19, v17, v16
	v_pk_add_f32 v[22:23], v[16:17], v[18:19] neg_lo:[0,1] neg_hi:[0,1]
	v_mov_b32_e32 v21, v16
	v_pk_add_f32 v[16:17], v[22:23], v[20:21] neg_lo:[0,1] neg_hi:[0,1]
	v_cvt_f32_i32_e32 v18, v24
	v_add_f32_e32 v17, v25, v17
	v_add_f32_e32 v16, v16, v17
	;; [unrolled: 1-line block ×4, first 2 shown]
	v_sub_f32_e32 v17, v19, v34
	v_mul_f32_e32 v16, v31, v16
	v_sub_f32_e32 v17, v32, v17
	v_add_f32_e32 v16, v17, v16
	v_add_f32_e32 v20, v19, v16
	v_mul_f32_e32 v22, v20, v20
	v_mov_b32_e32 v17, 0x3ecc95a3
	v_sub_f32_e32 v19, v20, v19
	v_fmac_f32_e32 v17, 0x3e9b6dac, v22
	v_sub_f32_e32 v16, v16, v19
	v_fmaak_f32 v17, v22, v17, 0x3f2aaada
	v_ldexp_f32 v23, v16, 1
	v_mul_f32_e32 v19, v20, v22
	v_mov_b32_e32 v16, 0x3f317218
	v_pk_mul_f32 v[16:17], v[18:19], v[16:17]
	v_ldexp_f32 v21, v20, 1
	v_fma_f32 v19, v18, s28, -v16
	v_fmamk_f32 v20, v18, 0xb102e308, v19
	v_pk_add_f32 v[18:19], v[16:17], v[20:21]
	v_mov_b32_e32 v22, v16
	v_sub_f32_e32 v21, v19, v21
	v_sub_f32_e32 v21, v17, v21
	v_add_f32_e32 v23, v23, v21
	v_pk_add_f32 v[16:17], v[18:19], v[16:17] neg_lo:[0,1] neg_hi:[0,1]
	v_pk_add_f32 v[24:25], v[18:19], v[22:23]
	v_mov_b32_e32 v21, v18
	v_mov_b32_e32 v17, v25
	v_pk_add_f32 v[30:31], v[20:21], v[16:17] neg_lo:[0,1] neg_hi:[0,1]
	v_pk_add_f32 v[16:17], v[20:21], v[16:17]
	v_mov_b32_e32 v22, v23
	v_pk_add_f32 v[20:21], v[16:17], v[18:19] op_sel:[1,0] op_sel_hi:[0,1] neg_lo:[0,1] neg_hi:[0,1]
	s_waitcnt lgkmcnt(0)
	v_pk_add_f32 v[34:35], v[24:25], v[20:21] op_sel_hi:[1,0] neg_lo:[0,1] neg_hi:[0,1]
	v_mov_b32_e32 v24, v25
	v_mov_b32_e32 v25, v17
	v_pk_mov_b32 v[20:21], v[18:19], v[20:21] op_sel:[1,0]
	v_mov_b32_e32 v23, v18
	v_pk_add_f32 v[20:21], v[24:25], v[20:21] neg_lo:[0,1] neg_hi:[0,1]
	v_mov_b32_e32 v34, v30
	v_pk_add_f32 v[18:19], v[22:23], v[20:21] neg_lo:[0,1] neg_hi:[0,1]
	v_mov_b32_e32 v31, v17
	v_pk_add_f32 v[20:21], v[34:35], v[18:19]
	s_mov_b32 s28, 0x33800000
	v_pk_add_f32 v[22:23], v[20:21], v[20:21] op_sel:[0,1] op_sel_hi:[1,0]
	s_nop 0
	v_pk_add_f32 v[16:17], v[16:17], v[22:23] op_sel:[1,0] op_sel_hi:[0,1]
	v_mov_b32_e32 v21, v16
	v_pk_add_f32 v[24:25], v[20:21], v[30:31] neg_lo:[0,1] neg_hi:[0,1]
	v_mov_b32_e32 v19, v22
	v_sub_f32_e32 v17, v20, v24
	v_pk_add_f32 v[18:19], v[18:19], v[24:25] neg_lo:[0,1] neg_hi:[0,1]
	v_sub_f32_e32 v17, v30, v17
	v_add_f32_e32 v17, v18, v17
	v_add_f32_e32 v17, v17, v19
	;; [unrolled: 1-line block ×3, first 2 shown]
	v_cndmask_b32_e32 v16, v27, v16, vcc
	v_cmp_lt_f32_e64 vcc, |v29|, s28
	s_nop 1
	v_cndmask_b32_e32 v16, v16, v29, vcc
	v_add_f32_e32 v16, v15, v16
.LBB512_118:
	s_or_b64 exec, exec, s[0:1]
	v_bfe_u32 v15, v16, 16, 1
	v_add3_u32 v15, v16, v15, s29
	v_cmp_o_f32_e32 vcc, v16, v16
	s_movk_i32 s0, 0x1f8
	s_nop 0
	v_cndmask_b32_sdwa v14, v14, v15, vcc dst_sel:DWORD dst_unused:UNUSED_PAD src0_sel:DWORD src1_sel:WORD_1
	v_lshlrev_b32_e32 v16, 16, v14
	v_max_f32_e32 v15, v16, v16
	v_min_f32_e32 v17, v15, v28
	v_cmp_u_f32_e32 vcc, v16, v16
	v_max_f32_e32 v15, v15, v28
	s_nop 0
	v_cndmask_b32_e32 v17, v17, v16, vcc
	v_cndmask_b32_e32 v15, v15, v16, vcc
	v_cndmask_b32_e64 v17, v17, v26, s[54:55]
	v_cndmask_b32_e64 v15, v15, v26, s[54:55]
	v_cmp_neq_f32_e32 vcc, v17, v15
	v_cmp_class_f32_e64 s[0:1], v17, s0
	s_or_b64 s[28:29], vcc, s[0:1]
	s_and_saveexec_b64 s[0:1], s[28:29]
	s_cbranch_execz .LBB512_120
; %bb.119:
	v_sub_f32_e32 v16, v17, v15
	s_mov_b32 s28, 0x3fb8aa3b
	v_mul_f32_e32 v17, 0x3fb8aa3b, v16
	v_fma_f32 v18, v16, s28, -v17
	v_rndne_f32_e32 v19, v17
	v_fmamk_f32 v18, v16, 0x32a5705f, v18
	v_sub_f32_e32 v17, v17, v19
	v_add_f32_e32 v17, v17, v18
	v_exp_f32_e32 v17, v17
	v_cvt_i32_f32_e32 v18, v19
	s_mov_b32 s28, 0xc2ce8ed0
	v_cmp_ngt_f32_e32 vcc, s28, v16
	s_mov_b32 s28, 0x42b17218
	v_ldexp_f32 v17, v17, v18
	v_cndmask_b32_e32 v17, 0, v17, vcc
	v_mov_b32_e32 v30, 0x7f800000
	v_cmp_nlt_f32_e32 vcc, s28, v16
	s_mov_b32 s28, 0x3f2aaaab
	s_mov_b32 s29, 0x7f800000
	v_cndmask_b32_e32 v31, v30, v17, vcc
	v_add_f32_e32 v18, 1.0, v31
	v_add_f32_e32 v16, -1.0, v18
	v_sub_f32_e32 v17, v16, v18
	v_add_f32_e32 v17, 1.0, v17
	v_sub_f32_e32 v16, v31, v16
	v_add_f32_e32 v19, v16, v17
	v_frexp_mant_f32_e32 v20, v18
	v_cvt_f64_f32_e32 v[16:17], v18
	v_frexp_exp_i32_f64_e32 v16, v[16:17]
	v_cmp_gt_f32_e32 vcc, s28, v20
	s_mov_b32 s28, 0x3f317218
	s_nop 0
	v_subbrev_co_u32_e32 v24, vcc, 0, v16, vcc
	v_sub_u32_e32 v16, 0, v24
	v_ldexp_f32 v17, v18, v16
	v_add_f32_e32 v18, -1.0, v17
	v_add_f32_e32 v20, 1.0, v17
	v_ldexp_f32 v16, v19, v16
	v_add_f32_e32 v19, 1.0, v18
	v_add_f32_e32 v21, -1.0, v20
	v_sub_f32_e32 v19, v17, v19
	v_sub_f32_e32 v17, v17, v21
	v_add_f32_e32 v19, v16, v19
	v_add_f32_e32 v16, v16, v17
	;; [unrolled: 1-line block ×3, first 2 shown]
	v_rcp_f32_e32 v27, v25
	v_sub_f32_e32 v17, v20, v25
	v_add_f32_e32 v26, v16, v17
	v_add_f32_e32 v17, v18, v19
	v_mul_f32_e32 v29, v17, v27
	v_sub_f32_e32 v16, v18, v17
	v_mul_f32_e32 v18, v25, v29
	v_fma_f32 v20, v29, v25, -v18
	v_fmac_f32_e32 v20, v29, v26
	v_add_f32_e32 v28, v19, v16
	v_add_f32_e32 v16, v18, v20
	v_sub_f32_e32 v19, v17, v16
	v_pk_add_f32 v[22:23], v[16:17], v[18:19] neg_lo:[0,1] neg_hi:[0,1]
	v_mov_b32_e32 v21, v16
	v_pk_add_f32 v[16:17], v[22:23], v[20:21] neg_lo:[0,1] neg_hi:[0,1]
	v_cmp_neq_f32_e32 vcc, s29, v31
	v_add_f32_e32 v17, v28, v17
	v_add_f32_e32 v16, v16, v17
	;; [unrolled: 1-line block ×3, first 2 shown]
	v_mul_f32_e32 v28, v27, v17
	v_mul_f32_e32 v18, v25, v28
	v_fma_f32 v20, v28, v25, -v18
	v_fmac_f32_e32 v20, v28, v26
	v_sub_f32_e32 v19, v19, v17
	v_add_f32_e32 v25, v16, v19
	v_add_f32_e32 v16, v18, v20
	v_sub_f32_e32 v19, v17, v16
	v_pk_add_f32 v[22:23], v[16:17], v[18:19] neg_lo:[0,1] neg_hi:[0,1]
	v_mov_b32_e32 v21, v16
	v_pk_add_f32 v[16:17], v[22:23], v[20:21] neg_lo:[0,1] neg_hi:[0,1]
	v_cvt_f32_i32_e32 v18, v24
	v_add_f32_e32 v17, v25, v17
	v_add_f32_e32 v16, v16, v17
	v_add_f32_e32 v16, v19, v16
	v_add_f32_e32 v19, v29, v28
	v_sub_f32_e32 v17, v19, v29
	v_mul_f32_e32 v16, v27, v16
	v_sub_f32_e32 v17, v28, v17
	v_add_f32_e32 v16, v17, v16
	v_add_f32_e32 v20, v19, v16
	v_mul_f32_e32 v22, v20, v20
	v_mov_b32_e32 v17, 0x3ecc95a3
	v_sub_f32_e32 v19, v20, v19
	v_fmac_f32_e32 v17, 0x3e9b6dac, v22
	v_sub_f32_e32 v16, v16, v19
	v_fmaak_f32 v17, v22, v17, 0x3f2aaada
	v_ldexp_f32 v23, v16, 1
	v_mul_f32_e32 v19, v20, v22
	v_mov_b32_e32 v16, 0x3f317218
	v_pk_mul_f32 v[16:17], v[18:19], v[16:17]
	v_ldexp_f32 v21, v20, 1
	v_fma_f32 v19, v18, s28, -v16
	v_fmamk_f32 v20, v18, 0xb102e308, v19
	v_pk_add_f32 v[18:19], v[16:17], v[20:21]
	v_mov_b32_e32 v22, v16
	v_sub_f32_e32 v21, v19, v21
	v_sub_f32_e32 v21, v17, v21
	v_add_f32_e32 v23, v23, v21
	v_pk_add_f32 v[16:17], v[18:19], v[16:17] neg_lo:[0,1] neg_hi:[0,1]
	v_pk_add_f32 v[24:25], v[18:19], v[22:23]
	v_mov_b32_e32 v21, v18
	v_mov_b32_e32 v17, v25
	v_pk_add_f32 v[26:27], v[20:21], v[16:17] neg_lo:[0,1] neg_hi:[0,1]
	v_pk_add_f32 v[16:17], v[20:21], v[16:17]
	v_mov_b32_e32 v22, v23
	v_pk_add_f32 v[20:21], v[16:17], v[18:19] op_sel:[1,0] op_sel_hi:[0,1] neg_lo:[0,1] neg_hi:[0,1]
	v_pk_add_f32 v[28:29], v[24:25], v[20:21] op_sel_hi:[1,0] neg_lo:[0,1] neg_hi:[0,1]
	v_mov_b32_e32 v24, v25
	v_mov_b32_e32 v25, v17
	v_pk_mov_b32 v[20:21], v[18:19], v[20:21] op_sel:[1,0]
	v_mov_b32_e32 v23, v18
	v_pk_add_f32 v[20:21], v[24:25], v[20:21] neg_lo:[0,1] neg_hi:[0,1]
	v_mov_b32_e32 v28, v26
	v_pk_add_f32 v[18:19], v[22:23], v[20:21] neg_lo:[0,1] neg_hi:[0,1]
	v_mov_b32_e32 v27, v17
	v_pk_add_f32 v[20:21], v[28:29], v[18:19]
	s_mov_b32 s28, 0x33800000
	v_pk_add_f32 v[22:23], v[20:21], v[20:21] op_sel:[0,1] op_sel_hi:[1,0]
	s_nop 0
	v_pk_add_f32 v[16:17], v[16:17], v[22:23] op_sel:[1,0] op_sel_hi:[0,1]
	v_mov_b32_e32 v21, v16
	v_pk_add_f32 v[24:25], v[20:21], v[26:27] neg_lo:[0,1] neg_hi:[0,1]
	v_mov_b32_e32 v19, v22
	v_sub_f32_e32 v17, v20, v24
	v_pk_add_f32 v[18:19], v[18:19], v[24:25] neg_lo:[0,1] neg_hi:[0,1]
	v_sub_f32_e32 v17, v26, v17
	v_add_f32_e32 v17, v18, v17
	v_add_f32_e32 v17, v17, v19
	;; [unrolled: 1-line block ×3, first 2 shown]
	v_cndmask_b32_e32 v16, v30, v16, vcc
	v_cmp_lt_f32_e64 vcc, |v31|, s28
	s_nop 1
	v_cndmask_b32_e32 v16, v16, v31, vcc
	v_add_f32_e32 v16, v15, v16
.LBB512_120:
	s_or_b64 exec, exec, s[0:1]
	v_bfe_u32 v15, v16, 16, 1
	s_movk_i32 s0, 0x7fff
	v_add3_u32 v15, v16, v15, s0
	v_cmp_o_f32_e32 vcc, v16, v16
	v_mov_b32_e32 v16, 0x7fc0
	s_mov_b32 s0, 0x5040100
	v_cndmask_b32_sdwa v15, v16, v15, vcc dst_sel:DWORD dst_unused:UNUSED_PAD src0_sel:DWORD src1_sel:WORD_1
	v_add_u32_e32 v16, v8, v33
	v_perm_b32 v3, v3, v9, s0
	v_perm_b32 v1, v1, v2, s0
	s_waitcnt lgkmcnt(0)
	s_barrier
	ds_write2_b32 v16, v1, v3 offset1:1
	v_perm_b32 v1, v7, v11, s0
	v_perm_b32 v2, v6, v10, s0
	ds_write2_b32 v16, v2, v1 offset0:2 offset1:3
	v_perm_b32 v1, v5, v13, s0
	v_perm_b32 v2, v4, v12, s0
	ds_write2_b32 v16, v2, v1 offset0:4 offset1:5
	v_perm_b32 v1, v15, v14, s0
	ds_write_b32 v16, v1 offset:24
	s_waitcnt lgkmcnt(0)
	s_barrier
	ds_read_u16 v15, v8 offset:256
	ds_read_u16 v14, v8 offset:512
	;; [unrolled: 1-line block ×13, first 2 shown]
	v_lshlrev_b32_e32 v0, 1, v0
	v_mov_b32_e32 v1, 0
	v_lshl_add_u64 v[0:1], s[60:61], 0, v[0:1]
	s_and_saveexec_b64 s[0:1], s[58:59]
	s_cbranch_execnz .LBB512_135
; %bb.121:
	s_or_b64 exec, exec, s[0:1]
	s_and_saveexec_b64 s[0:1], s[2:3]
	s_cbranch_execnz .LBB512_136
.LBB512_122:
	s_or_b64 exec, exec, s[0:1]
	s_and_saveexec_b64 s[0:1], s[4:5]
	s_cbranch_execnz .LBB512_137
.LBB512_123:
	s_or_b64 exec, exec, s[0:1]
	s_and_saveexec_b64 s[0:1], s[6:7]
	s_cbranch_execnz .LBB512_138
.LBB512_124:
	s_or_b64 exec, exec, s[0:1]
	s_and_saveexec_b64 s[0:1], s[8:9]
	s_cbranch_execnz .LBB512_139
.LBB512_125:
	s_or_b64 exec, exec, s[0:1]
	s_and_saveexec_b64 s[0:1], s[10:11]
	s_cbranch_execnz .LBB512_140
.LBB512_126:
	s_or_b64 exec, exec, s[0:1]
	s_and_saveexec_b64 s[0:1], s[12:13]
	s_cbranch_execnz .LBB512_141
.LBB512_127:
	s_or_b64 exec, exec, s[0:1]
	s_and_saveexec_b64 s[0:1], s[14:15]
	s_cbranch_execnz .LBB512_142
.LBB512_128:
	s_or_b64 exec, exec, s[0:1]
	s_and_saveexec_b64 s[0:1], s[16:17]
	s_cbranch_execnz .LBB512_143
.LBB512_129:
	s_or_b64 exec, exec, s[0:1]
	s_and_saveexec_b64 s[0:1], s[18:19]
	s_cbranch_execnz .LBB512_144
.LBB512_130:
	s_or_b64 exec, exec, s[0:1]
	s_and_saveexec_b64 s[0:1], s[20:21]
	s_cbranch_execnz .LBB512_145
.LBB512_131:
	s_or_b64 exec, exec, s[0:1]
	s_and_saveexec_b64 s[0:1], s[22:23]
	s_cbranch_execnz .LBB512_146
.LBB512_132:
	s_or_b64 exec, exec, s[0:1]
	s_and_saveexec_b64 s[0:1], s[24:25]
	s_cbranch_execnz .LBB512_147
.LBB512_133:
	s_or_b64 exec, exec, s[0:1]
	s_and_saveexec_b64 s[0:1], s[26:27]
	s_cbranch_execnz .LBB512_148
.LBB512_134:
	s_endpgm
.LBB512_135:
	ds_read_u16 v8, v8
	s_waitcnt lgkmcnt(0)
	global_store_short v[0:1], v8, off
	s_or_b64 exec, exec, s[0:1]
	s_and_saveexec_b64 s[0:1], s[2:3]
	s_cbranch_execz .LBB512_122
.LBB512_136:
	s_waitcnt lgkmcnt(12)
	global_store_short v[0:1], v15, off offset:256
	s_or_b64 exec, exec, s[0:1]
	s_and_saveexec_b64 s[0:1], s[4:5]
	s_cbranch_execz .LBB512_123
.LBB512_137:
	s_waitcnt lgkmcnt(11)
	global_store_short v[0:1], v14, off offset:512
	s_or_b64 exec, exec, s[0:1]
	s_and_saveexec_b64 s[0:1], s[6:7]
	s_cbranch_execz .LBB512_124
.LBB512_138:
	s_waitcnt lgkmcnt(10)
	global_store_short v[0:1], v13, off offset:768
	s_or_b64 exec, exec, s[0:1]
	s_and_saveexec_b64 s[0:1], s[8:9]
	s_cbranch_execz .LBB512_125
.LBB512_139:
	s_waitcnt lgkmcnt(9)
	global_store_short v[0:1], v12, off offset:1024
	s_or_b64 exec, exec, s[0:1]
	s_and_saveexec_b64 s[0:1], s[10:11]
	s_cbranch_execz .LBB512_126
.LBB512_140:
	s_waitcnt lgkmcnt(8)
	global_store_short v[0:1], v11, off offset:1280
	s_or_b64 exec, exec, s[0:1]
	s_and_saveexec_b64 s[0:1], s[12:13]
	s_cbranch_execz .LBB512_127
.LBB512_141:
	s_waitcnt lgkmcnt(7)
	global_store_short v[0:1], v10, off offset:1536
	s_or_b64 exec, exec, s[0:1]
	s_and_saveexec_b64 s[0:1], s[14:15]
	s_cbranch_execz .LBB512_128
.LBB512_142:
	s_waitcnt lgkmcnt(6)
	global_store_short v[0:1], v9, off offset:1792
	s_or_b64 exec, exec, s[0:1]
	s_and_saveexec_b64 s[0:1], s[16:17]
	s_cbranch_execz .LBB512_129
.LBB512_143:
	s_waitcnt lgkmcnt(5)
	global_store_short v[0:1], v7, off offset:2048
	s_or_b64 exec, exec, s[0:1]
	s_and_saveexec_b64 s[0:1], s[18:19]
	s_cbranch_execz .LBB512_130
.LBB512_144:
	s_waitcnt lgkmcnt(4)
	global_store_short v[0:1], v6, off offset:2304
	s_or_b64 exec, exec, s[0:1]
	s_and_saveexec_b64 s[0:1], s[20:21]
	s_cbranch_execz .LBB512_131
.LBB512_145:
	s_waitcnt lgkmcnt(3)
	global_store_short v[0:1], v5, off offset:2560
	s_or_b64 exec, exec, s[0:1]
	s_and_saveexec_b64 s[0:1], s[22:23]
	s_cbranch_execz .LBB512_132
.LBB512_146:
	s_waitcnt lgkmcnt(2)
	global_store_short v[0:1], v4, off offset:2816
	s_or_b64 exec, exec, s[0:1]
	s_and_saveexec_b64 s[0:1], s[24:25]
	s_cbranch_execz .LBB512_133
.LBB512_147:
	s_waitcnt lgkmcnt(1)
	global_store_short v[0:1], v3, off offset:3072
	s_or_b64 exec, exec, s[0:1]
	s_and_saveexec_b64 s[0:1], s[26:27]
	s_cbranch_execz .LBB512_134
.LBB512_148:
	s_waitcnt lgkmcnt(0)
	global_store_short v[0:1], v2, off offset:3328
	s_endpgm
	.section	.rodata,"a",@progbits
	.p2align	6, 0x0
	.amdhsa_kernel _ZN7rocprim17ROCPRIM_400000_NS6detail17trampoline_kernelINS0_14default_configENS1_20scan_config_selectorIN3c108BFloat16EEEZZNS1_9scan_implILNS1_25lookback_scan_determinismE0ELb0ELb0ES3_PKS6_PS6_S6_ZZZN2at6native31launch_logcumsumexp_cuda_kernelERKNSD_10TensorBaseESH_lENKUlvE_clEvENKUlvE4_clEvEUlS6_S6_E_S6_EEDaPvRmT3_T4_T5_mT6_P12ihipStream_tbENKUlT_T0_E_clISt17integral_constantIbLb0EESX_IbLb1EEEEDaST_SU_EUlST_E0_NS1_11comp_targetILNS1_3genE0ELNS1_11target_archE4294967295ELNS1_3gpuE0ELNS1_3repE0EEENS1_30default_config_static_selectorELNS0_4arch9wavefront6targetE1EEEvT1_
		.amdhsa_group_segment_fixed_size 3584
		.amdhsa_private_segment_fixed_size 0
		.amdhsa_kernarg_size 32
		.amdhsa_user_sgpr_count 2
		.amdhsa_user_sgpr_dispatch_ptr 0
		.amdhsa_user_sgpr_queue_ptr 0
		.amdhsa_user_sgpr_kernarg_segment_ptr 1
		.amdhsa_user_sgpr_dispatch_id 0
		.amdhsa_user_sgpr_kernarg_preload_length 0
		.amdhsa_user_sgpr_kernarg_preload_offset 0
		.amdhsa_user_sgpr_private_segment_size 0
		.amdhsa_uses_dynamic_stack 0
		.amdhsa_enable_private_segment 0
		.amdhsa_system_sgpr_workgroup_id_x 1
		.amdhsa_system_sgpr_workgroup_id_y 0
		.amdhsa_system_sgpr_workgroup_id_z 0
		.amdhsa_system_sgpr_workgroup_info 0
		.amdhsa_system_vgpr_workitem_id 0
		.amdhsa_next_free_vgpr 54
		.amdhsa_next_free_sgpr 68
		.amdhsa_accum_offset 56
		.amdhsa_reserve_vcc 1
		.amdhsa_float_round_mode_32 0
		.amdhsa_float_round_mode_16_64 0
		.amdhsa_float_denorm_mode_32 3
		.amdhsa_float_denorm_mode_16_64 3
		.amdhsa_dx10_clamp 1
		.amdhsa_ieee_mode 1
		.amdhsa_fp16_overflow 0
		.amdhsa_tg_split 0
		.amdhsa_exception_fp_ieee_invalid_op 0
		.amdhsa_exception_fp_denorm_src 0
		.amdhsa_exception_fp_ieee_div_zero 0
		.amdhsa_exception_fp_ieee_overflow 0
		.amdhsa_exception_fp_ieee_underflow 0
		.amdhsa_exception_fp_ieee_inexact 0
		.amdhsa_exception_int_div_zero 0
	.end_amdhsa_kernel
	.section	.text._ZN7rocprim17ROCPRIM_400000_NS6detail17trampoline_kernelINS0_14default_configENS1_20scan_config_selectorIN3c108BFloat16EEEZZNS1_9scan_implILNS1_25lookback_scan_determinismE0ELb0ELb0ES3_PKS6_PS6_S6_ZZZN2at6native31launch_logcumsumexp_cuda_kernelERKNSD_10TensorBaseESH_lENKUlvE_clEvENKUlvE4_clEvEUlS6_S6_E_S6_EEDaPvRmT3_T4_T5_mT6_P12ihipStream_tbENKUlT_T0_E_clISt17integral_constantIbLb0EESX_IbLb1EEEEDaST_SU_EUlST_E0_NS1_11comp_targetILNS1_3genE0ELNS1_11target_archE4294967295ELNS1_3gpuE0ELNS1_3repE0EEENS1_30default_config_static_selectorELNS0_4arch9wavefront6targetE1EEEvT1_,"axG",@progbits,_ZN7rocprim17ROCPRIM_400000_NS6detail17trampoline_kernelINS0_14default_configENS1_20scan_config_selectorIN3c108BFloat16EEEZZNS1_9scan_implILNS1_25lookback_scan_determinismE0ELb0ELb0ES3_PKS6_PS6_S6_ZZZN2at6native31launch_logcumsumexp_cuda_kernelERKNSD_10TensorBaseESH_lENKUlvE_clEvENKUlvE4_clEvEUlS6_S6_E_S6_EEDaPvRmT3_T4_T5_mT6_P12ihipStream_tbENKUlT_T0_E_clISt17integral_constantIbLb0EESX_IbLb1EEEEDaST_SU_EUlST_E0_NS1_11comp_targetILNS1_3genE0ELNS1_11target_archE4294967295ELNS1_3gpuE0ELNS1_3repE0EEENS1_30default_config_static_selectorELNS0_4arch9wavefront6targetE1EEEvT1_,comdat
.Lfunc_end512:
	.size	_ZN7rocprim17ROCPRIM_400000_NS6detail17trampoline_kernelINS0_14default_configENS1_20scan_config_selectorIN3c108BFloat16EEEZZNS1_9scan_implILNS1_25lookback_scan_determinismE0ELb0ELb0ES3_PKS6_PS6_S6_ZZZN2at6native31launch_logcumsumexp_cuda_kernelERKNSD_10TensorBaseESH_lENKUlvE_clEvENKUlvE4_clEvEUlS6_S6_E_S6_EEDaPvRmT3_T4_T5_mT6_P12ihipStream_tbENKUlT_T0_E_clISt17integral_constantIbLb0EESX_IbLb1EEEEDaST_SU_EUlST_E0_NS1_11comp_targetILNS1_3genE0ELNS1_11target_archE4294967295ELNS1_3gpuE0ELNS1_3repE0EEENS1_30default_config_static_selectorELNS0_4arch9wavefront6targetE1EEEvT1_, .Lfunc_end512-_ZN7rocprim17ROCPRIM_400000_NS6detail17trampoline_kernelINS0_14default_configENS1_20scan_config_selectorIN3c108BFloat16EEEZZNS1_9scan_implILNS1_25lookback_scan_determinismE0ELb0ELb0ES3_PKS6_PS6_S6_ZZZN2at6native31launch_logcumsumexp_cuda_kernelERKNSD_10TensorBaseESH_lENKUlvE_clEvENKUlvE4_clEvEUlS6_S6_E_S6_EEDaPvRmT3_T4_T5_mT6_P12ihipStream_tbENKUlT_T0_E_clISt17integral_constantIbLb0EESX_IbLb1EEEEDaST_SU_EUlST_E0_NS1_11comp_targetILNS1_3genE0ELNS1_11target_archE4294967295ELNS1_3gpuE0ELNS1_3repE0EEENS1_30default_config_static_selectorELNS0_4arch9wavefront6targetE1EEEvT1_
                                        ; -- End function
	.set _ZN7rocprim17ROCPRIM_400000_NS6detail17trampoline_kernelINS0_14default_configENS1_20scan_config_selectorIN3c108BFloat16EEEZZNS1_9scan_implILNS1_25lookback_scan_determinismE0ELb0ELb0ES3_PKS6_PS6_S6_ZZZN2at6native31launch_logcumsumexp_cuda_kernelERKNSD_10TensorBaseESH_lENKUlvE_clEvENKUlvE4_clEvEUlS6_S6_E_S6_EEDaPvRmT3_T4_T5_mT6_P12ihipStream_tbENKUlT_T0_E_clISt17integral_constantIbLb0EESX_IbLb1EEEEDaST_SU_EUlST_E0_NS1_11comp_targetILNS1_3genE0ELNS1_11target_archE4294967295ELNS1_3gpuE0ELNS1_3repE0EEENS1_30default_config_static_selectorELNS0_4arch9wavefront6targetE1EEEvT1_.num_vgpr, 54
	.set _ZN7rocprim17ROCPRIM_400000_NS6detail17trampoline_kernelINS0_14default_configENS1_20scan_config_selectorIN3c108BFloat16EEEZZNS1_9scan_implILNS1_25lookback_scan_determinismE0ELb0ELb0ES3_PKS6_PS6_S6_ZZZN2at6native31launch_logcumsumexp_cuda_kernelERKNSD_10TensorBaseESH_lENKUlvE_clEvENKUlvE4_clEvEUlS6_S6_E_S6_EEDaPvRmT3_T4_T5_mT6_P12ihipStream_tbENKUlT_T0_E_clISt17integral_constantIbLb0EESX_IbLb1EEEEDaST_SU_EUlST_E0_NS1_11comp_targetILNS1_3genE0ELNS1_11target_archE4294967295ELNS1_3gpuE0ELNS1_3repE0EEENS1_30default_config_static_selectorELNS0_4arch9wavefront6targetE1EEEvT1_.num_agpr, 0
	.set _ZN7rocprim17ROCPRIM_400000_NS6detail17trampoline_kernelINS0_14default_configENS1_20scan_config_selectorIN3c108BFloat16EEEZZNS1_9scan_implILNS1_25lookback_scan_determinismE0ELb0ELb0ES3_PKS6_PS6_S6_ZZZN2at6native31launch_logcumsumexp_cuda_kernelERKNSD_10TensorBaseESH_lENKUlvE_clEvENKUlvE4_clEvEUlS6_S6_E_S6_EEDaPvRmT3_T4_T5_mT6_P12ihipStream_tbENKUlT_T0_E_clISt17integral_constantIbLb0EESX_IbLb1EEEEDaST_SU_EUlST_E0_NS1_11comp_targetILNS1_3genE0ELNS1_11target_archE4294967295ELNS1_3gpuE0ELNS1_3repE0EEENS1_30default_config_static_selectorELNS0_4arch9wavefront6targetE1EEEvT1_.numbered_sgpr, 68
	.set _ZN7rocprim17ROCPRIM_400000_NS6detail17trampoline_kernelINS0_14default_configENS1_20scan_config_selectorIN3c108BFloat16EEEZZNS1_9scan_implILNS1_25lookback_scan_determinismE0ELb0ELb0ES3_PKS6_PS6_S6_ZZZN2at6native31launch_logcumsumexp_cuda_kernelERKNSD_10TensorBaseESH_lENKUlvE_clEvENKUlvE4_clEvEUlS6_S6_E_S6_EEDaPvRmT3_T4_T5_mT6_P12ihipStream_tbENKUlT_T0_E_clISt17integral_constantIbLb0EESX_IbLb1EEEEDaST_SU_EUlST_E0_NS1_11comp_targetILNS1_3genE0ELNS1_11target_archE4294967295ELNS1_3gpuE0ELNS1_3repE0EEENS1_30default_config_static_selectorELNS0_4arch9wavefront6targetE1EEEvT1_.num_named_barrier, 0
	.set _ZN7rocprim17ROCPRIM_400000_NS6detail17trampoline_kernelINS0_14default_configENS1_20scan_config_selectorIN3c108BFloat16EEEZZNS1_9scan_implILNS1_25lookback_scan_determinismE0ELb0ELb0ES3_PKS6_PS6_S6_ZZZN2at6native31launch_logcumsumexp_cuda_kernelERKNSD_10TensorBaseESH_lENKUlvE_clEvENKUlvE4_clEvEUlS6_S6_E_S6_EEDaPvRmT3_T4_T5_mT6_P12ihipStream_tbENKUlT_T0_E_clISt17integral_constantIbLb0EESX_IbLb1EEEEDaST_SU_EUlST_E0_NS1_11comp_targetILNS1_3genE0ELNS1_11target_archE4294967295ELNS1_3gpuE0ELNS1_3repE0EEENS1_30default_config_static_selectorELNS0_4arch9wavefront6targetE1EEEvT1_.private_seg_size, 0
	.set _ZN7rocprim17ROCPRIM_400000_NS6detail17trampoline_kernelINS0_14default_configENS1_20scan_config_selectorIN3c108BFloat16EEEZZNS1_9scan_implILNS1_25lookback_scan_determinismE0ELb0ELb0ES3_PKS6_PS6_S6_ZZZN2at6native31launch_logcumsumexp_cuda_kernelERKNSD_10TensorBaseESH_lENKUlvE_clEvENKUlvE4_clEvEUlS6_S6_E_S6_EEDaPvRmT3_T4_T5_mT6_P12ihipStream_tbENKUlT_T0_E_clISt17integral_constantIbLb0EESX_IbLb1EEEEDaST_SU_EUlST_E0_NS1_11comp_targetILNS1_3genE0ELNS1_11target_archE4294967295ELNS1_3gpuE0ELNS1_3repE0EEENS1_30default_config_static_selectorELNS0_4arch9wavefront6targetE1EEEvT1_.uses_vcc, 1
	.set _ZN7rocprim17ROCPRIM_400000_NS6detail17trampoline_kernelINS0_14default_configENS1_20scan_config_selectorIN3c108BFloat16EEEZZNS1_9scan_implILNS1_25lookback_scan_determinismE0ELb0ELb0ES3_PKS6_PS6_S6_ZZZN2at6native31launch_logcumsumexp_cuda_kernelERKNSD_10TensorBaseESH_lENKUlvE_clEvENKUlvE4_clEvEUlS6_S6_E_S6_EEDaPvRmT3_T4_T5_mT6_P12ihipStream_tbENKUlT_T0_E_clISt17integral_constantIbLb0EESX_IbLb1EEEEDaST_SU_EUlST_E0_NS1_11comp_targetILNS1_3genE0ELNS1_11target_archE4294967295ELNS1_3gpuE0ELNS1_3repE0EEENS1_30default_config_static_selectorELNS0_4arch9wavefront6targetE1EEEvT1_.uses_flat_scratch, 0
	.set _ZN7rocprim17ROCPRIM_400000_NS6detail17trampoline_kernelINS0_14default_configENS1_20scan_config_selectorIN3c108BFloat16EEEZZNS1_9scan_implILNS1_25lookback_scan_determinismE0ELb0ELb0ES3_PKS6_PS6_S6_ZZZN2at6native31launch_logcumsumexp_cuda_kernelERKNSD_10TensorBaseESH_lENKUlvE_clEvENKUlvE4_clEvEUlS6_S6_E_S6_EEDaPvRmT3_T4_T5_mT6_P12ihipStream_tbENKUlT_T0_E_clISt17integral_constantIbLb0EESX_IbLb1EEEEDaST_SU_EUlST_E0_NS1_11comp_targetILNS1_3genE0ELNS1_11target_archE4294967295ELNS1_3gpuE0ELNS1_3repE0EEENS1_30default_config_static_selectorELNS0_4arch9wavefront6targetE1EEEvT1_.has_dyn_sized_stack, 0
	.set _ZN7rocprim17ROCPRIM_400000_NS6detail17trampoline_kernelINS0_14default_configENS1_20scan_config_selectorIN3c108BFloat16EEEZZNS1_9scan_implILNS1_25lookback_scan_determinismE0ELb0ELb0ES3_PKS6_PS6_S6_ZZZN2at6native31launch_logcumsumexp_cuda_kernelERKNSD_10TensorBaseESH_lENKUlvE_clEvENKUlvE4_clEvEUlS6_S6_E_S6_EEDaPvRmT3_T4_T5_mT6_P12ihipStream_tbENKUlT_T0_E_clISt17integral_constantIbLb0EESX_IbLb1EEEEDaST_SU_EUlST_E0_NS1_11comp_targetILNS1_3genE0ELNS1_11target_archE4294967295ELNS1_3gpuE0ELNS1_3repE0EEENS1_30default_config_static_selectorELNS0_4arch9wavefront6targetE1EEEvT1_.has_recursion, 0
	.set _ZN7rocprim17ROCPRIM_400000_NS6detail17trampoline_kernelINS0_14default_configENS1_20scan_config_selectorIN3c108BFloat16EEEZZNS1_9scan_implILNS1_25lookback_scan_determinismE0ELb0ELb0ES3_PKS6_PS6_S6_ZZZN2at6native31launch_logcumsumexp_cuda_kernelERKNSD_10TensorBaseESH_lENKUlvE_clEvENKUlvE4_clEvEUlS6_S6_E_S6_EEDaPvRmT3_T4_T5_mT6_P12ihipStream_tbENKUlT_T0_E_clISt17integral_constantIbLb0EESX_IbLb1EEEEDaST_SU_EUlST_E0_NS1_11comp_targetILNS1_3genE0ELNS1_11target_archE4294967295ELNS1_3gpuE0ELNS1_3repE0EEENS1_30default_config_static_selectorELNS0_4arch9wavefront6targetE1EEEvT1_.has_indirect_call, 0
	.section	.AMDGPU.csdata,"",@progbits
; Kernel info:
; codeLenInByte = 32224
; TotalNumSgprs: 74
; NumVgprs: 54
; NumAgprs: 0
; TotalNumVgprs: 54
; ScratchSize: 0
; MemoryBound: 0
; FloatMode: 240
; IeeeMode: 1
; LDSByteSize: 3584 bytes/workgroup (compile time only)
; SGPRBlocks: 9
; VGPRBlocks: 6
; NumSGPRsForWavesPerEU: 74
; NumVGPRsForWavesPerEU: 54
; AccumOffset: 56
; Occupancy: 8
; WaveLimiterHint : 0
; COMPUTE_PGM_RSRC2:SCRATCH_EN: 0
; COMPUTE_PGM_RSRC2:USER_SGPR: 2
; COMPUTE_PGM_RSRC2:TRAP_HANDLER: 0
; COMPUTE_PGM_RSRC2:TGID_X_EN: 1
; COMPUTE_PGM_RSRC2:TGID_Y_EN: 0
; COMPUTE_PGM_RSRC2:TGID_Z_EN: 0
; COMPUTE_PGM_RSRC2:TIDIG_COMP_CNT: 0
; COMPUTE_PGM_RSRC3_GFX90A:ACCUM_OFFSET: 13
; COMPUTE_PGM_RSRC3_GFX90A:TG_SPLIT: 0
	.section	.text._ZN7rocprim17ROCPRIM_400000_NS6detail17trampoline_kernelINS0_14default_configENS1_20scan_config_selectorIN3c108BFloat16EEEZZNS1_9scan_implILNS1_25lookback_scan_determinismE0ELb0ELb0ES3_PKS6_PS6_S6_ZZZN2at6native31launch_logcumsumexp_cuda_kernelERKNSD_10TensorBaseESH_lENKUlvE_clEvENKUlvE4_clEvEUlS6_S6_E_S6_EEDaPvRmT3_T4_T5_mT6_P12ihipStream_tbENKUlT_T0_E_clISt17integral_constantIbLb0EESX_IbLb1EEEEDaST_SU_EUlST_E0_NS1_11comp_targetILNS1_3genE5ELNS1_11target_archE942ELNS1_3gpuE9ELNS1_3repE0EEENS1_30default_config_static_selectorELNS0_4arch9wavefront6targetE1EEEvT1_,"axG",@progbits,_ZN7rocprim17ROCPRIM_400000_NS6detail17trampoline_kernelINS0_14default_configENS1_20scan_config_selectorIN3c108BFloat16EEEZZNS1_9scan_implILNS1_25lookback_scan_determinismE0ELb0ELb0ES3_PKS6_PS6_S6_ZZZN2at6native31launch_logcumsumexp_cuda_kernelERKNSD_10TensorBaseESH_lENKUlvE_clEvENKUlvE4_clEvEUlS6_S6_E_S6_EEDaPvRmT3_T4_T5_mT6_P12ihipStream_tbENKUlT_T0_E_clISt17integral_constantIbLb0EESX_IbLb1EEEEDaST_SU_EUlST_E0_NS1_11comp_targetILNS1_3genE5ELNS1_11target_archE942ELNS1_3gpuE9ELNS1_3repE0EEENS1_30default_config_static_selectorELNS0_4arch9wavefront6targetE1EEEvT1_,comdat
	.globl	_ZN7rocprim17ROCPRIM_400000_NS6detail17trampoline_kernelINS0_14default_configENS1_20scan_config_selectorIN3c108BFloat16EEEZZNS1_9scan_implILNS1_25lookback_scan_determinismE0ELb0ELb0ES3_PKS6_PS6_S6_ZZZN2at6native31launch_logcumsumexp_cuda_kernelERKNSD_10TensorBaseESH_lENKUlvE_clEvENKUlvE4_clEvEUlS6_S6_E_S6_EEDaPvRmT3_T4_T5_mT6_P12ihipStream_tbENKUlT_T0_E_clISt17integral_constantIbLb0EESX_IbLb1EEEEDaST_SU_EUlST_E0_NS1_11comp_targetILNS1_3genE5ELNS1_11target_archE942ELNS1_3gpuE9ELNS1_3repE0EEENS1_30default_config_static_selectorELNS0_4arch9wavefront6targetE1EEEvT1_ ; -- Begin function _ZN7rocprim17ROCPRIM_400000_NS6detail17trampoline_kernelINS0_14default_configENS1_20scan_config_selectorIN3c108BFloat16EEEZZNS1_9scan_implILNS1_25lookback_scan_determinismE0ELb0ELb0ES3_PKS6_PS6_S6_ZZZN2at6native31launch_logcumsumexp_cuda_kernelERKNSD_10TensorBaseESH_lENKUlvE_clEvENKUlvE4_clEvEUlS6_S6_E_S6_EEDaPvRmT3_T4_T5_mT6_P12ihipStream_tbENKUlT_T0_E_clISt17integral_constantIbLb0EESX_IbLb1EEEEDaST_SU_EUlST_E0_NS1_11comp_targetILNS1_3genE5ELNS1_11target_archE942ELNS1_3gpuE9ELNS1_3repE0EEENS1_30default_config_static_selectorELNS0_4arch9wavefront6targetE1EEEvT1_
	.p2align	8
	.type	_ZN7rocprim17ROCPRIM_400000_NS6detail17trampoline_kernelINS0_14default_configENS1_20scan_config_selectorIN3c108BFloat16EEEZZNS1_9scan_implILNS1_25lookback_scan_determinismE0ELb0ELb0ES3_PKS6_PS6_S6_ZZZN2at6native31launch_logcumsumexp_cuda_kernelERKNSD_10TensorBaseESH_lENKUlvE_clEvENKUlvE4_clEvEUlS6_S6_E_S6_EEDaPvRmT3_T4_T5_mT6_P12ihipStream_tbENKUlT_T0_E_clISt17integral_constantIbLb0EESX_IbLb1EEEEDaST_SU_EUlST_E0_NS1_11comp_targetILNS1_3genE5ELNS1_11target_archE942ELNS1_3gpuE9ELNS1_3repE0EEENS1_30default_config_static_selectorELNS0_4arch9wavefront6targetE1EEEvT1_,@function
_ZN7rocprim17ROCPRIM_400000_NS6detail17trampoline_kernelINS0_14default_configENS1_20scan_config_selectorIN3c108BFloat16EEEZZNS1_9scan_implILNS1_25lookback_scan_determinismE0ELb0ELb0ES3_PKS6_PS6_S6_ZZZN2at6native31launch_logcumsumexp_cuda_kernelERKNSD_10TensorBaseESH_lENKUlvE_clEvENKUlvE4_clEvEUlS6_S6_E_S6_EEDaPvRmT3_T4_T5_mT6_P12ihipStream_tbENKUlT_T0_E_clISt17integral_constantIbLb0EESX_IbLb1EEEEDaST_SU_EUlST_E0_NS1_11comp_targetILNS1_3genE5ELNS1_11target_archE942ELNS1_3gpuE9ELNS1_3repE0EEENS1_30default_config_static_selectorELNS0_4arch9wavefront6targetE1EEEvT1_: ; @_ZN7rocprim17ROCPRIM_400000_NS6detail17trampoline_kernelINS0_14default_configENS1_20scan_config_selectorIN3c108BFloat16EEEZZNS1_9scan_implILNS1_25lookback_scan_determinismE0ELb0ELb0ES3_PKS6_PS6_S6_ZZZN2at6native31launch_logcumsumexp_cuda_kernelERKNSD_10TensorBaseESH_lENKUlvE_clEvENKUlvE4_clEvEUlS6_S6_E_S6_EEDaPvRmT3_T4_T5_mT6_P12ihipStream_tbENKUlT_T0_E_clISt17integral_constantIbLb0EESX_IbLb1EEEEDaST_SU_EUlST_E0_NS1_11comp_targetILNS1_3genE5ELNS1_11target_archE942ELNS1_3gpuE9ELNS1_3repE0EEENS1_30default_config_static_selectorELNS0_4arch9wavefront6targetE1EEEvT1_
; %bb.0:
	.section	.rodata,"a",@progbits
	.p2align	6, 0x0
	.amdhsa_kernel _ZN7rocprim17ROCPRIM_400000_NS6detail17trampoline_kernelINS0_14default_configENS1_20scan_config_selectorIN3c108BFloat16EEEZZNS1_9scan_implILNS1_25lookback_scan_determinismE0ELb0ELb0ES3_PKS6_PS6_S6_ZZZN2at6native31launch_logcumsumexp_cuda_kernelERKNSD_10TensorBaseESH_lENKUlvE_clEvENKUlvE4_clEvEUlS6_S6_E_S6_EEDaPvRmT3_T4_T5_mT6_P12ihipStream_tbENKUlT_T0_E_clISt17integral_constantIbLb0EESX_IbLb1EEEEDaST_SU_EUlST_E0_NS1_11comp_targetILNS1_3genE5ELNS1_11target_archE942ELNS1_3gpuE9ELNS1_3repE0EEENS1_30default_config_static_selectorELNS0_4arch9wavefront6targetE1EEEvT1_
		.amdhsa_group_segment_fixed_size 0
		.amdhsa_private_segment_fixed_size 0
		.amdhsa_kernarg_size 32
		.amdhsa_user_sgpr_count 2
		.amdhsa_user_sgpr_dispatch_ptr 0
		.amdhsa_user_sgpr_queue_ptr 0
		.amdhsa_user_sgpr_kernarg_segment_ptr 1
		.amdhsa_user_sgpr_dispatch_id 0
		.amdhsa_user_sgpr_kernarg_preload_length 0
		.amdhsa_user_sgpr_kernarg_preload_offset 0
		.amdhsa_user_sgpr_private_segment_size 0
		.amdhsa_uses_dynamic_stack 0
		.amdhsa_enable_private_segment 0
		.amdhsa_system_sgpr_workgroup_id_x 1
		.amdhsa_system_sgpr_workgroup_id_y 0
		.amdhsa_system_sgpr_workgroup_id_z 0
		.amdhsa_system_sgpr_workgroup_info 0
		.amdhsa_system_vgpr_workitem_id 0
		.amdhsa_next_free_vgpr 1
		.amdhsa_next_free_sgpr 0
		.amdhsa_accum_offset 4
		.amdhsa_reserve_vcc 0
		.amdhsa_float_round_mode_32 0
		.amdhsa_float_round_mode_16_64 0
		.amdhsa_float_denorm_mode_32 3
		.amdhsa_float_denorm_mode_16_64 3
		.amdhsa_dx10_clamp 1
		.amdhsa_ieee_mode 1
		.amdhsa_fp16_overflow 0
		.amdhsa_tg_split 0
		.amdhsa_exception_fp_ieee_invalid_op 0
		.amdhsa_exception_fp_denorm_src 0
		.amdhsa_exception_fp_ieee_div_zero 0
		.amdhsa_exception_fp_ieee_overflow 0
		.amdhsa_exception_fp_ieee_underflow 0
		.amdhsa_exception_fp_ieee_inexact 0
		.amdhsa_exception_int_div_zero 0
	.end_amdhsa_kernel
	.section	.text._ZN7rocprim17ROCPRIM_400000_NS6detail17trampoline_kernelINS0_14default_configENS1_20scan_config_selectorIN3c108BFloat16EEEZZNS1_9scan_implILNS1_25lookback_scan_determinismE0ELb0ELb0ES3_PKS6_PS6_S6_ZZZN2at6native31launch_logcumsumexp_cuda_kernelERKNSD_10TensorBaseESH_lENKUlvE_clEvENKUlvE4_clEvEUlS6_S6_E_S6_EEDaPvRmT3_T4_T5_mT6_P12ihipStream_tbENKUlT_T0_E_clISt17integral_constantIbLb0EESX_IbLb1EEEEDaST_SU_EUlST_E0_NS1_11comp_targetILNS1_3genE5ELNS1_11target_archE942ELNS1_3gpuE9ELNS1_3repE0EEENS1_30default_config_static_selectorELNS0_4arch9wavefront6targetE1EEEvT1_,"axG",@progbits,_ZN7rocprim17ROCPRIM_400000_NS6detail17trampoline_kernelINS0_14default_configENS1_20scan_config_selectorIN3c108BFloat16EEEZZNS1_9scan_implILNS1_25lookback_scan_determinismE0ELb0ELb0ES3_PKS6_PS6_S6_ZZZN2at6native31launch_logcumsumexp_cuda_kernelERKNSD_10TensorBaseESH_lENKUlvE_clEvENKUlvE4_clEvEUlS6_S6_E_S6_EEDaPvRmT3_T4_T5_mT6_P12ihipStream_tbENKUlT_T0_E_clISt17integral_constantIbLb0EESX_IbLb1EEEEDaST_SU_EUlST_E0_NS1_11comp_targetILNS1_3genE5ELNS1_11target_archE942ELNS1_3gpuE9ELNS1_3repE0EEENS1_30default_config_static_selectorELNS0_4arch9wavefront6targetE1EEEvT1_,comdat
.Lfunc_end513:
	.size	_ZN7rocprim17ROCPRIM_400000_NS6detail17trampoline_kernelINS0_14default_configENS1_20scan_config_selectorIN3c108BFloat16EEEZZNS1_9scan_implILNS1_25lookback_scan_determinismE0ELb0ELb0ES3_PKS6_PS6_S6_ZZZN2at6native31launch_logcumsumexp_cuda_kernelERKNSD_10TensorBaseESH_lENKUlvE_clEvENKUlvE4_clEvEUlS6_S6_E_S6_EEDaPvRmT3_T4_T5_mT6_P12ihipStream_tbENKUlT_T0_E_clISt17integral_constantIbLb0EESX_IbLb1EEEEDaST_SU_EUlST_E0_NS1_11comp_targetILNS1_3genE5ELNS1_11target_archE942ELNS1_3gpuE9ELNS1_3repE0EEENS1_30default_config_static_selectorELNS0_4arch9wavefront6targetE1EEEvT1_, .Lfunc_end513-_ZN7rocprim17ROCPRIM_400000_NS6detail17trampoline_kernelINS0_14default_configENS1_20scan_config_selectorIN3c108BFloat16EEEZZNS1_9scan_implILNS1_25lookback_scan_determinismE0ELb0ELb0ES3_PKS6_PS6_S6_ZZZN2at6native31launch_logcumsumexp_cuda_kernelERKNSD_10TensorBaseESH_lENKUlvE_clEvENKUlvE4_clEvEUlS6_S6_E_S6_EEDaPvRmT3_T4_T5_mT6_P12ihipStream_tbENKUlT_T0_E_clISt17integral_constantIbLb0EESX_IbLb1EEEEDaST_SU_EUlST_E0_NS1_11comp_targetILNS1_3genE5ELNS1_11target_archE942ELNS1_3gpuE9ELNS1_3repE0EEENS1_30default_config_static_selectorELNS0_4arch9wavefront6targetE1EEEvT1_
                                        ; -- End function
	.set _ZN7rocprim17ROCPRIM_400000_NS6detail17trampoline_kernelINS0_14default_configENS1_20scan_config_selectorIN3c108BFloat16EEEZZNS1_9scan_implILNS1_25lookback_scan_determinismE0ELb0ELb0ES3_PKS6_PS6_S6_ZZZN2at6native31launch_logcumsumexp_cuda_kernelERKNSD_10TensorBaseESH_lENKUlvE_clEvENKUlvE4_clEvEUlS6_S6_E_S6_EEDaPvRmT3_T4_T5_mT6_P12ihipStream_tbENKUlT_T0_E_clISt17integral_constantIbLb0EESX_IbLb1EEEEDaST_SU_EUlST_E0_NS1_11comp_targetILNS1_3genE5ELNS1_11target_archE942ELNS1_3gpuE9ELNS1_3repE0EEENS1_30default_config_static_selectorELNS0_4arch9wavefront6targetE1EEEvT1_.num_vgpr, 0
	.set _ZN7rocprim17ROCPRIM_400000_NS6detail17trampoline_kernelINS0_14default_configENS1_20scan_config_selectorIN3c108BFloat16EEEZZNS1_9scan_implILNS1_25lookback_scan_determinismE0ELb0ELb0ES3_PKS6_PS6_S6_ZZZN2at6native31launch_logcumsumexp_cuda_kernelERKNSD_10TensorBaseESH_lENKUlvE_clEvENKUlvE4_clEvEUlS6_S6_E_S6_EEDaPvRmT3_T4_T5_mT6_P12ihipStream_tbENKUlT_T0_E_clISt17integral_constantIbLb0EESX_IbLb1EEEEDaST_SU_EUlST_E0_NS1_11comp_targetILNS1_3genE5ELNS1_11target_archE942ELNS1_3gpuE9ELNS1_3repE0EEENS1_30default_config_static_selectorELNS0_4arch9wavefront6targetE1EEEvT1_.num_agpr, 0
	.set _ZN7rocprim17ROCPRIM_400000_NS6detail17trampoline_kernelINS0_14default_configENS1_20scan_config_selectorIN3c108BFloat16EEEZZNS1_9scan_implILNS1_25lookback_scan_determinismE0ELb0ELb0ES3_PKS6_PS6_S6_ZZZN2at6native31launch_logcumsumexp_cuda_kernelERKNSD_10TensorBaseESH_lENKUlvE_clEvENKUlvE4_clEvEUlS6_S6_E_S6_EEDaPvRmT3_T4_T5_mT6_P12ihipStream_tbENKUlT_T0_E_clISt17integral_constantIbLb0EESX_IbLb1EEEEDaST_SU_EUlST_E0_NS1_11comp_targetILNS1_3genE5ELNS1_11target_archE942ELNS1_3gpuE9ELNS1_3repE0EEENS1_30default_config_static_selectorELNS0_4arch9wavefront6targetE1EEEvT1_.numbered_sgpr, 0
	.set _ZN7rocprim17ROCPRIM_400000_NS6detail17trampoline_kernelINS0_14default_configENS1_20scan_config_selectorIN3c108BFloat16EEEZZNS1_9scan_implILNS1_25lookback_scan_determinismE0ELb0ELb0ES3_PKS6_PS6_S6_ZZZN2at6native31launch_logcumsumexp_cuda_kernelERKNSD_10TensorBaseESH_lENKUlvE_clEvENKUlvE4_clEvEUlS6_S6_E_S6_EEDaPvRmT3_T4_T5_mT6_P12ihipStream_tbENKUlT_T0_E_clISt17integral_constantIbLb0EESX_IbLb1EEEEDaST_SU_EUlST_E0_NS1_11comp_targetILNS1_3genE5ELNS1_11target_archE942ELNS1_3gpuE9ELNS1_3repE0EEENS1_30default_config_static_selectorELNS0_4arch9wavefront6targetE1EEEvT1_.num_named_barrier, 0
	.set _ZN7rocprim17ROCPRIM_400000_NS6detail17trampoline_kernelINS0_14default_configENS1_20scan_config_selectorIN3c108BFloat16EEEZZNS1_9scan_implILNS1_25lookback_scan_determinismE0ELb0ELb0ES3_PKS6_PS6_S6_ZZZN2at6native31launch_logcumsumexp_cuda_kernelERKNSD_10TensorBaseESH_lENKUlvE_clEvENKUlvE4_clEvEUlS6_S6_E_S6_EEDaPvRmT3_T4_T5_mT6_P12ihipStream_tbENKUlT_T0_E_clISt17integral_constantIbLb0EESX_IbLb1EEEEDaST_SU_EUlST_E0_NS1_11comp_targetILNS1_3genE5ELNS1_11target_archE942ELNS1_3gpuE9ELNS1_3repE0EEENS1_30default_config_static_selectorELNS0_4arch9wavefront6targetE1EEEvT1_.private_seg_size, 0
	.set _ZN7rocprim17ROCPRIM_400000_NS6detail17trampoline_kernelINS0_14default_configENS1_20scan_config_selectorIN3c108BFloat16EEEZZNS1_9scan_implILNS1_25lookback_scan_determinismE0ELb0ELb0ES3_PKS6_PS6_S6_ZZZN2at6native31launch_logcumsumexp_cuda_kernelERKNSD_10TensorBaseESH_lENKUlvE_clEvENKUlvE4_clEvEUlS6_S6_E_S6_EEDaPvRmT3_T4_T5_mT6_P12ihipStream_tbENKUlT_T0_E_clISt17integral_constantIbLb0EESX_IbLb1EEEEDaST_SU_EUlST_E0_NS1_11comp_targetILNS1_3genE5ELNS1_11target_archE942ELNS1_3gpuE9ELNS1_3repE0EEENS1_30default_config_static_selectorELNS0_4arch9wavefront6targetE1EEEvT1_.uses_vcc, 0
	.set _ZN7rocprim17ROCPRIM_400000_NS6detail17trampoline_kernelINS0_14default_configENS1_20scan_config_selectorIN3c108BFloat16EEEZZNS1_9scan_implILNS1_25lookback_scan_determinismE0ELb0ELb0ES3_PKS6_PS6_S6_ZZZN2at6native31launch_logcumsumexp_cuda_kernelERKNSD_10TensorBaseESH_lENKUlvE_clEvENKUlvE4_clEvEUlS6_S6_E_S6_EEDaPvRmT3_T4_T5_mT6_P12ihipStream_tbENKUlT_T0_E_clISt17integral_constantIbLb0EESX_IbLb1EEEEDaST_SU_EUlST_E0_NS1_11comp_targetILNS1_3genE5ELNS1_11target_archE942ELNS1_3gpuE9ELNS1_3repE0EEENS1_30default_config_static_selectorELNS0_4arch9wavefront6targetE1EEEvT1_.uses_flat_scratch, 0
	.set _ZN7rocprim17ROCPRIM_400000_NS6detail17trampoline_kernelINS0_14default_configENS1_20scan_config_selectorIN3c108BFloat16EEEZZNS1_9scan_implILNS1_25lookback_scan_determinismE0ELb0ELb0ES3_PKS6_PS6_S6_ZZZN2at6native31launch_logcumsumexp_cuda_kernelERKNSD_10TensorBaseESH_lENKUlvE_clEvENKUlvE4_clEvEUlS6_S6_E_S6_EEDaPvRmT3_T4_T5_mT6_P12ihipStream_tbENKUlT_T0_E_clISt17integral_constantIbLb0EESX_IbLb1EEEEDaST_SU_EUlST_E0_NS1_11comp_targetILNS1_3genE5ELNS1_11target_archE942ELNS1_3gpuE9ELNS1_3repE0EEENS1_30default_config_static_selectorELNS0_4arch9wavefront6targetE1EEEvT1_.has_dyn_sized_stack, 0
	.set _ZN7rocprim17ROCPRIM_400000_NS6detail17trampoline_kernelINS0_14default_configENS1_20scan_config_selectorIN3c108BFloat16EEEZZNS1_9scan_implILNS1_25lookback_scan_determinismE0ELb0ELb0ES3_PKS6_PS6_S6_ZZZN2at6native31launch_logcumsumexp_cuda_kernelERKNSD_10TensorBaseESH_lENKUlvE_clEvENKUlvE4_clEvEUlS6_S6_E_S6_EEDaPvRmT3_T4_T5_mT6_P12ihipStream_tbENKUlT_T0_E_clISt17integral_constantIbLb0EESX_IbLb1EEEEDaST_SU_EUlST_E0_NS1_11comp_targetILNS1_3genE5ELNS1_11target_archE942ELNS1_3gpuE9ELNS1_3repE0EEENS1_30default_config_static_selectorELNS0_4arch9wavefront6targetE1EEEvT1_.has_recursion, 0
	.set _ZN7rocprim17ROCPRIM_400000_NS6detail17trampoline_kernelINS0_14default_configENS1_20scan_config_selectorIN3c108BFloat16EEEZZNS1_9scan_implILNS1_25lookback_scan_determinismE0ELb0ELb0ES3_PKS6_PS6_S6_ZZZN2at6native31launch_logcumsumexp_cuda_kernelERKNSD_10TensorBaseESH_lENKUlvE_clEvENKUlvE4_clEvEUlS6_S6_E_S6_EEDaPvRmT3_T4_T5_mT6_P12ihipStream_tbENKUlT_T0_E_clISt17integral_constantIbLb0EESX_IbLb1EEEEDaST_SU_EUlST_E0_NS1_11comp_targetILNS1_3genE5ELNS1_11target_archE942ELNS1_3gpuE9ELNS1_3repE0EEENS1_30default_config_static_selectorELNS0_4arch9wavefront6targetE1EEEvT1_.has_indirect_call, 0
	.section	.AMDGPU.csdata,"",@progbits
; Kernel info:
; codeLenInByte = 0
; TotalNumSgprs: 6
; NumVgprs: 0
; NumAgprs: 0
; TotalNumVgprs: 0
; ScratchSize: 0
; MemoryBound: 0
; FloatMode: 240
; IeeeMode: 1
; LDSByteSize: 0 bytes/workgroup (compile time only)
; SGPRBlocks: 0
; VGPRBlocks: 0
; NumSGPRsForWavesPerEU: 6
; NumVGPRsForWavesPerEU: 1
; AccumOffset: 4
; Occupancy: 8
; WaveLimiterHint : 0
; COMPUTE_PGM_RSRC2:SCRATCH_EN: 0
; COMPUTE_PGM_RSRC2:USER_SGPR: 2
; COMPUTE_PGM_RSRC2:TRAP_HANDLER: 0
; COMPUTE_PGM_RSRC2:TGID_X_EN: 1
; COMPUTE_PGM_RSRC2:TGID_Y_EN: 0
; COMPUTE_PGM_RSRC2:TGID_Z_EN: 0
; COMPUTE_PGM_RSRC2:TIDIG_COMP_CNT: 0
; COMPUTE_PGM_RSRC3_GFX90A:ACCUM_OFFSET: 0
; COMPUTE_PGM_RSRC3_GFX90A:TG_SPLIT: 0
	.section	.text._ZN7rocprim17ROCPRIM_400000_NS6detail17trampoline_kernelINS0_14default_configENS1_20scan_config_selectorIN3c108BFloat16EEEZZNS1_9scan_implILNS1_25lookback_scan_determinismE0ELb0ELb0ES3_PKS6_PS6_S6_ZZZN2at6native31launch_logcumsumexp_cuda_kernelERKNSD_10TensorBaseESH_lENKUlvE_clEvENKUlvE4_clEvEUlS6_S6_E_S6_EEDaPvRmT3_T4_T5_mT6_P12ihipStream_tbENKUlT_T0_E_clISt17integral_constantIbLb0EESX_IbLb1EEEEDaST_SU_EUlST_E0_NS1_11comp_targetILNS1_3genE4ELNS1_11target_archE910ELNS1_3gpuE8ELNS1_3repE0EEENS1_30default_config_static_selectorELNS0_4arch9wavefront6targetE1EEEvT1_,"axG",@progbits,_ZN7rocprim17ROCPRIM_400000_NS6detail17trampoline_kernelINS0_14default_configENS1_20scan_config_selectorIN3c108BFloat16EEEZZNS1_9scan_implILNS1_25lookback_scan_determinismE0ELb0ELb0ES3_PKS6_PS6_S6_ZZZN2at6native31launch_logcumsumexp_cuda_kernelERKNSD_10TensorBaseESH_lENKUlvE_clEvENKUlvE4_clEvEUlS6_S6_E_S6_EEDaPvRmT3_T4_T5_mT6_P12ihipStream_tbENKUlT_T0_E_clISt17integral_constantIbLb0EESX_IbLb1EEEEDaST_SU_EUlST_E0_NS1_11comp_targetILNS1_3genE4ELNS1_11target_archE910ELNS1_3gpuE8ELNS1_3repE0EEENS1_30default_config_static_selectorELNS0_4arch9wavefront6targetE1EEEvT1_,comdat
	.globl	_ZN7rocprim17ROCPRIM_400000_NS6detail17trampoline_kernelINS0_14default_configENS1_20scan_config_selectorIN3c108BFloat16EEEZZNS1_9scan_implILNS1_25lookback_scan_determinismE0ELb0ELb0ES3_PKS6_PS6_S6_ZZZN2at6native31launch_logcumsumexp_cuda_kernelERKNSD_10TensorBaseESH_lENKUlvE_clEvENKUlvE4_clEvEUlS6_S6_E_S6_EEDaPvRmT3_T4_T5_mT6_P12ihipStream_tbENKUlT_T0_E_clISt17integral_constantIbLb0EESX_IbLb1EEEEDaST_SU_EUlST_E0_NS1_11comp_targetILNS1_3genE4ELNS1_11target_archE910ELNS1_3gpuE8ELNS1_3repE0EEENS1_30default_config_static_selectorELNS0_4arch9wavefront6targetE1EEEvT1_ ; -- Begin function _ZN7rocprim17ROCPRIM_400000_NS6detail17trampoline_kernelINS0_14default_configENS1_20scan_config_selectorIN3c108BFloat16EEEZZNS1_9scan_implILNS1_25lookback_scan_determinismE0ELb0ELb0ES3_PKS6_PS6_S6_ZZZN2at6native31launch_logcumsumexp_cuda_kernelERKNSD_10TensorBaseESH_lENKUlvE_clEvENKUlvE4_clEvEUlS6_S6_E_S6_EEDaPvRmT3_T4_T5_mT6_P12ihipStream_tbENKUlT_T0_E_clISt17integral_constantIbLb0EESX_IbLb1EEEEDaST_SU_EUlST_E0_NS1_11comp_targetILNS1_3genE4ELNS1_11target_archE910ELNS1_3gpuE8ELNS1_3repE0EEENS1_30default_config_static_selectorELNS0_4arch9wavefront6targetE1EEEvT1_
	.p2align	8
	.type	_ZN7rocprim17ROCPRIM_400000_NS6detail17trampoline_kernelINS0_14default_configENS1_20scan_config_selectorIN3c108BFloat16EEEZZNS1_9scan_implILNS1_25lookback_scan_determinismE0ELb0ELb0ES3_PKS6_PS6_S6_ZZZN2at6native31launch_logcumsumexp_cuda_kernelERKNSD_10TensorBaseESH_lENKUlvE_clEvENKUlvE4_clEvEUlS6_S6_E_S6_EEDaPvRmT3_T4_T5_mT6_P12ihipStream_tbENKUlT_T0_E_clISt17integral_constantIbLb0EESX_IbLb1EEEEDaST_SU_EUlST_E0_NS1_11comp_targetILNS1_3genE4ELNS1_11target_archE910ELNS1_3gpuE8ELNS1_3repE0EEENS1_30default_config_static_selectorELNS0_4arch9wavefront6targetE1EEEvT1_,@function
_ZN7rocprim17ROCPRIM_400000_NS6detail17trampoline_kernelINS0_14default_configENS1_20scan_config_selectorIN3c108BFloat16EEEZZNS1_9scan_implILNS1_25lookback_scan_determinismE0ELb0ELb0ES3_PKS6_PS6_S6_ZZZN2at6native31launch_logcumsumexp_cuda_kernelERKNSD_10TensorBaseESH_lENKUlvE_clEvENKUlvE4_clEvEUlS6_S6_E_S6_EEDaPvRmT3_T4_T5_mT6_P12ihipStream_tbENKUlT_T0_E_clISt17integral_constantIbLb0EESX_IbLb1EEEEDaST_SU_EUlST_E0_NS1_11comp_targetILNS1_3genE4ELNS1_11target_archE910ELNS1_3gpuE8ELNS1_3repE0EEENS1_30default_config_static_selectorELNS0_4arch9wavefront6targetE1EEEvT1_: ; @_ZN7rocprim17ROCPRIM_400000_NS6detail17trampoline_kernelINS0_14default_configENS1_20scan_config_selectorIN3c108BFloat16EEEZZNS1_9scan_implILNS1_25lookback_scan_determinismE0ELb0ELb0ES3_PKS6_PS6_S6_ZZZN2at6native31launch_logcumsumexp_cuda_kernelERKNSD_10TensorBaseESH_lENKUlvE_clEvENKUlvE4_clEvEUlS6_S6_E_S6_EEDaPvRmT3_T4_T5_mT6_P12ihipStream_tbENKUlT_T0_E_clISt17integral_constantIbLb0EESX_IbLb1EEEEDaST_SU_EUlST_E0_NS1_11comp_targetILNS1_3genE4ELNS1_11target_archE910ELNS1_3gpuE8ELNS1_3repE0EEENS1_30default_config_static_selectorELNS0_4arch9wavefront6targetE1EEEvT1_
; %bb.0:
	.section	.rodata,"a",@progbits
	.p2align	6, 0x0
	.amdhsa_kernel _ZN7rocprim17ROCPRIM_400000_NS6detail17trampoline_kernelINS0_14default_configENS1_20scan_config_selectorIN3c108BFloat16EEEZZNS1_9scan_implILNS1_25lookback_scan_determinismE0ELb0ELb0ES3_PKS6_PS6_S6_ZZZN2at6native31launch_logcumsumexp_cuda_kernelERKNSD_10TensorBaseESH_lENKUlvE_clEvENKUlvE4_clEvEUlS6_S6_E_S6_EEDaPvRmT3_T4_T5_mT6_P12ihipStream_tbENKUlT_T0_E_clISt17integral_constantIbLb0EESX_IbLb1EEEEDaST_SU_EUlST_E0_NS1_11comp_targetILNS1_3genE4ELNS1_11target_archE910ELNS1_3gpuE8ELNS1_3repE0EEENS1_30default_config_static_selectorELNS0_4arch9wavefront6targetE1EEEvT1_
		.amdhsa_group_segment_fixed_size 0
		.amdhsa_private_segment_fixed_size 0
		.amdhsa_kernarg_size 32
		.amdhsa_user_sgpr_count 2
		.amdhsa_user_sgpr_dispatch_ptr 0
		.amdhsa_user_sgpr_queue_ptr 0
		.amdhsa_user_sgpr_kernarg_segment_ptr 1
		.amdhsa_user_sgpr_dispatch_id 0
		.amdhsa_user_sgpr_kernarg_preload_length 0
		.amdhsa_user_sgpr_kernarg_preload_offset 0
		.amdhsa_user_sgpr_private_segment_size 0
		.amdhsa_uses_dynamic_stack 0
		.amdhsa_enable_private_segment 0
		.amdhsa_system_sgpr_workgroup_id_x 1
		.amdhsa_system_sgpr_workgroup_id_y 0
		.amdhsa_system_sgpr_workgroup_id_z 0
		.amdhsa_system_sgpr_workgroup_info 0
		.amdhsa_system_vgpr_workitem_id 0
		.amdhsa_next_free_vgpr 1
		.amdhsa_next_free_sgpr 0
		.amdhsa_accum_offset 4
		.amdhsa_reserve_vcc 0
		.amdhsa_float_round_mode_32 0
		.amdhsa_float_round_mode_16_64 0
		.amdhsa_float_denorm_mode_32 3
		.amdhsa_float_denorm_mode_16_64 3
		.amdhsa_dx10_clamp 1
		.amdhsa_ieee_mode 1
		.amdhsa_fp16_overflow 0
		.amdhsa_tg_split 0
		.amdhsa_exception_fp_ieee_invalid_op 0
		.amdhsa_exception_fp_denorm_src 0
		.amdhsa_exception_fp_ieee_div_zero 0
		.amdhsa_exception_fp_ieee_overflow 0
		.amdhsa_exception_fp_ieee_underflow 0
		.amdhsa_exception_fp_ieee_inexact 0
		.amdhsa_exception_int_div_zero 0
	.end_amdhsa_kernel
	.section	.text._ZN7rocprim17ROCPRIM_400000_NS6detail17trampoline_kernelINS0_14default_configENS1_20scan_config_selectorIN3c108BFloat16EEEZZNS1_9scan_implILNS1_25lookback_scan_determinismE0ELb0ELb0ES3_PKS6_PS6_S6_ZZZN2at6native31launch_logcumsumexp_cuda_kernelERKNSD_10TensorBaseESH_lENKUlvE_clEvENKUlvE4_clEvEUlS6_S6_E_S6_EEDaPvRmT3_T4_T5_mT6_P12ihipStream_tbENKUlT_T0_E_clISt17integral_constantIbLb0EESX_IbLb1EEEEDaST_SU_EUlST_E0_NS1_11comp_targetILNS1_3genE4ELNS1_11target_archE910ELNS1_3gpuE8ELNS1_3repE0EEENS1_30default_config_static_selectorELNS0_4arch9wavefront6targetE1EEEvT1_,"axG",@progbits,_ZN7rocprim17ROCPRIM_400000_NS6detail17trampoline_kernelINS0_14default_configENS1_20scan_config_selectorIN3c108BFloat16EEEZZNS1_9scan_implILNS1_25lookback_scan_determinismE0ELb0ELb0ES3_PKS6_PS6_S6_ZZZN2at6native31launch_logcumsumexp_cuda_kernelERKNSD_10TensorBaseESH_lENKUlvE_clEvENKUlvE4_clEvEUlS6_S6_E_S6_EEDaPvRmT3_T4_T5_mT6_P12ihipStream_tbENKUlT_T0_E_clISt17integral_constantIbLb0EESX_IbLb1EEEEDaST_SU_EUlST_E0_NS1_11comp_targetILNS1_3genE4ELNS1_11target_archE910ELNS1_3gpuE8ELNS1_3repE0EEENS1_30default_config_static_selectorELNS0_4arch9wavefront6targetE1EEEvT1_,comdat
.Lfunc_end514:
	.size	_ZN7rocprim17ROCPRIM_400000_NS6detail17trampoline_kernelINS0_14default_configENS1_20scan_config_selectorIN3c108BFloat16EEEZZNS1_9scan_implILNS1_25lookback_scan_determinismE0ELb0ELb0ES3_PKS6_PS6_S6_ZZZN2at6native31launch_logcumsumexp_cuda_kernelERKNSD_10TensorBaseESH_lENKUlvE_clEvENKUlvE4_clEvEUlS6_S6_E_S6_EEDaPvRmT3_T4_T5_mT6_P12ihipStream_tbENKUlT_T0_E_clISt17integral_constantIbLb0EESX_IbLb1EEEEDaST_SU_EUlST_E0_NS1_11comp_targetILNS1_3genE4ELNS1_11target_archE910ELNS1_3gpuE8ELNS1_3repE0EEENS1_30default_config_static_selectorELNS0_4arch9wavefront6targetE1EEEvT1_, .Lfunc_end514-_ZN7rocprim17ROCPRIM_400000_NS6detail17trampoline_kernelINS0_14default_configENS1_20scan_config_selectorIN3c108BFloat16EEEZZNS1_9scan_implILNS1_25lookback_scan_determinismE0ELb0ELb0ES3_PKS6_PS6_S6_ZZZN2at6native31launch_logcumsumexp_cuda_kernelERKNSD_10TensorBaseESH_lENKUlvE_clEvENKUlvE4_clEvEUlS6_S6_E_S6_EEDaPvRmT3_T4_T5_mT6_P12ihipStream_tbENKUlT_T0_E_clISt17integral_constantIbLb0EESX_IbLb1EEEEDaST_SU_EUlST_E0_NS1_11comp_targetILNS1_3genE4ELNS1_11target_archE910ELNS1_3gpuE8ELNS1_3repE0EEENS1_30default_config_static_selectorELNS0_4arch9wavefront6targetE1EEEvT1_
                                        ; -- End function
	.set _ZN7rocprim17ROCPRIM_400000_NS6detail17trampoline_kernelINS0_14default_configENS1_20scan_config_selectorIN3c108BFloat16EEEZZNS1_9scan_implILNS1_25lookback_scan_determinismE0ELb0ELb0ES3_PKS6_PS6_S6_ZZZN2at6native31launch_logcumsumexp_cuda_kernelERKNSD_10TensorBaseESH_lENKUlvE_clEvENKUlvE4_clEvEUlS6_S6_E_S6_EEDaPvRmT3_T4_T5_mT6_P12ihipStream_tbENKUlT_T0_E_clISt17integral_constantIbLb0EESX_IbLb1EEEEDaST_SU_EUlST_E0_NS1_11comp_targetILNS1_3genE4ELNS1_11target_archE910ELNS1_3gpuE8ELNS1_3repE0EEENS1_30default_config_static_selectorELNS0_4arch9wavefront6targetE1EEEvT1_.num_vgpr, 0
	.set _ZN7rocprim17ROCPRIM_400000_NS6detail17trampoline_kernelINS0_14default_configENS1_20scan_config_selectorIN3c108BFloat16EEEZZNS1_9scan_implILNS1_25lookback_scan_determinismE0ELb0ELb0ES3_PKS6_PS6_S6_ZZZN2at6native31launch_logcumsumexp_cuda_kernelERKNSD_10TensorBaseESH_lENKUlvE_clEvENKUlvE4_clEvEUlS6_S6_E_S6_EEDaPvRmT3_T4_T5_mT6_P12ihipStream_tbENKUlT_T0_E_clISt17integral_constantIbLb0EESX_IbLb1EEEEDaST_SU_EUlST_E0_NS1_11comp_targetILNS1_3genE4ELNS1_11target_archE910ELNS1_3gpuE8ELNS1_3repE0EEENS1_30default_config_static_selectorELNS0_4arch9wavefront6targetE1EEEvT1_.num_agpr, 0
	.set _ZN7rocprim17ROCPRIM_400000_NS6detail17trampoline_kernelINS0_14default_configENS1_20scan_config_selectorIN3c108BFloat16EEEZZNS1_9scan_implILNS1_25lookback_scan_determinismE0ELb0ELb0ES3_PKS6_PS6_S6_ZZZN2at6native31launch_logcumsumexp_cuda_kernelERKNSD_10TensorBaseESH_lENKUlvE_clEvENKUlvE4_clEvEUlS6_S6_E_S6_EEDaPvRmT3_T4_T5_mT6_P12ihipStream_tbENKUlT_T0_E_clISt17integral_constantIbLb0EESX_IbLb1EEEEDaST_SU_EUlST_E0_NS1_11comp_targetILNS1_3genE4ELNS1_11target_archE910ELNS1_3gpuE8ELNS1_3repE0EEENS1_30default_config_static_selectorELNS0_4arch9wavefront6targetE1EEEvT1_.numbered_sgpr, 0
	.set _ZN7rocprim17ROCPRIM_400000_NS6detail17trampoline_kernelINS0_14default_configENS1_20scan_config_selectorIN3c108BFloat16EEEZZNS1_9scan_implILNS1_25lookback_scan_determinismE0ELb0ELb0ES3_PKS6_PS6_S6_ZZZN2at6native31launch_logcumsumexp_cuda_kernelERKNSD_10TensorBaseESH_lENKUlvE_clEvENKUlvE4_clEvEUlS6_S6_E_S6_EEDaPvRmT3_T4_T5_mT6_P12ihipStream_tbENKUlT_T0_E_clISt17integral_constantIbLb0EESX_IbLb1EEEEDaST_SU_EUlST_E0_NS1_11comp_targetILNS1_3genE4ELNS1_11target_archE910ELNS1_3gpuE8ELNS1_3repE0EEENS1_30default_config_static_selectorELNS0_4arch9wavefront6targetE1EEEvT1_.num_named_barrier, 0
	.set _ZN7rocprim17ROCPRIM_400000_NS6detail17trampoline_kernelINS0_14default_configENS1_20scan_config_selectorIN3c108BFloat16EEEZZNS1_9scan_implILNS1_25lookback_scan_determinismE0ELb0ELb0ES3_PKS6_PS6_S6_ZZZN2at6native31launch_logcumsumexp_cuda_kernelERKNSD_10TensorBaseESH_lENKUlvE_clEvENKUlvE4_clEvEUlS6_S6_E_S6_EEDaPvRmT3_T4_T5_mT6_P12ihipStream_tbENKUlT_T0_E_clISt17integral_constantIbLb0EESX_IbLb1EEEEDaST_SU_EUlST_E0_NS1_11comp_targetILNS1_3genE4ELNS1_11target_archE910ELNS1_3gpuE8ELNS1_3repE0EEENS1_30default_config_static_selectorELNS0_4arch9wavefront6targetE1EEEvT1_.private_seg_size, 0
	.set _ZN7rocprim17ROCPRIM_400000_NS6detail17trampoline_kernelINS0_14default_configENS1_20scan_config_selectorIN3c108BFloat16EEEZZNS1_9scan_implILNS1_25lookback_scan_determinismE0ELb0ELb0ES3_PKS6_PS6_S6_ZZZN2at6native31launch_logcumsumexp_cuda_kernelERKNSD_10TensorBaseESH_lENKUlvE_clEvENKUlvE4_clEvEUlS6_S6_E_S6_EEDaPvRmT3_T4_T5_mT6_P12ihipStream_tbENKUlT_T0_E_clISt17integral_constantIbLb0EESX_IbLb1EEEEDaST_SU_EUlST_E0_NS1_11comp_targetILNS1_3genE4ELNS1_11target_archE910ELNS1_3gpuE8ELNS1_3repE0EEENS1_30default_config_static_selectorELNS0_4arch9wavefront6targetE1EEEvT1_.uses_vcc, 0
	.set _ZN7rocprim17ROCPRIM_400000_NS6detail17trampoline_kernelINS0_14default_configENS1_20scan_config_selectorIN3c108BFloat16EEEZZNS1_9scan_implILNS1_25lookback_scan_determinismE0ELb0ELb0ES3_PKS6_PS6_S6_ZZZN2at6native31launch_logcumsumexp_cuda_kernelERKNSD_10TensorBaseESH_lENKUlvE_clEvENKUlvE4_clEvEUlS6_S6_E_S6_EEDaPvRmT3_T4_T5_mT6_P12ihipStream_tbENKUlT_T0_E_clISt17integral_constantIbLb0EESX_IbLb1EEEEDaST_SU_EUlST_E0_NS1_11comp_targetILNS1_3genE4ELNS1_11target_archE910ELNS1_3gpuE8ELNS1_3repE0EEENS1_30default_config_static_selectorELNS0_4arch9wavefront6targetE1EEEvT1_.uses_flat_scratch, 0
	.set _ZN7rocprim17ROCPRIM_400000_NS6detail17trampoline_kernelINS0_14default_configENS1_20scan_config_selectorIN3c108BFloat16EEEZZNS1_9scan_implILNS1_25lookback_scan_determinismE0ELb0ELb0ES3_PKS6_PS6_S6_ZZZN2at6native31launch_logcumsumexp_cuda_kernelERKNSD_10TensorBaseESH_lENKUlvE_clEvENKUlvE4_clEvEUlS6_S6_E_S6_EEDaPvRmT3_T4_T5_mT6_P12ihipStream_tbENKUlT_T0_E_clISt17integral_constantIbLb0EESX_IbLb1EEEEDaST_SU_EUlST_E0_NS1_11comp_targetILNS1_3genE4ELNS1_11target_archE910ELNS1_3gpuE8ELNS1_3repE0EEENS1_30default_config_static_selectorELNS0_4arch9wavefront6targetE1EEEvT1_.has_dyn_sized_stack, 0
	.set _ZN7rocprim17ROCPRIM_400000_NS6detail17trampoline_kernelINS0_14default_configENS1_20scan_config_selectorIN3c108BFloat16EEEZZNS1_9scan_implILNS1_25lookback_scan_determinismE0ELb0ELb0ES3_PKS6_PS6_S6_ZZZN2at6native31launch_logcumsumexp_cuda_kernelERKNSD_10TensorBaseESH_lENKUlvE_clEvENKUlvE4_clEvEUlS6_S6_E_S6_EEDaPvRmT3_T4_T5_mT6_P12ihipStream_tbENKUlT_T0_E_clISt17integral_constantIbLb0EESX_IbLb1EEEEDaST_SU_EUlST_E0_NS1_11comp_targetILNS1_3genE4ELNS1_11target_archE910ELNS1_3gpuE8ELNS1_3repE0EEENS1_30default_config_static_selectorELNS0_4arch9wavefront6targetE1EEEvT1_.has_recursion, 0
	.set _ZN7rocprim17ROCPRIM_400000_NS6detail17trampoline_kernelINS0_14default_configENS1_20scan_config_selectorIN3c108BFloat16EEEZZNS1_9scan_implILNS1_25lookback_scan_determinismE0ELb0ELb0ES3_PKS6_PS6_S6_ZZZN2at6native31launch_logcumsumexp_cuda_kernelERKNSD_10TensorBaseESH_lENKUlvE_clEvENKUlvE4_clEvEUlS6_S6_E_S6_EEDaPvRmT3_T4_T5_mT6_P12ihipStream_tbENKUlT_T0_E_clISt17integral_constantIbLb0EESX_IbLb1EEEEDaST_SU_EUlST_E0_NS1_11comp_targetILNS1_3genE4ELNS1_11target_archE910ELNS1_3gpuE8ELNS1_3repE0EEENS1_30default_config_static_selectorELNS0_4arch9wavefront6targetE1EEEvT1_.has_indirect_call, 0
	.section	.AMDGPU.csdata,"",@progbits
; Kernel info:
; codeLenInByte = 0
; TotalNumSgprs: 6
; NumVgprs: 0
; NumAgprs: 0
; TotalNumVgprs: 0
; ScratchSize: 0
; MemoryBound: 0
; FloatMode: 240
; IeeeMode: 1
; LDSByteSize: 0 bytes/workgroup (compile time only)
; SGPRBlocks: 0
; VGPRBlocks: 0
; NumSGPRsForWavesPerEU: 6
; NumVGPRsForWavesPerEU: 1
; AccumOffset: 4
; Occupancy: 8
; WaveLimiterHint : 0
; COMPUTE_PGM_RSRC2:SCRATCH_EN: 0
; COMPUTE_PGM_RSRC2:USER_SGPR: 2
; COMPUTE_PGM_RSRC2:TRAP_HANDLER: 0
; COMPUTE_PGM_RSRC2:TGID_X_EN: 1
; COMPUTE_PGM_RSRC2:TGID_Y_EN: 0
; COMPUTE_PGM_RSRC2:TGID_Z_EN: 0
; COMPUTE_PGM_RSRC2:TIDIG_COMP_CNT: 0
; COMPUTE_PGM_RSRC3_GFX90A:ACCUM_OFFSET: 0
; COMPUTE_PGM_RSRC3_GFX90A:TG_SPLIT: 0
	.section	.text._ZN7rocprim17ROCPRIM_400000_NS6detail17trampoline_kernelINS0_14default_configENS1_20scan_config_selectorIN3c108BFloat16EEEZZNS1_9scan_implILNS1_25lookback_scan_determinismE0ELb0ELb0ES3_PKS6_PS6_S6_ZZZN2at6native31launch_logcumsumexp_cuda_kernelERKNSD_10TensorBaseESH_lENKUlvE_clEvENKUlvE4_clEvEUlS6_S6_E_S6_EEDaPvRmT3_T4_T5_mT6_P12ihipStream_tbENKUlT_T0_E_clISt17integral_constantIbLb0EESX_IbLb1EEEEDaST_SU_EUlST_E0_NS1_11comp_targetILNS1_3genE3ELNS1_11target_archE908ELNS1_3gpuE7ELNS1_3repE0EEENS1_30default_config_static_selectorELNS0_4arch9wavefront6targetE1EEEvT1_,"axG",@progbits,_ZN7rocprim17ROCPRIM_400000_NS6detail17trampoline_kernelINS0_14default_configENS1_20scan_config_selectorIN3c108BFloat16EEEZZNS1_9scan_implILNS1_25lookback_scan_determinismE0ELb0ELb0ES3_PKS6_PS6_S6_ZZZN2at6native31launch_logcumsumexp_cuda_kernelERKNSD_10TensorBaseESH_lENKUlvE_clEvENKUlvE4_clEvEUlS6_S6_E_S6_EEDaPvRmT3_T4_T5_mT6_P12ihipStream_tbENKUlT_T0_E_clISt17integral_constantIbLb0EESX_IbLb1EEEEDaST_SU_EUlST_E0_NS1_11comp_targetILNS1_3genE3ELNS1_11target_archE908ELNS1_3gpuE7ELNS1_3repE0EEENS1_30default_config_static_selectorELNS0_4arch9wavefront6targetE1EEEvT1_,comdat
	.globl	_ZN7rocprim17ROCPRIM_400000_NS6detail17trampoline_kernelINS0_14default_configENS1_20scan_config_selectorIN3c108BFloat16EEEZZNS1_9scan_implILNS1_25lookback_scan_determinismE0ELb0ELb0ES3_PKS6_PS6_S6_ZZZN2at6native31launch_logcumsumexp_cuda_kernelERKNSD_10TensorBaseESH_lENKUlvE_clEvENKUlvE4_clEvEUlS6_S6_E_S6_EEDaPvRmT3_T4_T5_mT6_P12ihipStream_tbENKUlT_T0_E_clISt17integral_constantIbLb0EESX_IbLb1EEEEDaST_SU_EUlST_E0_NS1_11comp_targetILNS1_3genE3ELNS1_11target_archE908ELNS1_3gpuE7ELNS1_3repE0EEENS1_30default_config_static_selectorELNS0_4arch9wavefront6targetE1EEEvT1_ ; -- Begin function _ZN7rocprim17ROCPRIM_400000_NS6detail17trampoline_kernelINS0_14default_configENS1_20scan_config_selectorIN3c108BFloat16EEEZZNS1_9scan_implILNS1_25lookback_scan_determinismE0ELb0ELb0ES3_PKS6_PS6_S6_ZZZN2at6native31launch_logcumsumexp_cuda_kernelERKNSD_10TensorBaseESH_lENKUlvE_clEvENKUlvE4_clEvEUlS6_S6_E_S6_EEDaPvRmT3_T4_T5_mT6_P12ihipStream_tbENKUlT_T0_E_clISt17integral_constantIbLb0EESX_IbLb1EEEEDaST_SU_EUlST_E0_NS1_11comp_targetILNS1_3genE3ELNS1_11target_archE908ELNS1_3gpuE7ELNS1_3repE0EEENS1_30default_config_static_selectorELNS0_4arch9wavefront6targetE1EEEvT1_
	.p2align	8
	.type	_ZN7rocprim17ROCPRIM_400000_NS6detail17trampoline_kernelINS0_14default_configENS1_20scan_config_selectorIN3c108BFloat16EEEZZNS1_9scan_implILNS1_25lookback_scan_determinismE0ELb0ELb0ES3_PKS6_PS6_S6_ZZZN2at6native31launch_logcumsumexp_cuda_kernelERKNSD_10TensorBaseESH_lENKUlvE_clEvENKUlvE4_clEvEUlS6_S6_E_S6_EEDaPvRmT3_T4_T5_mT6_P12ihipStream_tbENKUlT_T0_E_clISt17integral_constantIbLb0EESX_IbLb1EEEEDaST_SU_EUlST_E0_NS1_11comp_targetILNS1_3genE3ELNS1_11target_archE908ELNS1_3gpuE7ELNS1_3repE0EEENS1_30default_config_static_selectorELNS0_4arch9wavefront6targetE1EEEvT1_,@function
_ZN7rocprim17ROCPRIM_400000_NS6detail17trampoline_kernelINS0_14default_configENS1_20scan_config_selectorIN3c108BFloat16EEEZZNS1_9scan_implILNS1_25lookback_scan_determinismE0ELb0ELb0ES3_PKS6_PS6_S6_ZZZN2at6native31launch_logcumsumexp_cuda_kernelERKNSD_10TensorBaseESH_lENKUlvE_clEvENKUlvE4_clEvEUlS6_S6_E_S6_EEDaPvRmT3_T4_T5_mT6_P12ihipStream_tbENKUlT_T0_E_clISt17integral_constantIbLb0EESX_IbLb1EEEEDaST_SU_EUlST_E0_NS1_11comp_targetILNS1_3genE3ELNS1_11target_archE908ELNS1_3gpuE7ELNS1_3repE0EEENS1_30default_config_static_selectorELNS0_4arch9wavefront6targetE1EEEvT1_: ; @_ZN7rocprim17ROCPRIM_400000_NS6detail17trampoline_kernelINS0_14default_configENS1_20scan_config_selectorIN3c108BFloat16EEEZZNS1_9scan_implILNS1_25lookback_scan_determinismE0ELb0ELb0ES3_PKS6_PS6_S6_ZZZN2at6native31launch_logcumsumexp_cuda_kernelERKNSD_10TensorBaseESH_lENKUlvE_clEvENKUlvE4_clEvEUlS6_S6_E_S6_EEDaPvRmT3_T4_T5_mT6_P12ihipStream_tbENKUlT_T0_E_clISt17integral_constantIbLb0EESX_IbLb1EEEEDaST_SU_EUlST_E0_NS1_11comp_targetILNS1_3genE3ELNS1_11target_archE908ELNS1_3gpuE7ELNS1_3repE0EEENS1_30default_config_static_selectorELNS0_4arch9wavefront6targetE1EEEvT1_
; %bb.0:
	.section	.rodata,"a",@progbits
	.p2align	6, 0x0
	.amdhsa_kernel _ZN7rocprim17ROCPRIM_400000_NS6detail17trampoline_kernelINS0_14default_configENS1_20scan_config_selectorIN3c108BFloat16EEEZZNS1_9scan_implILNS1_25lookback_scan_determinismE0ELb0ELb0ES3_PKS6_PS6_S6_ZZZN2at6native31launch_logcumsumexp_cuda_kernelERKNSD_10TensorBaseESH_lENKUlvE_clEvENKUlvE4_clEvEUlS6_S6_E_S6_EEDaPvRmT3_T4_T5_mT6_P12ihipStream_tbENKUlT_T0_E_clISt17integral_constantIbLb0EESX_IbLb1EEEEDaST_SU_EUlST_E0_NS1_11comp_targetILNS1_3genE3ELNS1_11target_archE908ELNS1_3gpuE7ELNS1_3repE0EEENS1_30default_config_static_selectorELNS0_4arch9wavefront6targetE1EEEvT1_
		.amdhsa_group_segment_fixed_size 0
		.amdhsa_private_segment_fixed_size 0
		.amdhsa_kernarg_size 32
		.amdhsa_user_sgpr_count 2
		.amdhsa_user_sgpr_dispatch_ptr 0
		.amdhsa_user_sgpr_queue_ptr 0
		.amdhsa_user_sgpr_kernarg_segment_ptr 1
		.amdhsa_user_sgpr_dispatch_id 0
		.amdhsa_user_sgpr_kernarg_preload_length 0
		.amdhsa_user_sgpr_kernarg_preload_offset 0
		.amdhsa_user_sgpr_private_segment_size 0
		.amdhsa_uses_dynamic_stack 0
		.amdhsa_enable_private_segment 0
		.amdhsa_system_sgpr_workgroup_id_x 1
		.amdhsa_system_sgpr_workgroup_id_y 0
		.amdhsa_system_sgpr_workgroup_id_z 0
		.amdhsa_system_sgpr_workgroup_info 0
		.amdhsa_system_vgpr_workitem_id 0
		.amdhsa_next_free_vgpr 1
		.amdhsa_next_free_sgpr 0
		.amdhsa_accum_offset 4
		.amdhsa_reserve_vcc 0
		.amdhsa_float_round_mode_32 0
		.amdhsa_float_round_mode_16_64 0
		.amdhsa_float_denorm_mode_32 3
		.amdhsa_float_denorm_mode_16_64 3
		.amdhsa_dx10_clamp 1
		.amdhsa_ieee_mode 1
		.amdhsa_fp16_overflow 0
		.amdhsa_tg_split 0
		.amdhsa_exception_fp_ieee_invalid_op 0
		.amdhsa_exception_fp_denorm_src 0
		.amdhsa_exception_fp_ieee_div_zero 0
		.amdhsa_exception_fp_ieee_overflow 0
		.amdhsa_exception_fp_ieee_underflow 0
		.amdhsa_exception_fp_ieee_inexact 0
		.amdhsa_exception_int_div_zero 0
	.end_amdhsa_kernel
	.section	.text._ZN7rocprim17ROCPRIM_400000_NS6detail17trampoline_kernelINS0_14default_configENS1_20scan_config_selectorIN3c108BFloat16EEEZZNS1_9scan_implILNS1_25lookback_scan_determinismE0ELb0ELb0ES3_PKS6_PS6_S6_ZZZN2at6native31launch_logcumsumexp_cuda_kernelERKNSD_10TensorBaseESH_lENKUlvE_clEvENKUlvE4_clEvEUlS6_S6_E_S6_EEDaPvRmT3_T4_T5_mT6_P12ihipStream_tbENKUlT_T0_E_clISt17integral_constantIbLb0EESX_IbLb1EEEEDaST_SU_EUlST_E0_NS1_11comp_targetILNS1_3genE3ELNS1_11target_archE908ELNS1_3gpuE7ELNS1_3repE0EEENS1_30default_config_static_selectorELNS0_4arch9wavefront6targetE1EEEvT1_,"axG",@progbits,_ZN7rocprim17ROCPRIM_400000_NS6detail17trampoline_kernelINS0_14default_configENS1_20scan_config_selectorIN3c108BFloat16EEEZZNS1_9scan_implILNS1_25lookback_scan_determinismE0ELb0ELb0ES3_PKS6_PS6_S6_ZZZN2at6native31launch_logcumsumexp_cuda_kernelERKNSD_10TensorBaseESH_lENKUlvE_clEvENKUlvE4_clEvEUlS6_S6_E_S6_EEDaPvRmT3_T4_T5_mT6_P12ihipStream_tbENKUlT_T0_E_clISt17integral_constantIbLb0EESX_IbLb1EEEEDaST_SU_EUlST_E0_NS1_11comp_targetILNS1_3genE3ELNS1_11target_archE908ELNS1_3gpuE7ELNS1_3repE0EEENS1_30default_config_static_selectorELNS0_4arch9wavefront6targetE1EEEvT1_,comdat
.Lfunc_end515:
	.size	_ZN7rocprim17ROCPRIM_400000_NS6detail17trampoline_kernelINS0_14default_configENS1_20scan_config_selectorIN3c108BFloat16EEEZZNS1_9scan_implILNS1_25lookback_scan_determinismE0ELb0ELb0ES3_PKS6_PS6_S6_ZZZN2at6native31launch_logcumsumexp_cuda_kernelERKNSD_10TensorBaseESH_lENKUlvE_clEvENKUlvE4_clEvEUlS6_S6_E_S6_EEDaPvRmT3_T4_T5_mT6_P12ihipStream_tbENKUlT_T0_E_clISt17integral_constantIbLb0EESX_IbLb1EEEEDaST_SU_EUlST_E0_NS1_11comp_targetILNS1_3genE3ELNS1_11target_archE908ELNS1_3gpuE7ELNS1_3repE0EEENS1_30default_config_static_selectorELNS0_4arch9wavefront6targetE1EEEvT1_, .Lfunc_end515-_ZN7rocprim17ROCPRIM_400000_NS6detail17trampoline_kernelINS0_14default_configENS1_20scan_config_selectorIN3c108BFloat16EEEZZNS1_9scan_implILNS1_25lookback_scan_determinismE0ELb0ELb0ES3_PKS6_PS6_S6_ZZZN2at6native31launch_logcumsumexp_cuda_kernelERKNSD_10TensorBaseESH_lENKUlvE_clEvENKUlvE4_clEvEUlS6_S6_E_S6_EEDaPvRmT3_T4_T5_mT6_P12ihipStream_tbENKUlT_T0_E_clISt17integral_constantIbLb0EESX_IbLb1EEEEDaST_SU_EUlST_E0_NS1_11comp_targetILNS1_3genE3ELNS1_11target_archE908ELNS1_3gpuE7ELNS1_3repE0EEENS1_30default_config_static_selectorELNS0_4arch9wavefront6targetE1EEEvT1_
                                        ; -- End function
	.set _ZN7rocprim17ROCPRIM_400000_NS6detail17trampoline_kernelINS0_14default_configENS1_20scan_config_selectorIN3c108BFloat16EEEZZNS1_9scan_implILNS1_25lookback_scan_determinismE0ELb0ELb0ES3_PKS6_PS6_S6_ZZZN2at6native31launch_logcumsumexp_cuda_kernelERKNSD_10TensorBaseESH_lENKUlvE_clEvENKUlvE4_clEvEUlS6_S6_E_S6_EEDaPvRmT3_T4_T5_mT6_P12ihipStream_tbENKUlT_T0_E_clISt17integral_constantIbLb0EESX_IbLb1EEEEDaST_SU_EUlST_E0_NS1_11comp_targetILNS1_3genE3ELNS1_11target_archE908ELNS1_3gpuE7ELNS1_3repE0EEENS1_30default_config_static_selectorELNS0_4arch9wavefront6targetE1EEEvT1_.num_vgpr, 0
	.set _ZN7rocprim17ROCPRIM_400000_NS6detail17trampoline_kernelINS0_14default_configENS1_20scan_config_selectorIN3c108BFloat16EEEZZNS1_9scan_implILNS1_25lookback_scan_determinismE0ELb0ELb0ES3_PKS6_PS6_S6_ZZZN2at6native31launch_logcumsumexp_cuda_kernelERKNSD_10TensorBaseESH_lENKUlvE_clEvENKUlvE4_clEvEUlS6_S6_E_S6_EEDaPvRmT3_T4_T5_mT6_P12ihipStream_tbENKUlT_T0_E_clISt17integral_constantIbLb0EESX_IbLb1EEEEDaST_SU_EUlST_E0_NS1_11comp_targetILNS1_3genE3ELNS1_11target_archE908ELNS1_3gpuE7ELNS1_3repE0EEENS1_30default_config_static_selectorELNS0_4arch9wavefront6targetE1EEEvT1_.num_agpr, 0
	.set _ZN7rocprim17ROCPRIM_400000_NS6detail17trampoline_kernelINS0_14default_configENS1_20scan_config_selectorIN3c108BFloat16EEEZZNS1_9scan_implILNS1_25lookback_scan_determinismE0ELb0ELb0ES3_PKS6_PS6_S6_ZZZN2at6native31launch_logcumsumexp_cuda_kernelERKNSD_10TensorBaseESH_lENKUlvE_clEvENKUlvE4_clEvEUlS6_S6_E_S6_EEDaPvRmT3_T4_T5_mT6_P12ihipStream_tbENKUlT_T0_E_clISt17integral_constantIbLb0EESX_IbLb1EEEEDaST_SU_EUlST_E0_NS1_11comp_targetILNS1_3genE3ELNS1_11target_archE908ELNS1_3gpuE7ELNS1_3repE0EEENS1_30default_config_static_selectorELNS0_4arch9wavefront6targetE1EEEvT1_.numbered_sgpr, 0
	.set _ZN7rocprim17ROCPRIM_400000_NS6detail17trampoline_kernelINS0_14default_configENS1_20scan_config_selectorIN3c108BFloat16EEEZZNS1_9scan_implILNS1_25lookback_scan_determinismE0ELb0ELb0ES3_PKS6_PS6_S6_ZZZN2at6native31launch_logcumsumexp_cuda_kernelERKNSD_10TensorBaseESH_lENKUlvE_clEvENKUlvE4_clEvEUlS6_S6_E_S6_EEDaPvRmT3_T4_T5_mT6_P12ihipStream_tbENKUlT_T0_E_clISt17integral_constantIbLb0EESX_IbLb1EEEEDaST_SU_EUlST_E0_NS1_11comp_targetILNS1_3genE3ELNS1_11target_archE908ELNS1_3gpuE7ELNS1_3repE0EEENS1_30default_config_static_selectorELNS0_4arch9wavefront6targetE1EEEvT1_.num_named_barrier, 0
	.set _ZN7rocprim17ROCPRIM_400000_NS6detail17trampoline_kernelINS0_14default_configENS1_20scan_config_selectorIN3c108BFloat16EEEZZNS1_9scan_implILNS1_25lookback_scan_determinismE0ELb0ELb0ES3_PKS6_PS6_S6_ZZZN2at6native31launch_logcumsumexp_cuda_kernelERKNSD_10TensorBaseESH_lENKUlvE_clEvENKUlvE4_clEvEUlS6_S6_E_S6_EEDaPvRmT3_T4_T5_mT6_P12ihipStream_tbENKUlT_T0_E_clISt17integral_constantIbLb0EESX_IbLb1EEEEDaST_SU_EUlST_E0_NS1_11comp_targetILNS1_3genE3ELNS1_11target_archE908ELNS1_3gpuE7ELNS1_3repE0EEENS1_30default_config_static_selectorELNS0_4arch9wavefront6targetE1EEEvT1_.private_seg_size, 0
	.set _ZN7rocprim17ROCPRIM_400000_NS6detail17trampoline_kernelINS0_14default_configENS1_20scan_config_selectorIN3c108BFloat16EEEZZNS1_9scan_implILNS1_25lookback_scan_determinismE0ELb0ELb0ES3_PKS6_PS6_S6_ZZZN2at6native31launch_logcumsumexp_cuda_kernelERKNSD_10TensorBaseESH_lENKUlvE_clEvENKUlvE4_clEvEUlS6_S6_E_S6_EEDaPvRmT3_T4_T5_mT6_P12ihipStream_tbENKUlT_T0_E_clISt17integral_constantIbLb0EESX_IbLb1EEEEDaST_SU_EUlST_E0_NS1_11comp_targetILNS1_3genE3ELNS1_11target_archE908ELNS1_3gpuE7ELNS1_3repE0EEENS1_30default_config_static_selectorELNS0_4arch9wavefront6targetE1EEEvT1_.uses_vcc, 0
	.set _ZN7rocprim17ROCPRIM_400000_NS6detail17trampoline_kernelINS0_14default_configENS1_20scan_config_selectorIN3c108BFloat16EEEZZNS1_9scan_implILNS1_25lookback_scan_determinismE0ELb0ELb0ES3_PKS6_PS6_S6_ZZZN2at6native31launch_logcumsumexp_cuda_kernelERKNSD_10TensorBaseESH_lENKUlvE_clEvENKUlvE4_clEvEUlS6_S6_E_S6_EEDaPvRmT3_T4_T5_mT6_P12ihipStream_tbENKUlT_T0_E_clISt17integral_constantIbLb0EESX_IbLb1EEEEDaST_SU_EUlST_E0_NS1_11comp_targetILNS1_3genE3ELNS1_11target_archE908ELNS1_3gpuE7ELNS1_3repE0EEENS1_30default_config_static_selectorELNS0_4arch9wavefront6targetE1EEEvT1_.uses_flat_scratch, 0
	.set _ZN7rocprim17ROCPRIM_400000_NS6detail17trampoline_kernelINS0_14default_configENS1_20scan_config_selectorIN3c108BFloat16EEEZZNS1_9scan_implILNS1_25lookback_scan_determinismE0ELb0ELb0ES3_PKS6_PS6_S6_ZZZN2at6native31launch_logcumsumexp_cuda_kernelERKNSD_10TensorBaseESH_lENKUlvE_clEvENKUlvE4_clEvEUlS6_S6_E_S6_EEDaPvRmT3_T4_T5_mT6_P12ihipStream_tbENKUlT_T0_E_clISt17integral_constantIbLb0EESX_IbLb1EEEEDaST_SU_EUlST_E0_NS1_11comp_targetILNS1_3genE3ELNS1_11target_archE908ELNS1_3gpuE7ELNS1_3repE0EEENS1_30default_config_static_selectorELNS0_4arch9wavefront6targetE1EEEvT1_.has_dyn_sized_stack, 0
	.set _ZN7rocprim17ROCPRIM_400000_NS6detail17trampoline_kernelINS0_14default_configENS1_20scan_config_selectorIN3c108BFloat16EEEZZNS1_9scan_implILNS1_25lookback_scan_determinismE0ELb0ELb0ES3_PKS6_PS6_S6_ZZZN2at6native31launch_logcumsumexp_cuda_kernelERKNSD_10TensorBaseESH_lENKUlvE_clEvENKUlvE4_clEvEUlS6_S6_E_S6_EEDaPvRmT3_T4_T5_mT6_P12ihipStream_tbENKUlT_T0_E_clISt17integral_constantIbLb0EESX_IbLb1EEEEDaST_SU_EUlST_E0_NS1_11comp_targetILNS1_3genE3ELNS1_11target_archE908ELNS1_3gpuE7ELNS1_3repE0EEENS1_30default_config_static_selectorELNS0_4arch9wavefront6targetE1EEEvT1_.has_recursion, 0
	.set _ZN7rocprim17ROCPRIM_400000_NS6detail17trampoline_kernelINS0_14default_configENS1_20scan_config_selectorIN3c108BFloat16EEEZZNS1_9scan_implILNS1_25lookback_scan_determinismE0ELb0ELb0ES3_PKS6_PS6_S6_ZZZN2at6native31launch_logcumsumexp_cuda_kernelERKNSD_10TensorBaseESH_lENKUlvE_clEvENKUlvE4_clEvEUlS6_S6_E_S6_EEDaPvRmT3_T4_T5_mT6_P12ihipStream_tbENKUlT_T0_E_clISt17integral_constantIbLb0EESX_IbLb1EEEEDaST_SU_EUlST_E0_NS1_11comp_targetILNS1_3genE3ELNS1_11target_archE908ELNS1_3gpuE7ELNS1_3repE0EEENS1_30default_config_static_selectorELNS0_4arch9wavefront6targetE1EEEvT1_.has_indirect_call, 0
	.section	.AMDGPU.csdata,"",@progbits
; Kernel info:
; codeLenInByte = 0
; TotalNumSgprs: 6
; NumVgprs: 0
; NumAgprs: 0
; TotalNumVgprs: 0
; ScratchSize: 0
; MemoryBound: 0
; FloatMode: 240
; IeeeMode: 1
; LDSByteSize: 0 bytes/workgroup (compile time only)
; SGPRBlocks: 0
; VGPRBlocks: 0
; NumSGPRsForWavesPerEU: 6
; NumVGPRsForWavesPerEU: 1
; AccumOffset: 4
; Occupancy: 8
; WaveLimiterHint : 0
; COMPUTE_PGM_RSRC2:SCRATCH_EN: 0
; COMPUTE_PGM_RSRC2:USER_SGPR: 2
; COMPUTE_PGM_RSRC2:TRAP_HANDLER: 0
; COMPUTE_PGM_RSRC2:TGID_X_EN: 1
; COMPUTE_PGM_RSRC2:TGID_Y_EN: 0
; COMPUTE_PGM_RSRC2:TGID_Z_EN: 0
; COMPUTE_PGM_RSRC2:TIDIG_COMP_CNT: 0
; COMPUTE_PGM_RSRC3_GFX90A:ACCUM_OFFSET: 0
; COMPUTE_PGM_RSRC3_GFX90A:TG_SPLIT: 0
	.section	.text._ZN7rocprim17ROCPRIM_400000_NS6detail17trampoline_kernelINS0_14default_configENS1_20scan_config_selectorIN3c108BFloat16EEEZZNS1_9scan_implILNS1_25lookback_scan_determinismE0ELb0ELb0ES3_PKS6_PS6_S6_ZZZN2at6native31launch_logcumsumexp_cuda_kernelERKNSD_10TensorBaseESH_lENKUlvE_clEvENKUlvE4_clEvEUlS6_S6_E_S6_EEDaPvRmT3_T4_T5_mT6_P12ihipStream_tbENKUlT_T0_E_clISt17integral_constantIbLb0EESX_IbLb1EEEEDaST_SU_EUlST_E0_NS1_11comp_targetILNS1_3genE2ELNS1_11target_archE906ELNS1_3gpuE6ELNS1_3repE0EEENS1_30default_config_static_selectorELNS0_4arch9wavefront6targetE1EEEvT1_,"axG",@progbits,_ZN7rocprim17ROCPRIM_400000_NS6detail17trampoline_kernelINS0_14default_configENS1_20scan_config_selectorIN3c108BFloat16EEEZZNS1_9scan_implILNS1_25lookback_scan_determinismE0ELb0ELb0ES3_PKS6_PS6_S6_ZZZN2at6native31launch_logcumsumexp_cuda_kernelERKNSD_10TensorBaseESH_lENKUlvE_clEvENKUlvE4_clEvEUlS6_S6_E_S6_EEDaPvRmT3_T4_T5_mT6_P12ihipStream_tbENKUlT_T0_E_clISt17integral_constantIbLb0EESX_IbLb1EEEEDaST_SU_EUlST_E0_NS1_11comp_targetILNS1_3genE2ELNS1_11target_archE906ELNS1_3gpuE6ELNS1_3repE0EEENS1_30default_config_static_selectorELNS0_4arch9wavefront6targetE1EEEvT1_,comdat
	.globl	_ZN7rocprim17ROCPRIM_400000_NS6detail17trampoline_kernelINS0_14default_configENS1_20scan_config_selectorIN3c108BFloat16EEEZZNS1_9scan_implILNS1_25lookback_scan_determinismE0ELb0ELb0ES3_PKS6_PS6_S6_ZZZN2at6native31launch_logcumsumexp_cuda_kernelERKNSD_10TensorBaseESH_lENKUlvE_clEvENKUlvE4_clEvEUlS6_S6_E_S6_EEDaPvRmT3_T4_T5_mT6_P12ihipStream_tbENKUlT_T0_E_clISt17integral_constantIbLb0EESX_IbLb1EEEEDaST_SU_EUlST_E0_NS1_11comp_targetILNS1_3genE2ELNS1_11target_archE906ELNS1_3gpuE6ELNS1_3repE0EEENS1_30default_config_static_selectorELNS0_4arch9wavefront6targetE1EEEvT1_ ; -- Begin function _ZN7rocprim17ROCPRIM_400000_NS6detail17trampoline_kernelINS0_14default_configENS1_20scan_config_selectorIN3c108BFloat16EEEZZNS1_9scan_implILNS1_25lookback_scan_determinismE0ELb0ELb0ES3_PKS6_PS6_S6_ZZZN2at6native31launch_logcumsumexp_cuda_kernelERKNSD_10TensorBaseESH_lENKUlvE_clEvENKUlvE4_clEvEUlS6_S6_E_S6_EEDaPvRmT3_T4_T5_mT6_P12ihipStream_tbENKUlT_T0_E_clISt17integral_constantIbLb0EESX_IbLb1EEEEDaST_SU_EUlST_E0_NS1_11comp_targetILNS1_3genE2ELNS1_11target_archE906ELNS1_3gpuE6ELNS1_3repE0EEENS1_30default_config_static_selectorELNS0_4arch9wavefront6targetE1EEEvT1_
	.p2align	8
	.type	_ZN7rocprim17ROCPRIM_400000_NS6detail17trampoline_kernelINS0_14default_configENS1_20scan_config_selectorIN3c108BFloat16EEEZZNS1_9scan_implILNS1_25lookback_scan_determinismE0ELb0ELb0ES3_PKS6_PS6_S6_ZZZN2at6native31launch_logcumsumexp_cuda_kernelERKNSD_10TensorBaseESH_lENKUlvE_clEvENKUlvE4_clEvEUlS6_S6_E_S6_EEDaPvRmT3_T4_T5_mT6_P12ihipStream_tbENKUlT_T0_E_clISt17integral_constantIbLb0EESX_IbLb1EEEEDaST_SU_EUlST_E0_NS1_11comp_targetILNS1_3genE2ELNS1_11target_archE906ELNS1_3gpuE6ELNS1_3repE0EEENS1_30default_config_static_selectorELNS0_4arch9wavefront6targetE1EEEvT1_,@function
_ZN7rocprim17ROCPRIM_400000_NS6detail17trampoline_kernelINS0_14default_configENS1_20scan_config_selectorIN3c108BFloat16EEEZZNS1_9scan_implILNS1_25lookback_scan_determinismE0ELb0ELb0ES3_PKS6_PS6_S6_ZZZN2at6native31launch_logcumsumexp_cuda_kernelERKNSD_10TensorBaseESH_lENKUlvE_clEvENKUlvE4_clEvEUlS6_S6_E_S6_EEDaPvRmT3_T4_T5_mT6_P12ihipStream_tbENKUlT_T0_E_clISt17integral_constantIbLb0EESX_IbLb1EEEEDaST_SU_EUlST_E0_NS1_11comp_targetILNS1_3genE2ELNS1_11target_archE906ELNS1_3gpuE6ELNS1_3repE0EEENS1_30default_config_static_selectorELNS0_4arch9wavefront6targetE1EEEvT1_: ; @_ZN7rocprim17ROCPRIM_400000_NS6detail17trampoline_kernelINS0_14default_configENS1_20scan_config_selectorIN3c108BFloat16EEEZZNS1_9scan_implILNS1_25lookback_scan_determinismE0ELb0ELb0ES3_PKS6_PS6_S6_ZZZN2at6native31launch_logcumsumexp_cuda_kernelERKNSD_10TensorBaseESH_lENKUlvE_clEvENKUlvE4_clEvEUlS6_S6_E_S6_EEDaPvRmT3_T4_T5_mT6_P12ihipStream_tbENKUlT_T0_E_clISt17integral_constantIbLb0EESX_IbLb1EEEEDaST_SU_EUlST_E0_NS1_11comp_targetILNS1_3genE2ELNS1_11target_archE906ELNS1_3gpuE6ELNS1_3repE0EEENS1_30default_config_static_selectorELNS0_4arch9wavefront6targetE1EEEvT1_
; %bb.0:
	.section	.rodata,"a",@progbits
	.p2align	6, 0x0
	.amdhsa_kernel _ZN7rocprim17ROCPRIM_400000_NS6detail17trampoline_kernelINS0_14default_configENS1_20scan_config_selectorIN3c108BFloat16EEEZZNS1_9scan_implILNS1_25lookback_scan_determinismE0ELb0ELb0ES3_PKS6_PS6_S6_ZZZN2at6native31launch_logcumsumexp_cuda_kernelERKNSD_10TensorBaseESH_lENKUlvE_clEvENKUlvE4_clEvEUlS6_S6_E_S6_EEDaPvRmT3_T4_T5_mT6_P12ihipStream_tbENKUlT_T0_E_clISt17integral_constantIbLb0EESX_IbLb1EEEEDaST_SU_EUlST_E0_NS1_11comp_targetILNS1_3genE2ELNS1_11target_archE906ELNS1_3gpuE6ELNS1_3repE0EEENS1_30default_config_static_selectorELNS0_4arch9wavefront6targetE1EEEvT1_
		.amdhsa_group_segment_fixed_size 0
		.amdhsa_private_segment_fixed_size 0
		.amdhsa_kernarg_size 32
		.amdhsa_user_sgpr_count 2
		.amdhsa_user_sgpr_dispatch_ptr 0
		.amdhsa_user_sgpr_queue_ptr 0
		.amdhsa_user_sgpr_kernarg_segment_ptr 1
		.amdhsa_user_sgpr_dispatch_id 0
		.amdhsa_user_sgpr_kernarg_preload_length 0
		.amdhsa_user_sgpr_kernarg_preload_offset 0
		.amdhsa_user_sgpr_private_segment_size 0
		.amdhsa_uses_dynamic_stack 0
		.amdhsa_enable_private_segment 0
		.amdhsa_system_sgpr_workgroup_id_x 1
		.amdhsa_system_sgpr_workgroup_id_y 0
		.amdhsa_system_sgpr_workgroup_id_z 0
		.amdhsa_system_sgpr_workgroup_info 0
		.amdhsa_system_vgpr_workitem_id 0
		.amdhsa_next_free_vgpr 1
		.amdhsa_next_free_sgpr 0
		.amdhsa_accum_offset 4
		.amdhsa_reserve_vcc 0
		.amdhsa_float_round_mode_32 0
		.amdhsa_float_round_mode_16_64 0
		.amdhsa_float_denorm_mode_32 3
		.amdhsa_float_denorm_mode_16_64 3
		.amdhsa_dx10_clamp 1
		.amdhsa_ieee_mode 1
		.amdhsa_fp16_overflow 0
		.amdhsa_tg_split 0
		.amdhsa_exception_fp_ieee_invalid_op 0
		.amdhsa_exception_fp_denorm_src 0
		.amdhsa_exception_fp_ieee_div_zero 0
		.amdhsa_exception_fp_ieee_overflow 0
		.amdhsa_exception_fp_ieee_underflow 0
		.amdhsa_exception_fp_ieee_inexact 0
		.amdhsa_exception_int_div_zero 0
	.end_amdhsa_kernel
	.section	.text._ZN7rocprim17ROCPRIM_400000_NS6detail17trampoline_kernelINS0_14default_configENS1_20scan_config_selectorIN3c108BFloat16EEEZZNS1_9scan_implILNS1_25lookback_scan_determinismE0ELb0ELb0ES3_PKS6_PS6_S6_ZZZN2at6native31launch_logcumsumexp_cuda_kernelERKNSD_10TensorBaseESH_lENKUlvE_clEvENKUlvE4_clEvEUlS6_S6_E_S6_EEDaPvRmT3_T4_T5_mT6_P12ihipStream_tbENKUlT_T0_E_clISt17integral_constantIbLb0EESX_IbLb1EEEEDaST_SU_EUlST_E0_NS1_11comp_targetILNS1_3genE2ELNS1_11target_archE906ELNS1_3gpuE6ELNS1_3repE0EEENS1_30default_config_static_selectorELNS0_4arch9wavefront6targetE1EEEvT1_,"axG",@progbits,_ZN7rocprim17ROCPRIM_400000_NS6detail17trampoline_kernelINS0_14default_configENS1_20scan_config_selectorIN3c108BFloat16EEEZZNS1_9scan_implILNS1_25lookback_scan_determinismE0ELb0ELb0ES3_PKS6_PS6_S6_ZZZN2at6native31launch_logcumsumexp_cuda_kernelERKNSD_10TensorBaseESH_lENKUlvE_clEvENKUlvE4_clEvEUlS6_S6_E_S6_EEDaPvRmT3_T4_T5_mT6_P12ihipStream_tbENKUlT_T0_E_clISt17integral_constantIbLb0EESX_IbLb1EEEEDaST_SU_EUlST_E0_NS1_11comp_targetILNS1_3genE2ELNS1_11target_archE906ELNS1_3gpuE6ELNS1_3repE0EEENS1_30default_config_static_selectorELNS0_4arch9wavefront6targetE1EEEvT1_,comdat
.Lfunc_end516:
	.size	_ZN7rocprim17ROCPRIM_400000_NS6detail17trampoline_kernelINS0_14default_configENS1_20scan_config_selectorIN3c108BFloat16EEEZZNS1_9scan_implILNS1_25lookback_scan_determinismE0ELb0ELb0ES3_PKS6_PS6_S6_ZZZN2at6native31launch_logcumsumexp_cuda_kernelERKNSD_10TensorBaseESH_lENKUlvE_clEvENKUlvE4_clEvEUlS6_S6_E_S6_EEDaPvRmT3_T4_T5_mT6_P12ihipStream_tbENKUlT_T0_E_clISt17integral_constantIbLb0EESX_IbLb1EEEEDaST_SU_EUlST_E0_NS1_11comp_targetILNS1_3genE2ELNS1_11target_archE906ELNS1_3gpuE6ELNS1_3repE0EEENS1_30default_config_static_selectorELNS0_4arch9wavefront6targetE1EEEvT1_, .Lfunc_end516-_ZN7rocprim17ROCPRIM_400000_NS6detail17trampoline_kernelINS0_14default_configENS1_20scan_config_selectorIN3c108BFloat16EEEZZNS1_9scan_implILNS1_25lookback_scan_determinismE0ELb0ELb0ES3_PKS6_PS6_S6_ZZZN2at6native31launch_logcumsumexp_cuda_kernelERKNSD_10TensorBaseESH_lENKUlvE_clEvENKUlvE4_clEvEUlS6_S6_E_S6_EEDaPvRmT3_T4_T5_mT6_P12ihipStream_tbENKUlT_T0_E_clISt17integral_constantIbLb0EESX_IbLb1EEEEDaST_SU_EUlST_E0_NS1_11comp_targetILNS1_3genE2ELNS1_11target_archE906ELNS1_3gpuE6ELNS1_3repE0EEENS1_30default_config_static_selectorELNS0_4arch9wavefront6targetE1EEEvT1_
                                        ; -- End function
	.set _ZN7rocprim17ROCPRIM_400000_NS6detail17trampoline_kernelINS0_14default_configENS1_20scan_config_selectorIN3c108BFloat16EEEZZNS1_9scan_implILNS1_25lookback_scan_determinismE0ELb0ELb0ES3_PKS6_PS6_S6_ZZZN2at6native31launch_logcumsumexp_cuda_kernelERKNSD_10TensorBaseESH_lENKUlvE_clEvENKUlvE4_clEvEUlS6_S6_E_S6_EEDaPvRmT3_T4_T5_mT6_P12ihipStream_tbENKUlT_T0_E_clISt17integral_constantIbLb0EESX_IbLb1EEEEDaST_SU_EUlST_E0_NS1_11comp_targetILNS1_3genE2ELNS1_11target_archE906ELNS1_3gpuE6ELNS1_3repE0EEENS1_30default_config_static_selectorELNS0_4arch9wavefront6targetE1EEEvT1_.num_vgpr, 0
	.set _ZN7rocprim17ROCPRIM_400000_NS6detail17trampoline_kernelINS0_14default_configENS1_20scan_config_selectorIN3c108BFloat16EEEZZNS1_9scan_implILNS1_25lookback_scan_determinismE0ELb0ELb0ES3_PKS6_PS6_S6_ZZZN2at6native31launch_logcumsumexp_cuda_kernelERKNSD_10TensorBaseESH_lENKUlvE_clEvENKUlvE4_clEvEUlS6_S6_E_S6_EEDaPvRmT3_T4_T5_mT6_P12ihipStream_tbENKUlT_T0_E_clISt17integral_constantIbLb0EESX_IbLb1EEEEDaST_SU_EUlST_E0_NS1_11comp_targetILNS1_3genE2ELNS1_11target_archE906ELNS1_3gpuE6ELNS1_3repE0EEENS1_30default_config_static_selectorELNS0_4arch9wavefront6targetE1EEEvT1_.num_agpr, 0
	.set _ZN7rocprim17ROCPRIM_400000_NS6detail17trampoline_kernelINS0_14default_configENS1_20scan_config_selectorIN3c108BFloat16EEEZZNS1_9scan_implILNS1_25lookback_scan_determinismE0ELb0ELb0ES3_PKS6_PS6_S6_ZZZN2at6native31launch_logcumsumexp_cuda_kernelERKNSD_10TensorBaseESH_lENKUlvE_clEvENKUlvE4_clEvEUlS6_S6_E_S6_EEDaPvRmT3_T4_T5_mT6_P12ihipStream_tbENKUlT_T0_E_clISt17integral_constantIbLb0EESX_IbLb1EEEEDaST_SU_EUlST_E0_NS1_11comp_targetILNS1_3genE2ELNS1_11target_archE906ELNS1_3gpuE6ELNS1_3repE0EEENS1_30default_config_static_selectorELNS0_4arch9wavefront6targetE1EEEvT1_.numbered_sgpr, 0
	.set _ZN7rocprim17ROCPRIM_400000_NS6detail17trampoline_kernelINS0_14default_configENS1_20scan_config_selectorIN3c108BFloat16EEEZZNS1_9scan_implILNS1_25lookback_scan_determinismE0ELb0ELb0ES3_PKS6_PS6_S6_ZZZN2at6native31launch_logcumsumexp_cuda_kernelERKNSD_10TensorBaseESH_lENKUlvE_clEvENKUlvE4_clEvEUlS6_S6_E_S6_EEDaPvRmT3_T4_T5_mT6_P12ihipStream_tbENKUlT_T0_E_clISt17integral_constantIbLb0EESX_IbLb1EEEEDaST_SU_EUlST_E0_NS1_11comp_targetILNS1_3genE2ELNS1_11target_archE906ELNS1_3gpuE6ELNS1_3repE0EEENS1_30default_config_static_selectorELNS0_4arch9wavefront6targetE1EEEvT1_.num_named_barrier, 0
	.set _ZN7rocprim17ROCPRIM_400000_NS6detail17trampoline_kernelINS0_14default_configENS1_20scan_config_selectorIN3c108BFloat16EEEZZNS1_9scan_implILNS1_25lookback_scan_determinismE0ELb0ELb0ES3_PKS6_PS6_S6_ZZZN2at6native31launch_logcumsumexp_cuda_kernelERKNSD_10TensorBaseESH_lENKUlvE_clEvENKUlvE4_clEvEUlS6_S6_E_S6_EEDaPvRmT3_T4_T5_mT6_P12ihipStream_tbENKUlT_T0_E_clISt17integral_constantIbLb0EESX_IbLb1EEEEDaST_SU_EUlST_E0_NS1_11comp_targetILNS1_3genE2ELNS1_11target_archE906ELNS1_3gpuE6ELNS1_3repE0EEENS1_30default_config_static_selectorELNS0_4arch9wavefront6targetE1EEEvT1_.private_seg_size, 0
	.set _ZN7rocprim17ROCPRIM_400000_NS6detail17trampoline_kernelINS0_14default_configENS1_20scan_config_selectorIN3c108BFloat16EEEZZNS1_9scan_implILNS1_25lookback_scan_determinismE0ELb0ELb0ES3_PKS6_PS6_S6_ZZZN2at6native31launch_logcumsumexp_cuda_kernelERKNSD_10TensorBaseESH_lENKUlvE_clEvENKUlvE4_clEvEUlS6_S6_E_S6_EEDaPvRmT3_T4_T5_mT6_P12ihipStream_tbENKUlT_T0_E_clISt17integral_constantIbLb0EESX_IbLb1EEEEDaST_SU_EUlST_E0_NS1_11comp_targetILNS1_3genE2ELNS1_11target_archE906ELNS1_3gpuE6ELNS1_3repE0EEENS1_30default_config_static_selectorELNS0_4arch9wavefront6targetE1EEEvT1_.uses_vcc, 0
	.set _ZN7rocprim17ROCPRIM_400000_NS6detail17trampoline_kernelINS0_14default_configENS1_20scan_config_selectorIN3c108BFloat16EEEZZNS1_9scan_implILNS1_25lookback_scan_determinismE0ELb0ELb0ES3_PKS6_PS6_S6_ZZZN2at6native31launch_logcumsumexp_cuda_kernelERKNSD_10TensorBaseESH_lENKUlvE_clEvENKUlvE4_clEvEUlS6_S6_E_S6_EEDaPvRmT3_T4_T5_mT6_P12ihipStream_tbENKUlT_T0_E_clISt17integral_constantIbLb0EESX_IbLb1EEEEDaST_SU_EUlST_E0_NS1_11comp_targetILNS1_3genE2ELNS1_11target_archE906ELNS1_3gpuE6ELNS1_3repE0EEENS1_30default_config_static_selectorELNS0_4arch9wavefront6targetE1EEEvT1_.uses_flat_scratch, 0
	.set _ZN7rocprim17ROCPRIM_400000_NS6detail17trampoline_kernelINS0_14default_configENS1_20scan_config_selectorIN3c108BFloat16EEEZZNS1_9scan_implILNS1_25lookback_scan_determinismE0ELb0ELb0ES3_PKS6_PS6_S6_ZZZN2at6native31launch_logcumsumexp_cuda_kernelERKNSD_10TensorBaseESH_lENKUlvE_clEvENKUlvE4_clEvEUlS6_S6_E_S6_EEDaPvRmT3_T4_T5_mT6_P12ihipStream_tbENKUlT_T0_E_clISt17integral_constantIbLb0EESX_IbLb1EEEEDaST_SU_EUlST_E0_NS1_11comp_targetILNS1_3genE2ELNS1_11target_archE906ELNS1_3gpuE6ELNS1_3repE0EEENS1_30default_config_static_selectorELNS0_4arch9wavefront6targetE1EEEvT1_.has_dyn_sized_stack, 0
	.set _ZN7rocprim17ROCPRIM_400000_NS6detail17trampoline_kernelINS0_14default_configENS1_20scan_config_selectorIN3c108BFloat16EEEZZNS1_9scan_implILNS1_25lookback_scan_determinismE0ELb0ELb0ES3_PKS6_PS6_S6_ZZZN2at6native31launch_logcumsumexp_cuda_kernelERKNSD_10TensorBaseESH_lENKUlvE_clEvENKUlvE4_clEvEUlS6_S6_E_S6_EEDaPvRmT3_T4_T5_mT6_P12ihipStream_tbENKUlT_T0_E_clISt17integral_constantIbLb0EESX_IbLb1EEEEDaST_SU_EUlST_E0_NS1_11comp_targetILNS1_3genE2ELNS1_11target_archE906ELNS1_3gpuE6ELNS1_3repE0EEENS1_30default_config_static_selectorELNS0_4arch9wavefront6targetE1EEEvT1_.has_recursion, 0
	.set _ZN7rocprim17ROCPRIM_400000_NS6detail17trampoline_kernelINS0_14default_configENS1_20scan_config_selectorIN3c108BFloat16EEEZZNS1_9scan_implILNS1_25lookback_scan_determinismE0ELb0ELb0ES3_PKS6_PS6_S6_ZZZN2at6native31launch_logcumsumexp_cuda_kernelERKNSD_10TensorBaseESH_lENKUlvE_clEvENKUlvE4_clEvEUlS6_S6_E_S6_EEDaPvRmT3_T4_T5_mT6_P12ihipStream_tbENKUlT_T0_E_clISt17integral_constantIbLb0EESX_IbLb1EEEEDaST_SU_EUlST_E0_NS1_11comp_targetILNS1_3genE2ELNS1_11target_archE906ELNS1_3gpuE6ELNS1_3repE0EEENS1_30default_config_static_selectorELNS0_4arch9wavefront6targetE1EEEvT1_.has_indirect_call, 0
	.section	.AMDGPU.csdata,"",@progbits
; Kernel info:
; codeLenInByte = 0
; TotalNumSgprs: 6
; NumVgprs: 0
; NumAgprs: 0
; TotalNumVgprs: 0
; ScratchSize: 0
; MemoryBound: 0
; FloatMode: 240
; IeeeMode: 1
; LDSByteSize: 0 bytes/workgroup (compile time only)
; SGPRBlocks: 0
; VGPRBlocks: 0
; NumSGPRsForWavesPerEU: 6
; NumVGPRsForWavesPerEU: 1
; AccumOffset: 4
; Occupancy: 8
; WaveLimiterHint : 0
; COMPUTE_PGM_RSRC2:SCRATCH_EN: 0
; COMPUTE_PGM_RSRC2:USER_SGPR: 2
; COMPUTE_PGM_RSRC2:TRAP_HANDLER: 0
; COMPUTE_PGM_RSRC2:TGID_X_EN: 1
; COMPUTE_PGM_RSRC2:TGID_Y_EN: 0
; COMPUTE_PGM_RSRC2:TGID_Z_EN: 0
; COMPUTE_PGM_RSRC2:TIDIG_COMP_CNT: 0
; COMPUTE_PGM_RSRC3_GFX90A:ACCUM_OFFSET: 0
; COMPUTE_PGM_RSRC3_GFX90A:TG_SPLIT: 0
	.section	.text._ZN7rocprim17ROCPRIM_400000_NS6detail17trampoline_kernelINS0_14default_configENS1_20scan_config_selectorIN3c108BFloat16EEEZZNS1_9scan_implILNS1_25lookback_scan_determinismE0ELb0ELb0ES3_PKS6_PS6_S6_ZZZN2at6native31launch_logcumsumexp_cuda_kernelERKNSD_10TensorBaseESH_lENKUlvE_clEvENKUlvE4_clEvEUlS6_S6_E_S6_EEDaPvRmT3_T4_T5_mT6_P12ihipStream_tbENKUlT_T0_E_clISt17integral_constantIbLb0EESX_IbLb1EEEEDaST_SU_EUlST_E0_NS1_11comp_targetILNS1_3genE10ELNS1_11target_archE1201ELNS1_3gpuE5ELNS1_3repE0EEENS1_30default_config_static_selectorELNS0_4arch9wavefront6targetE1EEEvT1_,"axG",@progbits,_ZN7rocprim17ROCPRIM_400000_NS6detail17trampoline_kernelINS0_14default_configENS1_20scan_config_selectorIN3c108BFloat16EEEZZNS1_9scan_implILNS1_25lookback_scan_determinismE0ELb0ELb0ES3_PKS6_PS6_S6_ZZZN2at6native31launch_logcumsumexp_cuda_kernelERKNSD_10TensorBaseESH_lENKUlvE_clEvENKUlvE4_clEvEUlS6_S6_E_S6_EEDaPvRmT3_T4_T5_mT6_P12ihipStream_tbENKUlT_T0_E_clISt17integral_constantIbLb0EESX_IbLb1EEEEDaST_SU_EUlST_E0_NS1_11comp_targetILNS1_3genE10ELNS1_11target_archE1201ELNS1_3gpuE5ELNS1_3repE0EEENS1_30default_config_static_selectorELNS0_4arch9wavefront6targetE1EEEvT1_,comdat
	.globl	_ZN7rocprim17ROCPRIM_400000_NS6detail17trampoline_kernelINS0_14default_configENS1_20scan_config_selectorIN3c108BFloat16EEEZZNS1_9scan_implILNS1_25lookback_scan_determinismE0ELb0ELb0ES3_PKS6_PS6_S6_ZZZN2at6native31launch_logcumsumexp_cuda_kernelERKNSD_10TensorBaseESH_lENKUlvE_clEvENKUlvE4_clEvEUlS6_S6_E_S6_EEDaPvRmT3_T4_T5_mT6_P12ihipStream_tbENKUlT_T0_E_clISt17integral_constantIbLb0EESX_IbLb1EEEEDaST_SU_EUlST_E0_NS1_11comp_targetILNS1_3genE10ELNS1_11target_archE1201ELNS1_3gpuE5ELNS1_3repE0EEENS1_30default_config_static_selectorELNS0_4arch9wavefront6targetE1EEEvT1_ ; -- Begin function _ZN7rocprim17ROCPRIM_400000_NS6detail17trampoline_kernelINS0_14default_configENS1_20scan_config_selectorIN3c108BFloat16EEEZZNS1_9scan_implILNS1_25lookback_scan_determinismE0ELb0ELb0ES3_PKS6_PS6_S6_ZZZN2at6native31launch_logcumsumexp_cuda_kernelERKNSD_10TensorBaseESH_lENKUlvE_clEvENKUlvE4_clEvEUlS6_S6_E_S6_EEDaPvRmT3_T4_T5_mT6_P12ihipStream_tbENKUlT_T0_E_clISt17integral_constantIbLb0EESX_IbLb1EEEEDaST_SU_EUlST_E0_NS1_11comp_targetILNS1_3genE10ELNS1_11target_archE1201ELNS1_3gpuE5ELNS1_3repE0EEENS1_30default_config_static_selectorELNS0_4arch9wavefront6targetE1EEEvT1_
	.p2align	8
	.type	_ZN7rocprim17ROCPRIM_400000_NS6detail17trampoline_kernelINS0_14default_configENS1_20scan_config_selectorIN3c108BFloat16EEEZZNS1_9scan_implILNS1_25lookback_scan_determinismE0ELb0ELb0ES3_PKS6_PS6_S6_ZZZN2at6native31launch_logcumsumexp_cuda_kernelERKNSD_10TensorBaseESH_lENKUlvE_clEvENKUlvE4_clEvEUlS6_S6_E_S6_EEDaPvRmT3_T4_T5_mT6_P12ihipStream_tbENKUlT_T0_E_clISt17integral_constantIbLb0EESX_IbLb1EEEEDaST_SU_EUlST_E0_NS1_11comp_targetILNS1_3genE10ELNS1_11target_archE1201ELNS1_3gpuE5ELNS1_3repE0EEENS1_30default_config_static_selectorELNS0_4arch9wavefront6targetE1EEEvT1_,@function
_ZN7rocprim17ROCPRIM_400000_NS6detail17trampoline_kernelINS0_14default_configENS1_20scan_config_selectorIN3c108BFloat16EEEZZNS1_9scan_implILNS1_25lookback_scan_determinismE0ELb0ELb0ES3_PKS6_PS6_S6_ZZZN2at6native31launch_logcumsumexp_cuda_kernelERKNSD_10TensorBaseESH_lENKUlvE_clEvENKUlvE4_clEvEUlS6_S6_E_S6_EEDaPvRmT3_T4_T5_mT6_P12ihipStream_tbENKUlT_T0_E_clISt17integral_constantIbLb0EESX_IbLb1EEEEDaST_SU_EUlST_E0_NS1_11comp_targetILNS1_3genE10ELNS1_11target_archE1201ELNS1_3gpuE5ELNS1_3repE0EEENS1_30default_config_static_selectorELNS0_4arch9wavefront6targetE1EEEvT1_: ; @_ZN7rocprim17ROCPRIM_400000_NS6detail17trampoline_kernelINS0_14default_configENS1_20scan_config_selectorIN3c108BFloat16EEEZZNS1_9scan_implILNS1_25lookback_scan_determinismE0ELb0ELb0ES3_PKS6_PS6_S6_ZZZN2at6native31launch_logcumsumexp_cuda_kernelERKNSD_10TensorBaseESH_lENKUlvE_clEvENKUlvE4_clEvEUlS6_S6_E_S6_EEDaPvRmT3_T4_T5_mT6_P12ihipStream_tbENKUlT_T0_E_clISt17integral_constantIbLb0EESX_IbLb1EEEEDaST_SU_EUlST_E0_NS1_11comp_targetILNS1_3genE10ELNS1_11target_archE1201ELNS1_3gpuE5ELNS1_3repE0EEENS1_30default_config_static_selectorELNS0_4arch9wavefront6targetE1EEEvT1_
; %bb.0:
	.section	.rodata,"a",@progbits
	.p2align	6, 0x0
	.amdhsa_kernel _ZN7rocprim17ROCPRIM_400000_NS6detail17trampoline_kernelINS0_14default_configENS1_20scan_config_selectorIN3c108BFloat16EEEZZNS1_9scan_implILNS1_25lookback_scan_determinismE0ELb0ELb0ES3_PKS6_PS6_S6_ZZZN2at6native31launch_logcumsumexp_cuda_kernelERKNSD_10TensorBaseESH_lENKUlvE_clEvENKUlvE4_clEvEUlS6_S6_E_S6_EEDaPvRmT3_T4_T5_mT6_P12ihipStream_tbENKUlT_T0_E_clISt17integral_constantIbLb0EESX_IbLb1EEEEDaST_SU_EUlST_E0_NS1_11comp_targetILNS1_3genE10ELNS1_11target_archE1201ELNS1_3gpuE5ELNS1_3repE0EEENS1_30default_config_static_selectorELNS0_4arch9wavefront6targetE1EEEvT1_
		.amdhsa_group_segment_fixed_size 0
		.amdhsa_private_segment_fixed_size 0
		.amdhsa_kernarg_size 32
		.amdhsa_user_sgpr_count 2
		.amdhsa_user_sgpr_dispatch_ptr 0
		.amdhsa_user_sgpr_queue_ptr 0
		.amdhsa_user_sgpr_kernarg_segment_ptr 1
		.amdhsa_user_sgpr_dispatch_id 0
		.amdhsa_user_sgpr_kernarg_preload_length 0
		.amdhsa_user_sgpr_kernarg_preload_offset 0
		.amdhsa_user_sgpr_private_segment_size 0
		.amdhsa_uses_dynamic_stack 0
		.amdhsa_enable_private_segment 0
		.amdhsa_system_sgpr_workgroup_id_x 1
		.amdhsa_system_sgpr_workgroup_id_y 0
		.amdhsa_system_sgpr_workgroup_id_z 0
		.amdhsa_system_sgpr_workgroup_info 0
		.amdhsa_system_vgpr_workitem_id 0
		.amdhsa_next_free_vgpr 1
		.amdhsa_next_free_sgpr 0
		.amdhsa_accum_offset 4
		.amdhsa_reserve_vcc 0
		.amdhsa_float_round_mode_32 0
		.amdhsa_float_round_mode_16_64 0
		.amdhsa_float_denorm_mode_32 3
		.amdhsa_float_denorm_mode_16_64 3
		.amdhsa_dx10_clamp 1
		.amdhsa_ieee_mode 1
		.amdhsa_fp16_overflow 0
		.amdhsa_tg_split 0
		.amdhsa_exception_fp_ieee_invalid_op 0
		.amdhsa_exception_fp_denorm_src 0
		.amdhsa_exception_fp_ieee_div_zero 0
		.amdhsa_exception_fp_ieee_overflow 0
		.amdhsa_exception_fp_ieee_underflow 0
		.amdhsa_exception_fp_ieee_inexact 0
		.amdhsa_exception_int_div_zero 0
	.end_amdhsa_kernel
	.section	.text._ZN7rocprim17ROCPRIM_400000_NS6detail17trampoline_kernelINS0_14default_configENS1_20scan_config_selectorIN3c108BFloat16EEEZZNS1_9scan_implILNS1_25lookback_scan_determinismE0ELb0ELb0ES3_PKS6_PS6_S6_ZZZN2at6native31launch_logcumsumexp_cuda_kernelERKNSD_10TensorBaseESH_lENKUlvE_clEvENKUlvE4_clEvEUlS6_S6_E_S6_EEDaPvRmT3_T4_T5_mT6_P12ihipStream_tbENKUlT_T0_E_clISt17integral_constantIbLb0EESX_IbLb1EEEEDaST_SU_EUlST_E0_NS1_11comp_targetILNS1_3genE10ELNS1_11target_archE1201ELNS1_3gpuE5ELNS1_3repE0EEENS1_30default_config_static_selectorELNS0_4arch9wavefront6targetE1EEEvT1_,"axG",@progbits,_ZN7rocprim17ROCPRIM_400000_NS6detail17trampoline_kernelINS0_14default_configENS1_20scan_config_selectorIN3c108BFloat16EEEZZNS1_9scan_implILNS1_25lookback_scan_determinismE0ELb0ELb0ES3_PKS6_PS6_S6_ZZZN2at6native31launch_logcumsumexp_cuda_kernelERKNSD_10TensorBaseESH_lENKUlvE_clEvENKUlvE4_clEvEUlS6_S6_E_S6_EEDaPvRmT3_T4_T5_mT6_P12ihipStream_tbENKUlT_T0_E_clISt17integral_constantIbLb0EESX_IbLb1EEEEDaST_SU_EUlST_E0_NS1_11comp_targetILNS1_3genE10ELNS1_11target_archE1201ELNS1_3gpuE5ELNS1_3repE0EEENS1_30default_config_static_selectorELNS0_4arch9wavefront6targetE1EEEvT1_,comdat
.Lfunc_end517:
	.size	_ZN7rocprim17ROCPRIM_400000_NS6detail17trampoline_kernelINS0_14default_configENS1_20scan_config_selectorIN3c108BFloat16EEEZZNS1_9scan_implILNS1_25lookback_scan_determinismE0ELb0ELb0ES3_PKS6_PS6_S6_ZZZN2at6native31launch_logcumsumexp_cuda_kernelERKNSD_10TensorBaseESH_lENKUlvE_clEvENKUlvE4_clEvEUlS6_S6_E_S6_EEDaPvRmT3_T4_T5_mT6_P12ihipStream_tbENKUlT_T0_E_clISt17integral_constantIbLb0EESX_IbLb1EEEEDaST_SU_EUlST_E0_NS1_11comp_targetILNS1_3genE10ELNS1_11target_archE1201ELNS1_3gpuE5ELNS1_3repE0EEENS1_30default_config_static_selectorELNS0_4arch9wavefront6targetE1EEEvT1_, .Lfunc_end517-_ZN7rocprim17ROCPRIM_400000_NS6detail17trampoline_kernelINS0_14default_configENS1_20scan_config_selectorIN3c108BFloat16EEEZZNS1_9scan_implILNS1_25lookback_scan_determinismE0ELb0ELb0ES3_PKS6_PS6_S6_ZZZN2at6native31launch_logcumsumexp_cuda_kernelERKNSD_10TensorBaseESH_lENKUlvE_clEvENKUlvE4_clEvEUlS6_S6_E_S6_EEDaPvRmT3_T4_T5_mT6_P12ihipStream_tbENKUlT_T0_E_clISt17integral_constantIbLb0EESX_IbLb1EEEEDaST_SU_EUlST_E0_NS1_11comp_targetILNS1_3genE10ELNS1_11target_archE1201ELNS1_3gpuE5ELNS1_3repE0EEENS1_30default_config_static_selectorELNS0_4arch9wavefront6targetE1EEEvT1_
                                        ; -- End function
	.set _ZN7rocprim17ROCPRIM_400000_NS6detail17trampoline_kernelINS0_14default_configENS1_20scan_config_selectorIN3c108BFloat16EEEZZNS1_9scan_implILNS1_25lookback_scan_determinismE0ELb0ELb0ES3_PKS6_PS6_S6_ZZZN2at6native31launch_logcumsumexp_cuda_kernelERKNSD_10TensorBaseESH_lENKUlvE_clEvENKUlvE4_clEvEUlS6_S6_E_S6_EEDaPvRmT3_T4_T5_mT6_P12ihipStream_tbENKUlT_T0_E_clISt17integral_constantIbLb0EESX_IbLb1EEEEDaST_SU_EUlST_E0_NS1_11comp_targetILNS1_3genE10ELNS1_11target_archE1201ELNS1_3gpuE5ELNS1_3repE0EEENS1_30default_config_static_selectorELNS0_4arch9wavefront6targetE1EEEvT1_.num_vgpr, 0
	.set _ZN7rocprim17ROCPRIM_400000_NS6detail17trampoline_kernelINS0_14default_configENS1_20scan_config_selectorIN3c108BFloat16EEEZZNS1_9scan_implILNS1_25lookback_scan_determinismE0ELb0ELb0ES3_PKS6_PS6_S6_ZZZN2at6native31launch_logcumsumexp_cuda_kernelERKNSD_10TensorBaseESH_lENKUlvE_clEvENKUlvE4_clEvEUlS6_S6_E_S6_EEDaPvRmT3_T4_T5_mT6_P12ihipStream_tbENKUlT_T0_E_clISt17integral_constantIbLb0EESX_IbLb1EEEEDaST_SU_EUlST_E0_NS1_11comp_targetILNS1_3genE10ELNS1_11target_archE1201ELNS1_3gpuE5ELNS1_3repE0EEENS1_30default_config_static_selectorELNS0_4arch9wavefront6targetE1EEEvT1_.num_agpr, 0
	.set _ZN7rocprim17ROCPRIM_400000_NS6detail17trampoline_kernelINS0_14default_configENS1_20scan_config_selectorIN3c108BFloat16EEEZZNS1_9scan_implILNS1_25lookback_scan_determinismE0ELb0ELb0ES3_PKS6_PS6_S6_ZZZN2at6native31launch_logcumsumexp_cuda_kernelERKNSD_10TensorBaseESH_lENKUlvE_clEvENKUlvE4_clEvEUlS6_S6_E_S6_EEDaPvRmT3_T4_T5_mT6_P12ihipStream_tbENKUlT_T0_E_clISt17integral_constantIbLb0EESX_IbLb1EEEEDaST_SU_EUlST_E0_NS1_11comp_targetILNS1_3genE10ELNS1_11target_archE1201ELNS1_3gpuE5ELNS1_3repE0EEENS1_30default_config_static_selectorELNS0_4arch9wavefront6targetE1EEEvT1_.numbered_sgpr, 0
	.set _ZN7rocprim17ROCPRIM_400000_NS6detail17trampoline_kernelINS0_14default_configENS1_20scan_config_selectorIN3c108BFloat16EEEZZNS1_9scan_implILNS1_25lookback_scan_determinismE0ELb0ELb0ES3_PKS6_PS6_S6_ZZZN2at6native31launch_logcumsumexp_cuda_kernelERKNSD_10TensorBaseESH_lENKUlvE_clEvENKUlvE4_clEvEUlS6_S6_E_S6_EEDaPvRmT3_T4_T5_mT6_P12ihipStream_tbENKUlT_T0_E_clISt17integral_constantIbLb0EESX_IbLb1EEEEDaST_SU_EUlST_E0_NS1_11comp_targetILNS1_3genE10ELNS1_11target_archE1201ELNS1_3gpuE5ELNS1_3repE0EEENS1_30default_config_static_selectorELNS0_4arch9wavefront6targetE1EEEvT1_.num_named_barrier, 0
	.set _ZN7rocprim17ROCPRIM_400000_NS6detail17trampoline_kernelINS0_14default_configENS1_20scan_config_selectorIN3c108BFloat16EEEZZNS1_9scan_implILNS1_25lookback_scan_determinismE0ELb0ELb0ES3_PKS6_PS6_S6_ZZZN2at6native31launch_logcumsumexp_cuda_kernelERKNSD_10TensorBaseESH_lENKUlvE_clEvENKUlvE4_clEvEUlS6_S6_E_S6_EEDaPvRmT3_T4_T5_mT6_P12ihipStream_tbENKUlT_T0_E_clISt17integral_constantIbLb0EESX_IbLb1EEEEDaST_SU_EUlST_E0_NS1_11comp_targetILNS1_3genE10ELNS1_11target_archE1201ELNS1_3gpuE5ELNS1_3repE0EEENS1_30default_config_static_selectorELNS0_4arch9wavefront6targetE1EEEvT1_.private_seg_size, 0
	.set _ZN7rocprim17ROCPRIM_400000_NS6detail17trampoline_kernelINS0_14default_configENS1_20scan_config_selectorIN3c108BFloat16EEEZZNS1_9scan_implILNS1_25lookback_scan_determinismE0ELb0ELb0ES3_PKS6_PS6_S6_ZZZN2at6native31launch_logcumsumexp_cuda_kernelERKNSD_10TensorBaseESH_lENKUlvE_clEvENKUlvE4_clEvEUlS6_S6_E_S6_EEDaPvRmT3_T4_T5_mT6_P12ihipStream_tbENKUlT_T0_E_clISt17integral_constantIbLb0EESX_IbLb1EEEEDaST_SU_EUlST_E0_NS1_11comp_targetILNS1_3genE10ELNS1_11target_archE1201ELNS1_3gpuE5ELNS1_3repE0EEENS1_30default_config_static_selectorELNS0_4arch9wavefront6targetE1EEEvT1_.uses_vcc, 0
	.set _ZN7rocprim17ROCPRIM_400000_NS6detail17trampoline_kernelINS0_14default_configENS1_20scan_config_selectorIN3c108BFloat16EEEZZNS1_9scan_implILNS1_25lookback_scan_determinismE0ELb0ELb0ES3_PKS6_PS6_S6_ZZZN2at6native31launch_logcumsumexp_cuda_kernelERKNSD_10TensorBaseESH_lENKUlvE_clEvENKUlvE4_clEvEUlS6_S6_E_S6_EEDaPvRmT3_T4_T5_mT6_P12ihipStream_tbENKUlT_T0_E_clISt17integral_constantIbLb0EESX_IbLb1EEEEDaST_SU_EUlST_E0_NS1_11comp_targetILNS1_3genE10ELNS1_11target_archE1201ELNS1_3gpuE5ELNS1_3repE0EEENS1_30default_config_static_selectorELNS0_4arch9wavefront6targetE1EEEvT1_.uses_flat_scratch, 0
	.set _ZN7rocprim17ROCPRIM_400000_NS6detail17trampoline_kernelINS0_14default_configENS1_20scan_config_selectorIN3c108BFloat16EEEZZNS1_9scan_implILNS1_25lookback_scan_determinismE0ELb0ELb0ES3_PKS6_PS6_S6_ZZZN2at6native31launch_logcumsumexp_cuda_kernelERKNSD_10TensorBaseESH_lENKUlvE_clEvENKUlvE4_clEvEUlS6_S6_E_S6_EEDaPvRmT3_T4_T5_mT6_P12ihipStream_tbENKUlT_T0_E_clISt17integral_constantIbLb0EESX_IbLb1EEEEDaST_SU_EUlST_E0_NS1_11comp_targetILNS1_3genE10ELNS1_11target_archE1201ELNS1_3gpuE5ELNS1_3repE0EEENS1_30default_config_static_selectorELNS0_4arch9wavefront6targetE1EEEvT1_.has_dyn_sized_stack, 0
	.set _ZN7rocprim17ROCPRIM_400000_NS6detail17trampoline_kernelINS0_14default_configENS1_20scan_config_selectorIN3c108BFloat16EEEZZNS1_9scan_implILNS1_25lookback_scan_determinismE0ELb0ELb0ES3_PKS6_PS6_S6_ZZZN2at6native31launch_logcumsumexp_cuda_kernelERKNSD_10TensorBaseESH_lENKUlvE_clEvENKUlvE4_clEvEUlS6_S6_E_S6_EEDaPvRmT3_T4_T5_mT6_P12ihipStream_tbENKUlT_T0_E_clISt17integral_constantIbLb0EESX_IbLb1EEEEDaST_SU_EUlST_E0_NS1_11comp_targetILNS1_3genE10ELNS1_11target_archE1201ELNS1_3gpuE5ELNS1_3repE0EEENS1_30default_config_static_selectorELNS0_4arch9wavefront6targetE1EEEvT1_.has_recursion, 0
	.set _ZN7rocprim17ROCPRIM_400000_NS6detail17trampoline_kernelINS0_14default_configENS1_20scan_config_selectorIN3c108BFloat16EEEZZNS1_9scan_implILNS1_25lookback_scan_determinismE0ELb0ELb0ES3_PKS6_PS6_S6_ZZZN2at6native31launch_logcumsumexp_cuda_kernelERKNSD_10TensorBaseESH_lENKUlvE_clEvENKUlvE4_clEvEUlS6_S6_E_S6_EEDaPvRmT3_T4_T5_mT6_P12ihipStream_tbENKUlT_T0_E_clISt17integral_constantIbLb0EESX_IbLb1EEEEDaST_SU_EUlST_E0_NS1_11comp_targetILNS1_3genE10ELNS1_11target_archE1201ELNS1_3gpuE5ELNS1_3repE0EEENS1_30default_config_static_selectorELNS0_4arch9wavefront6targetE1EEEvT1_.has_indirect_call, 0
	.section	.AMDGPU.csdata,"",@progbits
; Kernel info:
; codeLenInByte = 0
; TotalNumSgprs: 6
; NumVgprs: 0
; NumAgprs: 0
; TotalNumVgprs: 0
; ScratchSize: 0
; MemoryBound: 0
; FloatMode: 240
; IeeeMode: 1
; LDSByteSize: 0 bytes/workgroup (compile time only)
; SGPRBlocks: 0
; VGPRBlocks: 0
; NumSGPRsForWavesPerEU: 6
; NumVGPRsForWavesPerEU: 1
; AccumOffset: 4
; Occupancy: 8
; WaveLimiterHint : 0
; COMPUTE_PGM_RSRC2:SCRATCH_EN: 0
; COMPUTE_PGM_RSRC2:USER_SGPR: 2
; COMPUTE_PGM_RSRC2:TRAP_HANDLER: 0
; COMPUTE_PGM_RSRC2:TGID_X_EN: 1
; COMPUTE_PGM_RSRC2:TGID_Y_EN: 0
; COMPUTE_PGM_RSRC2:TGID_Z_EN: 0
; COMPUTE_PGM_RSRC2:TIDIG_COMP_CNT: 0
; COMPUTE_PGM_RSRC3_GFX90A:ACCUM_OFFSET: 0
; COMPUTE_PGM_RSRC3_GFX90A:TG_SPLIT: 0
	.section	.text._ZN7rocprim17ROCPRIM_400000_NS6detail17trampoline_kernelINS0_14default_configENS1_20scan_config_selectorIN3c108BFloat16EEEZZNS1_9scan_implILNS1_25lookback_scan_determinismE0ELb0ELb0ES3_PKS6_PS6_S6_ZZZN2at6native31launch_logcumsumexp_cuda_kernelERKNSD_10TensorBaseESH_lENKUlvE_clEvENKUlvE4_clEvEUlS6_S6_E_S6_EEDaPvRmT3_T4_T5_mT6_P12ihipStream_tbENKUlT_T0_E_clISt17integral_constantIbLb0EESX_IbLb1EEEEDaST_SU_EUlST_E0_NS1_11comp_targetILNS1_3genE10ELNS1_11target_archE1200ELNS1_3gpuE4ELNS1_3repE0EEENS1_30default_config_static_selectorELNS0_4arch9wavefront6targetE1EEEvT1_,"axG",@progbits,_ZN7rocprim17ROCPRIM_400000_NS6detail17trampoline_kernelINS0_14default_configENS1_20scan_config_selectorIN3c108BFloat16EEEZZNS1_9scan_implILNS1_25lookback_scan_determinismE0ELb0ELb0ES3_PKS6_PS6_S6_ZZZN2at6native31launch_logcumsumexp_cuda_kernelERKNSD_10TensorBaseESH_lENKUlvE_clEvENKUlvE4_clEvEUlS6_S6_E_S6_EEDaPvRmT3_T4_T5_mT6_P12ihipStream_tbENKUlT_T0_E_clISt17integral_constantIbLb0EESX_IbLb1EEEEDaST_SU_EUlST_E0_NS1_11comp_targetILNS1_3genE10ELNS1_11target_archE1200ELNS1_3gpuE4ELNS1_3repE0EEENS1_30default_config_static_selectorELNS0_4arch9wavefront6targetE1EEEvT1_,comdat
	.globl	_ZN7rocprim17ROCPRIM_400000_NS6detail17trampoline_kernelINS0_14default_configENS1_20scan_config_selectorIN3c108BFloat16EEEZZNS1_9scan_implILNS1_25lookback_scan_determinismE0ELb0ELb0ES3_PKS6_PS6_S6_ZZZN2at6native31launch_logcumsumexp_cuda_kernelERKNSD_10TensorBaseESH_lENKUlvE_clEvENKUlvE4_clEvEUlS6_S6_E_S6_EEDaPvRmT3_T4_T5_mT6_P12ihipStream_tbENKUlT_T0_E_clISt17integral_constantIbLb0EESX_IbLb1EEEEDaST_SU_EUlST_E0_NS1_11comp_targetILNS1_3genE10ELNS1_11target_archE1200ELNS1_3gpuE4ELNS1_3repE0EEENS1_30default_config_static_selectorELNS0_4arch9wavefront6targetE1EEEvT1_ ; -- Begin function _ZN7rocprim17ROCPRIM_400000_NS6detail17trampoline_kernelINS0_14default_configENS1_20scan_config_selectorIN3c108BFloat16EEEZZNS1_9scan_implILNS1_25lookback_scan_determinismE0ELb0ELb0ES3_PKS6_PS6_S6_ZZZN2at6native31launch_logcumsumexp_cuda_kernelERKNSD_10TensorBaseESH_lENKUlvE_clEvENKUlvE4_clEvEUlS6_S6_E_S6_EEDaPvRmT3_T4_T5_mT6_P12ihipStream_tbENKUlT_T0_E_clISt17integral_constantIbLb0EESX_IbLb1EEEEDaST_SU_EUlST_E0_NS1_11comp_targetILNS1_3genE10ELNS1_11target_archE1200ELNS1_3gpuE4ELNS1_3repE0EEENS1_30default_config_static_selectorELNS0_4arch9wavefront6targetE1EEEvT1_
	.p2align	8
	.type	_ZN7rocprim17ROCPRIM_400000_NS6detail17trampoline_kernelINS0_14default_configENS1_20scan_config_selectorIN3c108BFloat16EEEZZNS1_9scan_implILNS1_25lookback_scan_determinismE0ELb0ELb0ES3_PKS6_PS6_S6_ZZZN2at6native31launch_logcumsumexp_cuda_kernelERKNSD_10TensorBaseESH_lENKUlvE_clEvENKUlvE4_clEvEUlS6_S6_E_S6_EEDaPvRmT3_T4_T5_mT6_P12ihipStream_tbENKUlT_T0_E_clISt17integral_constantIbLb0EESX_IbLb1EEEEDaST_SU_EUlST_E0_NS1_11comp_targetILNS1_3genE10ELNS1_11target_archE1200ELNS1_3gpuE4ELNS1_3repE0EEENS1_30default_config_static_selectorELNS0_4arch9wavefront6targetE1EEEvT1_,@function
_ZN7rocprim17ROCPRIM_400000_NS6detail17trampoline_kernelINS0_14default_configENS1_20scan_config_selectorIN3c108BFloat16EEEZZNS1_9scan_implILNS1_25lookback_scan_determinismE0ELb0ELb0ES3_PKS6_PS6_S6_ZZZN2at6native31launch_logcumsumexp_cuda_kernelERKNSD_10TensorBaseESH_lENKUlvE_clEvENKUlvE4_clEvEUlS6_S6_E_S6_EEDaPvRmT3_T4_T5_mT6_P12ihipStream_tbENKUlT_T0_E_clISt17integral_constantIbLb0EESX_IbLb1EEEEDaST_SU_EUlST_E0_NS1_11comp_targetILNS1_3genE10ELNS1_11target_archE1200ELNS1_3gpuE4ELNS1_3repE0EEENS1_30default_config_static_selectorELNS0_4arch9wavefront6targetE1EEEvT1_: ; @_ZN7rocprim17ROCPRIM_400000_NS6detail17trampoline_kernelINS0_14default_configENS1_20scan_config_selectorIN3c108BFloat16EEEZZNS1_9scan_implILNS1_25lookback_scan_determinismE0ELb0ELb0ES3_PKS6_PS6_S6_ZZZN2at6native31launch_logcumsumexp_cuda_kernelERKNSD_10TensorBaseESH_lENKUlvE_clEvENKUlvE4_clEvEUlS6_S6_E_S6_EEDaPvRmT3_T4_T5_mT6_P12ihipStream_tbENKUlT_T0_E_clISt17integral_constantIbLb0EESX_IbLb1EEEEDaST_SU_EUlST_E0_NS1_11comp_targetILNS1_3genE10ELNS1_11target_archE1200ELNS1_3gpuE4ELNS1_3repE0EEENS1_30default_config_static_selectorELNS0_4arch9wavefront6targetE1EEEvT1_
; %bb.0:
	.section	.rodata,"a",@progbits
	.p2align	6, 0x0
	.amdhsa_kernel _ZN7rocprim17ROCPRIM_400000_NS6detail17trampoline_kernelINS0_14default_configENS1_20scan_config_selectorIN3c108BFloat16EEEZZNS1_9scan_implILNS1_25lookback_scan_determinismE0ELb0ELb0ES3_PKS6_PS6_S6_ZZZN2at6native31launch_logcumsumexp_cuda_kernelERKNSD_10TensorBaseESH_lENKUlvE_clEvENKUlvE4_clEvEUlS6_S6_E_S6_EEDaPvRmT3_T4_T5_mT6_P12ihipStream_tbENKUlT_T0_E_clISt17integral_constantIbLb0EESX_IbLb1EEEEDaST_SU_EUlST_E0_NS1_11comp_targetILNS1_3genE10ELNS1_11target_archE1200ELNS1_3gpuE4ELNS1_3repE0EEENS1_30default_config_static_selectorELNS0_4arch9wavefront6targetE1EEEvT1_
		.amdhsa_group_segment_fixed_size 0
		.amdhsa_private_segment_fixed_size 0
		.amdhsa_kernarg_size 32
		.amdhsa_user_sgpr_count 2
		.amdhsa_user_sgpr_dispatch_ptr 0
		.amdhsa_user_sgpr_queue_ptr 0
		.amdhsa_user_sgpr_kernarg_segment_ptr 1
		.amdhsa_user_sgpr_dispatch_id 0
		.amdhsa_user_sgpr_kernarg_preload_length 0
		.amdhsa_user_sgpr_kernarg_preload_offset 0
		.amdhsa_user_sgpr_private_segment_size 0
		.amdhsa_uses_dynamic_stack 0
		.amdhsa_enable_private_segment 0
		.amdhsa_system_sgpr_workgroup_id_x 1
		.amdhsa_system_sgpr_workgroup_id_y 0
		.amdhsa_system_sgpr_workgroup_id_z 0
		.amdhsa_system_sgpr_workgroup_info 0
		.amdhsa_system_vgpr_workitem_id 0
		.amdhsa_next_free_vgpr 1
		.amdhsa_next_free_sgpr 0
		.amdhsa_accum_offset 4
		.amdhsa_reserve_vcc 0
		.amdhsa_float_round_mode_32 0
		.amdhsa_float_round_mode_16_64 0
		.amdhsa_float_denorm_mode_32 3
		.amdhsa_float_denorm_mode_16_64 3
		.amdhsa_dx10_clamp 1
		.amdhsa_ieee_mode 1
		.amdhsa_fp16_overflow 0
		.amdhsa_tg_split 0
		.amdhsa_exception_fp_ieee_invalid_op 0
		.amdhsa_exception_fp_denorm_src 0
		.amdhsa_exception_fp_ieee_div_zero 0
		.amdhsa_exception_fp_ieee_overflow 0
		.amdhsa_exception_fp_ieee_underflow 0
		.amdhsa_exception_fp_ieee_inexact 0
		.amdhsa_exception_int_div_zero 0
	.end_amdhsa_kernel
	.section	.text._ZN7rocprim17ROCPRIM_400000_NS6detail17trampoline_kernelINS0_14default_configENS1_20scan_config_selectorIN3c108BFloat16EEEZZNS1_9scan_implILNS1_25lookback_scan_determinismE0ELb0ELb0ES3_PKS6_PS6_S6_ZZZN2at6native31launch_logcumsumexp_cuda_kernelERKNSD_10TensorBaseESH_lENKUlvE_clEvENKUlvE4_clEvEUlS6_S6_E_S6_EEDaPvRmT3_T4_T5_mT6_P12ihipStream_tbENKUlT_T0_E_clISt17integral_constantIbLb0EESX_IbLb1EEEEDaST_SU_EUlST_E0_NS1_11comp_targetILNS1_3genE10ELNS1_11target_archE1200ELNS1_3gpuE4ELNS1_3repE0EEENS1_30default_config_static_selectorELNS0_4arch9wavefront6targetE1EEEvT1_,"axG",@progbits,_ZN7rocprim17ROCPRIM_400000_NS6detail17trampoline_kernelINS0_14default_configENS1_20scan_config_selectorIN3c108BFloat16EEEZZNS1_9scan_implILNS1_25lookback_scan_determinismE0ELb0ELb0ES3_PKS6_PS6_S6_ZZZN2at6native31launch_logcumsumexp_cuda_kernelERKNSD_10TensorBaseESH_lENKUlvE_clEvENKUlvE4_clEvEUlS6_S6_E_S6_EEDaPvRmT3_T4_T5_mT6_P12ihipStream_tbENKUlT_T0_E_clISt17integral_constantIbLb0EESX_IbLb1EEEEDaST_SU_EUlST_E0_NS1_11comp_targetILNS1_3genE10ELNS1_11target_archE1200ELNS1_3gpuE4ELNS1_3repE0EEENS1_30default_config_static_selectorELNS0_4arch9wavefront6targetE1EEEvT1_,comdat
.Lfunc_end518:
	.size	_ZN7rocprim17ROCPRIM_400000_NS6detail17trampoline_kernelINS0_14default_configENS1_20scan_config_selectorIN3c108BFloat16EEEZZNS1_9scan_implILNS1_25lookback_scan_determinismE0ELb0ELb0ES3_PKS6_PS6_S6_ZZZN2at6native31launch_logcumsumexp_cuda_kernelERKNSD_10TensorBaseESH_lENKUlvE_clEvENKUlvE4_clEvEUlS6_S6_E_S6_EEDaPvRmT3_T4_T5_mT6_P12ihipStream_tbENKUlT_T0_E_clISt17integral_constantIbLb0EESX_IbLb1EEEEDaST_SU_EUlST_E0_NS1_11comp_targetILNS1_3genE10ELNS1_11target_archE1200ELNS1_3gpuE4ELNS1_3repE0EEENS1_30default_config_static_selectorELNS0_4arch9wavefront6targetE1EEEvT1_, .Lfunc_end518-_ZN7rocprim17ROCPRIM_400000_NS6detail17trampoline_kernelINS0_14default_configENS1_20scan_config_selectorIN3c108BFloat16EEEZZNS1_9scan_implILNS1_25lookback_scan_determinismE0ELb0ELb0ES3_PKS6_PS6_S6_ZZZN2at6native31launch_logcumsumexp_cuda_kernelERKNSD_10TensorBaseESH_lENKUlvE_clEvENKUlvE4_clEvEUlS6_S6_E_S6_EEDaPvRmT3_T4_T5_mT6_P12ihipStream_tbENKUlT_T0_E_clISt17integral_constantIbLb0EESX_IbLb1EEEEDaST_SU_EUlST_E0_NS1_11comp_targetILNS1_3genE10ELNS1_11target_archE1200ELNS1_3gpuE4ELNS1_3repE0EEENS1_30default_config_static_selectorELNS0_4arch9wavefront6targetE1EEEvT1_
                                        ; -- End function
	.set _ZN7rocprim17ROCPRIM_400000_NS6detail17trampoline_kernelINS0_14default_configENS1_20scan_config_selectorIN3c108BFloat16EEEZZNS1_9scan_implILNS1_25lookback_scan_determinismE0ELb0ELb0ES3_PKS6_PS6_S6_ZZZN2at6native31launch_logcumsumexp_cuda_kernelERKNSD_10TensorBaseESH_lENKUlvE_clEvENKUlvE4_clEvEUlS6_S6_E_S6_EEDaPvRmT3_T4_T5_mT6_P12ihipStream_tbENKUlT_T0_E_clISt17integral_constantIbLb0EESX_IbLb1EEEEDaST_SU_EUlST_E0_NS1_11comp_targetILNS1_3genE10ELNS1_11target_archE1200ELNS1_3gpuE4ELNS1_3repE0EEENS1_30default_config_static_selectorELNS0_4arch9wavefront6targetE1EEEvT1_.num_vgpr, 0
	.set _ZN7rocprim17ROCPRIM_400000_NS6detail17trampoline_kernelINS0_14default_configENS1_20scan_config_selectorIN3c108BFloat16EEEZZNS1_9scan_implILNS1_25lookback_scan_determinismE0ELb0ELb0ES3_PKS6_PS6_S6_ZZZN2at6native31launch_logcumsumexp_cuda_kernelERKNSD_10TensorBaseESH_lENKUlvE_clEvENKUlvE4_clEvEUlS6_S6_E_S6_EEDaPvRmT3_T4_T5_mT6_P12ihipStream_tbENKUlT_T0_E_clISt17integral_constantIbLb0EESX_IbLb1EEEEDaST_SU_EUlST_E0_NS1_11comp_targetILNS1_3genE10ELNS1_11target_archE1200ELNS1_3gpuE4ELNS1_3repE0EEENS1_30default_config_static_selectorELNS0_4arch9wavefront6targetE1EEEvT1_.num_agpr, 0
	.set _ZN7rocprim17ROCPRIM_400000_NS6detail17trampoline_kernelINS0_14default_configENS1_20scan_config_selectorIN3c108BFloat16EEEZZNS1_9scan_implILNS1_25lookback_scan_determinismE0ELb0ELb0ES3_PKS6_PS6_S6_ZZZN2at6native31launch_logcumsumexp_cuda_kernelERKNSD_10TensorBaseESH_lENKUlvE_clEvENKUlvE4_clEvEUlS6_S6_E_S6_EEDaPvRmT3_T4_T5_mT6_P12ihipStream_tbENKUlT_T0_E_clISt17integral_constantIbLb0EESX_IbLb1EEEEDaST_SU_EUlST_E0_NS1_11comp_targetILNS1_3genE10ELNS1_11target_archE1200ELNS1_3gpuE4ELNS1_3repE0EEENS1_30default_config_static_selectorELNS0_4arch9wavefront6targetE1EEEvT1_.numbered_sgpr, 0
	.set _ZN7rocprim17ROCPRIM_400000_NS6detail17trampoline_kernelINS0_14default_configENS1_20scan_config_selectorIN3c108BFloat16EEEZZNS1_9scan_implILNS1_25lookback_scan_determinismE0ELb0ELb0ES3_PKS6_PS6_S6_ZZZN2at6native31launch_logcumsumexp_cuda_kernelERKNSD_10TensorBaseESH_lENKUlvE_clEvENKUlvE4_clEvEUlS6_S6_E_S6_EEDaPvRmT3_T4_T5_mT6_P12ihipStream_tbENKUlT_T0_E_clISt17integral_constantIbLb0EESX_IbLb1EEEEDaST_SU_EUlST_E0_NS1_11comp_targetILNS1_3genE10ELNS1_11target_archE1200ELNS1_3gpuE4ELNS1_3repE0EEENS1_30default_config_static_selectorELNS0_4arch9wavefront6targetE1EEEvT1_.num_named_barrier, 0
	.set _ZN7rocprim17ROCPRIM_400000_NS6detail17trampoline_kernelINS0_14default_configENS1_20scan_config_selectorIN3c108BFloat16EEEZZNS1_9scan_implILNS1_25lookback_scan_determinismE0ELb0ELb0ES3_PKS6_PS6_S6_ZZZN2at6native31launch_logcumsumexp_cuda_kernelERKNSD_10TensorBaseESH_lENKUlvE_clEvENKUlvE4_clEvEUlS6_S6_E_S6_EEDaPvRmT3_T4_T5_mT6_P12ihipStream_tbENKUlT_T0_E_clISt17integral_constantIbLb0EESX_IbLb1EEEEDaST_SU_EUlST_E0_NS1_11comp_targetILNS1_3genE10ELNS1_11target_archE1200ELNS1_3gpuE4ELNS1_3repE0EEENS1_30default_config_static_selectorELNS0_4arch9wavefront6targetE1EEEvT1_.private_seg_size, 0
	.set _ZN7rocprim17ROCPRIM_400000_NS6detail17trampoline_kernelINS0_14default_configENS1_20scan_config_selectorIN3c108BFloat16EEEZZNS1_9scan_implILNS1_25lookback_scan_determinismE0ELb0ELb0ES3_PKS6_PS6_S6_ZZZN2at6native31launch_logcumsumexp_cuda_kernelERKNSD_10TensorBaseESH_lENKUlvE_clEvENKUlvE4_clEvEUlS6_S6_E_S6_EEDaPvRmT3_T4_T5_mT6_P12ihipStream_tbENKUlT_T0_E_clISt17integral_constantIbLb0EESX_IbLb1EEEEDaST_SU_EUlST_E0_NS1_11comp_targetILNS1_3genE10ELNS1_11target_archE1200ELNS1_3gpuE4ELNS1_3repE0EEENS1_30default_config_static_selectorELNS0_4arch9wavefront6targetE1EEEvT1_.uses_vcc, 0
	.set _ZN7rocprim17ROCPRIM_400000_NS6detail17trampoline_kernelINS0_14default_configENS1_20scan_config_selectorIN3c108BFloat16EEEZZNS1_9scan_implILNS1_25lookback_scan_determinismE0ELb0ELb0ES3_PKS6_PS6_S6_ZZZN2at6native31launch_logcumsumexp_cuda_kernelERKNSD_10TensorBaseESH_lENKUlvE_clEvENKUlvE4_clEvEUlS6_S6_E_S6_EEDaPvRmT3_T4_T5_mT6_P12ihipStream_tbENKUlT_T0_E_clISt17integral_constantIbLb0EESX_IbLb1EEEEDaST_SU_EUlST_E0_NS1_11comp_targetILNS1_3genE10ELNS1_11target_archE1200ELNS1_3gpuE4ELNS1_3repE0EEENS1_30default_config_static_selectorELNS0_4arch9wavefront6targetE1EEEvT1_.uses_flat_scratch, 0
	.set _ZN7rocprim17ROCPRIM_400000_NS6detail17trampoline_kernelINS0_14default_configENS1_20scan_config_selectorIN3c108BFloat16EEEZZNS1_9scan_implILNS1_25lookback_scan_determinismE0ELb0ELb0ES3_PKS6_PS6_S6_ZZZN2at6native31launch_logcumsumexp_cuda_kernelERKNSD_10TensorBaseESH_lENKUlvE_clEvENKUlvE4_clEvEUlS6_S6_E_S6_EEDaPvRmT3_T4_T5_mT6_P12ihipStream_tbENKUlT_T0_E_clISt17integral_constantIbLb0EESX_IbLb1EEEEDaST_SU_EUlST_E0_NS1_11comp_targetILNS1_3genE10ELNS1_11target_archE1200ELNS1_3gpuE4ELNS1_3repE0EEENS1_30default_config_static_selectorELNS0_4arch9wavefront6targetE1EEEvT1_.has_dyn_sized_stack, 0
	.set _ZN7rocprim17ROCPRIM_400000_NS6detail17trampoline_kernelINS0_14default_configENS1_20scan_config_selectorIN3c108BFloat16EEEZZNS1_9scan_implILNS1_25lookback_scan_determinismE0ELb0ELb0ES3_PKS6_PS6_S6_ZZZN2at6native31launch_logcumsumexp_cuda_kernelERKNSD_10TensorBaseESH_lENKUlvE_clEvENKUlvE4_clEvEUlS6_S6_E_S6_EEDaPvRmT3_T4_T5_mT6_P12ihipStream_tbENKUlT_T0_E_clISt17integral_constantIbLb0EESX_IbLb1EEEEDaST_SU_EUlST_E0_NS1_11comp_targetILNS1_3genE10ELNS1_11target_archE1200ELNS1_3gpuE4ELNS1_3repE0EEENS1_30default_config_static_selectorELNS0_4arch9wavefront6targetE1EEEvT1_.has_recursion, 0
	.set _ZN7rocprim17ROCPRIM_400000_NS6detail17trampoline_kernelINS0_14default_configENS1_20scan_config_selectorIN3c108BFloat16EEEZZNS1_9scan_implILNS1_25lookback_scan_determinismE0ELb0ELb0ES3_PKS6_PS6_S6_ZZZN2at6native31launch_logcumsumexp_cuda_kernelERKNSD_10TensorBaseESH_lENKUlvE_clEvENKUlvE4_clEvEUlS6_S6_E_S6_EEDaPvRmT3_T4_T5_mT6_P12ihipStream_tbENKUlT_T0_E_clISt17integral_constantIbLb0EESX_IbLb1EEEEDaST_SU_EUlST_E0_NS1_11comp_targetILNS1_3genE10ELNS1_11target_archE1200ELNS1_3gpuE4ELNS1_3repE0EEENS1_30default_config_static_selectorELNS0_4arch9wavefront6targetE1EEEvT1_.has_indirect_call, 0
	.section	.AMDGPU.csdata,"",@progbits
; Kernel info:
; codeLenInByte = 0
; TotalNumSgprs: 6
; NumVgprs: 0
; NumAgprs: 0
; TotalNumVgprs: 0
; ScratchSize: 0
; MemoryBound: 0
; FloatMode: 240
; IeeeMode: 1
; LDSByteSize: 0 bytes/workgroup (compile time only)
; SGPRBlocks: 0
; VGPRBlocks: 0
; NumSGPRsForWavesPerEU: 6
; NumVGPRsForWavesPerEU: 1
; AccumOffset: 4
; Occupancy: 8
; WaveLimiterHint : 0
; COMPUTE_PGM_RSRC2:SCRATCH_EN: 0
; COMPUTE_PGM_RSRC2:USER_SGPR: 2
; COMPUTE_PGM_RSRC2:TRAP_HANDLER: 0
; COMPUTE_PGM_RSRC2:TGID_X_EN: 1
; COMPUTE_PGM_RSRC2:TGID_Y_EN: 0
; COMPUTE_PGM_RSRC2:TGID_Z_EN: 0
; COMPUTE_PGM_RSRC2:TIDIG_COMP_CNT: 0
; COMPUTE_PGM_RSRC3_GFX90A:ACCUM_OFFSET: 0
; COMPUTE_PGM_RSRC3_GFX90A:TG_SPLIT: 0
	.section	.text._ZN7rocprim17ROCPRIM_400000_NS6detail17trampoline_kernelINS0_14default_configENS1_20scan_config_selectorIN3c108BFloat16EEEZZNS1_9scan_implILNS1_25lookback_scan_determinismE0ELb0ELb0ES3_PKS6_PS6_S6_ZZZN2at6native31launch_logcumsumexp_cuda_kernelERKNSD_10TensorBaseESH_lENKUlvE_clEvENKUlvE4_clEvEUlS6_S6_E_S6_EEDaPvRmT3_T4_T5_mT6_P12ihipStream_tbENKUlT_T0_E_clISt17integral_constantIbLb0EESX_IbLb1EEEEDaST_SU_EUlST_E0_NS1_11comp_targetILNS1_3genE9ELNS1_11target_archE1100ELNS1_3gpuE3ELNS1_3repE0EEENS1_30default_config_static_selectorELNS0_4arch9wavefront6targetE1EEEvT1_,"axG",@progbits,_ZN7rocprim17ROCPRIM_400000_NS6detail17trampoline_kernelINS0_14default_configENS1_20scan_config_selectorIN3c108BFloat16EEEZZNS1_9scan_implILNS1_25lookback_scan_determinismE0ELb0ELb0ES3_PKS6_PS6_S6_ZZZN2at6native31launch_logcumsumexp_cuda_kernelERKNSD_10TensorBaseESH_lENKUlvE_clEvENKUlvE4_clEvEUlS6_S6_E_S6_EEDaPvRmT3_T4_T5_mT6_P12ihipStream_tbENKUlT_T0_E_clISt17integral_constantIbLb0EESX_IbLb1EEEEDaST_SU_EUlST_E0_NS1_11comp_targetILNS1_3genE9ELNS1_11target_archE1100ELNS1_3gpuE3ELNS1_3repE0EEENS1_30default_config_static_selectorELNS0_4arch9wavefront6targetE1EEEvT1_,comdat
	.globl	_ZN7rocprim17ROCPRIM_400000_NS6detail17trampoline_kernelINS0_14default_configENS1_20scan_config_selectorIN3c108BFloat16EEEZZNS1_9scan_implILNS1_25lookback_scan_determinismE0ELb0ELb0ES3_PKS6_PS6_S6_ZZZN2at6native31launch_logcumsumexp_cuda_kernelERKNSD_10TensorBaseESH_lENKUlvE_clEvENKUlvE4_clEvEUlS6_S6_E_S6_EEDaPvRmT3_T4_T5_mT6_P12ihipStream_tbENKUlT_T0_E_clISt17integral_constantIbLb0EESX_IbLb1EEEEDaST_SU_EUlST_E0_NS1_11comp_targetILNS1_3genE9ELNS1_11target_archE1100ELNS1_3gpuE3ELNS1_3repE0EEENS1_30default_config_static_selectorELNS0_4arch9wavefront6targetE1EEEvT1_ ; -- Begin function _ZN7rocprim17ROCPRIM_400000_NS6detail17trampoline_kernelINS0_14default_configENS1_20scan_config_selectorIN3c108BFloat16EEEZZNS1_9scan_implILNS1_25lookback_scan_determinismE0ELb0ELb0ES3_PKS6_PS6_S6_ZZZN2at6native31launch_logcumsumexp_cuda_kernelERKNSD_10TensorBaseESH_lENKUlvE_clEvENKUlvE4_clEvEUlS6_S6_E_S6_EEDaPvRmT3_T4_T5_mT6_P12ihipStream_tbENKUlT_T0_E_clISt17integral_constantIbLb0EESX_IbLb1EEEEDaST_SU_EUlST_E0_NS1_11comp_targetILNS1_3genE9ELNS1_11target_archE1100ELNS1_3gpuE3ELNS1_3repE0EEENS1_30default_config_static_selectorELNS0_4arch9wavefront6targetE1EEEvT1_
	.p2align	8
	.type	_ZN7rocprim17ROCPRIM_400000_NS6detail17trampoline_kernelINS0_14default_configENS1_20scan_config_selectorIN3c108BFloat16EEEZZNS1_9scan_implILNS1_25lookback_scan_determinismE0ELb0ELb0ES3_PKS6_PS6_S6_ZZZN2at6native31launch_logcumsumexp_cuda_kernelERKNSD_10TensorBaseESH_lENKUlvE_clEvENKUlvE4_clEvEUlS6_S6_E_S6_EEDaPvRmT3_T4_T5_mT6_P12ihipStream_tbENKUlT_T0_E_clISt17integral_constantIbLb0EESX_IbLb1EEEEDaST_SU_EUlST_E0_NS1_11comp_targetILNS1_3genE9ELNS1_11target_archE1100ELNS1_3gpuE3ELNS1_3repE0EEENS1_30default_config_static_selectorELNS0_4arch9wavefront6targetE1EEEvT1_,@function
_ZN7rocprim17ROCPRIM_400000_NS6detail17trampoline_kernelINS0_14default_configENS1_20scan_config_selectorIN3c108BFloat16EEEZZNS1_9scan_implILNS1_25lookback_scan_determinismE0ELb0ELb0ES3_PKS6_PS6_S6_ZZZN2at6native31launch_logcumsumexp_cuda_kernelERKNSD_10TensorBaseESH_lENKUlvE_clEvENKUlvE4_clEvEUlS6_S6_E_S6_EEDaPvRmT3_T4_T5_mT6_P12ihipStream_tbENKUlT_T0_E_clISt17integral_constantIbLb0EESX_IbLb1EEEEDaST_SU_EUlST_E0_NS1_11comp_targetILNS1_3genE9ELNS1_11target_archE1100ELNS1_3gpuE3ELNS1_3repE0EEENS1_30default_config_static_selectorELNS0_4arch9wavefront6targetE1EEEvT1_: ; @_ZN7rocprim17ROCPRIM_400000_NS6detail17trampoline_kernelINS0_14default_configENS1_20scan_config_selectorIN3c108BFloat16EEEZZNS1_9scan_implILNS1_25lookback_scan_determinismE0ELb0ELb0ES3_PKS6_PS6_S6_ZZZN2at6native31launch_logcumsumexp_cuda_kernelERKNSD_10TensorBaseESH_lENKUlvE_clEvENKUlvE4_clEvEUlS6_S6_E_S6_EEDaPvRmT3_T4_T5_mT6_P12ihipStream_tbENKUlT_T0_E_clISt17integral_constantIbLb0EESX_IbLb1EEEEDaST_SU_EUlST_E0_NS1_11comp_targetILNS1_3genE9ELNS1_11target_archE1100ELNS1_3gpuE3ELNS1_3repE0EEENS1_30default_config_static_selectorELNS0_4arch9wavefront6targetE1EEEvT1_
; %bb.0:
	.section	.rodata,"a",@progbits
	.p2align	6, 0x0
	.amdhsa_kernel _ZN7rocprim17ROCPRIM_400000_NS6detail17trampoline_kernelINS0_14default_configENS1_20scan_config_selectorIN3c108BFloat16EEEZZNS1_9scan_implILNS1_25lookback_scan_determinismE0ELb0ELb0ES3_PKS6_PS6_S6_ZZZN2at6native31launch_logcumsumexp_cuda_kernelERKNSD_10TensorBaseESH_lENKUlvE_clEvENKUlvE4_clEvEUlS6_S6_E_S6_EEDaPvRmT3_T4_T5_mT6_P12ihipStream_tbENKUlT_T0_E_clISt17integral_constantIbLb0EESX_IbLb1EEEEDaST_SU_EUlST_E0_NS1_11comp_targetILNS1_3genE9ELNS1_11target_archE1100ELNS1_3gpuE3ELNS1_3repE0EEENS1_30default_config_static_selectorELNS0_4arch9wavefront6targetE1EEEvT1_
		.amdhsa_group_segment_fixed_size 0
		.amdhsa_private_segment_fixed_size 0
		.amdhsa_kernarg_size 32
		.amdhsa_user_sgpr_count 2
		.amdhsa_user_sgpr_dispatch_ptr 0
		.amdhsa_user_sgpr_queue_ptr 0
		.amdhsa_user_sgpr_kernarg_segment_ptr 1
		.amdhsa_user_sgpr_dispatch_id 0
		.amdhsa_user_sgpr_kernarg_preload_length 0
		.amdhsa_user_sgpr_kernarg_preload_offset 0
		.amdhsa_user_sgpr_private_segment_size 0
		.amdhsa_uses_dynamic_stack 0
		.amdhsa_enable_private_segment 0
		.amdhsa_system_sgpr_workgroup_id_x 1
		.amdhsa_system_sgpr_workgroup_id_y 0
		.amdhsa_system_sgpr_workgroup_id_z 0
		.amdhsa_system_sgpr_workgroup_info 0
		.amdhsa_system_vgpr_workitem_id 0
		.amdhsa_next_free_vgpr 1
		.amdhsa_next_free_sgpr 0
		.amdhsa_accum_offset 4
		.amdhsa_reserve_vcc 0
		.amdhsa_float_round_mode_32 0
		.amdhsa_float_round_mode_16_64 0
		.amdhsa_float_denorm_mode_32 3
		.amdhsa_float_denorm_mode_16_64 3
		.amdhsa_dx10_clamp 1
		.amdhsa_ieee_mode 1
		.amdhsa_fp16_overflow 0
		.amdhsa_tg_split 0
		.amdhsa_exception_fp_ieee_invalid_op 0
		.amdhsa_exception_fp_denorm_src 0
		.amdhsa_exception_fp_ieee_div_zero 0
		.amdhsa_exception_fp_ieee_overflow 0
		.amdhsa_exception_fp_ieee_underflow 0
		.amdhsa_exception_fp_ieee_inexact 0
		.amdhsa_exception_int_div_zero 0
	.end_amdhsa_kernel
	.section	.text._ZN7rocprim17ROCPRIM_400000_NS6detail17trampoline_kernelINS0_14default_configENS1_20scan_config_selectorIN3c108BFloat16EEEZZNS1_9scan_implILNS1_25lookback_scan_determinismE0ELb0ELb0ES3_PKS6_PS6_S6_ZZZN2at6native31launch_logcumsumexp_cuda_kernelERKNSD_10TensorBaseESH_lENKUlvE_clEvENKUlvE4_clEvEUlS6_S6_E_S6_EEDaPvRmT3_T4_T5_mT6_P12ihipStream_tbENKUlT_T0_E_clISt17integral_constantIbLb0EESX_IbLb1EEEEDaST_SU_EUlST_E0_NS1_11comp_targetILNS1_3genE9ELNS1_11target_archE1100ELNS1_3gpuE3ELNS1_3repE0EEENS1_30default_config_static_selectorELNS0_4arch9wavefront6targetE1EEEvT1_,"axG",@progbits,_ZN7rocprim17ROCPRIM_400000_NS6detail17trampoline_kernelINS0_14default_configENS1_20scan_config_selectorIN3c108BFloat16EEEZZNS1_9scan_implILNS1_25lookback_scan_determinismE0ELb0ELb0ES3_PKS6_PS6_S6_ZZZN2at6native31launch_logcumsumexp_cuda_kernelERKNSD_10TensorBaseESH_lENKUlvE_clEvENKUlvE4_clEvEUlS6_S6_E_S6_EEDaPvRmT3_T4_T5_mT6_P12ihipStream_tbENKUlT_T0_E_clISt17integral_constantIbLb0EESX_IbLb1EEEEDaST_SU_EUlST_E0_NS1_11comp_targetILNS1_3genE9ELNS1_11target_archE1100ELNS1_3gpuE3ELNS1_3repE0EEENS1_30default_config_static_selectorELNS0_4arch9wavefront6targetE1EEEvT1_,comdat
.Lfunc_end519:
	.size	_ZN7rocprim17ROCPRIM_400000_NS6detail17trampoline_kernelINS0_14default_configENS1_20scan_config_selectorIN3c108BFloat16EEEZZNS1_9scan_implILNS1_25lookback_scan_determinismE0ELb0ELb0ES3_PKS6_PS6_S6_ZZZN2at6native31launch_logcumsumexp_cuda_kernelERKNSD_10TensorBaseESH_lENKUlvE_clEvENKUlvE4_clEvEUlS6_S6_E_S6_EEDaPvRmT3_T4_T5_mT6_P12ihipStream_tbENKUlT_T0_E_clISt17integral_constantIbLb0EESX_IbLb1EEEEDaST_SU_EUlST_E0_NS1_11comp_targetILNS1_3genE9ELNS1_11target_archE1100ELNS1_3gpuE3ELNS1_3repE0EEENS1_30default_config_static_selectorELNS0_4arch9wavefront6targetE1EEEvT1_, .Lfunc_end519-_ZN7rocprim17ROCPRIM_400000_NS6detail17trampoline_kernelINS0_14default_configENS1_20scan_config_selectorIN3c108BFloat16EEEZZNS1_9scan_implILNS1_25lookback_scan_determinismE0ELb0ELb0ES3_PKS6_PS6_S6_ZZZN2at6native31launch_logcumsumexp_cuda_kernelERKNSD_10TensorBaseESH_lENKUlvE_clEvENKUlvE4_clEvEUlS6_S6_E_S6_EEDaPvRmT3_T4_T5_mT6_P12ihipStream_tbENKUlT_T0_E_clISt17integral_constantIbLb0EESX_IbLb1EEEEDaST_SU_EUlST_E0_NS1_11comp_targetILNS1_3genE9ELNS1_11target_archE1100ELNS1_3gpuE3ELNS1_3repE0EEENS1_30default_config_static_selectorELNS0_4arch9wavefront6targetE1EEEvT1_
                                        ; -- End function
	.set _ZN7rocprim17ROCPRIM_400000_NS6detail17trampoline_kernelINS0_14default_configENS1_20scan_config_selectorIN3c108BFloat16EEEZZNS1_9scan_implILNS1_25lookback_scan_determinismE0ELb0ELb0ES3_PKS6_PS6_S6_ZZZN2at6native31launch_logcumsumexp_cuda_kernelERKNSD_10TensorBaseESH_lENKUlvE_clEvENKUlvE4_clEvEUlS6_S6_E_S6_EEDaPvRmT3_T4_T5_mT6_P12ihipStream_tbENKUlT_T0_E_clISt17integral_constantIbLb0EESX_IbLb1EEEEDaST_SU_EUlST_E0_NS1_11comp_targetILNS1_3genE9ELNS1_11target_archE1100ELNS1_3gpuE3ELNS1_3repE0EEENS1_30default_config_static_selectorELNS0_4arch9wavefront6targetE1EEEvT1_.num_vgpr, 0
	.set _ZN7rocprim17ROCPRIM_400000_NS6detail17trampoline_kernelINS0_14default_configENS1_20scan_config_selectorIN3c108BFloat16EEEZZNS1_9scan_implILNS1_25lookback_scan_determinismE0ELb0ELb0ES3_PKS6_PS6_S6_ZZZN2at6native31launch_logcumsumexp_cuda_kernelERKNSD_10TensorBaseESH_lENKUlvE_clEvENKUlvE4_clEvEUlS6_S6_E_S6_EEDaPvRmT3_T4_T5_mT6_P12ihipStream_tbENKUlT_T0_E_clISt17integral_constantIbLb0EESX_IbLb1EEEEDaST_SU_EUlST_E0_NS1_11comp_targetILNS1_3genE9ELNS1_11target_archE1100ELNS1_3gpuE3ELNS1_3repE0EEENS1_30default_config_static_selectorELNS0_4arch9wavefront6targetE1EEEvT1_.num_agpr, 0
	.set _ZN7rocprim17ROCPRIM_400000_NS6detail17trampoline_kernelINS0_14default_configENS1_20scan_config_selectorIN3c108BFloat16EEEZZNS1_9scan_implILNS1_25lookback_scan_determinismE0ELb0ELb0ES3_PKS6_PS6_S6_ZZZN2at6native31launch_logcumsumexp_cuda_kernelERKNSD_10TensorBaseESH_lENKUlvE_clEvENKUlvE4_clEvEUlS6_S6_E_S6_EEDaPvRmT3_T4_T5_mT6_P12ihipStream_tbENKUlT_T0_E_clISt17integral_constantIbLb0EESX_IbLb1EEEEDaST_SU_EUlST_E0_NS1_11comp_targetILNS1_3genE9ELNS1_11target_archE1100ELNS1_3gpuE3ELNS1_3repE0EEENS1_30default_config_static_selectorELNS0_4arch9wavefront6targetE1EEEvT1_.numbered_sgpr, 0
	.set _ZN7rocprim17ROCPRIM_400000_NS6detail17trampoline_kernelINS0_14default_configENS1_20scan_config_selectorIN3c108BFloat16EEEZZNS1_9scan_implILNS1_25lookback_scan_determinismE0ELb0ELb0ES3_PKS6_PS6_S6_ZZZN2at6native31launch_logcumsumexp_cuda_kernelERKNSD_10TensorBaseESH_lENKUlvE_clEvENKUlvE4_clEvEUlS6_S6_E_S6_EEDaPvRmT3_T4_T5_mT6_P12ihipStream_tbENKUlT_T0_E_clISt17integral_constantIbLb0EESX_IbLb1EEEEDaST_SU_EUlST_E0_NS1_11comp_targetILNS1_3genE9ELNS1_11target_archE1100ELNS1_3gpuE3ELNS1_3repE0EEENS1_30default_config_static_selectorELNS0_4arch9wavefront6targetE1EEEvT1_.num_named_barrier, 0
	.set _ZN7rocprim17ROCPRIM_400000_NS6detail17trampoline_kernelINS0_14default_configENS1_20scan_config_selectorIN3c108BFloat16EEEZZNS1_9scan_implILNS1_25lookback_scan_determinismE0ELb0ELb0ES3_PKS6_PS6_S6_ZZZN2at6native31launch_logcumsumexp_cuda_kernelERKNSD_10TensorBaseESH_lENKUlvE_clEvENKUlvE4_clEvEUlS6_S6_E_S6_EEDaPvRmT3_T4_T5_mT6_P12ihipStream_tbENKUlT_T0_E_clISt17integral_constantIbLb0EESX_IbLb1EEEEDaST_SU_EUlST_E0_NS1_11comp_targetILNS1_3genE9ELNS1_11target_archE1100ELNS1_3gpuE3ELNS1_3repE0EEENS1_30default_config_static_selectorELNS0_4arch9wavefront6targetE1EEEvT1_.private_seg_size, 0
	.set _ZN7rocprim17ROCPRIM_400000_NS6detail17trampoline_kernelINS0_14default_configENS1_20scan_config_selectorIN3c108BFloat16EEEZZNS1_9scan_implILNS1_25lookback_scan_determinismE0ELb0ELb0ES3_PKS6_PS6_S6_ZZZN2at6native31launch_logcumsumexp_cuda_kernelERKNSD_10TensorBaseESH_lENKUlvE_clEvENKUlvE4_clEvEUlS6_S6_E_S6_EEDaPvRmT3_T4_T5_mT6_P12ihipStream_tbENKUlT_T0_E_clISt17integral_constantIbLb0EESX_IbLb1EEEEDaST_SU_EUlST_E0_NS1_11comp_targetILNS1_3genE9ELNS1_11target_archE1100ELNS1_3gpuE3ELNS1_3repE0EEENS1_30default_config_static_selectorELNS0_4arch9wavefront6targetE1EEEvT1_.uses_vcc, 0
	.set _ZN7rocprim17ROCPRIM_400000_NS6detail17trampoline_kernelINS0_14default_configENS1_20scan_config_selectorIN3c108BFloat16EEEZZNS1_9scan_implILNS1_25lookback_scan_determinismE0ELb0ELb0ES3_PKS6_PS6_S6_ZZZN2at6native31launch_logcumsumexp_cuda_kernelERKNSD_10TensorBaseESH_lENKUlvE_clEvENKUlvE4_clEvEUlS6_S6_E_S6_EEDaPvRmT3_T4_T5_mT6_P12ihipStream_tbENKUlT_T0_E_clISt17integral_constantIbLb0EESX_IbLb1EEEEDaST_SU_EUlST_E0_NS1_11comp_targetILNS1_3genE9ELNS1_11target_archE1100ELNS1_3gpuE3ELNS1_3repE0EEENS1_30default_config_static_selectorELNS0_4arch9wavefront6targetE1EEEvT1_.uses_flat_scratch, 0
	.set _ZN7rocprim17ROCPRIM_400000_NS6detail17trampoline_kernelINS0_14default_configENS1_20scan_config_selectorIN3c108BFloat16EEEZZNS1_9scan_implILNS1_25lookback_scan_determinismE0ELb0ELb0ES3_PKS6_PS6_S6_ZZZN2at6native31launch_logcumsumexp_cuda_kernelERKNSD_10TensorBaseESH_lENKUlvE_clEvENKUlvE4_clEvEUlS6_S6_E_S6_EEDaPvRmT3_T4_T5_mT6_P12ihipStream_tbENKUlT_T0_E_clISt17integral_constantIbLb0EESX_IbLb1EEEEDaST_SU_EUlST_E0_NS1_11comp_targetILNS1_3genE9ELNS1_11target_archE1100ELNS1_3gpuE3ELNS1_3repE0EEENS1_30default_config_static_selectorELNS0_4arch9wavefront6targetE1EEEvT1_.has_dyn_sized_stack, 0
	.set _ZN7rocprim17ROCPRIM_400000_NS6detail17trampoline_kernelINS0_14default_configENS1_20scan_config_selectorIN3c108BFloat16EEEZZNS1_9scan_implILNS1_25lookback_scan_determinismE0ELb0ELb0ES3_PKS6_PS6_S6_ZZZN2at6native31launch_logcumsumexp_cuda_kernelERKNSD_10TensorBaseESH_lENKUlvE_clEvENKUlvE4_clEvEUlS6_S6_E_S6_EEDaPvRmT3_T4_T5_mT6_P12ihipStream_tbENKUlT_T0_E_clISt17integral_constantIbLb0EESX_IbLb1EEEEDaST_SU_EUlST_E0_NS1_11comp_targetILNS1_3genE9ELNS1_11target_archE1100ELNS1_3gpuE3ELNS1_3repE0EEENS1_30default_config_static_selectorELNS0_4arch9wavefront6targetE1EEEvT1_.has_recursion, 0
	.set _ZN7rocprim17ROCPRIM_400000_NS6detail17trampoline_kernelINS0_14default_configENS1_20scan_config_selectorIN3c108BFloat16EEEZZNS1_9scan_implILNS1_25lookback_scan_determinismE0ELb0ELb0ES3_PKS6_PS6_S6_ZZZN2at6native31launch_logcumsumexp_cuda_kernelERKNSD_10TensorBaseESH_lENKUlvE_clEvENKUlvE4_clEvEUlS6_S6_E_S6_EEDaPvRmT3_T4_T5_mT6_P12ihipStream_tbENKUlT_T0_E_clISt17integral_constantIbLb0EESX_IbLb1EEEEDaST_SU_EUlST_E0_NS1_11comp_targetILNS1_3genE9ELNS1_11target_archE1100ELNS1_3gpuE3ELNS1_3repE0EEENS1_30default_config_static_selectorELNS0_4arch9wavefront6targetE1EEEvT1_.has_indirect_call, 0
	.section	.AMDGPU.csdata,"",@progbits
; Kernel info:
; codeLenInByte = 0
; TotalNumSgprs: 6
; NumVgprs: 0
; NumAgprs: 0
; TotalNumVgprs: 0
; ScratchSize: 0
; MemoryBound: 0
; FloatMode: 240
; IeeeMode: 1
; LDSByteSize: 0 bytes/workgroup (compile time only)
; SGPRBlocks: 0
; VGPRBlocks: 0
; NumSGPRsForWavesPerEU: 6
; NumVGPRsForWavesPerEU: 1
; AccumOffset: 4
; Occupancy: 8
; WaveLimiterHint : 0
; COMPUTE_PGM_RSRC2:SCRATCH_EN: 0
; COMPUTE_PGM_RSRC2:USER_SGPR: 2
; COMPUTE_PGM_RSRC2:TRAP_HANDLER: 0
; COMPUTE_PGM_RSRC2:TGID_X_EN: 1
; COMPUTE_PGM_RSRC2:TGID_Y_EN: 0
; COMPUTE_PGM_RSRC2:TGID_Z_EN: 0
; COMPUTE_PGM_RSRC2:TIDIG_COMP_CNT: 0
; COMPUTE_PGM_RSRC3_GFX90A:ACCUM_OFFSET: 0
; COMPUTE_PGM_RSRC3_GFX90A:TG_SPLIT: 0
	.section	.text._ZN7rocprim17ROCPRIM_400000_NS6detail17trampoline_kernelINS0_14default_configENS1_20scan_config_selectorIN3c108BFloat16EEEZZNS1_9scan_implILNS1_25lookback_scan_determinismE0ELb0ELb0ES3_PKS6_PS6_S6_ZZZN2at6native31launch_logcumsumexp_cuda_kernelERKNSD_10TensorBaseESH_lENKUlvE_clEvENKUlvE4_clEvEUlS6_S6_E_S6_EEDaPvRmT3_T4_T5_mT6_P12ihipStream_tbENKUlT_T0_E_clISt17integral_constantIbLb0EESX_IbLb1EEEEDaST_SU_EUlST_E0_NS1_11comp_targetILNS1_3genE8ELNS1_11target_archE1030ELNS1_3gpuE2ELNS1_3repE0EEENS1_30default_config_static_selectorELNS0_4arch9wavefront6targetE1EEEvT1_,"axG",@progbits,_ZN7rocprim17ROCPRIM_400000_NS6detail17trampoline_kernelINS0_14default_configENS1_20scan_config_selectorIN3c108BFloat16EEEZZNS1_9scan_implILNS1_25lookback_scan_determinismE0ELb0ELb0ES3_PKS6_PS6_S6_ZZZN2at6native31launch_logcumsumexp_cuda_kernelERKNSD_10TensorBaseESH_lENKUlvE_clEvENKUlvE4_clEvEUlS6_S6_E_S6_EEDaPvRmT3_T4_T5_mT6_P12ihipStream_tbENKUlT_T0_E_clISt17integral_constantIbLb0EESX_IbLb1EEEEDaST_SU_EUlST_E0_NS1_11comp_targetILNS1_3genE8ELNS1_11target_archE1030ELNS1_3gpuE2ELNS1_3repE0EEENS1_30default_config_static_selectorELNS0_4arch9wavefront6targetE1EEEvT1_,comdat
	.globl	_ZN7rocprim17ROCPRIM_400000_NS6detail17trampoline_kernelINS0_14default_configENS1_20scan_config_selectorIN3c108BFloat16EEEZZNS1_9scan_implILNS1_25lookback_scan_determinismE0ELb0ELb0ES3_PKS6_PS6_S6_ZZZN2at6native31launch_logcumsumexp_cuda_kernelERKNSD_10TensorBaseESH_lENKUlvE_clEvENKUlvE4_clEvEUlS6_S6_E_S6_EEDaPvRmT3_T4_T5_mT6_P12ihipStream_tbENKUlT_T0_E_clISt17integral_constantIbLb0EESX_IbLb1EEEEDaST_SU_EUlST_E0_NS1_11comp_targetILNS1_3genE8ELNS1_11target_archE1030ELNS1_3gpuE2ELNS1_3repE0EEENS1_30default_config_static_selectorELNS0_4arch9wavefront6targetE1EEEvT1_ ; -- Begin function _ZN7rocprim17ROCPRIM_400000_NS6detail17trampoline_kernelINS0_14default_configENS1_20scan_config_selectorIN3c108BFloat16EEEZZNS1_9scan_implILNS1_25lookback_scan_determinismE0ELb0ELb0ES3_PKS6_PS6_S6_ZZZN2at6native31launch_logcumsumexp_cuda_kernelERKNSD_10TensorBaseESH_lENKUlvE_clEvENKUlvE4_clEvEUlS6_S6_E_S6_EEDaPvRmT3_T4_T5_mT6_P12ihipStream_tbENKUlT_T0_E_clISt17integral_constantIbLb0EESX_IbLb1EEEEDaST_SU_EUlST_E0_NS1_11comp_targetILNS1_3genE8ELNS1_11target_archE1030ELNS1_3gpuE2ELNS1_3repE0EEENS1_30default_config_static_selectorELNS0_4arch9wavefront6targetE1EEEvT1_
	.p2align	8
	.type	_ZN7rocprim17ROCPRIM_400000_NS6detail17trampoline_kernelINS0_14default_configENS1_20scan_config_selectorIN3c108BFloat16EEEZZNS1_9scan_implILNS1_25lookback_scan_determinismE0ELb0ELb0ES3_PKS6_PS6_S6_ZZZN2at6native31launch_logcumsumexp_cuda_kernelERKNSD_10TensorBaseESH_lENKUlvE_clEvENKUlvE4_clEvEUlS6_S6_E_S6_EEDaPvRmT3_T4_T5_mT6_P12ihipStream_tbENKUlT_T0_E_clISt17integral_constantIbLb0EESX_IbLb1EEEEDaST_SU_EUlST_E0_NS1_11comp_targetILNS1_3genE8ELNS1_11target_archE1030ELNS1_3gpuE2ELNS1_3repE0EEENS1_30default_config_static_selectorELNS0_4arch9wavefront6targetE1EEEvT1_,@function
_ZN7rocprim17ROCPRIM_400000_NS6detail17trampoline_kernelINS0_14default_configENS1_20scan_config_selectorIN3c108BFloat16EEEZZNS1_9scan_implILNS1_25lookback_scan_determinismE0ELb0ELb0ES3_PKS6_PS6_S6_ZZZN2at6native31launch_logcumsumexp_cuda_kernelERKNSD_10TensorBaseESH_lENKUlvE_clEvENKUlvE4_clEvEUlS6_S6_E_S6_EEDaPvRmT3_T4_T5_mT6_P12ihipStream_tbENKUlT_T0_E_clISt17integral_constantIbLb0EESX_IbLb1EEEEDaST_SU_EUlST_E0_NS1_11comp_targetILNS1_3genE8ELNS1_11target_archE1030ELNS1_3gpuE2ELNS1_3repE0EEENS1_30default_config_static_selectorELNS0_4arch9wavefront6targetE1EEEvT1_: ; @_ZN7rocprim17ROCPRIM_400000_NS6detail17trampoline_kernelINS0_14default_configENS1_20scan_config_selectorIN3c108BFloat16EEEZZNS1_9scan_implILNS1_25lookback_scan_determinismE0ELb0ELb0ES3_PKS6_PS6_S6_ZZZN2at6native31launch_logcumsumexp_cuda_kernelERKNSD_10TensorBaseESH_lENKUlvE_clEvENKUlvE4_clEvEUlS6_S6_E_S6_EEDaPvRmT3_T4_T5_mT6_P12ihipStream_tbENKUlT_T0_E_clISt17integral_constantIbLb0EESX_IbLb1EEEEDaST_SU_EUlST_E0_NS1_11comp_targetILNS1_3genE8ELNS1_11target_archE1030ELNS1_3gpuE2ELNS1_3repE0EEENS1_30default_config_static_selectorELNS0_4arch9wavefront6targetE1EEEvT1_
; %bb.0:
	.section	.rodata,"a",@progbits
	.p2align	6, 0x0
	.amdhsa_kernel _ZN7rocprim17ROCPRIM_400000_NS6detail17trampoline_kernelINS0_14default_configENS1_20scan_config_selectorIN3c108BFloat16EEEZZNS1_9scan_implILNS1_25lookback_scan_determinismE0ELb0ELb0ES3_PKS6_PS6_S6_ZZZN2at6native31launch_logcumsumexp_cuda_kernelERKNSD_10TensorBaseESH_lENKUlvE_clEvENKUlvE4_clEvEUlS6_S6_E_S6_EEDaPvRmT3_T4_T5_mT6_P12ihipStream_tbENKUlT_T0_E_clISt17integral_constantIbLb0EESX_IbLb1EEEEDaST_SU_EUlST_E0_NS1_11comp_targetILNS1_3genE8ELNS1_11target_archE1030ELNS1_3gpuE2ELNS1_3repE0EEENS1_30default_config_static_selectorELNS0_4arch9wavefront6targetE1EEEvT1_
		.amdhsa_group_segment_fixed_size 0
		.amdhsa_private_segment_fixed_size 0
		.amdhsa_kernarg_size 32
		.amdhsa_user_sgpr_count 2
		.amdhsa_user_sgpr_dispatch_ptr 0
		.amdhsa_user_sgpr_queue_ptr 0
		.amdhsa_user_sgpr_kernarg_segment_ptr 1
		.amdhsa_user_sgpr_dispatch_id 0
		.amdhsa_user_sgpr_kernarg_preload_length 0
		.amdhsa_user_sgpr_kernarg_preload_offset 0
		.amdhsa_user_sgpr_private_segment_size 0
		.amdhsa_uses_dynamic_stack 0
		.amdhsa_enable_private_segment 0
		.amdhsa_system_sgpr_workgroup_id_x 1
		.amdhsa_system_sgpr_workgroup_id_y 0
		.amdhsa_system_sgpr_workgroup_id_z 0
		.amdhsa_system_sgpr_workgroup_info 0
		.amdhsa_system_vgpr_workitem_id 0
		.amdhsa_next_free_vgpr 1
		.amdhsa_next_free_sgpr 0
		.amdhsa_accum_offset 4
		.amdhsa_reserve_vcc 0
		.amdhsa_float_round_mode_32 0
		.amdhsa_float_round_mode_16_64 0
		.amdhsa_float_denorm_mode_32 3
		.amdhsa_float_denorm_mode_16_64 3
		.amdhsa_dx10_clamp 1
		.amdhsa_ieee_mode 1
		.amdhsa_fp16_overflow 0
		.amdhsa_tg_split 0
		.amdhsa_exception_fp_ieee_invalid_op 0
		.amdhsa_exception_fp_denorm_src 0
		.amdhsa_exception_fp_ieee_div_zero 0
		.amdhsa_exception_fp_ieee_overflow 0
		.amdhsa_exception_fp_ieee_underflow 0
		.amdhsa_exception_fp_ieee_inexact 0
		.amdhsa_exception_int_div_zero 0
	.end_amdhsa_kernel
	.section	.text._ZN7rocprim17ROCPRIM_400000_NS6detail17trampoline_kernelINS0_14default_configENS1_20scan_config_selectorIN3c108BFloat16EEEZZNS1_9scan_implILNS1_25lookback_scan_determinismE0ELb0ELb0ES3_PKS6_PS6_S6_ZZZN2at6native31launch_logcumsumexp_cuda_kernelERKNSD_10TensorBaseESH_lENKUlvE_clEvENKUlvE4_clEvEUlS6_S6_E_S6_EEDaPvRmT3_T4_T5_mT6_P12ihipStream_tbENKUlT_T0_E_clISt17integral_constantIbLb0EESX_IbLb1EEEEDaST_SU_EUlST_E0_NS1_11comp_targetILNS1_3genE8ELNS1_11target_archE1030ELNS1_3gpuE2ELNS1_3repE0EEENS1_30default_config_static_selectorELNS0_4arch9wavefront6targetE1EEEvT1_,"axG",@progbits,_ZN7rocprim17ROCPRIM_400000_NS6detail17trampoline_kernelINS0_14default_configENS1_20scan_config_selectorIN3c108BFloat16EEEZZNS1_9scan_implILNS1_25lookback_scan_determinismE0ELb0ELb0ES3_PKS6_PS6_S6_ZZZN2at6native31launch_logcumsumexp_cuda_kernelERKNSD_10TensorBaseESH_lENKUlvE_clEvENKUlvE4_clEvEUlS6_S6_E_S6_EEDaPvRmT3_T4_T5_mT6_P12ihipStream_tbENKUlT_T0_E_clISt17integral_constantIbLb0EESX_IbLb1EEEEDaST_SU_EUlST_E0_NS1_11comp_targetILNS1_3genE8ELNS1_11target_archE1030ELNS1_3gpuE2ELNS1_3repE0EEENS1_30default_config_static_selectorELNS0_4arch9wavefront6targetE1EEEvT1_,comdat
.Lfunc_end520:
	.size	_ZN7rocprim17ROCPRIM_400000_NS6detail17trampoline_kernelINS0_14default_configENS1_20scan_config_selectorIN3c108BFloat16EEEZZNS1_9scan_implILNS1_25lookback_scan_determinismE0ELb0ELb0ES3_PKS6_PS6_S6_ZZZN2at6native31launch_logcumsumexp_cuda_kernelERKNSD_10TensorBaseESH_lENKUlvE_clEvENKUlvE4_clEvEUlS6_S6_E_S6_EEDaPvRmT3_T4_T5_mT6_P12ihipStream_tbENKUlT_T0_E_clISt17integral_constantIbLb0EESX_IbLb1EEEEDaST_SU_EUlST_E0_NS1_11comp_targetILNS1_3genE8ELNS1_11target_archE1030ELNS1_3gpuE2ELNS1_3repE0EEENS1_30default_config_static_selectorELNS0_4arch9wavefront6targetE1EEEvT1_, .Lfunc_end520-_ZN7rocprim17ROCPRIM_400000_NS6detail17trampoline_kernelINS0_14default_configENS1_20scan_config_selectorIN3c108BFloat16EEEZZNS1_9scan_implILNS1_25lookback_scan_determinismE0ELb0ELb0ES3_PKS6_PS6_S6_ZZZN2at6native31launch_logcumsumexp_cuda_kernelERKNSD_10TensorBaseESH_lENKUlvE_clEvENKUlvE4_clEvEUlS6_S6_E_S6_EEDaPvRmT3_T4_T5_mT6_P12ihipStream_tbENKUlT_T0_E_clISt17integral_constantIbLb0EESX_IbLb1EEEEDaST_SU_EUlST_E0_NS1_11comp_targetILNS1_3genE8ELNS1_11target_archE1030ELNS1_3gpuE2ELNS1_3repE0EEENS1_30default_config_static_selectorELNS0_4arch9wavefront6targetE1EEEvT1_
                                        ; -- End function
	.set _ZN7rocprim17ROCPRIM_400000_NS6detail17trampoline_kernelINS0_14default_configENS1_20scan_config_selectorIN3c108BFloat16EEEZZNS1_9scan_implILNS1_25lookback_scan_determinismE0ELb0ELb0ES3_PKS6_PS6_S6_ZZZN2at6native31launch_logcumsumexp_cuda_kernelERKNSD_10TensorBaseESH_lENKUlvE_clEvENKUlvE4_clEvEUlS6_S6_E_S6_EEDaPvRmT3_T4_T5_mT6_P12ihipStream_tbENKUlT_T0_E_clISt17integral_constantIbLb0EESX_IbLb1EEEEDaST_SU_EUlST_E0_NS1_11comp_targetILNS1_3genE8ELNS1_11target_archE1030ELNS1_3gpuE2ELNS1_3repE0EEENS1_30default_config_static_selectorELNS0_4arch9wavefront6targetE1EEEvT1_.num_vgpr, 0
	.set _ZN7rocprim17ROCPRIM_400000_NS6detail17trampoline_kernelINS0_14default_configENS1_20scan_config_selectorIN3c108BFloat16EEEZZNS1_9scan_implILNS1_25lookback_scan_determinismE0ELb0ELb0ES3_PKS6_PS6_S6_ZZZN2at6native31launch_logcumsumexp_cuda_kernelERKNSD_10TensorBaseESH_lENKUlvE_clEvENKUlvE4_clEvEUlS6_S6_E_S6_EEDaPvRmT3_T4_T5_mT6_P12ihipStream_tbENKUlT_T0_E_clISt17integral_constantIbLb0EESX_IbLb1EEEEDaST_SU_EUlST_E0_NS1_11comp_targetILNS1_3genE8ELNS1_11target_archE1030ELNS1_3gpuE2ELNS1_3repE0EEENS1_30default_config_static_selectorELNS0_4arch9wavefront6targetE1EEEvT1_.num_agpr, 0
	.set _ZN7rocprim17ROCPRIM_400000_NS6detail17trampoline_kernelINS0_14default_configENS1_20scan_config_selectorIN3c108BFloat16EEEZZNS1_9scan_implILNS1_25lookback_scan_determinismE0ELb0ELb0ES3_PKS6_PS6_S6_ZZZN2at6native31launch_logcumsumexp_cuda_kernelERKNSD_10TensorBaseESH_lENKUlvE_clEvENKUlvE4_clEvEUlS6_S6_E_S6_EEDaPvRmT3_T4_T5_mT6_P12ihipStream_tbENKUlT_T0_E_clISt17integral_constantIbLb0EESX_IbLb1EEEEDaST_SU_EUlST_E0_NS1_11comp_targetILNS1_3genE8ELNS1_11target_archE1030ELNS1_3gpuE2ELNS1_3repE0EEENS1_30default_config_static_selectorELNS0_4arch9wavefront6targetE1EEEvT1_.numbered_sgpr, 0
	.set _ZN7rocprim17ROCPRIM_400000_NS6detail17trampoline_kernelINS0_14default_configENS1_20scan_config_selectorIN3c108BFloat16EEEZZNS1_9scan_implILNS1_25lookback_scan_determinismE0ELb0ELb0ES3_PKS6_PS6_S6_ZZZN2at6native31launch_logcumsumexp_cuda_kernelERKNSD_10TensorBaseESH_lENKUlvE_clEvENKUlvE4_clEvEUlS6_S6_E_S6_EEDaPvRmT3_T4_T5_mT6_P12ihipStream_tbENKUlT_T0_E_clISt17integral_constantIbLb0EESX_IbLb1EEEEDaST_SU_EUlST_E0_NS1_11comp_targetILNS1_3genE8ELNS1_11target_archE1030ELNS1_3gpuE2ELNS1_3repE0EEENS1_30default_config_static_selectorELNS0_4arch9wavefront6targetE1EEEvT1_.num_named_barrier, 0
	.set _ZN7rocprim17ROCPRIM_400000_NS6detail17trampoline_kernelINS0_14default_configENS1_20scan_config_selectorIN3c108BFloat16EEEZZNS1_9scan_implILNS1_25lookback_scan_determinismE0ELb0ELb0ES3_PKS6_PS6_S6_ZZZN2at6native31launch_logcumsumexp_cuda_kernelERKNSD_10TensorBaseESH_lENKUlvE_clEvENKUlvE4_clEvEUlS6_S6_E_S6_EEDaPvRmT3_T4_T5_mT6_P12ihipStream_tbENKUlT_T0_E_clISt17integral_constantIbLb0EESX_IbLb1EEEEDaST_SU_EUlST_E0_NS1_11comp_targetILNS1_3genE8ELNS1_11target_archE1030ELNS1_3gpuE2ELNS1_3repE0EEENS1_30default_config_static_selectorELNS0_4arch9wavefront6targetE1EEEvT1_.private_seg_size, 0
	.set _ZN7rocprim17ROCPRIM_400000_NS6detail17trampoline_kernelINS0_14default_configENS1_20scan_config_selectorIN3c108BFloat16EEEZZNS1_9scan_implILNS1_25lookback_scan_determinismE0ELb0ELb0ES3_PKS6_PS6_S6_ZZZN2at6native31launch_logcumsumexp_cuda_kernelERKNSD_10TensorBaseESH_lENKUlvE_clEvENKUlvE4_clEvEUlS6_S6_E_S6_EEDaPvRmT3_T4_T5_mT6_P12ihipStream_tbENKUlT_T0_E_clISt17integral_constantIbLb0EESX_IbLb1EEEEDaST_SU_EUlST_E0_NS1_11comp_targetILNS1_3genE8ELNS1_11target_archE1030ELNS1_3gpuE2ELNS1_3repE0EEENS1_30default_config_static_selectorELNS0_4arch9wavefront6targetE1EEEvT1_.uses_vcc, 0
	.set _ZN7rocprim17ROCPRIM_400000_NS6detail17trampoline_kernelINS0_14default_configENS1_20scan_config_selectorIN3c108BFloat16EEEZZNS1_9scan_implILNS1_25lookback_scan_determinismE0ELb0ELb0ES3_PKS6_PS6_S6_ZZZN2at6native31launch_logcumsumexp_cuda_kernelERKNSD_10TensorBaseESH_lENKUlvE_clEvENKUlvE4_clEvEUlS6_S6_E_S6_EEDaPvRmT3_T4_T5_mT6_P12ihipStream_tbENKUlT_T0_E_clISt17integral_constantIbLb0EESX_IbLb1EEEEDaST_SU_EUlST_E0_NS1_11comp_targetILNS1_3genE8ELNS1_11target_archE1030ELNS1_3gpuE2ELNS1_3repE0EEENS1_30default_config_static_selectorELNS0_4arch9wavefront6targetE1EEEvT1_.uses_flat_scratch, 0
	.set _ZN7rocprim17ROCPRIM_400000_NS6detail17trampoline_kernelINS0_14default_configENS1_20scan_config_selectorIN3c108BFloat16EEEZZNS1_9scan_implILNS1_25lookback_scan_determinismE0ELb0ELb0ES3_PKS6_PS6_S6_ZZZN2at6native31launch_logcumsumexp_cuda_kernelERKNSD_10TensorBaseESH_lENKUlvE_clEvENKUlvE4_clEvEUlS6_S6_E_S6_EEDaPvRmT3_T4_T5_mT6_P12ihipStream_tbENKUlT_T0_E_clISt17integral_constantIbLb0EESX_IbLb1EEEEDaST_SU_EUlST_E0_NS1_11comp_targetILNS1_3genE8ELNS1_11target_archE1030ELNS1_3gpuE2ELNS1_3repE0EEENS1_30default_config_static_selectorELNS0_4arch9wavefront6targetE1EEEvT1_.has_dyn_sized_stack, 0
	.set _ZN7rocprim17ROCPRIM_400000_NS6detail17trampoline_kernelINS0_14default_configENS1_20scan_config_selectorIN3c108BFloat16EEEZZNS1_9scan_implILNS1_25lookback_scan_determinismE0ELb0ELb0ES3_PKS6_PS6_S6_ZZZN2at6native31launch_logcumsumexp_cuda_kernelERKNSD_10TensorBaseESH_lENKUlvE_clEvENKUlvE4_clEvEUlS6_S6_E_S6_EEDaPvRmT3_T4_T5_mT6_P12ihipStream_tbENKUlT_T0_E_clISt17integral_constantIbLb0EESX_IbLb1EEEEDaST_SU_EUlST_E0_NS1_11comp_targetILNS1_3genE8ELNS1_11target_archE1030ELNS1_3gpuE2ELNS1_3repE0EEENS1_30default_config_static_selectorELNS0_4arch9wavefront6targetE1EEEvT1_.has_recursion, 0
	.set _ZN7rocprim17ROCPRIM_400000_NS6detail17trampoline_kernelINS0_14default_configENS1_20scan_config_selectorIN3c108BFloat16EEEZZNS1_9scan_implILNS1_25lookback_scan_determinismE0ELb0ELb0ES3_PKS6_PS6_S6_ZZZN2at6native31launch_logcumsumexp_cuda_kernelERKNSD_10TensorBaseESH_lENKUlvE_clEvENKUlvE4_clEvEUlS6_S6_E_S6_EEDaPvRmT3_T4_T5_mT6_P12ihipStream_tbENKUlT_T0_E_clISt17integral_constantIbLb0EESX_IbLb1EEEEDaST_SU_EUlST_E0_NS1_11comp_targetILNS1_3genE8ELNS1_11target_archE1030ELNS1_3gpuE2ELNS1_3repE0EEENS1_30default_config_static_selectorELNS0_4arch9wavefront6targetE1EEEvT1_.has_indirect_call, 0
	.section	.AMDGPU.csdata,"",@progbits
; Kernel info:
; codeLenInByte = 0
; TotalNumSgprs: 6
; NumVgprs: 0
; NumAgprs: 0
; TotalNumVgprs: 0
; ScratchSize: 0
; MemoryBound: 0
; FloatMode: 240
; IeeeMode: 1
; LDSByteSize: 0 bytes/workgroup (compile time only)
; SGPRBlocks: 0
; VGPRBlocks: 0
; NumSGPRsForWavesPerEU: 6
; NumVGPRsForWavesPerEU: 1
; AccumOffset: 4
; Occupancy: 8
; WaveLimiterHint : 0
; COMPUTE_PGM_RSRC2:SCRATCH_EN: 0
; COMPUTE_PGM_RSRC2:USER_SGPR: 2
; COMPUTE_PGM_RSRC2:TRAP_HANDLER: 0
; COMPUTE_PGM_RSRC2:TGID_X_EN: 1
; COMPUTE_PGM_RSRC2:TGID_Y_EN: 0
; COMPUTE_PGM_RSRC2:TGID_Z_EN: 0
; COMPUTE_PGM_RSRC2:TIDIG_COMP_CNT: 0
; COMPUTE_PGM_RSRC3_GFX90A:ACCUM_OFFSET: 0
; COMPUTE_PGM_RSRC3_GFX90A:TG_SPLIT: 0
	.section	.text._ZN2at6native32tensor_kernel_scan_innermost_dimIN3c108BFloat16EZZZNS0_31launch_logcumsumexp_cuda_kernelERKNS_10TensorBaseES6_lENKUlvE_clEvENKUlvE4_clEvEUlS3_S3_E_EEvPT_PKSA_jjjSA_T0_,"axG",@progbits,_ZN2at6native32tensor_kernel_scan_innermost_dimIN3c108BFloat16EZZZNS0_31launch_logcumsumexp_cuda_kernelERKNS_10TensorBaseES6_lENKUlvE_clEvENKUlvE4_clEvEUlS3_S3_E_EEvPT_PKSA_jjjSA_T0_,comdat
	.globl	_ZN2at6native32tensor_kernel_scan_innermost_dimIN3c108BFloat16EZZZNS0_31launch_logcumsumexp_cuda_kernelERKNS_10TensorBaseES6_lENKUlvE_clEvENKUlvE4_clEvEUlS3_S3_E_EEvPT_PKSA_jjjSA_T0_ ; -- Begin function _ZN2at6native32tensor_kernel_scan_innermost_dimIN3c108BFloat16EZZZNS0_31launch_logcumsumexp_cuda_kernelERKNS_10TensorBaseES6_lENKUlvE_clEvENKUlvE4_clEvEUlS3_S3_E_EEvPT_PKSA_jjjSA_T0_
	.p2align	8
	.type	_ZN2at6native32tensor_kernel_scan_innermost_dimIN3c108BFloat16EZZZNS0_31launch_logcumsumexp_cuda_kernelERKNS_10TensorBaseES6_lENKUlvE_clEvENKUlvE4_clEvEUlS3_S3_E_EEvPT_PKSA_jjjSA_T0_,@function
_ZN2at6native32tensor_kernel_scan_innermost_dimIN3c108BFloat16EZZZNS0_31launch_logcumsumexp_cuda_kernelERKNS_10TensorBaseES6_lENKUlvE_clEvENKUlvE4_clEvEUlS3_S3_E_EEvPT_PKSA_jjjSA_T0_: ; @_ZN2at6native32tensor_kernel_scan_innermost_dimIN3c108BFloat16EZZZNS0_31launch_logcumsumexp_cuda_kernelERKNS_10TensorBaseES6_lENKUlvE_clEvENKUlvE4_clEvEUlS3_S3_E_EEvPT_PKSA_jjjSA_T0_
; %bb.0:
	s_load_dwordx8 s[16:23], s[0:1], 0x0
	v_bfe_u32 v2, v0, 10, 10
	s_waitcnt lgkmcnt(0)
	s_lshl_b32 s3, 2, s22
	s_mul_hi_u32 s4, s20, s21
	v_mul_lo_u32 v1, s3, v2
	v_lshl_add_u32 v18, v1, 1, 0
	s_cmp_lg_u32 s4, 0
	s_mov_b64 s[4:5], -1
	s_cbranch_scc1 .LBB521_30
; %bb.1:
	s_load_dword s6, s[0:1], 0x2c
	s_add_u32 s4, s0, 32
	s_addc_u32 s5, s1, 0
	s_waitcnt lgkmcnt(0)
	s_lshr_b32 s6, s6, 16
	s_mul_i32 s26, s2, s6
	s_cmp_ge_u32 s26, s20
	s_cbranch_scc1 .LBB521_29
; %bb.2:
	s_load_dword s28, s[4:5], 0x0
	s_lshl_b32 s27, 1, s22
	s_cmp_lg_u32 s21, 0
	s_cselect_b64 s[8:9], -1, 0
	v_and_b32_e32 v1, 0x3ff, v0
	v_lshl_add_u32 v3, v1, 1, v18
	s_lshl_b32 s4, s3, 1
	v_cndmask_b32_e64 v4, 0, 1, s[8:9]
	v_lshl_add_u32 v14, s27, 1, v3
	v_cmp_eq_u32_e64 s[10:11], 0, v1
	v_add3_u32 v15, v18, s4, -2
	s_waitcnt lgkmcnt(0)
	s_mul_i32 s28, s28, s6
	s_add_i32 s29, s22, 1
	v_cmp_ne_u32_e64 s[4:5], 1, v4
	v_mov_b32_e32 v5, 0
	s_movk_i32 s30, 0x1f8
	s_mov_b32 s31, 0x3fb8aa3b
	s_mov_b32 s33, 0xc2ce8ed0
	;; [unrolled: 1-line block ×5, first 2 shown]
	v_mov_b32_e32 v16, 0x3ecc95a3
	s_mov_b32 s37, 0x3f317218
	s_mov_b32 s38, 0x33800000
	s_movk_i32 s39, 0x7fff
	v_mov_b32_e32 v17, 0x7f800000
	v_mov_b32_e32 v6, 0x3f317218
	;; [unrolled: 1-line block ×3, first 2 shown]
                                        ; implicit-def: $vgpr4
	s_branch .LBB521_4
.LBB521_3:                              ;   in Loop: Header=BB521_4 Depth=1
	s_add_i32 s26, s26, s28
	s_cmp_ge_u32 s26, s20
	s_cbranch_scc1 .LBB521_29
.LBB521_4:                              ; =>This Loop Header: Depth=1
                                        ;     Child Loop BB521_7 Depth 2
                                        ;       Child Loop BB521_19 Depth 3
	s_and_b64 vcc, exec, s[4:5]
	s_cbranch_vccnz .LBB521_3
; %bb.5:                                ;   in Loop: Header=BB521_4 Depth=1
	v_add_u32_e32 v7, s26, v2
	v_mul_lo_u32 v4, v7, s21
	v_lshlrev_b64 v[10:11], 1, v[4:5]
	v_lshl_add_u64 v[8:9], s[18:19], 0, v[10:11]
	v_lshl_add_u64 v[10:11], s[16:17], 0, v[10:11]
	v_cmp_gt_u32_e64 s[6:7], s20, v7
	v_cmp_le_u32_e64 s[8:9], s20, v7
	s_mov_b32 s40, 0
	v_mov_b32_e32 v7, s23
	s_branch .LBB521_7
.LBB521_6:                              ;   in Loop: Header=BB521_7 Depth=2
	s_or_b64 exec, exec, s[12:13]
	ds_read_u16 v7, v15
	s_add_i32 s40, s40, s3
	s_cmp_ge_u32 s40, s21
	s_waitcnt lgkmcnt(0)
	s_barrier
	s_cbranch_scc1 .LBB521_3
.LBB521_7:                              ;   Parent Loop BB521_4 Depth=1
                                        ; =>  This Loop Header: Depth=2
                                        ;       Child Loop BB521_19 Depth 3
	v_add_u32_e32 v4, s40, v1
	v_add_u32_e32 v12, s27, v4
	s_and_saveexec_b64 s[14:15], s[6:7]
	s_cbranch_execz .LBB521_16
; %bb.8:                                ;   in Loop: Header=BB521_7 Depth=2
	v_cmp_gt_u32_e32 vcc, s21, v4
	v_mov_b32_e32 v13, s23
	s_and_saveexec_b64 s[12:13], vcc
	s_cbranch_execz .LBB521_10
; %bb.9:                                ;   in Loop: Header=BB521_7 Depth=2
	v_lshl_add_u64 v[20:21], v[4:5], 1, v[8:9]
	global_load_ushort v13, v[20:21], off
.LBB521_10:                             ;   in Loop: Header=BB521_7 Depth=2
	s_or_b64 exec, exec, s[12:13]
	s_waitcnt vmcnt(0)
	ds_write_b16 v3, v13
	v_cmp_gt_u32_e32 vcc, s21, v12
	v_mov_b32_e32 v13, s23
	s_and_saveexec_b64 s[12:13], vcc
	s_cbranch_execz .LBB521_12
; %bb.11:                               ;   in Loop: Header=BB521_7 Depth=2
	v_mov_b32_e32 v13, v5
	v_lshl_add_u64 v[20:21], v[12:13], 1, v[8:9]
	global_load_ushort v13, v[20:21], off
.LBB521_12:                             ;   in Loop: Header=BB521_7 Depth=2
	s_or_b64 exec, exec, s[12:13]
	s_waitcnt vmcnt(0)
	ds_write_b16 v14, v13
	s_and_b64 exec, exec, s[10:11]
	s_cbranch_execz .LBB521_16
; %bb.13:                               ;   in Loop: Header=BB521_7 Depth=2
	ds_read_u16 v13, v18
	v_lshlrev_b32_e32 v21, 16, v7
	v_max_f32_e32 v22, v21, v21
	v_cmp_u_f32_e64 s[12:13], v21, v21
	s_waitcnt lgkmcnt(0)
	v_lshlrev_b32_e32 v7, 16, v13
	v_max_f32_e32 v13, v7, v7
	v_min_f32_e32 v20, v13, v22
	v_cmp_u_f32_e32 vcc, v7, v7
	v_max_f32_e32 v13, v13, v22
	s_nop 0
	v_cndmask_b32_e32 v20, v20, v7, vcc
	v_cndmask_b32_e32 v13, v13, v7, vcc
	v_cndmask_b32_e64 v20, v20, v21, s[12:13]
	v_cndmask_b32_e64 v13, v13, v21, s[12:13]
	v_cmp_neq_f32_e32 vcc, v20, v13
	v_cmp_class_f32_e64 s[12:13], v20, s30
	s_or_b64 s[24:25], vcc, s[12:13]
	s_and_saveexec_b64 s[12:13], s[24:25]
	s_cbranch_execz .LBB521_15
; %bb.14:                               ;   in Loop: Header=BB521_7 Depth=2
	v_sub_f32_e32 v7, v20, v13
	v_mul_f32_e32 v20, 0x3fb8aa3b, v7
	v_fma_f32 v21, v7, s31, -v20
	v_rndne_f32_e32 v22, v20
	v_fmac_f32_e32 v21, 0x32a5705f, v7
	v_sub_f32_e32 v20, v20, v22
	v_add_f32_e32 v20, v20, v21
	v_cvt_i32_f32_e32 v21, v22
	v_exp_f32_e32 v20, v20
	v_cmp_ngt_f32_e32 vcc, s33, v7
	v_ldexp_f32 v20, v20, v21
	s_nop 0
	v_cndmask_b32_e32 v20, 0, v20, vcc
	v_cmp_nlt_f32_e32 vcc, s34, v7
	s_nop 1
	v_cndmask_b32_e32 v34, v17, v20, vcc
	v_add_f32_e32 v7, 1.0, v34
	v_add_f32_e32 v20, -1.0, v7
	v_sub_f32_e32 v21, v20, v7
	v_add_f32_e32 v21, 1.0, v21
	v_sub_f32_e32 v20, v34, v20
	v_add_f32_e32 v22, v20, v21
	v_frexp_mant_f32_e32 v23, v7
	v_cvt_f64_f32_e32 v[20:21], v7
	v_frexp_exp_i32_f64_e32 v20, v[20:21]
	v_cmp_gt_f32_e32 vcc, s36, v23
	s_nop 1
	v_subbrev_co_u32_e32 v28, vcc, 0, v20, vcc
	v_sub_u32_e32 v20, 0, v28
	v_ldexp_f32 v7, v7, v20
	v_ldexp_f32 v20, v22, v20
	v_add_f32_e32 v22, -1.0, v7
	v_add_f32_e32 v21, 1.0, v22
	v_sub_f32_e32 v21, v7, v21
	v_add_f32_e32 v23, v20, v21
	v_add_f32_e32 v21, 1.0, v7
	v_add_f32_e32 v24, -1.0, v21
	v_sub_f32_e32 v7, v7, v24
	v_add_f32_e32 v7, v20, v7
	v_add_f32_e32 v29, v21, v7
	v_rcp_f32_e32 v30, v29
	v_sub_f32_e32 v20, v21, v29
	v_add_f32_e32 v21, v22, v23
	v_add_f32_e32 v7, v7, v20
	v_mul_f32_e32 v32, v21, v30
	v_sub_f32_e32 v20, v22, v21
	v_mul_f32_e32 v22, v29, v32
	v_fma_f32 v24, v32, v29, -v22
	v_fmac_f32_e32 v24, v32, v7
	v_add_f32_e32 v31, v23, v20
	v_add_f32_e32 v20, v22, v24
	v_sub_f32_e32 v23, v21, v20
	v_pk_add_f32 v[26:27], v[20:21], v[22:23] neg_lo:[0,1] neg_hi:[0,1]
	v_mov_b32_e32 v25, v20
	v_pk_add_f32 v[20:21], v[26:27], v[24:25] neg_lo:[0,1] neg_hi:[0,1]
	v_cmp_neq_f32_e32 vcc, s35, v34
	v_add_f32_e32 v21, v31, v21
	v_add_f32_e32 v20, v20, v21
	v_add_f32_e32 v21, v23, v20
	v_mul_f32_e32 v31, v30, v21
	v_mul_f32_e32 v22, v29, v31
	v_fma_f32 v24, v31, v29, -v22
	v_fmac_f32_e32 v24, v31, v7
	v_sub_f32_e32 v7, v23, v21
	v_add_f32_e32 v7, v20, v7
	v_add_f32_e32 v20, v22, v24
	v_sub_f32_e32 v23, v21, v20
	v_pk_add_f32 v[26:27], v[20:21], v[22:23] neg_lo:[0,1] neg_hi:[0,1]
	v_mov_b32_e32 v25, v20
	v_pk_add_f32 v[20:21], v[26:27], v[24:25] neg_lo:[0,1] neg_hi:[0,1]
	s_nop 0
	v_add_f32_e32 v7, v7, v21
	v_add_f32_e32 v7, v20, v7
	;; [unrolled: 1-line block ×4, first 2 shown]
	v_sub_f32_e32 v20, v21, v32
	v_mul_f32_e32 v7, v30, v7
	v_sub_f32_e32 v20, v31, v20
	v_add_f32_e32 v22, v20, v7
	v_add_f32_e32 v24, v21, v22
	v_cvt_f32_i32_e32 v20, v28
	v_mul_f32_e32 v25, v24, v24
	v_sub_f32_e32 v21, v24, v21
	v_fmamk_f32 v7, v25, 0x3e9b6dac, v16
	v_sub_f32_e32 v21, v22, v21
	v_fmaak_f32 v7, v25, v7, 0x3f2aaada
	v_ldexp_f32 v26, v21, 1
	v_mul_f32_e32 v21, v24, v25
	v_ldexp_f32 v23, v24, 1
	v_pk_mul_f32 v[24:25], v[20:21], v[6:7]
	s_nop 0
	v_fma_f32 v22, v20, s37, -v24
	v_fmac_f32_e32 v22, 0xb102e308, v20
	v_pk_add_f32 v[20:21], v[24:25], v[22:23]
	s_nop 0
	v_sub_f32_e32 v7, v21, v23
	v_sub_f32_e32 v7, v25, v7
	v_add_f32_e32 v27, v26, v7
	v_mov_b32_e32 v26, v24
	v_pk_add_f32 v[24:25], v[20:21], v[24:25] neg_lo:[0,1] neg_hi:[0,1]
	v_pk_add_f32 v[28:29], v[20:21], v[26:27]
	v_mov_b32_e32 v23, v20
	v_mov_b32_e32 v25, v29
	v_pk_add_f32 v[30:31], v[22:23], v[24:25] neg_lo:[0,1] neg_hi:[0,1]
	v_pk_add_f32 v[22:23], v[22:23], v[24:25]
	v_mov_b32_e32 v26, v27
	v_pk_add_f32 v[24:25], v[22:23], v[20:21] op_sel:[1,0] op_sel_hi:[0,1] neg_lo:[0,1] neg_hi:[0,1]
	v_pk_add_f32 v[32:33], v[28:29], v[24:25] op_sel_hi:[1,0] neg_lo:[0,1] neg_hi:[0,1]
	v_mov_b32_e32 v28, v29
	v_mov_b32_e32 v29, v23
	v_pk_mov_b32 v[24:25], v[20:21], v[24:25] op_sel:[1,0]
	v_mov_b32_e32 v27, v20
	v_pk_add_f32 v[24:25], v[28:29], v[24:25] neg_lo:[0,1] neg_hi:[0,1]
	v_mov_b32_e32 v32, v30
	v_pk_add_f32 v[20:21], v[26:27], v[24:25] neg_lo:[0,1] neg_hi:[0,1]
	v_mov_b32_e32 v31, v23
	v_pk_add_f32 v[24:25], v[32:33], v[20:21]
	s_nop 0
	v_pk_add_f32 v[26:27], v[24:25], v[24:25] op_sel:[0,1] op_sel_hi:[1,0]
	s_nop 0
	v_pk_add_f32 v[22:23], v[22:23], v[26:27] op_sel:[1,0] op_sel_hi:[0,1]
	v_mov_b32_e32 v25, v22
	v_pk_add_f32 v[28:29], v[24:25], v[30:31] neg_lo:[0,1] neg_hi:[0,1]
	v_mov_b32_e32 v21, v26
	v_sub_f32_e32 v7, v24, v28
	v_pk_add_f32 v[20:21], v[20:21], v[28:29] neg_lo:[0,1] neg_hi:[0,1]
	v_sub_f32_e32 v7, v30, v7
	v_add_f32_e32 v7, v20, v7
	v_add_f32_e32 v7, v7, v21
	;; [unrolled: 1-line block ×3, first 2 shown]
	v_cndmask_b32_e32 v7, v17, v7, vcc
	v_cmp_lt_f32_e64 vcc, |v34|, s38
	s_nop 1
	v_cndmask_b32_e32 v7, v7, v34, vcc
	v_add_f32_e32 v7, v13, v7
.LBB521_15:                             ;   in Loop: Header=BB521_7 Depth=2
	s_or_b64 exec, exec, s[12:13]
	v_bfe_u32 v13, v7, 16, 1
	v_add3_u32 v13, v7, v13, s39
	v_cmp_o_f32_e32 vcc, v7, v7
	s_nop 1
	v_cndmask_b32_sdwa v7, v19, v13, vcc dst_sel:DWORD dst_unused:UNUSED_PAD src0_sel:DWORD src1_sel:WORD_1
	ds_write_b16 v18, v7
.LBB521_16:                             ;   in Loop: Header=BB521_7 Depth=2
	s_or_b64 exec, exec, s[14:15]
	v_mov_b32_e32 v7, 0
	s_mov_b64 s[14:15], 0
	s_waitcnt lgkmcnt(0)
	s_barrier
	s_branch .LBB521_19
.LBB521_17:                             ;   in Loop: Header=BB521_19 Depth=3
	s_or_b64 exec, exec, s[12:13]
	v_bfe_u32 v21, v7, 16, 1
	v_add3_u32 v21, v7, v21, s39
	v_cmp_o_f32_e32 vcc, v7, v7
	s_nop 1
	v_cndmask_b32_sdwa v7, v19, v21, vcc dst_sel:DWORD dst_unused:UNUSED_PAD src0_sel:DWORD src1_sel:WORD_1
	ds_write_b16 v20, v7
.LBB521_18:                             ;   in Loop: Header=BB521_19 Depth=3
	s_or_b64 exec, exec, s[24:25]
	v_cmp_eq_u32_e32 vcc, s29, v13
	s_or_b64 s[14:15], vcc, s[14:15]
	v_mov_b32_e32 v7, v13
	s_waitcnt lgkmcnt(0)
	s_barrier
	s_andn2_b64 exec, exec, s[14:15]
	s_cbranch_execz .LBB521_24
.LBB521_19:                             ;   Parent Loop BB521_4 Depth=1
                                        ;     Parent Loop BB521_7 Depth=2
                                        ; =>    This Inner Loop Header: Depth=3
	v_add_u32_e32 v13, 1, v7
	s_and_saveexec_b64 s[12:13], s[8:9]
	s_xor_b64 s[12:13], exec, s[12:13]
; %bb.20:                               ;   in Loop: Header=BB521_19 Depth=3
	v_add_u32_e32 v13, 1, v7
                                        ; implicit-def: $vgpr7
; %bb.21:                               ;   in Loop: Header=BB521_19 Depth=3
	s_andn2_saveexec_b64 s[24:25], s[12:13]
	s_cbranch_execz .LBB521_18
; %bb.22:                               ;   in Loop: Header=BB521_19 Depth=3
	v_lshlrev_b32_e64 v20, v7, 1
	v_lshrrev_b32_e32 v21, v7, v1
	v_lshl_or_b32 v20, v21, v13, v20
	v_bfm_b32 v7, v7, 0
	v_and_b32_e32 v7, v7, v1
	v_lshl_add_u32 v21, v20, 1, v18
	v_lshl_add_u32 v20, v7, 1, v21
	v_add_u32_e32 v7, -2, v21
	ds_read_u16 v21, v20
	ds_read_u16 v22, v7
	s_waitcnt lgkmcnt(1)
	v_lshlrev_b32_e32 v7, 16, v21
	s_waitcnt lgkmcnt(0)
	v_lshlrev_b32_e32 v21, 16, v22
	v_max_f32_e32 v23, v21, v21
	v_max_f32_e32 v24, v7, v7
	v_min_f32_e32 v22, v24, v23
	v_cmp_u_f32_e32 vcc, v7, v7
	v_max_f32_e32 v23, v24, v23
	v_cmp_u_f32_e64 s[12:13], v21, v21
	v_cndmask_b32_e32 v22, v22, v7, vcc
	v_cndmask_b32_e32 v23, v23, v7, vcc
	v_cndmask_b32_e64 v22, v22, v21, s[12:13]
	v_cndmask_b32_e64 v21, v23, v21, s[12:13]
	v_cmp_neq_f32_e32 vcc, v22, v21
	v_cmp_class_f32_e64 s[12:13], v22, s30
	s_or_b64 s[42:43], vcc, s[12:13]
	s_and_saveexec_b64 s[12:13], s[42:43]
	s_cbranch_execz .LBB521_17
; %bb.23:                               ;   in Loop: Header=BB521_19 Depth=3
	v_sub_f32_e32 v7, v22, v21
	v_mul_f32_e32 v22, 0x3fb8aa3b, v7
	v_fma_f32 v23, v7, s31, -v22
	v_rndne_f32_e32 v24, v22
	v_fmac_f32_e32 v23, 0x32a5705f, v7
	v_sub_f32_e32 v22, v22, v24
	v_add_f32_e32 v22, v22, v23
	v_cvt_i32_f32_e32 v23, v24
	v_exp_f32_e32 v22, v22
	v_cmp_ngt_f32_e32 vcc, s33, v7
	v_ldexp_f32 v22, v22, v23
	s_nop 0
	v_cndmask_b32_e32 v22, 0, v22, vcc
	v_cmp_nlt_f32_e32 vcc, s34, v7
	s_nop 1
	v_cndmask_b32_e32 v36, v17, v22, vcc
	v_add_f32_e32 v7, 1.0, v36
	v_add_f32_e32 v22, -1.0, v7
	v_sub_f32_e32 v23, v22, v7
	v_add_f32_e32 v23, 1.0, v23
	v_sub_f32_e32 v22, v36, v22
	v_add_f32_e32 v24, v22, v23
	v_frexp_mant_f32_e32 v25, v7
	v_cvt_f64_f32_e32 v[22:23], v7
	v_frexp_exp_i32_f64_e32 v22, v[22:23]
	v_cmp_gt_f32_e32 vcc, s36, v25
	s_nop 1
	v_subbrev_co_u32_e32 v30, vcc, 0, v22, vcc
	v_sub_u32_e32 v22, 0, v30
	v_ldexp_f32 v7, v7, v22
	v_ldexp_f32 v22, v24, v22
	v_add_f32_e32 v24, -1.0, v7
	v_add_f32_e32 v23, 1.0, v24
	v_sub_f32_e32 v23, v7, v23
	v_add_f32_e32 v25, v22, v23
	v_add_f32_e32 v23, 1.0, v7
	v_add_f32_e32 v26, -1.0, v23
	v_sub_f32_e32 v7, v7, v26
	v_add_f32_e32 v7, v22, v7
	v_add_f32_e32 v31, v23, v7
	v_rcp_f32_e32 v32, v31
	v_sub_f32_e32 v22, v23, v31
	v_add_f32_e32 v23, v24, v25
	v_add_f32_e32 v7, v7, v22
	v_mul_f32_e32 v34, v23, v32
	v_sub_f32_e32 v22, v24, v23
	v_mul_f32_e32 v24, v31, v34
	v_fma_f32 v26, v34, v31, -v24
	v_fmac_f32_e32 v26, v34, v7
	v_add_f32_e32 v33, v25, v22
	v_add_f32_e32 v22, v24, v26
	v_sub_f32_e32 v25, v23, v22
	v_pk_add_f32 v[28:29], v[22:23], v[24:25] neg_lo:[0,1] neg_hi:[0,1]
	v_mov_b32_e32 v27, v22
	v_pk_add_f32 v[22:23], v[28:29], v[26:27] neg_lo:[0,1] neg_hi:[0,1]
	v_cmp_neq_f32_e32 vcc, s35, v36
	v_add_f32_e32 v23, v33, v23
	v_add_f32_e32 v22, v22, v23
	;; [unrolled: 1-line block ×3, first 2 shown]
	v_mul_f32_e32 v33, v32, v23
	v_mul_f32_e32 v24, v31, v33
	v_fma_f32 v26, v33, v31, -v24
	v_fmac_f32_e32 v26, v33, v7
	v_sub_f32_e32 v7, v25, v23
	v_add_f32_e32 v7, v22, v7
	v_add_f32_e32 v22, v24, v26
	v_sub_f32_e32 v25, v23, v22
	v_pk_add_f32 v[28:29], v[22:23], v[24:25] neg_lo:[0,1] neg_hi:[0,1]
	v_mov_b32_e32 v27, v22
	v_pk_add_f32 v[22:23], v[28:29], v[26:27] neg_lo:[0,1] neg_hi:[0,1]
	s_nop 0
	v_add_f32_e32 v7, v7, v23
	v_add_f32_e32 v7, v22, v7
	v_add_f32_e32 v23, v34, v33
	v_add_f32_e32 v7, v25, v7
	v_sub_f32_e32 v22, v23, v34
	v_mul_f32_e32 v7, v32, v7
	v_sub_f32_e32 v22, v33, v22
	v_add_f32_e32 v24, v22, v7
	v_add_f32_e32 v26, v23, v24
	v_cvt_f32_i32_e32 v22, v30
	v_mul_f32_e32 v27, v26, v26
	v_sub_f32_e32 v23, v26, v23
	v_fmamk_f32 v7, v27, 0x3e9b6dac, v16
	v_sub_f32_e32 v23, v24, v23
	v_fmaak_f32 v7, v27, v7, 0x3f2aaada
	v_ldexp_f32 v28, v23, 1
	v_mul_f32_e32 v23, v26, v27
	v_ldexp_f32 v25, v26, 1
	v_pk_mul_f32 v[26:27], v[22:23], v[6:7]
	s_nop 0
	v_fma_f32 v24, v22, s37, -v26
	v_fmac_f32_e32 v24, 0xb102e308, v22
	v_pk_add_f32 v[22:23], v[26:27], v[24:25]
	s_nop 0
	v_sub_f32_e32 v7, v23, v25
	v_sub_f32_e32 v7, v27, v7
	v_add_f32_e32 v29, v28, v7
	v_mov_b32_e32 v28, v26
	v_pk_add_f32 v[26:27], v[22:23], v[26:27] neg_lo:[0,1] neg_hi:[0,1]
	v_pk_add_f32 v[30:31], v[22:23], v[28:29]
	v_mov_b32_e32 v25, v22
	v_mov_b32_e32 v27, v31
	v_pk_add_f32 v[32:33], v[24:25], v[26:27] neg_lo:[0,1] neg_hi:[0,1]
	v_pk_add_f32 v[24:25], v[24:25], v[26:27]
	v_mov_b32_e32 v28, v29
	v_pk_add_f32 v[26:27], v[24:25], v[22:23] op_sel:[1,0] op_sel_hi:[0,1] neg_lo:[0,1] neg_hi:[0,1]
	v_pk_add_f32 v[34:35], v[30:31], v[26:27] op_sel_hi:[1,0] neg_lo:[0,1] neg_hi:[0,1]
	v_mov_b32_e32 v30, v31
	v_mov_b32_e32 v31, v25
	v_pk_mov_b32 v[26:27], v[22:23], v[26:27] op_sel:[1,0]
	v_mov_b32_e32 v29, v22
	v_pk_add_f32 v[26:27], v[30:31], v[26:27] neg_lo:[0,1] neg_hi:[0,1]
	v_mov_b32_e32 v34, v32
	v_pk_add_f32 v[22:23], v[28:29], v[26:27] neg_lo:[0,1] neg_hi:[0,1]
	v_mov_b32_e32 v33, v25
	v_pk_add_f32 v[26:27], v[34:35], v[22:23]
	s_nop 0
	v_pk_add_f32 v[28:29], v[26:27], v[26:27] op_sel:[0,1] op_sel_hi:[1,0]
	s_nop 0
	v_pk_add_f32 v[24:25], v[24:25], v[28:29] op_sel:[1,0] op_sel_hi:[0,1]
	v_mov_b32_e32 v27, v24
	v_pk_add_f32 v[30:31], v[26:27], v[32:33] neg_lo:[0,1] neg_hi:[0,1]
	v_mov_b32_e32 v23, v28
	v_sub_f32_e32 v7, v26, v30
	v_pk_add_f32 v[22:23], v[22:23], v[30:31] neg_lo:[0,1] neg_hi:[0,1]
	v_sub_f32_e32 v7, v32, v7
	v_add_f32_e32 v7, v22, v7
	v_add_f32_e32 v7, v7, v23
	;; [unrolled: 1-line block ×3, first 2 shown]
	v_cndmask_b32_e32 v7, v17, v7, vcc
	v_cmp_lt_f32_e64 vcc, |v36|, s38
	s_nop 1
	v_cndmask_b32_e32 v7, v7, v36, vcc
	v_add_f32_e32 v7, v21, v7
	s_branch .LBB521_17
.LBB521_24:                             ;   in Loop: Header=BB521_7 Depth=2
	s_or_b64 exec, exec, s[14:15]
	s_and_saveexec_b64 s[12:13], s[6:7]
	s_cbranch_execz .LBB521_6
; %bb.25:                               ;   in Loop: Header=BB521_7 Depth=2
	v_cmp_gt_u32_e32 vcc, s21, v4
	s_and_saveexec_b64 s[14:15], vcc
	s_cbranch_execz .LBB521_27
; %bb.26:                               ;   in Loop: Header=BB521_7 Depth=2
	ds_read_u16 v7, v3
	v_lshl_add_u64 v[20:21], v[4:5], 1, v[10:11]
	s_waitcnt lgkmcnt(0)
	global_store_short v[20:21], v7, off
.LBB521_27:                             ;   in Loop: Header=BB521_7 Depth=2
	s_or_b64 exec, exec, s[14:15]
	v_cmp_gt_u32_e32 vcc, s21, v12
	s_and_b64 exec, exec, vcc
	s_cbranch_execz .LBB521_6
; %bb.28:                               ;   in Loop: Header=BB521_7 Depth=2
	ds_read_u16 v4, v14
	v_mov_b32_e32 v13, v5
	v_lshl_add_u64 v[12:13], v[12:13], 1, v[10:11]
	s_waitcnt lgkmcnt(0)
	global_store_short v[12:13], v4, off
	s_branch .LBB521_6
.LBB521_29:
	s_mov_b64 s[4:5], 0
.LBB521_30:
	s_andn2_b64 vcc, exec, s[4:5]
	s_cbranch_vccnz .LBB521_61
; %bb.31:
	s_load_dword s3, s[0:1], 0x2c
	s_add_u32 s0, s0, 32
	s_mov_b32 s11, 0
	s_addc_u32 s1, s1, 0
	s_mov_b32 s10, s20
	s_waitcnt lgkmcnt(0)
	s_lshr_b32 s3, s3, 16
	s_mul_hi_u32 s13, s3, s2
	s_mul_i32 s12, s3, s2
	v_mov_b64_e32 v[4:5], s[10:11]
	v_cmp_ge_u64_e32 vcc, s[12:13], v[4:5]
	s_cbranch_vccnz .LBB521_61
; %bb.32:
	s_lshl_b32 s14, 1, s22
	s_and_b32 s4, 0xffff, s3
	s_ashr_i32 s15, s14, 31
	s_load_dword s5, s[0:1], 0x0
	s_cmp_lg_u32 s21, 0
	s_cselect_b64 s[2:3], -1, 0
	s_mov_b32 s24, s21
	v_and_b32_e32 v0, 0x3ff, v0
	s_lshl_b64 s[20:21], s[14:15], 1
	v_cndmask_b32_e64 v4, 0, 1, s[2:3]
	v_mov_b32_e32 v3, 0
	v_lshl_add_u32 v19, v0, 1, v18
	s_lshl_b32 s6, s20, 1
	v_cmp_ne_u32_e64 s[2:3], 1, v4
                                        ; implicit-def: $vgpr4
	s_mov_b32 s25, s11
	v_mov_b32_e32 v1, v3
	v_lshl_add_u32 v20, s14, 1, v19
	v_cmp_eq_u32_e64 s[0:1], 0, v0
	v_add3_u32 v21, v18, s6, -2
	s_waitcnt lgkmcnt(0)
	s_mul_i32 s33, s5, s4
	s_add_i32 s22, s22, 1
	s_movk_i32 s34, 0x1f8
	s_mov_b32 s35, 0x3fb8aa3b
	s_mov_b32 s36, 0xc2ce8ed0
	;; [unrolled: 1-line block ×5, first 2 shown]
	v_mov_b32_e32 v22, 0x3ecc95a3
	s_mov_b32 s40, 0x3f317218
	s_mov_b32 s41, 0x33800000
	s_movk_i32 s42, 0x7fff
	v_mov_b32_e32 v23, 0x7f800000
	v_mov_b32_e32 v4, 0x3f317218
	;; [unrolled: 1-line block ×3, first 2 shown]
	s_branch .LBB521_34
.LBB521_33:                             ;   in Loop: Header=BB521_34 Depth=1
	s_add_u32 s12, s12, s33
	s_addc_u32 s13, s13, 0
	v_mov_b64_e32 v[6:7], s[10:11]
	v_cmp_ge_u64_e32 vcc, s[12:13], v[6:7]
	s_cbranch_vccnz .LBB521_61
.LBB521_34:                             ; =>This Loop Header: Depth=1
                                        ;     Child Loop BB521_37 Depth 2
                                        ;       Child Loop BB521_49 Depth 3
	s_and_b64 vcc, exec, s[2:3]
	s_cbranch_vccnz .LBB521_33
; %bb.35:                               ;   in Loop: Header=BB521_34 Depth=1
	v_lshl_add_u64 v[10:11], s[12:13], 0, v[2:3]
	v_mad_u64_u32 v[6:7], s[4:5], v10, s24, 0
	v_mov_b32_e32 v8, v7
	v_mad_u64_u32 v[8:9], s[4:5], v11, s24, v[8:9]
	v_mov_b32_e32 v7, v8
	v_lshlrev_b64 v[8:9], 1, v[6:7]
	v_lshl_add_u64 v[6:7], s[18:19], 0, v[8:9]
	v_lshl_add_u64 v[8:9], s[16:17], 0, v[8:9]
	v_cmp_gt_u64_e64 s[4:5], s[10:11], v[10:11]
	v_cmp_le_u64_e64 s[6:7], s[10:11], v[10:11]
	s_mov_b64 s[26:27], 0
	v_mov_b32_e32 v5, s23
	s_branch .LBB521_37
.LBB521_36:                             ;   in Loop: Header=BB521_37 Depth=2
	s_or_b64 exec, exec, s[8:9]
	ds_read_u16 v5, v21
	s_add_u32 s26, s26, s20
	s_addc_u32 s27, s27, s21
	v_mov_b64_e32 v[10:11], s[24:25]
	v_cmp_ge_u64_e32 vcc, s[26:27], v[10:11]
	s_waitcnt lgkmcnt(0)
	s_barrier
	s_cbranch_vccnz .LBB521_33
.LBB521_37:                             ;   Parent Loop BB521_34 Depth=1
                                        ; =>  This Loop Header: Depth=2
                                        ;       Child Loop BB521_49 Depth 3
	v_lshl_add_u64 v[12:13], s[26:27], 0, v[0:1]
	v_lshl_add_u64 v[10:11], v[12:13], 0, s[14:15]
	s_and_saveexec_b64 s[28:29], s[4:5]
	s_cbranch_execz .LBB521_46
; %bb.38:                               ;   in Loop: Header=BB521_37 Depth=2
	v_cmp_gt_u64_e32 vcc, s[24:25], v[12:13]
	v_mov_b32_e32 v14, s23
	s_and_saveexec_b64 s[8:9], vcc
	s_cbranch_execz .LBB521_40
; %bb.39:                               ;   in Loop: Header=BB521_37 Depth=2
	v_lshl_add_u64 v[14:15], v[12:13], 1, v[6:7]
	global_load_ushort v14, v[14:15], off
.LBB521_40:                             ;   in Loop: Header=BB521_37 Depth=2
	s_or_b64 exec, exec, s[8:9]
	s_waitcnt vmcnt(0)
	ds_write_b16 v19, v14
	v_cmp_gt_u64_e32 vcc, s[24:25], v[10:11]
	v_mov_b32_e32 v14, s23
	s_and_saveexec_b64 s[8:9], vcc
	s_cbranch_execz .LBB521_42
; %bb.41:                               ;   in Loop: Header=BB521_37 Depth=2
	v_lshl_add_u64 v[14:15], v[10:11], 1, v[6:7]
	global_load_ushort v14, v[14:15], off
.LBB521_42:                             ;   in Loop: Header=BB521_37 Depth=2
	s_or_b64 exec, exec, s[8:9]
	s_waitcnt vmcnt(0)
	ds_write_b16 v20, v14
	s_and_b64 exec, exec, s[0:1]
	s_cbranch_execz .LBB521_46
; %bb.43:                               ;   in Loop: Header=BB521_37 Depth=2
	ds_read_u16 v14, v18
	v_lshlrev_b32_e32 v16, 16, v5
	v_max_f32_e32 v17, v16, v16
	v_cmp_u_f32_e64 s[8:9], v16, v16
	s_waitcnt lgkmcnt(0)
	v_lshlrev_b32_e32 v5, 16, v14
	v_max_f32_e32 v14, v5, v5
	v_min_f32_e32 v15, v14, v17
	v_cmp_u_f32_e32 vcc, v5, v5
	v_max_f32_e32 v14, v14, v17
	s_nop 0
	v_cndmask_b32_e32 v15, v15, v5, vcc
	v_cndmask_b32_e32 v14, v14, v5, vcc
	v_cndmask_b32_e64 v15, v15, v16, s[8:9]
	v_cndmask_b32_e64 v14, v14, v16, s[8:9]
	v_cmp_neq_f32_e32 vcc, v15, v14
	v_cmp_class_f32_e64 s[8:9], v15, s34
	s_or_b64 s[30:31], vcc, s[8:9]
	s_and_saveexec_b64 s[8:9], s[30:31]
	s_cbranch_execz .LBB521_45
; %bb.44:                               ;   in Loop: Header=BB521_37 Depth=2
	v_sub_f32_e32 v5, v15, v14
	v_mul_f32_e32 v15, 0x3fb8aa3b, v5
	v_fma_f32 v16, v5, s35, -v15
	v_rndne_f32_e32 v17, v15
	v_fmac_f32_e32 v16, 0x32a5705f, v5
	v_sub_f32_e32 v15, v15, v17
	v_add_f32_e32 v15, v15, v16
	v_cvt_i32_f32_e32 v16, v17
	v_exp_f32_e32 v15, v15
	v_cmp_ngt_f32_e32 vcc, s36, v5
	v_ldexp_f32 v15, v15, v16
	s_nop 0
	v_cndmask_b32_e32 v15, 0, v15, vcc
	v_cmp_nlt_f32_e32 vcc, s37, v5
	s_nop 1
	v_cndmask_b32_e32 v15, v23, v15, vcc
	v_add_f32_e32 v5, 1.0, v15
	v_add_f32_e32 v16, -1.0, v5
	v_sub_f32_e32 v17, v16, v5
	v_add_f32_e32 v17, 1.0, v17
	v_sub_f32_e32 v16, v15, v16
	v_add_f32_e32 v25, v16, v17
	v_frexp_mant_f32_e32 v26, v5
	v_cvt_f64_f32_e32 v[16:17], v5
	v_frexp_exp_i32_f64_e32 v16, v[16:17]
	v_cmp_gt_f32_e32 vcc, s39, v26
	s_nop 1
	v_subbrev_co_u32_e32 v32, vcc, 0, v16, vcc
	v_sub_u32_e32 v16, 0, v32
	v_ldexp_f32 v5, v5, v16
	v_ldexp_f32 v16, v25, v16
	v_add_f32_e32 v25, -1.0, v5
	v_add_f32_e32 v17, 1.0, v25
	v_sub_f32_e32 v17, v5, v17
	v_add_f32_e32 v26, v16, v17
	v_add_f32_e32 v17, 1.0, v5
	v_add_f32_e32 v27, -1.0, v17
	v_sub_f32_e32 v5, v5, v27
	v_add_f32_e32 v5, v16, v5
	v_add_f32_e32 v33, v17, v5
	v_rcp_f32_e32 v34, v33
	v_sub_f32_e32 v16, v17, v33
	v_add_f32_e32 v17, v25, v26
	v_add_f32_e32 v5, v5, v16
	v_sub_f32_e32 v16, v25, v17
	v_mul_f32_e32 v35, v17, v34
	v_add_f32_e32 v25, v26, v16
	v_mul_f32_e32 v26, v33, v35
	v_fma_f32 v28, v35, v33, -v26
	v_fmac_f32_e32 v28, v35, v5
	v_add_f32_e32 v16, v26, v28
	v_sub_f32_e32 v27, v17, v16
	v_pk_add_f32 v[30:31], v[16:17], v[26:27] neg_lo:[0,1] neg_hi:[0,1]
	v_mov_b32_e32 v29, v16
	v_pk_add_f32 v[16:17], v[30:31], v[28:29] neg_lo:[0,1] neg_hi:[0,1]
	v_cmp_neq_f32_e32 vcc, s38, v15
	v_add_f32_e32 v17, v25, v17
	v_add_f32_e32 v16, v16, v17
	;; [unrolled: 1-line block ×3, first 2 shown]
	v_mul_f32_e32 v25, v34, v17
	v_mul_f32_e32 v26, v33, v25
	v_fma_f32 v28, v25, v33, -v26
	v_fmac_f32_e32 v28, v25, v5
	v_sub_f32_e32 v5, v27, v17
	v_add_f32_e32 v5, v16, v5
	v_add_f32_e32 v16, v26, v28
	v_sub_f32_e32 v27, v17, v16
	v_pk_add_f32 v[30:31], v[16:17], v[26:27] neg_lo:[0,1] neg_hi:[0,1]
	v_mov_b32_e32 v29, v16
	v_pk_add_f32 v[16:17], v[30:31], v[28:29] neg_lo:[0,1] neg_hi:[0,1]
	s_nop 0
	v_add_f32_e32 v5, v5, v17
	v_add_f32_e32 v5, v16, v5
	;; [unrolled: 1-line block ×4, first 2 shown]
	v_sub_f32_e32 v16, v17, v35
	v_mul_f32_e32 v5, v34, v5
	v_sub_f32_e32 v16, v25, v16
	v_add_f32_e32 v25, v16, v5
	v_add_f32_e32 v26, v17, v25
	v_cvt_f32_i32_e32 v16, v32
	v_mul_f32_e32 v28, v26, v26
	v_sub_f32_e32 v17, v26, v17
	v_fmamk_f32 v5, v28, 0x3e9b6dac, v22
	v_sub_f32_e32 v17, v25, v17
	v_fmaak_f32 v5, v28, v5, 0x3f2aaada
	v_ldexp_f32 v25, v17, 1
	v_mul_f32_e32 v17, v26, v28
	v_pk_mul_f32 v[28:29], v[16:17], v[4:5]
	v_ldexp_f32 v27, v26, 1
	v_fma_f32 v26, v16, s40, -v28
	v_fmac_f32_e32 v26, 0xb102e308, v16
	v_pk_add_f32 v[16:17], v[28:29], v[26:27]
	v_mov_b32_e32 v30, v28
	v_sub_f32_e32 v5, v17, v27
	v_sub_f32_e32 v5, v29, v5
	v_add_f32_e32 v31, v25, v5
	v_pk_add_f32 v[28:29], v[16:17], v[28:29] neg_lo:[0,1] neg_hi:[0,1]
	v_pk_add_f32 v[32:33], v[16:17], v[30:31]
	v_mov_b32_e32 v27, v16
	v_mov_b32_e32 v29, v33
	v_pk_add_f32 v[34:35], v[26:27], v[28:29] neg_lo:[0,1] neg_hi:[0,1]
	v_pk_add_f32 v[26:27], v[26:27], v[28:29]
	v_mov_b32_e32 v30, v31
	v_pk_add_f32 v[28:29], v[26:27], v[16:17] op_sel:[1,0] op_sel_hi:[0,1] neg_lo:[0,1] neg_hi:[0,1]
	v_pk_add_f32 v[36:37], v[32:33], v[28:29] op_sel_hi:[1,0] neg_lo:[0,1] neg_hi:[0,1]
	v_mov_b32_e32 v32, v33
	v_mov_b32_e32 v33, v27
	v_pk_mov_b32 v[28:29], v[16:17], v[28:29] op_sel:[1,0]
	v_mov_b32_e32 v31, v16
	v_pk_add_f32 v[28:29], v[32:33], v[28:29] neg_lo:[0,1] neg_hi:[0,1]
	v_mov_b32_e32 v36, v34
	v_pk_add_f32 v[16:17], v[30:31], v[28:29] neg_lo:[0,1] neg_hi:[0,1]
	v_mov_b32_e32 v35, v27
	v_pk_add_f32 v[28:29], v[36:37], v[16:17]
	s_nop 0
	v_pk_add_f32 v[30:31], v[28:29], v[28:29] op_sel:[0,1] op_sel_hi:[1,0]
	s_nop 0
	v_pk_add_f32 v[26:27], v[26:27], v[30:31] op_sel:[1,0] op_sel_hi:[0,1]
	v_mov_b32_e32 v29, v26
	v_pk_add_f32 v[32:33], v[28:29], v[34:35] neg_lo:[0,1] neg_hi:[0,1]
	v_mov_b32_e32 v17, v30
	v_sub_f32_e32 v5, v28, v32
	v_pk_add_f32 v[16:17], v[16:17], v[32:33] neg_lo:[0,1] neg_hi:[0,1]
	v_sub_f32_e32 v5, v34, v5
	v_add_f32_e32 v5, v16, v5
	v_add_f32_e32 v5, v5, v17
	;; [unrolled: 1-line block ×3, first 2 shown]
	v_cndmask_b32_e32 v5, v23, v5, vcc
	v_cmp_lt_f32_e64 vcc, |v15|, s41
	s_nop 1
	v_cndmask_b32_e32 v5, v5, v15, vcc
	v_add_f32_e32 v5, v14, v5
.LBB521_45:                             ;   in Loop: Header=BB521_37 Depth=2
	s_or_b64 exec, exec, s[8:9]
	v_bfe_u32 v14, v5, 16, 1
	v_add3_u32 v14, v5, v14, s42
	v_cmp_o_f32_e32 vcc, v5, v5
	s_nop 1
	v_cndmask_b32_sdwa v5, v24, v14, vcc dst_sel:DWORD dst_unused:UNUSED_PAD src0_sel:DWORD src1_sel:WORD_1
	ds_write_b16 v18, v5
.LBB521_46:                             ;   in Loop: Header=BB521_37 Depth=2
	s_or_b64 exec, exec, s[28:29]
	v_mov_b32_e32 v5, 0
	s_mov_b64 s[28:29], 0
	s_waitcnt lgkmcnt(0)
	s_barrier
	s_branch .LBB521_49
.LBB521_47:                             ;   in Loop: Header=BB521_49 Depth=3
	s_or_b64 exec, exec, s[8:9]
	v_bfe_u32 v15, v5, 16, 1
	v_add3_u32 v15, v5, v15, s42
	v_cmp_o_f32_e32 vcc, v5, v5
	s_nop 1
	v_cndmask_b32_sdwa v5, v24, v15, vcc dst_sel:DWORD dst_unused:UNUSED_PAD src0_sel:DWORD src1_sel:WORD_1
	ds_write_b16 v14, v5
.LBB521_48:                             ;   in Loop: Header=BB521_49 Depth=3
	s_or_b64 exec, exec, s[30:31]
	v_cmp_eq_u32_e32 vcc, s22, v25
	s_or_b64 s[28:29], vcc, s[28:29]
	v_mov_b32_e32 v5, v25
	s_waitcnt lgkmcnt(0)
	s_barrier
	s_andn2_b64 exec, exec, s[28:29]
	s_cbranch_execz .LBB521_56
.LBB521_49:                             ;   Parent Loop BB521_34 Depth=1
                                        ;     Parent Loop BB521_37 Depth=2
                                        ; =>    This Inner Loop Header: Depth=3
	v_add_u32_e32 v25, 1, v5
	s_and_saveexec_b64 s[8:9], s[6:7]
	s_xor_b64 s[8:9], exec, s[8:9]
; %bb.50:                               ;   in Loop: Header=BB521_49 Depth=3
	v_add_u32_e32 v25, 1, v5
                                        ; implicit-def: $vgpr5
; %bb.51:                               ;   in Loop: Header=BB521_49 Depth=3
	s_andn2_saveexec_b64 s[30:31], s[8:9]
	s_cbranch_execz .LBB521_48
; %bb.52:                               ;   in Loop: Header=BB521_49 Depth=3
	v_lshlrev_b32_e64 v14, v5, 1
	v_ashrrev_i32_e32 v15, 31, v14
	v_cmp_ge_u64_e32 vcc, v[0:1], v[14:15]
	v_mov_b64_e32 v[16:17], v[0:1]
	s_and_saveexec_b64 s[8:9], vcc
	s_cbranch_execz .LBB521_54
; %bb.53:                               ;   in Loop: Header=BB521_49 Depth=3
	v_cvt_f32_u32_e32 v15, v14
	v_sub_u32_e32 v16, 0, v14
	v_rcp_iflag_f32_e32 v15, v15
	s_nop 0
	v_mul_f32_e32 v15, 0x4f7ffffe, v15
	v_cvt_u32_f32_e32 v15, v15
	v_mul_lo_u32 v16, v16, v15
	v_mul_hi_u32 v16, v15, v16
	v_add_u32_e32 v15, v15, v16
	v_mul_hi_u32 v15, v0, v15
	v_mul_lo_u32 v15, v15, v14
	v_sub_u32_e32 v15, v0, v15
	v_sub_u32_e32 v16, v15, v14
	v_cmp_ge_u32_e32 vcc, v15, v14
	s_nop 1
	v_cndmask_b32_e32 v15, v15, v16, vcc
	v_sub_u32_e32 v16, v15, v14
	v_cmp_ge_u32_e32 vcc, v15, v14
	s_nop 1
	v_cndmask_b32_e32 v16, v15, v16, vcc
.LBB521_54:                             ;   in Loop: Header=BB521_49 Depth=3
	s_or_b64 exec, exec, s[8:9]
	v_lshrrev_b32_e32 v5, v5, v0
	v_lshl_or_b32 v5, v5, v25, v14
	v_lshl_add_u32 v5, v5, 1, v18
	v_lshl_add_u32 v14, v16, 1, v5
	v_add_u32_e32 v5, -2, v5
	ds_read_u16 v15, v14
	ds_read_u16 v16, v5
	s_waitcnt lgkmcnt(1)
	v_lshlrev_b32_e32 v5, 16, v15
	s_waitcnt lgkmcnt(0)
	v_lshlrev_b32_e32 v15, 16, v16
	v_max_f32_e32 v17, v15, v15
	v_max_f32_e32 v26, v5, v5
	v_min_f32_e32 v16, v26, v17
	v_cmp_u_f32_e32 vcc, v5, v5
	v_max_f32_e32 v17, v26, v17
	v_cmp_u_f32_e64 s[8:9], v15, v15
	v_cndmask_b32_e32 v16, v16, v5, vcc
	v_cndmask_b32_e32 v17, v17, v5, vcc
	v_cndmask_b32_e64 v16, v16, v15, s[8:9]
	v_cndmask_b32_e64 v15, v17, v15, s[8:9]
	v_cmp_neq_f32_e32 vcc, v16, v15
	v_cmp_class_f32_e64 s[8:9], v16, s34
	s_or_b64 s[44:45], vcc, s[8:9]
	s_and_saveexec_b64 s[8:9], s[44:45]
	s_cbranch_execz .LBB521_47
; %bb.55:                               ;   in Loop: Header=BB521_49 Depth=3
	v_sub_f32_e32 v5, v16, v15
	v_mul_f32_e32 v16, 0x3fb8aa3b, v5
	v_fma_f32 v17, v5, s35, -v16
	v_rndne_f32_e32 v26, v16
	v_fmac_f32_e32 v17, 0x32a5705f, v5
	v_sub_f32_e32 v16, v16, v26
	v_add_f32_e32 v16, v16, v17
	v_cvt_i32_f32_e32 v17, v26
	v_exp_f32_e32 v16, v16
	v_cmp_ngt_f32_e32 vcc, s36, v5
	v_ldexp_f32 v16, v16, v17
	s_nop 0
	v_cndmask_b32_e32 v16, 0, v16, vcc
	v_cmp_nlt_f32_e32 vcc, s37, v5
	s_nop 1
	v_cndmask_b32_e32 v38, v23, v16, vcc
	v_add_f32_e32 v5, 1.0, v38
	v_add_f32_e32 v16, -1.0, v5
	v_sub_f32_e32 v17, v16, v5
	v_add_f32_e32 v17, 1.0, v17
	v_sub_f32_e32 v16, v38, v16
	v_add_f32_e32 v26, v16, v17
	v_frexp_mant_f32_e32 v27, v5
	v_cvt_f64_f32_e32 v[16:17], v5
	v_frexp_exp_i32_f64_e32 v16, v[16:17]
	v_cmp_gt_f32_e32 vcc, s39, v27
	s_nop 1
	v_subbrev_co_u32_e32 v32, vcc, 0, v16, vcc
	v_sub_u32_e32 v16, 0, v32
	v_ldexp_f32 v5, v5, v16
	v_ldexp_f32 v16, v26, v16
	v_add_f32_e32 v26, -1.0, v5
	v_add_f32_e32 v17, 1.0, v26
	v_sub_f32_e32 v17, v5, v17
	v_add_f32_e32 v27, v16, v17
	v_add_f32_e32 v17, 1.0, v5
	v_add_f32_e32 v28, -1.0, v17
	v_sub_f32_e32 v5, v5, v28
	v_add_f32_e32 v5, v16, v5
	v_add_f32_e32 v33, v17, v5
	v_rcp_f32_e32 v34, v33
	v_sub_f32_e32 v16, v17, v33
	v_add_f32_e32 v17, v26, v27
	v_add_f32_e32 v5, v5, v16
	v_mul_f32_e32 v36, v17, v34
	v_sub_f32_e32 v16, v26, v17
	v_mul_f32_e32 v26, v33, v36
	v_fma_f32 v28, v36, v33, -v26
	v_fmac_f32_e32 v28, v36, v5
	v_add_f32_e32 v35, v27, v16
	v_add_f32_e32 v16, v26, v28
	v_sub_f32_e32 v27, v17, v16
	v_pk_add_f32 v[30:31], v[16:17], v[26:27] neg_lo:[0,1] neg_hi:[0,1]
	v_mov_b32_e32 v29, v16
	v_pk_add_f32 v[16:17], v[30:31], v[28:29] neg_lo:[0,1] neg_hi:[0,1]
	v_cmp_neq_f32_e32 vcc, s38, v38
	v_add_f32_e32 v17, v35, v17
	v_add_f32_e32 v16, v16, v17
	;; [unrolled: 1-line block ×3, first 2 shown]
	v_mul_f32_e32 v35, v34, v17
	v_mul_f32_e32 v26, v33, v35
	v_fma_f32 v28, v35, v33, -v26
	v_fmac_f32_e32 v28, v35, v5
	v_sub_f32_e32 v5, v27, v17
	v_add_f32_e32 v5, v16, v5
	v_add_f32_e32 v16, v26, v28
	v_sub_f32_e32 v27, v17, v16
	v_pk_add_f32 v[30:31], v[16:17], v[26:27] neg_lo:[0,1] neg_hi:[0,1]
	v_mov_b32_e32 v29, v16
	v_pk_add_f32 v[16:17], v[30:31], v[28:29] neg_lo:[0,1] neg_hi:[0,1]
	s_nop 0
	v_add_f32_e32 v5, v5, v17
	v_add_f32_e32 v5, v16, v5
	;; [unrolled: 1-line block ×4, first 2 shown]
	v_sub_f32_e32 v16, v17, v36
	v_mul_f32_e32 v5, v34, v5
	v_sub_f32_e32 v16, v35, v16
	v_add_f32_e32 v26, v16, v5
	v_add_f32_e32 v28, v17, v26
	v_cvt_f32_i32_e32 v16, v32
	v_mul_f32_e32 v29, v28, v28
	v_sub_f32_e32 v17, v28, v17
	v_fmamk_f32 v5, v29, 0x3e9b6dac, v22
	v_sub_f32_e32 v17, v26, v17
	v_fmaak_f32 v5, v29, v5, 0x3f2aaada
	v_ldexp_f32 v30, v17, 1
	v_mul_f32_e32 v17, v28, v29
	v_ldexp_f32 v27, v28, 1
	v_pk_mul_f32 v[28:29], v[16:17], v[4:5]
	s_nop 0
	v_fma_f32 v26, v16, s40, -v28
	v_fmac_f32_e32 v26, 0xb102e308, v16
	v_pk_add_f32 v[16:17], v[28:29], v[26:27]
	s_nop 0
	v_sub_f32_e32 v5, v17, v27
	v_sub_f32_e32 v5, v29, v5
	v_add_f32_e32 v31, v30, v5
	v_mov_b32_e32 v30, v28
	v_pk_add_f32 v[28:29], v[16:17], v[28:29] neg_lo:[0,1] neg_hi:[0,1]
	v_pk_add_f32 v[32:33], v[16:17], v[30:31]
	v_mov_b32_e32 v27, v16
	v_mov_b32_e32 v29, v33
	v_pk_add_f32 v[34:35], v[26:27], v[28:29] neg_lo:[0,1] neg_hi:[0,1]
	v_pk_add_f32 v[26:27], v[26:27], v[28:29]
	v_mov_b32_e32 v30, v31
	v_pk_add_f32 v[28:29], v[26:27], v[16:17] op_sel:[1,0] op_sel_hi:[0,1] neg_lo:[0,1] neg_hi:[0,1]
	v_pk_add_f32 v[36:37], v[32:33], v[28:29] op_sel_hi:[1,0] neg_lo:[0,1] neg_hi:[0,1]
	v_mov_b32_e32 v32, v33
	v_mov_b32_e32 v33, v27
	v_pk_mov_b32 v[28:29], v[16:17], v[28:29] op_sel:[1,0]
	v_mov_b32_e32 v31, v16
	v_pk_add_f32 v[28:29], v[32:33], v[28:29] neg_lo:[0,1] neg_hi:[0,1]
	v_mov_b32_e32 v36, v34
	v_pk_add_f32 v[16:17], v[30:31], v[28:29] neg_lo:[0,1] neg_hi:[0,1]
	v_mov_b32_e32 v35, v27
	v_pk_add_f32 v[28:29], v[36:37], v[16:17]
	s_nop 0
	v_pk_add_f32 v[30:31], v[28:29], v[28:29] op_sel:[0,1] op_sel_hi:[1,0]
	s_nop 0
	v_pk_add_f32 v[26:27], v[26:27], v[30:31] op_sel:[1,0] op_sel_hi:[0,1]
	v_mov_b32_e32 v29, v26
	v_pk_add_f32 v[32:33], v[28:29], v[34:35] neg_lo:[0,1] neg_hi:[0,1]
	v_mov_b32_e32 v17, v30
	v_sub_f32_e32 v5, v28, v32
	v_pk_add_f32 v[16:17], v[16:17], v[32:33] neg_lo:[0,1] neg_hi:[0,1]
	v_sub_f32_e32 v5, v34, v5
	v_add_f32_e32 v5, v16, v5
	v_add_f32_e32 v5, v5, v17
	;; [unrolled: 1-line block ×3, first 2 shown]
	v_cndmask_b32_e32 v5, v23, v5, vcc
	v_cmp_lt_f32_e64 vcc, |v38|, s41
	s_nop 1
	v_cndmask_b32_e32 v5, v5, v38, vcc
	v_add_f32_e32 v5, v15, v5
	s_branch .LBB521_47
.LBB521_56:                             ;   in Loop: Header=BB521_37 Depth=2
	s_or_b64 exec, exec, s[28:29]
	s_and_saveexec_b64 s[8:9], s[4:5]
	s_cbranch_execz .LBB521_36
; %bb.57:                               ;   in Loop: Header=BB521_37 Depth=2
	v_cmp_gt_u64_e32 vcc, s[24:25], v[12:13]
	s_and_saveexec_b64 s[28:29], vcc
	s_cbranch_execz .LBB521_59
; %bb.58:                               ;   in Loop: Header=BB521_37 Depth=2
	ds_read_u16 v5, v19
	v_lshl_add_u64 v[12:13], v[12:13], 1, v[8:9]
	s_waitcnt lgkmcnt(0)
	global_store_short v[12:13], v5, off
.LBB521_59:                             ;   in Loop: Header=BB521_37 Depth=2
	s_or_b64 exec, exec, s[28:29]
	v_cmp_gt_u64_e32 vcc, s[24:25], v[10:11]
	s_and_b64 exec, exec, vcc
	s_cbranch_execz .LBB521_36
; %bb.60:                               ;   in Loop: Header=BB521_37 Depth=2
	ds_read_u16 v5, v20
	v_lshl_add_u64 v[10:11], v[10:11], 1, v[8:9]
	s_waitcnt lgkmcnt(0)
	global_store_short v[10:11], v5, off
	s_branch .LBB521_36
.LBB521_61:
	s_endpgm
	.section	.rodata,"a",@progbits
	.p2align	6, 0x0
	.amdhsa_kernel _ZN2at6native32tensor_kernel_scan_innermost_dimIN3c108BFloat16EZZZNS0_31launch_logcumsumexp_cuda_kernelERKNS_10TensorBaseES6_lENKUlvE_clEvENKUlvE4_clEvEUlS3_S3_E_EEvPT_PKSA_jjjSA_T0_
		.amdhsa_group_segment_fixed_size 0
		.amdhsa_private_segment_fixed_size 0
		.amdhsa_kernarg_size 288
		.amdhsa_user_sgpr_count 2
		.amdhsa_user_sgpr_dispatch_ptr 0
		.amdhsa_user_sgpr_queue_ptr 0
		.amdhsa_user_sgpr_kernarg_segment_ptr 1
		.amdhsa_user_sgpr_dispatch_id 0
		.amdhsa_user_sgpr_kernarg_preload_length 0
		.amdhsa_user_sgpr_kernarg_preload_offset 0
		.amdhsa_user_sgpr_private_segment_size 0
		.amdhsa_uses_dynamic_stack 0
		.amdhsa_enable_private_segment 0
		.amdhsa_system_sgpr_workgroup_id_x 1
		.amdhsa_system_sgpr_workgroup_id_y 0
		.amdhsa_system_sgpr_workgroup_id_z 0
		.amdhsa_system_sgpr_workgroup_info 0
		.amdhsa_system_vgpr_workitem_id 1
		.amdhsa_next_free_vgpr 39
		.amdhsa_next_free_sgpr 46
		.amdhsa_accum_offset 40
		.amdhsa_reserve_vcc 1
		.amdhsa_float_round_mode_32 0
		.amdhsa_float_round_mode_16_64 0
		.amdhsa_float_denorm_mode_32 3
		.amdhsa_float_denorm_mode_16_64 3
		.amdhsa_dx10_clamp 1
		.amdhsa_ieee_mode 1
		.amdhsa_fp16_overflow 0
		.amdhsa_tg_split 0
		.amdhsa_exception_fp_ieee_invalid_op 0
		.amdhsa_exception_fp_denorm_src 0
		.amdhsa_exception_fp_ieee_div_zero 0
		.amdhsa_exception_fp_ieee_overflow 0
		.amdhsa_exception_fp_ieee_underflow 0
		.amdhsa_exception_fp_ieee_inexact 0
		.amdhsa_exception_int_div_zero 0
	.end_amdhsa_kernel
	.section	.text._ZN2at6native32tensor_kernel_scan_innermost_dimIN3c108BFloat16EZZZNS0_31launch_logcumsumexp_cuda_kernelERKNS_10TensorBaseES6_lENKUlvE_clEvENKUlvE4_clEvEUlS3_S3_E_EEvPT_PKSA_jjjSA_T0_,"axG",@progbits,_ZN2at6native32tensor_kernel_scan_innermost_dimIN3c108BFloat16EZZZNS0_31launch_logcumsumexp_cuda_kernelERKNS_10TensorBaseES6_lENKUlvE_clEvENKUlvE4_clEvEUlS3_S3_E_EEvPT_PKSA_jjjSA_T0_,comdat
.Lfunc_end521:
	.size	_ZN2at6native32tensor_kernel_scan_innermost_dimIN3c108BFloat16EZZZNS0_31launch_logcumsumexp_cuda_kernelERKNS_10TensorBaseES6_lENKUlvE_clEvENKUlvE4_clEvEUlS3_S3_E_EEvPT_PKSA_jjjSA_T0_, .Lfunc_end521-_ZN2at6native32tensor_kernel_scan_innermost_dimIN3c108BFloat16EZZZNS0_31launch_logcumsumexp_cuda_kernelERKNS_10TensorBaseES6_lENKUlvE_clEvENKUlvE4_clEvEUlS3_S3_E_EEvPT_PKSA_jjjSA_T0_
                                        ; -- End function
	.set _ZN2at6native32tensor_kernel_scan_innermost_dimIN3c108BFloat16EZZZNS0_31launch_logcumsumexp_cuda_kernelERKNS_10TensorBaseES6_lENKUlvE_clEvENKUlvE4_clEvEUlS3_S3_E_EEvPT_PKSA_jjjSA_T0_.num_vgpr, 39
	.set _ZN2at6native32tensor_kernel_scan_innermost_dimIN3c108BFloat16EZZZNS0_31launch_logcumsumexp_cuda_kernelERKNS_10TensorBaseES6_lENKUlvE_clEvENKUlvE4_clEvEUlS3_S3_E_EEvPT_PKSA_jjjSA_T0_.num_agpr, 0
	.set _ZN2at6native32tensor_kernel_scan_innermost_dimIN3c108BFloat16EZZZNS0_31launch_logcumsumexp_cuda_kernelERKNS_10TensorBaseES6_lENKUlvE_clEvENKUlvE4_clEvEUlS3_S3_E_EEvPT_PKSA_jjjSA_T0_.numbered_sgpr, 46
	.set _ZN2at6native32tensor_kernel_scan_innermost_dimIN3c108BFloat16EZZZNS0_31launch_logcumsumexp_cuda_kernelERKNS_10TensorBaseES6_lENKUlvE_clEvENKUlvE4_clEvEUlS3_S3_E_EEvPT_PKSA_jjjSA_T0_.num_named_barrier, 0
	.set _ZN2at6native32tensor_kernel_scan_innermost_dimIN3c108BFloat16EZZZNS0_31launch_logcumsumexp_cuda_kernelERKNS_10TensorBaseES6_lENKUlvE_clEvENKUlvE4_clEvEUlS3_S3_E_EEvPT_PKSA_jjjSA_T0_.private_seg_size, 0
	.set _ZN2at6native32tensor_kernel_scan_innermost_dimIN3c108BFloat16EZZZNS0_31launch_logcumsumexp_cuda_kernelERKNS_10TensorBaseES6_lENKUlvE_clEvENKUlvE4_clEvEUlS3_S3_E_EEvPT_PKSA_jjjSA_T0_.uses_vcc, 1
	.set _ZN2at6native32tensor_kernel_scan_innermost_dimIN3c108BFloat16EZZZNS0_31launch_logcumsumexp_cuda_kernelERKNS_10TensorBaseES6_lENKUlvE_clEvENKUlvE4_clEvEUlS3_S3_E_EEvPT_PKSA_jjjSA_T0_.uses_flat_scratch, 0
	.set _ZN2at6native32tensor_kernel_scan_innermost_dimIN3c108BFloat16EZZZNS0_31launch_logcumsumexp_cuda_kernelERKNS_10TensorBaseES6_lENKUlvE_clEvENKUlvE4_clEvEUlS3_S3_E_EEvPT_PKSA_jjjSA_T0_.has_dyn_sized_stack, 0
	.set _ZN2at6native32tensor_kernel_scan_innermost_dimIN3c108BFloat16EZZZNS0_31launch_logcumsumexp_cuda_kernelERKNS_10TensorBaseES6_lENKUlvE_clEvENKUlvE4_clEvEUlS3_S3_E_EEvPT_PKSA_jjjSA_T0_.has_recursion, 0
	.set _ZN2at6native32tensor_kernel_scan_innermost_dimIN3c108BFloat16EZZZNS0_31launch_logcumsumexp_cuda_kernelERKNS_10TensorBaseES6_lENKUlvE_clEvENKUlvE4_clEvEUlS3_S3_E_EEvPT_PKSA_jjjSA_T0_.has_indirect_call, 0
	.section	.AMDGPU.csdata,"",@progbits
; Kernel info:
; codeLenInByte = 4992
; TotalNumSgprs: 52
; NumVgprs: 39
; NumAgprs: 0
; TotalNumVgprs: 39
; ScratchSize: 0
; MemoryBound: 0
; FloatMode: 240
; IeeeMode: 1
; LDSByteSize: 0 bytes/workgroup (compile time only)
; SGPRBlocks: 6
; VGPRBlocks: 4
; NumSGPRsForWavesPerEU: 52
; NumVGPRsForWavesPerEU: 39
; AccumOffset: 40
; Occupancy: 8
; WaveLimiterHint : 0
; COMPUTE_PGM_RSRC2:SCRATCH_EN: 0
; COMPUTE_PGM_RSRC2:USER_SGPR: 2
; COMPUTE_PGM_RSRC2:TRAP_HANDLER: 0
; COMPUTE_PGM_RSRC2:TGID_X_EN: 1
; COMPUTE_PGM_RSRC2:TGID_Y_EN: 0
; COMPUTE_PGM_RSRC2:TGID_Z_EN: 0
; COMPUTE_PGM_RSRC2:TIDIG_COMP_CNT: 1
; COMPUTE_PGM_RSRC3_GFX90A:ACCUM_OFFSET: 9
; COMPUTE_PGM_RSRC3_GFX90A:TG_SPLIT: 0
	.section	.text._ZN2at6native28tensor_kernel_scan_outer_dimIN3c108BFloat16EjZZZNS0_31launch_logcumsumexp_cuda_kernelERKNS_10TensorBaseES6_lENKUlvE_clEvENKUlvE4_clEvEUlS3_S3_E_EEvPT_PKSA_jjjSA_T1_,"axG",@progbits,_ZN2at6native28tensor_kernel_scan_outer_dimIN3c108BFloat16EjZZZNS0_31launch_logcumsumexp_cuda_kernelERKNS_10TensorBaseES6_lENKUlvE_clEvENKUlvE4_clEvEUlS3_S3_E_EEvPT_PKSA_jjjSA_T1_,comdat
	.globl	_ZN2at6native28tensor_kernel_scan_outer_dimIN3c108BFloat16EjZZZNS0_31launch_logcumsumexp_cuda_kernelERKNS_10TensorBaseES6_lENKUlvE_clEvENKUlvE4_clEvEUlS3_S3_E_EEvPT_PKSA_jjjSA_T1_ ; -- Begin function _ZN2at6native28tensor_kernel_scan_outer_dimIN3c108BFloat16EjZZZNS0_31launch_logcumsumexp_cuda_kernelERKNS_10TensorBaseES6_lENKUlvE_clEvENKUlvE4_clEvEUlS3_S3_E_EEvPT_PKSA_jjjSA_T1_
	.p2align	8
	.type	_ZN2at6native28tensor_kernel_scan_outer_dimIN3c108BFloat16EjZZZNS0_31launch_logcumsumexp_cuda_kernelERKNS_10TensorBaseES6_lENKUlvE_clEvENKUlvE4_clEvEUlS3_S3_E_EEvPT_PKSA_jjjSA_T1_,@function
_ZN2at6native28tensor_kernel_scan_outer_dimIN3c108BFloat16EjZZZNS0_31launch_logcumsumexp_cuda_kernelERKNS_10TensorBaseES6_lENKUlvE_clEvENKUlvE4_clEvEUlS3_S3_E_EEvPT_PKSA_jjjSA_T1_: ; @_ZN2at6native28tensor_kernel_scan_outer_dimIN3c108BFloat16EjZZZNS0_31launch_logcumsumexp_cuda_kernelERKNS_10TensorBaseES6_lENKUlvE_clEvENKUlvE4_clEvEUlS3_S3_E_EEvPT_PKSA_jjjSA_T1_
; %bb.0:
	s_load_dwordx4 s[8:11], s[0:1], 0x10
	s_waitcnt lgkmcnt(0)
	s_cmp_ge_u32 s2, s8
	s_cbranch_scc1 .LBB522_11
; %bb.1:
	s_load_dword s4, s[0:1], 0x2c
	s_load_dwordx4 s[12:15], s[0:1], 0x0
	s_load_dword s28, s[0:1], 0x20
	s_add_u32 s6, s0, 32
	s_addc_u32 s7, s1, 0
	s_waitcnt lgkmcnt(0)
	s_and_b32 s29, s4, 0xffff
	s_mul_i32 s3, s3, s29
	s_cmp_lg_u32 s10, 0
	v_add_u32_e32 v6, s3, v0
	s_cselect_b64 s[4:5], -1, 0
	s_mul_i32 s3, s2, s10
	s_mov_b32 s17, 0
	s_mov_b32 s16, s9
	s_mul_i32 s20, s3, s9
	s_mul_i32 s3, s28, s10
	v_cndmask_b32_e64 v0, 0, 1, s[4:5]
	v_cmp_gt_u32_e64 s[0:1], s9, v6
	s_mul_i32 s3, s3, s9
	s_lshl_b64 s[18:19], s[16:17], 1
	v_cmp_ne_u32_e64 s[4:5], 1, v0
	v_mov_b32_e32 v1, 0
	s_movk_i32 s30, 0x1f8
	s_mov_b32 s31, 0x3fb8aa3b
	s_mov_b32 s33, 0xc2ce8ed0
	;; [unrolled: 1-line block ×5, first 2 shown]
	v_mov_b32_e32 v7, 0x3ecc95a3
	s_mov_b32 s37, 0x3f317218
	s_mov_b32 s38, 0x33800000
	s_movk_i32 s39, 0x7fff
	v_mov_b32_e32 v8, 0x7f800000
	v_mov_b32_e32 v2, 0x3f317218
	;; [unrolled: 1-line block ×3, first 2 shown]
	s_mov_b32 s16, s20
                                        ; implicit-def: $vgpr0
	s_branch .LBB522_3
.LBB522_2:                              ;   in Loop: Header=BB522_3 Depth=1
	s_or_b64 exec, exec, s[20:21]
	s_add_i32 s2, s28, s2
	s_add_i32 s16, s16, s3
	s_cmp_ge_u32 s2, s8
	s_cbranch_scc1 .LBB522_11
.LBB522_3:                              ; =>This Loop Header: Depth=1
                                        ;     Child Loop BB522_6 Depth 2
                                        ;       Child Loop BB522_9 Depth 3
	s_and_saveexec_b64 s[20:21], s[0:1]
	s_cbranch_execz .LBB522_2
; %bb.4:                                ;   in Loop: Header=BB522_3 Depth=1
	s_load_dword s40, s[6:7], 0x4
	s_lshl_b64 s[22:23], s[16:17], 1
	s_mov_b64 s[24:25], 0
	v_mov_b32_e32 v0, v6
	s_waitcnt lgkmcnt(0)
	s_mul_i32 s40, s40, s29
	s_branch .LBB522_6
.LBB522_5:                              ;   in Loop: Header=BB522_6 Depth=2
	v_add_u32_e32 v0, s40, v0
	v_cmp_le_u32_e32 vcc, s9, v0
	s_or_b64 s[24:25], vcc, s[24:25]
	s_andn2_b64 exec, exec, s[24:25]
	s_cbranch_execz .LBB522_2
.LBB522_6:                              ;   Parent Loop BB522_3 Depth=1
                                        ; =>  This Loop Header: Depth=2
                                        ;       Child Loop BB522_9 Depth 3
	s_and_b64 vcc, exec, s[4:5]
	s_cbranch_vccnz .LBB522_5
; %bb.7:                                ;   in Loop: Header=BB522_6 Depth=2
	v_lshl_add_u64 v[4:5], v[0:1], 1, s[22:23]
	v_mov_b32_e32 v3, s11
	s_mov_b32 s41, s10
	s_branch .LBB522_9
.LBB522_8:                              ;   in Loop: Header=BB522_9 Depth=3
	s_or_b64 exec, exec, s[26:27]
	v_bfe_u32 v12, v3, 16, 1
	v_add3_u32 v12, v3, v12, s39
	v_cmp_o_f32_e32 vcc, v3, v3
	s_add_i32 s41, s41, -1
	v_lshl_add_u64 v[10:11], s[12:13], 0, v[4:5]
	v_cndmask_b32_sdwa v3, v9, v12, vcc dst_sel:DWORD dst_unused:UNUSED_PAD src0_sel:DWORD src1_sel:WORD_1
	s_cmp_eq_u32 s41, 0
	v_lshl_add_u64 v[4:5], v[4:5], 0, s[18:19]
	global_store_short v[10:11], v3, off
	s_cbranch_scc1 .LBB522_5
.LBB522_9:                              ;   Parent Loop BB522_3 Depth=1
                                        ;     Parent Loop BB522_6 Depth=2
                                        ; =>    This Inner Loop Header: Depth=3
	v_lshl_add_u64 v[10:11], s[14:15], 0, v[4:5]
	global_load_ushort v10, v[10:11], off
	v_lshlrev_b32_e32 v3, 16, v3
	v_max_f32_e32 v11, v3, v3
	v_cmp_u_f32_e32 vcc, v3, v3
	s_waitcnt vmcnt(0)
	v_lshlrev_b32_e32 v10, 16, v10
	v_max_f32_e32 v12, v10, v10
	v_min_f32_e32 v13, v11, v12
	v_max_f32_e32 v11, v11, v12
	v_cndmask_b32_e32 v12, v13, v3, vcc
	v_cndmask_b32_e32 v13, v11, v3, vcc
	v_cmp_u_f32_e32 vcc, v10, v10
	s_nop 1
	v_cndmask_b32_e32 v11, v12, v10, vcc
	v_cndmask_b32_e32 v10, v13, v10, vcc
	v_cmp_neq_f32_e32 vcc, v11, v10
	v_cmp_class_f32_e64 s[26:27], v11, s30
	s_or_b64 s[42:43], vcc, s[26:27]
	s_and_saveexec_b64 s[26:27], s[42:43]
	s_cbranch_execz .LBB522_8
; %bb.10:                               ;   in Loop: Header=BB522_9 Depth=3
	v_sub_f32_e32 v3, v11, v10
	v_mul_f32_e32 v11, 0x3fb8aa3b, v3
	v_fma_f32 v12, v3, s31, -v11
	v_rndne_f32_e32 v13, v11
	v_fmac_f32_e32 v12, 0x32a5705f, v3
	v_sub_f32_e32 v11, v11, v13
	v_add_f32_e32 v11, v11, v12
	v_cvt_i32_f32_e32 v12, v13
	v_exp_f32_e32 v11, v11
	v_cmp_ngt_f32_e32 vcc, s33, v3
	v_ldexp_f32 v11, v11, v12
	s_nop 0
	v_cndmask_b32_e32 v11, 0, v11, vcc
	v_cmp_nlt_f32_e32 vcc, s34, v3
	s_nop 1
	v_cndmask_b32_e32 v11, v8, v11, vcc
	v_add_f32_e32 v3, 1.0, v11
	v_add_f32_e32 v12, -1.0, v3
	v_sub_f32_e32 v13, v12, v3
	v_add_f32_e32 v13, 1.0, v13
	v_sub_f32_e32 v12, v11, v12
	v_add_f32_e32 v14, v12, v13
	v_frexp_mant_f32_e32 v15, v3
	v_cvt_f64_f32_e32 v[12:13], v3
	v_frexp_exp_i32_f64_e32 v12, v[12:13]
	v_cmp_gt_f32_e32 vcc, s36, v15
	s_nop 1
	v_subbrev_co_u32_e32 v20, vcc, 0, v12, vcc
	v_sub_u32_e32 v12, 0, v20
	v_ldexp_f32 v3, v3, v12
	v_ldexp_f32 v12, v14, v12
	v_add_f32_e32 v14, -1.0, v3
	v_add_f32_e32 v13, 1.0, v14
	v_sub_f32_e32 v13, v3, v13
	v_add_f32_e32 v15, v12, v13
	v_add_f32_e32 v13, 1.0, v3
	v_add_f32_e32 v16, -1.0, v13
	v_sub_f32_e32 v3, v3, v16
	v_add_f32_e32 v3, v12, v3
	v_add_f32_e32 v21, v13, v3
	v_rcp_f32_e32 v22, v21
	v_sub_f32_e32 v12, v13, v21
	v_add_f32_e32 v13, v14, v15
	v_add_f32_e32 v3, v3, v12
	v_mul_f32_e32 v24, v13, v22
	v_sub_f32_e32 v12, v14, v13
	v_mul_f32_e32 v14, v21, v24
	v_fma_f32 v16, v24, v21, -v14
	v_fmac_f32_e32 v16, v24, v3
	v_add_f32_e32 v23, v15, v12
	v_add_f32_e32 v12, v14, v16
	v_sub_f32_e32 v15, v13, v12
	v_pk_add_f32 v[18:19], v[12:13], v[14:15] neg_lo:[0,1] neg_hi:[0,1]
	v_mov_b32_e32 v17, v12
	v_pk_add_f32 v[12:13], v[18:19], v[16:17] neg_lo:[0,1] neg_hi:[0,1]
	v_cmp_neq_f32_e32 vcc, s35, v11
	v_add_f32_e32 v13, v23, v13
	v_add_f32_e32 v12, v12, v13
	;; [unrolled: 1-line block ×3, first 2 shown]
	v_mul_f32_e32 v23, v22, v13
	v_mul_f32_e32 v14, v21, v23
	v_fma_f32 v16, v23, v21, -v14
	v_fmac_f32_e32 v16, v23, v3
	v_sub_f32_e32 v3, v15, v13
	v_add_f32_e32 v3, v12, v3
	v_add_f32_e32 v12, v14, v16
	v_sub_f32_e32 v15, v13, v12
	v_pk_add_f32 v[18:19], v[12:13], v[14:15] neg_lo:[0,1] neg_hi:[0,1]
	v_mov_b32_e32 v17, v12
	v_pk_add_f32 v[12:13], v[18:19], v[16:17] neg_lo:[0,1] neg_hi:[0,1]
	s_nop 0
	v_add_f32_e32 v3, v3, v13
	v_add_f32_e32 v3, v12, v3
	;; [unrolled: 1-line block ×4, first 2 shown]
	v_sub_f32_e32 v12, v13, v24
	v_mul_f32_e32 v3, v22, v3
	v_sub_f32_e32 v12, v23, v12
	v_add_f32_e32 v14, v12, v3
	v_add_f32_e32 v16, v13, v14
	v_cvt_f32_i32_e32 v12, v20
	v_mul_f32_e32 v17, v16, v16
	v_sub_f32_e32 v13, v16, v13
	v_fmamk_f32 v3, v17, 0x3e9b6dac, v7
	v_sub_f32_e32 v13, v14, v13
	v_fmaak_f32 v3, v17, v3, 0x3f2aaada
	v_ldexp_f32 v18, v13, 1
	v_mul_f32_e32 v13, v16, v17
	v_ldexp_f32 v15, v16, 1
	v_pk_mul_f32 v[16:17], v[12:13], v[2:3]
	s_nop 0
	v_fma_f32 v14, v12, s37, -v16
	v_fmac_f32_e32 v14, 0xb102e308, v12
	v_pk_add_f32 v[12:13], v[16:17], v[14:15]
	s_nop 0
	v_sub_f32_e32 v3, v13, v15
	v_sub_f32_e32 v3, v17, v3
	v_add_f32_e32 v19, v18, v3
	v_mov_b32_e32 v18, v16
	v_pk_add_f32 v[16:17], v[12:13], v[16:17] neg_lo:[0,1] neg_hi:[0,1]
	v_pk_add_f32 v[20:21], v[12:13], v[18:19]
	v_mov_b32_e32 v15, v12
	v_mov_b32_e32 v17, v21
	v_pk_add_f32 v[22:23], v[14:15], v[16:17] neg_lo:[0,1] neg_hi:[0,1]
	v_pk_add_f32 v[14:15], v[14:15], v[16:17]
	v_mov_b32_e32 v18, v19
	v_pk_add_f32 v[16:17], v[14:15], v[12:13] op_sel:[1,0] op_sel_hi:[0,1] neg_lo:[0,1] neg_hi:[0,1]
	v_pk_add_f32 v[24:25], v[20:21], v[16:17] op_sel_hi:[1,0] neg_lo:[0,1] neg_hi:[0,1]
	v_mov_b32_e32 v20, v21
	v_mov_b32_e32 v21, v15
	v_pk_mov_b32 v[16:17], v[12:13], v[16:17] op_sel:[1,0]
	v_mov_b32_e32 v19, v12
	v_pk_add_f32 v[16:17], v[20:21], v[16:17] neg_lo:[0,1] neg_hi:[0,1]
	v_mov_b32_e32 v24, v22
	v_pk_add_f32 v[12:13], v[18:19], v[16:17] neg_lo:[0,1] neg_hi:[0,1]
	v_mov_b32_e32 v23, v15
	v_pk_add_f32 v[16:17], v[24:25], v[12:13]
	s_nop 0
	v_pk_add_f32 v[18:19], v[16:17], v[16:17] op_sel:[0,1] op_sel_hi:[1,0]
	s_nop 0
	v_pk_add_f32 v[14:15], v[14:15], v[18:19] op_sel:[1,0] op_sel_hi:[0,1]
	v_mov_b32_e32 v17, v14
	v_pk_add_f32 v[20:21], v[16:17], v[22:23] neg_lo:[0,1] neg_hi:[0,1]
	v_mov_b32_e32 v13, v18
	v_sub_f32_e32 v3, v16, v20
	v_pk_add_f32 v[12:13], v[12:13], v[20:21] neg_lo:[0,1] neg_hi:[0,1]
	v_sub_f32_e32 v3, v22, v3
	v_add_f32_e32 v3, v12, v3
	v_add_f32_e32 v3, v3, v13
	;; [unrolled: 1-line block ×3, first 2 shown]
	v_cndmask_b32_e32 v3, v8, v3, vcc
	v_cmp_lt_f32_e64 vcc, |v11|, s38
	s_nop 1
	v_cndmask_b32_e32 v3, v3, v11, vcc
	v_add_f32_e32 v3, v10, v3
	s_branch .LBB522_8
.LBB522_11:
	s_endpgm
	.section	.rodata,"a",@progbits
	.p2align	6, 0x0
	.amdhsa_kernel _ZN2at6native28tensor_kernel_scan_outer_dimIN3c108BFloat16EjZZZNS0_31launch_logcumsumexp_cuda_kernelERKNS_10TensorBaseES6_lENKUlvE_clEvENKUlvE4_clEvEUlS3_S3_E_EEvPT_PKSA_jjjSA_T1_
		.amdhsa_group_segment_fixed_size 0
		.amdhsa_private_segment_fixed_size 0
		.amdhsa_kernarg_size 288
		.amdhsa_user_sgpr_count 2
		.amdhsa_user_sgpr_dispatch_ptr 0
		.amdhsa_user_sgpr_queue_ptr 0
		.amdhsa_user_sgpr_kernarg_segment_ptr 1
		.amdhsa_user_sgpr_dispatch_id 0
		.amdhsa_user_sgpr_kernarg_preload_length 0
		.amdhsa_user_sgpr_kernarg_preload_offset 0
		.amdhsa_user_sgpr_private_segment_size 0
		.amdhsa_uses_dynamic_stack 0
		.amdhsa_enable_private_segment 0
		.amdhsa_system_sgpr_workgroup_id_x 1
		.amdhsa_system_sgpr_workgroup_id_y 1
		.amdhsa_system_sgpr_workgroup_id_z 0
		.amdhsa_system_sgpr_workgroup_info 0
		.amdhsa_system_vgpr_workitem_id 0
		.amdhsa_next_free_vgpr 26
		.amdhsa_next_free_sgpr 44
		.amdhsa_accum_offset 28
		.amdhsa_reserve_vcc 1
		.amdhsa_float_round_mode_32 0
		.amdhsa_float_round_mode_16_64 0
		.amdhsa_float_denorm_mode_32 3
		.amdhsa_float_denorm_mode_16_64 3
		.amdhsa_dx10_clamp 1
		.amdhsa_ieee_mode 1
		.amdhsa_fp16_overflow 0
		.amdhsa_tg_split 0
		.amdhsa_exception_fp_ieee_invalid_op 0
		.amdhsa_exception_fp_denorm_src 0
		.amdhsa_exception_fp_ieee_div_zero 0
		.amdhsa_exception_fp_ieee_overflow 0
		.amdhsa_exception_fp_ieee_underflow 0
		.amdhsa_exception_fp_ieee_inexact 0
		.amdhsa_exception_int_div_zero 0
	.end_amdhsa_kernel
	.section	.text._ZN2at6native28tensor_kernel_scan_outer_dimIN3c108BFloat16EjZZZNS0_31launch_logcumsumexp_cuda_kernelERKNS_10TensorBaseES6_lENKUlvE_clEvENKUlvE4_clEvEUlS3_S3_E_EEvPT_PKSA_jjjSA_T1_,"axG",@progbits,_ZN2at6native28tensor_kernel_scan_outer_dimIN3c108BFloat16EjZZZNS0_31launch_logcumsumexp_cuda_kernelERKNS_10TensorBaseES6_lENKUlvE_clEvENKUlvE4_clEvEUlS3_S3_E_EEvPT_PKSA_jjjSA_T1_,comdat
.Lfunc_end522:
	.size	_ZN2at6native28tensor_kernel_scan_outer_dimIN3c108BFloat16EjZZZNS0_31launch_logcumsumexp_cuda_kernelERKNS_10TensorBaseES6_lENKUlvE_clEvENKUlvE4_clEvEUlS3_S3_E_EEvPT_PKSA_jjjSA_T1_, .Lfunc_end522-_ZN2at6native28tensor_kernel_scan_outer_dimIN3c108BFloat16EjZZZNS0_31launch_logcumsumexp_cuda_kernelERKNS_10TensorBaseES6_lENKUlvE_clEvENKUlvE4_clEvEUlS3_S3_E_EEvPT_PKSA_jjjSA_T1_
                                        ; -- End function
	.set _ZN2at6native28tensor_kernel_scan_outer_dimIN3c108BFloat16EjZZZNS0_31launch_logcumsumexp_cuda_kernelERKNS_10TensorBaseES6_lENKUlvE_clEvENKUlvE4_clEvEUlS3_S3_E_EEvPT_PKSA_jjjSA_T1_.num_vgpr, 26
	.set _ZN2at6native28tensor_kernel_scan_outer_dimIN3c108BFloat16EjZZZNS0_31launch_logcumsumexp_cuda_kernelERKNS_10TensorBaseES6_lENKUlvE_clEvENKUlvE4_clEvEUlS3_S3_E_EEvPT_PKSA_jjjSA_T1_.num_agpr, 0
	.set _ZN2at6native28tensor_kernel_scan_outer_dimIN3c108BFloat16EjZZZNS0_31launch_logcumsumexp_cuda_kernelERKNS_10TensorBaseES6_lENKUlvE_clEvENKUlvE4_clEvEUlS3_S3_E_EEvPT_PKSA_jjjSA_T1_.numbered_sgpr, 44
	.set _ZN2at6native28tensor_kernel_scan_outer_dimIN3c108BFloat16EjZZZNS0_31launch_logcumsumexp_cuda_kernelERKNS_10TensorBaseES6_lENKUlvE_clEvENKUlvE4_clEvEUlS3_S3_E_EEvPT_PKSA_jjjSA_T1_.num_named_barrier, 0
	.set _ZN2at6native28tensor_kernel_scan_outer_dimIN3c108BFloat16EjZZZNS0_31launch_logcumsumexp_cuda_kernelERKNS_10TensorBaseES6_lENKUlvE_clEvENKUlvE4_clEvEUlS3_S3_E_EEvPT_PKSA_jjjSA_T1_.private_seg_size, 0
	.set _ZN2at6native28tensor_kernel_scan_outer_dimIN3c108BFloat16EjZZZNS0_31launch_logcumsumexp_cuda_kernelERKNS_10TensorBaseES6_lENKUlvE_clEvENKUlvE4_clEvEUlS3_S3_E_EEvPT_PKSA_jjjSA_T1_.uses_vcc, 1
	.set _ZN2at6native28tensor_kernel_scan_outer_dimIN3c108BFloat16EjZZZNS0_31launch_logcumsumexp_cuda_kernelERKNS_10TensorBaseES6_lENKUlvE_clEvENKUlvE4_clEvEUlS3_S3_E_EEvPT_PKSA_jjjSA_T1_.uses_flat_scratch, 0
	.set _ZN2at6native28tensor_kernel_scan_outer_dimIN3c108BFloat16EjZZZNS0_31launch_logcumsumexp_cuda_kernelERKNS_10TensorBaseES6_lENKUlvE_clEvENKUlvE4_clEvEUlS3_S3_E_EEvPT_PKSA_jjjSA_T1_.has_dyn_sized_stack, 0
	.set _ZN2at6native28tensor_kernel_scan_outer_dimIN3c108BFloat16EjZZZNS0_31launch_logcumsumexp_cuda_kernelERKNS_10TensorBaseES6_lENKUlvE_clEvENKUlvE4_clEvEUlS3_S3_E_EEvPT_PKSA_jjjSA_T1_.has_recursion, 0
	.set _ZN2at6native28tensor_kernel_scan_outer_dimIN3c108BFloat16EjZZZNS0_31launch_logcumsumexp_cuda_kernelERKNS_10TensorBaseES6_lENKUlvE_clEvENKUlvE4_clEvEUlS3_S3_E_EEvPT_PKSA_jjjSA_T1_.has_indirect_call, 0
	.section	.AMDGPU.csdata,"",@progbits
; Kernel info:
; codeLenInByte = 1200
; TotalNumSgprs: 50
; NumVgprs: 26
; NumAgprs: 0
; TotalNumVgprs: 26
; ScratchSize: 0
; MemoryBound: 0
; FloatMode: 240
; IeeeMode: 1
; LDSByteSize: 0 bytes/workgroup (compile time only)
; SGPRBlocks: 6
; VGPRBlocks: 3
; NumSGPRsForWavesPerEU: 50
; NumVGPRsForWavesPerEU: 26
; AccumOffset: 28
; Occupancy: 8
; WaveLimiterHint : 0
; COMPUTE_PGM_RSRC2:SCRATCH_EN: 0
; COMPUTE_PGM_RSRC2:USER_SGPR: 2
; COMPUTE_PGM_RSRC2:TRAP_HANDLER: 0
; COMPUTE_PGM_RSRC2:TGID_X_EN: 1
; COMPUTE_PGM_RSRC2:TGID_Y_EN: 1
; COMPUTE_PGM_RSRC2:TGID_Z_EN: 0
; COMPUTE_PGM_RSRC2:TIDIG_COMP_CNT: 0
; COMPUTE_PGM_RSRC3_GFX90A:ACCUM_OFFSET: 6
; COMPUTE_PGM_RSRC3_GFX90A:TG_SPLIT: 0
	.section	.text._ZN2at6native28tensor_kernel_scan_outer_dimIN3c108BFloat16EmZZZNS0_31launch_logcumsumexp_cuda_kernelERKNS_10TensorBaseES6_lENKUlvE_clEvENKUlvE4_clEvEUlS3_S3_E_EEvPT_PKSA_jjjSA_T1_,"axG",@progbits,_ZN2at6native28tensor_kernel_scan_outer_dimIN3c108BFloat16EmZZZNS0_31launch_logcumsumexp_cuda_kernelERKNS_10TensorBaseES6_lENKUlvE_clEvENKUlvE4_clEvEUlS3_S3_E_EEvPT_PKSA_jjjSA_T1_,comdat
	.globl	_ZN2at6native28tensor_kernel_scan_outer_dimIN3c108BFloat16EmZZZNS0_31launch_logcumsumexp_cuda_kernelERKNS_10TensorBaseES6_lENKUlvE_clEvENKUlvE4_clEvEUlS3_S3_E_EEvPT_PKSA_jjjSA_T1_ ; -- Begin function _ZN2at6native28tensor_kernel_scan_outer_dimIN3c108BFloat16EmZZZNS0_31launch_logcumsumexp_cuda_kernelERKNS_10TensorBaseES6_lENKUlvE_clEvENKUlvE4_clEvEUlS3_S3_E_EEvPT_PKSA_jjjSA_T1_
	.p2align	8
	.type	_ZN2at6native28tensor_kernel_scan_outer_dimIN3c108BFloat16EmZZZNS0_31launch_logcumsumexp_cuda_kernelERKNS_10TensorBaseES6_lENKUlvE_clEvENKUlvE4_clEvEUlS3_S3_E_EEvPT_PKSA_jjjSA_T1_,@function
_ZN2at6native28tensor_kernel_scan_outer_dimIN3c108BFloat16EmZZZNS0_31launch_logcumsumexp_cuda_kernelERKNS_10TensorBaseES6_lENKUlvE_clEvENKUlvE4_clEvEUlS3_S3_E_EEvPT_PKSA_jjjSA_T1_: ; @_ZN2at6native28tensor_kernel_scan_outer_dimIN3c108BFloat16EmZZZNS0_31launch_logcumsumexp_cuda_kernelERKNS_10TensorBaseES6_lENKUlvE_clEvENKUlvE4_clEvEUlS3_S3_E_EEvPT_PKSA_jjjSA_T1_
; %bb.0:
	s_load_dwordx4 s[8:11], s[0:1], 0x10
	s_waitcnt lgkmcnt(0)
	s_cmp_ge_u32 s2, s8
	s_cbranch_scc1 .LBB523_11
; %bb.1:
	s_load_dword s4, s[0:1], 0x2c
	s_load_dwordx4 s[12:15], s[0:1], 0x0
	s_load_dword s28, s[0:1], 0x20
	s_add_u32 s6, s0, 32
	s_addc_u32 s7, s1, 0
	s_waitcnt lgkmcnt(0)
	s_and_b32 s29, s4, 0xffff
	s_cmp_lg_u32 s10, 0
	s_mul_i32 s3, s3, s29
	s_cselect_b64 s[20:21], -1, 0
	v_add_u32_e32 v6, s3, v0
	s_mov_b32 s5, 0
	s_mov_b32 s4, s9
	s_mul_hi_u32 s17, s10, s9
	s_mul_i32 s16, s10, s9
	v_cndmask_b32_e64 v0, 0, 1, s[20:21]
	v_cmp_gt_u32_e64 s[0:1], s9, v6
	s_lshl_b64 s[16:17], s[16:17], 1
	s_lshl_b64 s[18:19], s[4:5], 1
	v_cmp_ne_u32_e64 s[4:5], 1, v0
	v_mov_b32_e32 v1, 0
	s_movk_i32 s3, 0x1f8
	s_mov_b32 s30, 0x3fb8aa3b
	s_mov_b32 s31, 0xc2ce8ed0
	;; [unrolled: 1-line block ×5, first 2 shown]
	v_mov_b32_e32 v7, 0x3ecc95a3
	s_mov_b32 s36, 0x3f317218
	s_mov_b32 s37, 0x33800000
	s_movk_i32 s38, 0x7fff
	v_mov_b32_e32 v8, 0x7f800000
	v_mov_b32_e32 v2, 0x3f317218
	;; [unrolled: 1-line block ×3, first 2 shown]
                                        ; implicit-def: $vgpr0
	s_branch .LBB523_3
.LBB523_2:                              ;   in Loop: Header=BB523_3 Depth=1
	s_or_b64 exec, exec, s[20:21]
	s_add_i32 s2, s2, s28
	s_cmp_ge_u32 s2, s8
	s_cbranch_scc1 .LBB523_11
.LBB523_3:                              ; =>This Loop Header: Depth=1
                                        ;     Child Loop BB523_6 Depth 2
                                        ;       Child Loop BB523_9 Depth 3
	s_and_saveexec_b64 s[20:21], s[0:1]
	s_cbranch_execz .LBB523_2
; %bb.4:                                ;   in Loop: Header=BB523_3 Depth=1
	s_load_dword s39, s[6:7], 0x4
	s_mul_i32 s23, s17, s2
	s_mul_hi_u32 s24, s16, s2
	s_mul_i32 s22, s16, s2
	s_add_i32 s23, s24, s23
	s_waitcnt lgkmcnt(0)
	s_mul_i32 s39, s39, s29
	s_mov_b64 s[24:25], 0
	v_mov_b32_e32 v0, v6
	s_branch .LBB523_6
.LBB523_5:                              ;   in Loop: Header=BB523_6 Depth=2
	v_add_u32_e32 v0, s39, v0
	v_cmp_le_u32_e32 vcc, s9, v0
	s_or_b64 s[24:25], vcc, s[24:25]
	s_andn2_b64 exec, exec, s[24:25]
	s_cbranch_execz .LBB523_2
.LBB523_6:                              ;   Parent Loop BB523_3 Depth=1
                                        ; =>  This Loop Header: Depth=2
                                        ;       Child Loop BB523_9 Depth 3
	s_and_b64 vcc, exec, s[4:5]
	s_cbranch_vccnz .LBB523_5
; %bb.7:                                ;   in Loop: Header=BB523_6 Depth=2
	v_lshl_add_u64 v[4:5], v[0:1], 1, s[22:23]
	v_mov_b32_e32 v3, s11
	s_mov_b32 s40, s10
	s_branch .LBB523_9
.LBB523_8:                              ;   in Loop: Header=BB523_9 Depth=3
	s_or_b64 exec, exec, s[26:27]
	v_bfe_u32 v12, v3, 16, 1
	v_add3_u32 v12, v3, v12, s38
	v_cmp_o_f32_e32 vcc, v3, v3
	s_add_i32 s40, s40, -1
	v_lshl_add_u64 v[10:11], s[12:13], 0, v[4:5]
	v_cndmask_b32_sdwa v3, v9, v12, vcc dst_sel:DWORD dst_unused:UNUSED_PAD src0_sel:DWORD src1_sel:WORD_1
	s_cmp_eq_u32 s40, 0
	v_lshl_add_u64 v[4:5], v[4:5], 0, s[18:19]
	global_store_short v[10:11], v3, off
	s_cbranch_scc1 .LBB523_5
.LBB523_9:                              ;   Parent Loop BB523_3 Depth=1
                                        ;     Parent Loop BB523_6 Depth=2
                                        ; =>    This Inner Loop Header: Depth=3
	v_lshl_add_u64 v[10:11], s[14:15], 0, v[4:5]
	global_load_ushort v10, v[10:11], off
	v_lshlrev_b32_e32 v3, 16, v3
	v_max_f32_e32 v11, v3, v3
	v_cmp_u_f32_e32 vcc, v3, v3
	s_waitcnt vmcnt(0)
	v_lshlrev_b32_e32 v10, 16, v10
	v_max_f32_e32 v12, v10, v10
	v_min_f32_e32 v13, v11, v12
	v_max_f32_e32 v11, v11, v12
	v_cndmask_b32_e32 v12, v13, v3, vcc
	v_cndmask_b32_e32 v13, v11, v3, vcc
	v_cmp_u_f32_e32 vcc, v10, v10
	s_nop 1
	v_cndmask_b32_e32 v11, v12, v10, vcc
	v_cndmask_b32_e32 v10, v13, v10, vcc
	v_cmp_neq_f32_e32 vcc, v11, v10
	v_cmp_class_f32_e64 s[26:27], v11, s3
	s_or_b64 s[42:43], vcc, s[26:27]
	s_and_saveexec_b64 s[26:27], s[42:43]
	s_cbranch_execz .LBB523_8
; %bb.10:                               ;   in Loop: Header=BB523_9 Depth=3
	v_sub_f32_e32 v3, v11, v10
	v_mul_f32_e32 v11, 0x3fb8aa3b, v3
	v_fma_f32 v12, v3, s30, -v11
	v_rndne_f32_e32 v13, v11
	v_fmac_f32_e32 v12, 0x32a5705f, v3
	v_sub_f32_e32 v11, v11, v13
	v_add_f32_e32 v11, v11, v12
	v_cvt_i32_f32_e32 v12, v13
	v_exp_f32_e32 v11, v11
	v_cmp_ngt_f32_e32 vcc, s31, v3
	v_ldexp_f32 v11, v11, v12
	s_nop 0
	v_cndmask_b32_e32 v11, 0, v11, vcc
	v_cmp_nlt_f32_e32 vcc, s33, v3
	s_nop 1
	v_cndmask_b32_e32 v11, v8, v11, vcc
	v_add_f32_e32 v3, 1.0, v11
	v_add_f32_e32 v12, -1.0, v3
	v_sub_f32_e32 v13, v12, v3
	v_add_f32_e32 v13, 1.0, v13
	v_sub_f32_e32 v12, v11, v12
	v_add_f32_e32 v14, v12, v13
	v_frexp_mant_f32_e32 v15, v3
	v_cvt_f64_f32_e32 v[12:13], v3
	v_frexp_exp_i32_f64_e32 v12, v[12:13]
	v_cmp_gt_f32_e32 vcc, s35, v15
	s_nop 1
	v_subbrev_co_u32_e32 v20, vcc, 0, v12, vcc
	v_sub_u32_e32 v12, 0, v20
	v_ldexp_f32 v3, v3, v12
	v_ldexp_f32 v12, v14, v12
	v_add_f32_e32 v14, -1.0, v3
	v_add_f32_e32 v13, 1.0, v14
	v_sub_f32_e32 v13, v3, v13
	v_add_f32_e32 v15, v12, v13
	v_add_f32_e32 v13, 1.0, v3
	v_add_f32_e32 v16, -1.0, v13
	v_sub_f32_e32 v3, v3, v16
	v_add_f32_e32 v3, v12, v3
	v_add_f32_e32 v21, v13, v3
	v_rcp_f32_e32 v22, v21
	v_sub_f32_e32 v12, v13, v21
	v_add_f32_e32 v13, v14, v15
	v_add_f32_e32 v3, v3, v12
	v_mul_f32_e32 v24, v13, v22
	v_sub_f32_e32 v12, v14, v13
	v_mul_f32_e32 v14, v21, v24
	v_fma_f32 v16, v24, v21, -v14
	v_fmac_f32_e32 v16, v24, v3
	v_add_f32_e32 v23, v15, v12
	v_add_f32_e32 v12, v14, v16
	v_sub_f32_e32 v15, v13, v12
	v_pk_add_f32 v[18:19], v[12:13], v[14:15] neg_lo:[0,1] neg_hi:[0,1]
	v_mov_b32_e32 v17, v12
	v_pk_add_f32 v[12:13], v[18:19], v[16:17] neg_lo:[0,1] neg_hi:[0,1]
	v_cmp_neq_f32_e32 vcc, s34, v11
	v_add_f32_e32 v13, v23, v13
	v_add_f32_e32 v12, v12, v13
	;; [unrolled: 1-line block ×3, first 2 shown]
	v_mul_f32_e32 v23, v22, v13
	v_mul_f32_e32 v14, v21, v23
	v_fma_f32 v16, v23, v21, -v14
	v_fmac_f32_e32 v16, v23, v3
	v_sub_f32_e32 v3, v15, v13
	v_add_f32_e32 v3, v12, v3
	v_add_f32_e32 v12, v14, v16
	v_sub_f32_e32 v15, v13, v12
	v_pk_add_f32 v[18:19], v[12:13], v[14:15] neg_lo:[0,1] neg_hi:[0,1]
	v_mov_b32_e32 v17, v12
	v_pk_add_f32 v[12:13], v[18:19], v[16:17] neg_lo:[0,1] neg_hi:[0,1]
	s_nop 0
	v_add_f32_e32 v3, v3, v13
	v_add_f32_e32 v3, v12, v3
	;; [unrolled: 1-line block ×4, first 2 shown]
	v_sub_f32_e32 v12, v13, v24
	v_mul_f32_e32 v3, v22, v3
	v_sub_f32_e32 v12, v23, v12
	v_add_f32_e32 v14, v12, v3
	v_add_f32_e32 v16, v13, v14
	v_cvt_f32_i32_e32 v12, v20
	v_mul_f32_e32 v17, v16, v16
	v_sub_f32_e32 v13, v16, v13
	v_fmamk_f32 v3, v17, 0x3e9b6dac, v7
	v_sub_f32_e32 v13, v14, v13
	v_fmaak_f32 v3, v17, v3, 0x3f2aaada
	v_ldexp_f32 v18, v13, 1
	v_mul_f32_e32 v13, v16, v17
	v_ldexp_f32 v15, v16, 1
	v_pk_mul_f32 v[16:17], v[12:13], v[2:3]
	s_nop 0
	v_fma_f32 v14, v12, s36, -v16
	v_fmac_f32_e32 v14, 0xb102e308, v12
	v_pk_add_f32 v[12:13], v[16:17], v[14:15]
	s_nop 0
	v_sub_f32_e32 v3, v13, v15
	v_sub_f32_e32 v3, v17, v3
	v_add_f32_e32 v19, v18, v3
	v_mov_b32_e32 v18, v16
	v_pk_add_f32 v[16:17], v[12:13], v[16:17] neg_lo:[0,1] neg_hi:[0,1]
	v_pk_add_f32 v[20:21], v[12:13], v[18:19]
	v_mov_b32_e32 v15, v12
	v_mov_b32_e32 v17, v21
	v_pk_add_f32 v[22:23], v[14:15], v[16:17] neg_lo:[0,1] neg_hi:[0,1]
	v_pk_add_f32 v[14:15], v[14:15], v[16:17]
	v_mov_b32_e32 v18, v19
	v_pk_add_f32 v[16:17], v[14:15], v[12:13] op_sel:[1,0] op_sel_hi:[0,1] neg_lo:[0,1] neg_hi:[0,1]
	v_pk_add_f32 v[24:25], v[20:21], v[16:17] op_sel_hi:[1,0] neg_lo:[0,1] neg_hi:[0,1]
	v_mov_b32_e32 v20, v21
	v_mov_b32_e32 v21, v15
	v_pk_mov_b32 v[16:17], v[12:13], v[16:17] op_sel:[1,0]
	v_mov_b32_e32 v19, v12
	v_pk_add_f32 v[16:17], v[20:21], v[16:17] neg_lo:[0,1] neg_hi:[0,1]
	v_mov_b32_e32 v24, v22
	v_pk_add_f32 v[12:13], v[18:19], v[16:17] neg_lo:[0,1] neg_hi:[0,1]
	v_mov_b32_e32 v23, v15
	v_pk_add_f32 v[16:17], v[24:25], v[12:13]
	s_nop 0
	v_pk_add_f32 v[18:19], v[16:17], v[16:17] op_sel:[0,1] op_sel_hi:[1,0]
	s_nop 0
	v_pk_add_f32 v[14:15], v[14:15], v[18:19] op_sel:[1,0] op_sel_hi:[0,1]
	v_mov_b32_e32 v17, v14
	v_pk_add_f32 v[20:21], v[16:17], v[22:23] neg_lo:[0,1] neg_hi:[0,1]
	v_mov_b32_e32 v13, v18
	v_sub_f32_e32 v3, v16, v20
	v_pk_add_f32 v[12:13], v[12:13], v[20:21] neg_lo:[0,1] neg_hi:[0,1]
	v_sub_f32_e32 v3, v22, v3
	v_add_f32_e32 v3, v12, v3
	v_add_f32_e32 v3, v3, v13
	;; [unrolled: 1-line block ×3, first 2 shown]
	v_cndmask_b32_e32 v3, v8, v3, vcc
	v_cmp_lt_f32_e64 vcc, |v11|, s37
	s_nop 1
	v_cndmask_b32_e32 v3, v3, v11, vcc
	v_add_f32_e32 v3, v10, v3
	s_branch .LBB523_8
.LBB523_11:
	s_endpgm
	.section	.rodata,"a",@progbits
	.p2align	6, 0x0
	.amdhsa_kernel _ZN2at6native28tensor_kernel_scan_outer_dimIN3c108BFloat16EmZZZNS0_31launch_logcumsumexp_cuda_kernelERKNS_10TensorBaseES6_lENKUlvE_clEvENKUlvE4_clEvEUlS3_S3_E_EEvPT_PKSA_jjjSA_T1_
		.amdhsa_group_segment_fixed_size 0
		.amdhsa_private_segment_fixed_size 0
		.amdhsa_kernarg_size 288
		.amdhsa_user_sgpr_count 2
		.amdhsa_user_sgpr_dispatch_ptr 0
		.amdhsa_user_sgpr_queue_ptr 0
		.amdhsa_user_sgpr_kernarg_segment_ptr 1
		.amdhsa_user_sgpr_dispatch_id 0
		.amdhsa_user_sgpr_kernarg_preload_length 0
		.amdhsa_user_sgpr_kernarg_preload_offset 0
		.amdhsa_user_sgpr_private_segment_size 0
		.amdhsa_uses_dynamic_stack 0
		.amdhsa_enable_private_segment 0
		.amdhsa_system_sgpr_workgroup_id_x 1
		.amdhsa_system_sgpr_workgroup_id_y 1
		.amdhsa_system_sgpr_workgroup_id_z 0
		.amdhsa_system_sgpr_workgroup_info 0
		.amdhsa_system_vgpr_workitem_id 0
		.amdhsa_next_free_vgpr 26
		.amdhsa_next_free_sgpr 44
		.amdhsa_accum_offset 28
		.amdhsa_reserve_vcc 1
		.amdhsa_float_round_mode_32 0
		.amdhsa_float_round_mode_16_64 0
		.amdhsa_float_denorm_mode_32 3
		.amdhsa_float_denorm_mode_16_64 3
		.amdhsa_dx10_clamp 1
		.amdhsa_ieee_mode 1
		.amdhsa_fp16_overflow 0
		.amdhsa_tg_split 0
		.amdhsa_exception_fp_ieee_invalid_op 0
		.amdhsa_exception_fp_denorm_src 0
		.amdhsa_exception_fp_ieee_div_zero 0
		.amdhsa_exception_fp_ieee_overflow 0
		.amdhsa_exception_fp_ieee_underflow 0
		.amdhsa_exception_fp_ieee_inexact 0
		.amdhsa_exception_int_div_zero 0
	.end_amdhsa_kernel
	.section	.text._ZN2at6native28tensor_kernel_scan_outer_dimIN3c108BFloat16EmZZZNS0_31launch_logcumsumexp_cuda_kernelERKNS_10TensorBaseES6_lENKUlvE_clEvENKUlvE4_clEvEUlS3_S3_E_EEvPT_PKSA_jjjSA_T1_,"axG",@progbits,_ZN2at6native28tensor_kernel_scan_outer_dimIN3c108BFloat16EmZZZNS0_31launch_logcumsumexp_cuda_kernelERKNS_10TensorBaseES6_lENKUlvE_clEvENKUlvE4_clEvEUlS3_S3_E_EEvPT_PKSA_jjjSA_T1_,comdat
.Lfunc_end523:
	.size	_ZN2at6native28tensor_kernel_scan_outer_dimIN3c108BFloat16EmZZZNS0_31launch_logcumsumexp_cuda_kernelERKNS_10TensorBaseES6_lENKUlvE_clEvENKUlvE4_clEvEUlS3_S3_E_EEvPT_PKSA_jjjSA_T1_, .Lfunc_end523-_ZN2at6native28tensor_kernel_scan_outer_dimIN3c108BFloat16EmZZZNS0_31launch_logcumsumexp_cuda_kernelERKNS_10TensorBaseES6_lENKUlvE_clEvENKUlvE4_clEvEUlS3_S3_E_EEvPT_PKSA_jjjSA_T1_
                                        ; -- End function
	.set _ZN2at6native28tensor_kernel_scan_outer_dimIN3c108BFloat16EmZZZNS0_31launch_logcumsumexp_cuda_kernelERKNS_10TensorBaseES6_lENKUlvE_clEvENKUlvE4_clEvEUlS3_S3_E_EEvPT_PKSA_jjjSA_T1_.num_vgpr, 26
	.set _ZN2at6native28tensor_kernel_scan_outer_dimIN3c108BFloat16EmZZZNS0_31launch_logcumsumexp_cuda_kernelERKNS_10TensorBaseES6_lENKUlvE_clEvENKUlvE4_clEvEUlS3_S3_E_EEvPT_PKSA_jjjSA_T1_.num_agpr, 0
	.set _ZN2at6native28tensor_kernel_scan_outer_dimIN3c108BFloat16EmZZZNS0_31launch_logcumsumexp_cuda_kernelERKNS_10TensorBaseES6_lENKUlvE_clEvENKUlvE4_clEvEUlS3_S3_E_EEvPT_PKSA_jjjSA_T1_.numbered_sgpr, 44
	.set _ZN2at6native28tensor_kernel_scan_outer_dimIN3c108BFloat16EmZZZNS0_31launch_logcumsumexp_cuda_kernelERKNS_10TensorBaseES6_lENKUlvE_clEvENKUlvE4_clEvEUlS3_S3_E_EEvPT_PKSA_jjjSA_T1_.num_named_barrier, 0
	.set _ZN2at6native28tensor_kernel_scan_outer_dimIN3c108BFloat16EmZZZNS0_31launch_logcumsumexp_cuda_kernelERKNS_10TensorBaseES6_lENKUlvE_clEvENKUlvE4_clEvEUlS3_S3_E_EEvPT_PKSA_jjjSA_T1_.private_seg_size, 0
	.set _ZN2at6native28tensor_kernel_scan_outer_dimIN3c108BFloat16EmZZZNS0_31launch_logcumsumexp_cuda_kernelERKNS_10TensorBaseES6_lENKUlvE_clEvENKUlvE4_clEvEUlS3_S3_E_EEvPT_PKSA_jjjSA_T1_.uses_vcc, 1
	.set _ZN2at6native28tensor_kernel_scan_outer_dimIN3c108BFloat16EmZZZNS0_31launch_logcumsumexp_cuda_kernelERKNS_10TensorBaseES6_lENKUlvE_clEvENKUlvE4_clEvEUlS3_S3_E_EEvPT_PKSA_jjjSA_T1_.uses_flat_scratch, 0
	.set _ZN2at6native28tensor_kernel_scan_outer_dimIN3c108BFloat16EmZZZNS0_31launch_logcumsumexp_cuda_kernelERKNS_10TensorBaseES6_lENKUlvE_clEvENKUlvE4_clEvEUlS3_S3_E_EEvPT_PKSA_jjjSA_T1_.has_dyn_sized_stack, 0
	.set _ZN2at6native28tensor_kernel_scan_outer_dimIN3c108BFloat16EmZZZNS0_31launch_logcumsumexp_cuda_kernelERKNS_10TensorBaseES6_lENKUlvE_clEvENKUlvE4_clEvEUlS3_S3_E_EEvPT_PKSA_jjjSA_T1_.has_recursion, 0
	.set _ZN2at6native28tensor_kernel_scan_outer_dimIN3c108BFloat16EmZZZNS0_31launch_logcumsumexp_cuda_kernelERKNS_10TensorBaseES6_lENKUlvE_clEvENKUlvE4_clEvEUlS3_S3_E_EEvPT_PKSA_jjjSA_T1_.has_indirect_call, 0
	.section	.AMDGPU.csdata,"",@progbits
; Kernel info:
; codeLenInByte = 1200
; TotalNumSgprs: 50
; NumVgprs: 26
; NumAgprs: 0
; TotalNumVgprs: 26
; ScratchSize: 0
; MemoryBound: 0
; FloatMode: 240
; IeeeMode: 1
; LDSByteSize: 0 bytes/workgroup (compile time only)
; SGPRBlocks: 6
; VGPRBlocks: 3
; NumSGPRsForWavesPerEU: 50
; NumVGPRsForWavesPerEU: 26
; AccumOffset: 28
; Occupancy: 8
; WaveLimiterHint : 0
; COMPUTE_PGM_RSRC2:SCRATCH_EN: 0
; COMPUTE_PGM_RSRC2:USER_SGPR: 2
; COMPUTE_PGM_RSRC2:TRAP_HANDLER: 0
; COMPUTE_PGM_RSRC2:TGID_X_EN: 1
; COMPUTE_PGM_RSRC2:TGID_Y_EN: 1
; COMPUTE_PGM_RSRC2:TGID_Z_EN: 0
; COMPUTE_PGM_RSRC2:TIDIG_COMP_CNT: 0
; COMPUTE_PGM_RSRC3_GFX90A:ACCUM_OFFSET: 6
; COMPUTE_PGM_RSRC3_GFX90A:TG_SPLIT: 0
	.text
	.p2alignl 6, 3212836864
	.fill 256, 4, 3212836864
	.section	.AMDGPU.gpr_maximums,"",@progbits
	.set amdgpu.max_num_vgpr, 52
	.set amdgpu.max_num_agpr, 0
	.set amdgpu.max_num_sgpr, 42
	.text
	.type	__hip_cuid_5d84f64518e3e0ee,@object ; @__hip_cuid_5d84f64518e3e0ee
	.section	.bss,"aw",@nobits
	.globl	__hip_cuid_5d84f64518e3e0ee
__hip_cuid_5d84f64518e3e0ee:
	.byte	0                               ; 0x0
	.size	__hip_cuid_5d84f64518e3e0ee, 1

	.ident	"AMD clang version 22.0.0git (https://github.com/RadeonOpenCompute/llvm-project roc-7.2.4 26084 f58b06dce1f9c15707c5f808fd002e18c2accf7e)"
	.section	".note.GNU-stack","",@progbits
	.addrsig
	.addrsig_sym __hip_cuid_5d84f64518e3e0ee
	.amdgpu_metadata
---
amdhsa.kernels:
  - .agpr_count:     0
    .args:
      - .address_space:  global
        .offset:         0
        .size:           8
        .value_kind:     global_buffer
      - .offset:         8
        .size:           4
        .value_kind:     by_value
      - .offset:         12
        .size:           1
        .value_kind:     by_value
      - .offset:         16
        .size:           4
        .value_kind:     by_value
      - .address_space:  global
        .offset:         24
        .size:           8
        .value_kind:     global_buffer
      - .offset:         32
        .size:           4
        .value_kind:     hidden_block_count_x
      - .offset:         36
        .size:           4
        .value_kind:     hidden_block_count_y
      - .offset:         40
        .size:           4
        .value_kind:     hidden_block_count_z
      - .offset:         44
        .size:           2
        .value_kind:     hidden_group_size_x
      - .offset:         46
        .size:           2
        .value_kind:     hidden_group_size_y
      - .offset:         48
        .size:           2
        .value_kind:     hidden_group_size_z
      - .offset:         50
        .size:           2
        .value_kind:     hidden_remainder_x
      - .offset:         52
        .size:           2
        .value_kind:     hidden_remainder_y
      - .offset:         54
        .size:           2
        .value_kind:     hidden_remainder_z
      - .offset:         72
        .size:           8
        .value_kind:     hidden_global_offset_x
      - .offset:         80
        .size:           8
        .value_kind:     hidden_global_offset_y
      - .offset:         88
        .size:           8
        .value_kind:     hidden_global_offset_z
      - .offset:         96
        .size:           2
        .value_kind:     hidden_grid_dims
    .group_segment_fixed_size: 0
    .kernarg_segment_align: 8
    .kernarg_segment_size: 288
    .language:       OpenCL C
    .language_version:
      - 2
      - 0
    .max_flat_workgroup_size: 256
    .name:           _ZN7rocprim17ROCPRIM_400000_NS6detail31init_lookback_scan_state_kernelINS1_19lookback_scan_stateIdLb0ELb1EEENS1_16block_id_wrapperIjLb0EEEEEvT_jT0_jPNS7_10value_typeE
    .private_segment_fixed_size: 0
    .sgpr_count:     19
    .sgpr_spill_count: 0
    .symbol:         _ZN7rocprim17ROCPRIM_400000_NS6detail31init_lookback_scan_state_kernelINS1_19lookback_scan_stateIdLb0ELb1EEENS1_16block_id_wrapperIjLb0EEEEEvT_jT0_jPNS7_10value_typeE.kd
    .uniform_work_group_size: 1
    .uses_dynamic_stack: false
    .vgpr_count:     10
    .vgpr_spill_count: 0
    .wavefront_size: 64
  - .agpr_count:     0
    .args:
      - .offset:         0
        .size:           104
        .value_kind:     by_value
    .group_segment_fixed_size: 12288
    .kernarg_segment_align: 8
    .kernarg_segment_size: 104
    .language:       OpenCL C
    .language_version:
      - 2
      - 0
    .max_flat_workgroup_size: 256
    .name:           _ZN7rocprim17ROCPRIM_400000_NS6detail17trampoline_kernelINS0_14default_configENS1_20scan_config_selectorIdEEZZNS1_9scan_implILNS1_25lookback_scan_determinismE0ELb0ELb0ES3_PKdPddZZZN2at6native31launch_logcumsumexp_cuda_kernelERKNSB_10TensorBaseESF_lENKUlvE_clEvENKUlvE_clEvEUlddE_dEEDaPvRmT3_T4_T5_mT6_P12ihipStream_tbENKUlT_T0_E_clISt17integral_constantIbLb0EESW_EEDaSR_SS_EUlSR_E_NS1_11comp_targetILNS1_3genE0ELNS1_11target_archE4294967295ELNS1_3gpuE0ELNS1_3repE0EEENS1_30default_config_static_selectorELNS0_4arch9wavefront6targetE1EEEvT1_
    .private_segment_fixed_size: 0
    .sgpr_count:     71
    .sgpr_spill_count: 0
    .symbol:         _ZN7rocprim17ROCPRIM_400000_NS6detail17trampoline_kernelINS0_14default_configENS1_20scan_config_selectorIdEEZZNS1_9scan_implILNS1_25lookback_scan_determinismE0ELb0ELb0ES3_PKdPddZZZN2at6native31launch_logcumsumexp_cuda_kernelERKNSB_10TensorBaseESF_lENKUlvE_clEvENKUlvE_clEvEUlddE_dEEDaPvRmT3_T4_T5_mT6_P12ihipStream_tbENKUlT_T0_E_clISt17integral_constantIbLb0EESW_EEDaSR_SS_EUlSR_E_NS1_11comp_targetILNS1_3genE0ELNS1_11target_archE4294967295ELNS1_3gpuE0ELNS1_3repE0EEENS1_30default_config_static_selectorELNS0_4arch9wavefront6targetE1EEEvT1_.kd
    .uniform_work_group_size: 1
    .uses_dynamic_stack: false
    .vgpr_count:     110
    .vgpr_spill_count: 0
    .wavefront_size: 64
  - .agpr_count:     0
    .args:
      - .offset:         0
        .size:           104
        .value_kind:     by_value
    .group_segment_fixed_size: 0
    .kernarg_segment_align: 8
    .kernarg_segment_size: 104
    .language:       OpenCL C
    .language_version:
      - 2
      - 0
    .max_flat_workgroup_size: 256
    .name:           _ZN7rocprim17ROCPRIM_400000_NS6detail17trampoline_kernelINS0_14default_configENS1_20scan_config_selectorIdEEZZNS1_9scan_implILNS1_25lookback_scan_determinismE0ELb0ELb0ES3_PKdPddZZZN2at6native31launch_logcumsumexp_cuda_kernelERKNSB_10TensorBaseESF_lENKUlvE_clEvENKUlvE_clEvEUlddE_dEEDaPvRmT3_T4_T5_mT6_P12ihipStream_tbENKUlT_T0_E_clISt17integral_constantIbLb0EESW_EEDaSR_SS_EUlSR_E_NS1_11comp_targetILNS1_3genE5ELNS1_11target_archE942ELNS1_3gpuE9ELNS1_3repE0EEENS1_30default_config_static_selectorELNS0_4arch9wavefront6targetE1EEEvT1_
    .private_segment_fixed_size: 0
    .sgpr_count:     6
    .sgpr_spill_count: 0
    .symbol:         _ZN7rocprim17ROCPRIM_400000_NS6detail17trampoline_kernelINS0_14default_configENS1_20scan_config_selectorIdEEZZNS1_9scan_implILNS1_25lookback_scan_determinismE0ELb0ELb0ES3_PKdPddZZZN2at6native31launch_logcumsumexp_cuda_kernelERKNSB_10TensorBaseESF_lENKUlvE_clEvENKUlvE_clEvEUlddE_dEEDaPvRmT3_T4_T5_mT6_P12ihipStream_tbENKUlT_T0_E_clISt17integral_constantIbLb0EESW_EEDaSR_SS_EUlSR_E_NS1_11comp_targetILNS1_3genE5ELNS1_11target_archE942ELNS1_3gpuE9ELNS1_3repE0EEENS1_30default_config_static_selectorELNS0_4arch9wavefront6targetE1EEEvT1_.kd
    .uniform_work_group_size: 1
    .uses_dynamic_stack: false
    .vgpr_count:     0
    .vgpr_spill_count: 0
    .wavefront_size: 64
  - .agpr_count:     0
    .args:
      - .offset:         0
        .size:           104
        .value_kind:     by_value
    .group_segment_fixed_size: 0
    .kernarg_segment_align: 8
    .kernarg_segment_size: 104
    .language:       OpenCL C
    .language_version:
      - 2
      - 0
    .max_flat_workgroup_size: 128
    .name:           _ZN7rocprim17ROCPRIM_400000_NS6detail17trampoline_kernelINS0_14default_configENS1_20scan_config_selectorIdEEZZNS1_9scan_implILNS1_25lookback_scan_determinismE0ELb0ELb0ES3_PKdPddZZZN2at6native31launch_logcumsumexp_cuda_kernelERKNSB_10TensorBaseESF_lENKUlvE_clEvENKUlvE_clEvEUlddE_dEEDaPvRmT3_T4_T5_mT6_P12ihipStream_tbENKUlT_T0_E_clISt17integral_constantIbLb0EESW_EEDaSR_SS_EUlSR_E_NS1_11comp_targetILNS1_3genE4ELNS1_11target_archE910ELNS1_3gpuE8ELNS1_3repE0EEENS1_30default_config_static_selectorELNS0_4arch9wavefront6targetE1EEEvT1_
    .private_segment_fixed_size: 0
    .sgpr_count:     6
    .sgpr_spill_count: 0
    .symbol:         _ZN7rocprim17ROCPRIM_400000_NS6detail17trampoline_kernelINS0_14default_configENS1_20scan_config_selectorIdEEZZNS1_9scan_implILNS1_25lookback_scan_determinismE0ELb0ELb0ES3_PKdPddZZZN2at6native31launch_logcumsumexp_cuda_kernelERKNSB_10TensorBaseESF_lENKUlvE_clEvENKUlvE_clEvEUlddE_dEEDaPvRmT3_T4_T5_mT6_P12ihipStream_tbENKUlT_T0_E_clISt17integral_constantIbLb0EESW_EEDaSR_SS_EUlSR_E_NS1_11comp_targetILNS1_3genE4ELNS1_11target_archE910ELNS1_3gpuE8ELNS1_3repE0EEENS1_30default_config_static_selectorELNS0_4arch9wavefront6targetE1EEEvT1_.kd
    .uniform_work_group_size: 1
    .uses_dynamic_stack: false
    .vgpr_count:     0
    .vgpr_spill_count: 0
    .wavefront_size: 64
  - .agpr_count:     0
    .args:
      - .offset:         0
        .size:           104
        .value_kind:     by_value
    .group_segment_fixed_size: 0
    .kernarg_segment_align: 8
    .kernarg_segment_size: 104
    .language:       OpenCL C
    .language_version:
      - 2
      - 0
    .max_flat_workgroup_size: 256
    .name:           _ZN7rocprim17ROCPRIM_400000_NS6detail17trampoline_kernelINS0_14default_configENS1_20scan_config_selectorIdEEZZNS1_9scan_implILNS1_25lookback_scan_determinismE0ELb0ELb0ES3_PKdPddZZZN2at6native31launch_logcumsumexp_cuda_kernelERKNSB_10TensorBaseESF_lENKUlvE_clEvENKUlvE_clEvEUlddE_dEEDaPvRmT3_T4_T5_mT6_P12ihipStream_tbENKUlT_T0_E_clISt17integral_constantIbLb0EESW_EEDaSR_SS_EUlSR_E_NS1_11comp_targetILNS1_3genE3ELNS1_11target_archE908ELNS1_3gpuE7ELNS1_3repE0EEENS1_30default_config_static_selectorELNS0_4arch9wavefront6targetE1EEEvT1_
    .private_segment_fixed_size: 0
    .sgpr_count:     6
    .sgpr_spill_count: 0
    .symbol:         _ZN7rocprim17ROCPRIM_400000_NS6detail17trampoline_kernelINS0_14default_configENS1_20scan_config_selectorIdEEZZNS1_9scan_implILNS1_25lookback_scan_determinismE0ELb0ELb0ES3_PKdPddZZZN2at6native31launch_logcumsumexp_cuda_kernelERKNSB_10TensorBaseESF_lENKUlvE_clEvENKUlvE_clEvEUlddE_dEEDaPvRmT3_T4_T5_mT6_P12ihipStream_tbENKUlT_T0_E_clISt17integral_constantIbLb0EESW_EEDaSR_SS_EUlSR_E_NS1_11comp_targetILNS1_3genE3ELNS1_11target_archE908ELNS1_3gpuE7ELNS1_3repE0EEENS1_30default_config_static_selectorELNS0_4arch9wavefront6targetE1EEEvT1_.kd
    .uniform_work_group_size: 1
    .uses_dynamic_stack: false
    .vgpr_count:     0
    .vgpr_spill_count: 0
    .wavefront_size: 64
  - .agpr_count:     0
    .args:
      - .offset:         0
        .size:           104
        .value_kind:     by_value
    .group_segment_fixed_size: 0
    .kernarg_segment_align: 8
    .kernarg_segment_size: 104
    .language:       OpenCL C
    .language_version:
      - 2
      - 0
    .max_flat_workgroup_size: 128
    .name:           _ZN7rocprim17ROCPRIM_400000_NS6detail17trampoline_kernelINS0_14default_configENS1_20scan_config_selectorIdEEZZNS1_9scan_implILNS1_25lookback_scan_determinismE0ELb0ELb0ES3_PKdPddZZZN2at6native31launch_logcumsumexp_cuda_kernelERKNSB_10TensorBaseESF_lENKUlvE_clEvENKUlvE_clEvEUlddE_dEEDaPvRmT3_T4_T5_mT6_P12ihipStream_tbENKUlT_T0_E_clISt17integral_constantIbLb0EESW_EEDaSR_SS_EUlSR_E_NS1_11comp_targetILNS1_3genE2ELNS1_11target_archE906ELNS1_3gpuE6ELNS1_3repE0EEENS1_30default_config_static_selectorELNS0_4arch9wavefront6targetE1EEEvT1_
    .private_segment_fixed_size: 0
    .sgpr_count:     6
    .sgpr_spill_count: 0
    .symbol:         _ZN7rocprim17ROCPRIM_400000_NS6detail17trampoline_kernelINS0_14default_configENS1_20scan_config_selectorIdEEZZNS1_9scan_implILNS1_25lookback_scan_determinismE0ELb0ELb0ES3_PKdPddZZZN2at6native31launch_logcumsumexp_cuda_kernelERKNSB_10TensorBaseESF_lENKUlvE_clEvENKUlvE_clEvEUlddE_dEEDaPvRmT3_T4_T5_mT6_P12ihipStream_tbENKUlT_T0_E_clISt17integral_constantIbLb0EESW_EEDaSR_SS_EUlSR_E_NS1_11comp_targetILNS1_3genE2ELNS1_11target_archE906ELNS1_3gpuE6ELNS1_3repE0EEENS1_30default_config_static_selectorELNS0_4arch9wavefront6targetE1EEEvT1_.kd
    .uniform_work_group_size: 1
    .uses_dynamic_stack: false
    .vgpr_count:     0
    .vgpr_spill_count: 0
    .wavefront_size: 64
  - .agpr_count:     0
    .args:
      - .offset:         0
        .size:           104
        .value_kind:     by_value
    .group_segment_fixed_size: 0
    .kernarg_segment_align: 8
    .kernarg_segment_size: 104
    .language:       OpenCL C
    .language_version:
      - 2
      - 0
    .max_flat_workgroup_size: 256
    .name:           _ZN7rocprim17ROCPRIM_400000_NS6detail17trampoline_kernelINS0_14default_configENS1_20scan_config_selectorIdEEZZNS1_9scan_implILNS1_25lookback_scan_determinismE0ELb0ELb0ES3_PKdPddZZZN2at6native31launch_logcumsumexp_cuda_kernelERKNSB_10TensorBaseESF_lENKUlvE_clEvENKUlvE_clEvEUlddE_dEEDaPvRmT3_T4_T5_mT6_P12ihipStream_tbENKUlT_T0_E_clISt17integral_constantIbLb0EESW_EEDaSR_SS_EUlSR_E_NS1_11comp_targetILNS1_3genE10ELNS1_11target_archE1201ELNS1_3gpuE5ELNS1_3repE0EEENS1_30default_config_static_selectorELNS0_4arch9wavefront6targetE1EEEvT1_
    .private_segment_fixed_size: 0
    .sgpr_count:     6
    .sgpr_spill_count: 0
    .symbol:         _ZN7rocprim17ROCPRIM_400000_NS6detail17trampoline_kernelINS0_14default_configENS1_20scan_config_selectorIdEEZZNS1_9scan_implILNS1_25lookback_scan_determinismE0ELb0ELb0ES3_PKdPddZZZN2at6native31launch_logcumsumexp_cuda_kernelERKNSB_10TensorBaseESF_lENKUlvE_clEvENKUlvE_clEvEUlddE_dEEDaPvRmT3_T4_T5_mT6_P12ihipStream_tbENKUlT_T0_E_clISt17integral_constantIbLb0EESW_EEDaSR_SS_EUlSR_E_NS1_11comp_targetILNS1_3genE10ELNS1_11target_archE1201ELNS1_3gpuE5ELNS1_3repE0EEENS1_30default_config_static_selectorELNS0_4arch9wavefront6targetE1EEEvT1_.kd
    .uniform_work_group_size: 1
    .uses_dynamic_stack: false
    .vgpr_count:     0
    .vgpr_spill_count: 0
    .wavefront_size: 64
  - .agpr_count:     0
    .args:
      - .offset:         0
        .size:           104
        .value_kind:     by_value
    .group_segment_fixed_size: 0
    .kernarg_segment_align: 8
    .kernarg_segment_size: 104
    .language:       OpenCL C
    .language_version:
      - 2
      - 0
    .max_flat_workgroup_size: 256
    .name:           _ZN7rocprim17ROCPRIM_400000_NS6detail17trampoline_kernelINS0_14default_configENS1_20scan_config_selectorIdEEZZNS1_9scan_implILNS1_25lookback_scan_determinismE0ELb0ELb0ES3_PKdPddZZZN2at6native31launch_logcumsumexp_cuda_kernelERKNSB_10TensorBaseESF_lENKUlvE_clEvENKUlvE_clEvEUlddE_dEEDaPvRmT3_T4_T5_mT6_P12ihipStream_tbENKUlT_T0_E_clISt17integral_constantIbLb0EESW_EEDaSR_SS_EUlSR_E_NS1_11comp_targetILNS1_3genE10ELNS1_11target_archE1200ELNS1_3gpuE4ELNS1_3repE0EEENS1_30default_config_static_selectorELNS0_4arch9wavefront6targetE1EEEvT1_
    .private_segment_fixed_size: 0
    .sgpr_count:     6
    .sgpr_spill_count: 0
    .symbol:         _ZN7rocprim17ROCPRIM_400000_NS6detail17trampoline_kernelINS0_14default_configENS1_20scan_config_selectorIdEEZZNS1_9scan_implILNS1_25lookback_scan_determinismE0ELb0ELb0ES3_PKdPddZZZN2at6native31launch_logcumsumexp_cuda_kernelERKNSB_10TensorBaseESF_lENKUlvE_clEvENKUlvE_clEvEUlddE_dEEDaPvRmT3_T4_T5_mT6_P12ihipStream_tbENKUlT_T0_E_clISt17integral_constantIbLb0EESW_EEDaSR_SS_EUlSR_E_NS1_11comp_targetILNS1_3genE10ELNS1_11target_archE1200ELNS1_3gpuE4ELNS1_3repE0EEENS1_30default_config_static_selectorELNS0_4arch9wavefront6targetE1EEEvT1_.kd
    .uniform_work_group_size: 1
    .uses_dynamic_stack: false
    .vgpr_count:     0
    .vgpr_spill_count: 0
    .wavefront_size: 64
  - .agpr_count:     0
    .args:
      - .offset:         0
        .size:           104
        .value_kind:     by_value
    .group_segment_fixed_size: 0
    .kernarg_segment_align: 8
    .kernarg_segment_size: 104
    .language:       OpenCL C
    .language_version:
      - 2
      - 0
    .max_flat_workgroup_size: 256
    .name:           _ZN7rocprim17ROCPRIM_400000_NS6detail17trampoline_kernelINS0_14default_configENS1_20scan_config_selectorIdEEZZNS1_9scan_implILNS1_25lookback_scan_determinismE0ELb0ELb0ES3_PKdPddZZZN2at6native31launch_logcumsumexp_cuda_kernelERKNSB_10TensorBaseESF_lENKUlvE_clEvENKUlvE_clEvEUlddE_dEEDaPvRmT3_T4_T5_mT6_P12ihipStream_tbENKUlT_T0_E_clISt17integral_constantIbLb0EESW_EEDaSR_SS_EUlSR_E_NS1_11comp_targetILNS1_3genE9ELNS1_11target_archE1100ELNS1_3gpuE3ELNS1_3repE0EEENS1_30default_config_static_selectorELNS0_4arch9wavefront6targetE1EEEvT1_
    .private_segment_fixed_size: 0
    .sgpr_count:     6
    .sgpr_spill_count: 0
    .symbol:         _ZN7rocprim17ROCPRIM_400000_NS6detail17trampoline_kernelINS0_14default_configENS1_20scan_config_selectorIdEEZZNS1_9scan_implILNS1_25lookback_scan_determinismE0ELb0ELb0ES3_PKdPddZZZN2at6native31launch_logcumsumexp_cuda_kernelERKNSB_10TensorBaseESF_lENKUlvE_clEvENKUlvE_clEvEUlddE_dEEDaPvRmT3_T4_T5_mT6_P12ihipStream_tbENKUlT_T0_E_clISt17integral_constantIbLb0EESW_EEDaSR_SS_EUlSR_E_NS1_11comp_targetILNS1_3genE9ELNS1_11target_archE1100ELNS1_3gpuE3ELNS1_3repE0EEENS1_30default_config_static_selectorELNS0_4arch9wavefront6targetE1EEEvT1_.kd
    .uniform_work_group_size: 1
    .uses_dynamic_stack: false
    .vgpr_count:     0
    .vgpr_spill_count: 0
    .wavefront_size: 64
  - .agpr_count:     0
    .args:
      - .offset:         0
        .size:           104
        .value_kind:     by_value
    .group_segment_fixed_size: 0
    .kernarg_segment_align: 8
    .kernarg_segment_size: 104
    .language:       OpenCL C
    .language_version:
      - 2
      - 0
    .max_flat_workgroup_size: 128
    .name:           _ZN7rocprim17ROCPRIM_400000_NS6detail17trampoline_kernelINS0_14default_configENS1_20scan_config_selectorIdEEZZNS1_9scan_implILNS1_25lookback_scan_determinismE0ELb0ELb0ES3_PKdPddZZZN2at6native31launch_logcumsumexp_cuda_kernelERKNSB_10TensorBaseESF_lENKUlvE_clEvENKUlvE_clEvEUlddE_dEEDaPvRmT3_T4_T5_mT6_P12ihipStream_tbENKUlT_T0_E_clISt17integral_constantIbLb0EESW_EEDaSR_SS_EUlSR_E_NS1_11comp_targetILNS1_3genE8ELNS1_11target_archE1030ELNS1_3gpuE2ELNS1_3repE0EEENS1_30default_config_static_selectorELNS0_4arch9wavefront6targetE1EEEvT1_
    .private_segment_fixed_size: 0
    .sgpr_count:     6
    .sgpr_spill_count: 0
    .symbol:         _ZN7rocprim17ROCPRIM_400000_NS6detail17trampoline_kernelINS0_14default_configENS1_20scan_config_selectorIdEEZZNS1_9scan_implILNS1_25lookback_scan_determinismE0ELb0ELb0ES3_PKdPddZZZN2at6native31launch_logcumsumexp_cuda_kernelERKNSB_10TensorBaseESF_lENKUlvE_clEvENKUlvE_clEvEUlddE_dEEDaPvRmT3_T4_T5_mT6_P12ihipStream_tbENKUlT_T0_E_clISt17integral_constantIbLb0EESW_EEDaSR_SS_EUlSR_E_NS1_11comp_targetILNS1_3genE8ELNS1_11target_archE1030ELNS1_3gpuE2ELNS1_3repE0EEENS1_30default_config_static_selectorELNS0_4arch9wavefront6targetE1EEEvT1_.kd
    .uniform_work_group_size: 1
    .uses_dynamic_stack: false
    .vgpr_count:     0
    .vgpr_spill_count: 0
    .wavefront_size: 64
  - .agpr_count:     0
    .args:
      - .offset:         0
        .size:           40
        .value_kind:     by_value
      - .offset:         40
        .size:           4
        .value_kind:     hidden_block_count_x
      - .offset:         44
        .size:           4
        .value_kind:     hidden_block_count_y
      - .offset:         48
        .size:           4
        .value_kind:     hidden_block_count_z
      - .offset:         52
        .size:           2
        .value_kind:     hidden_group_size_x
      - .offset:         54
        .size:           2
        .value_kind:     hidden_group_size_y
      - .offset:         56
        .size:           2
        .value_kind:     hidden_group_size_z
      - .offset:         58
        .size:           2
        .value_kind:     hidden_remainder_x
      - .offset:         60
        .size:           2
        .value_kind:     hidden_remainder_y
      - .offset:         62
        .size:           2
        .value_kind:     hidden_remainder_z
      - .offset:         80
        .size:           8
        .value_kind:     hidden_global_offset_x
      - .offset:         88
        .size:           8
        .value_kind:     hidden_global_offset_y
      - .offset:         96
        .size:           8
        .value_kind:     hidden_global_offset_z
      - .offset:         104
        .size:           2
        .value_kind:     hidden_grid_dims
    .group_segment_fixed_size: 0
    .kernarg_segment_align: 8
    .kernarg_segment_size: 296
    .language:       OpenCL C
    .language_version:
      - 2
      - 0
    .max_flat_workgroup_size: 128
    .name:           _ZN7rocprim17ROCPRIM_400000_NS6detail17trampoline_kernelINS0_14default_configENS1_25transform_config_selectorIdLb1EEEZNS1_14transform_implILb1ES3_S5_PdS7_NS0_8identityIdEEEE10hipError_tT2_T3_mT4_P12ihipStream_tbEUlT_E_NS1_11comp_targetILNS1_3genE0ELNS1_11target_archE4294967295ELNS1_3gpuE0ELNS1_3repE0EEENS1_30default_config_static_selectorELNS0_4arch9wavefront6targetE1EEEvT1_
    .private_segment_fixed_size: 0
    .sgpr_count:     18
    .sgpr_spill_count: 0
    .symbol:         _ZN7rocprim17ROCPRIM_400000_NS6detail17trampoline_kernelINS0_14default_configENS1_25transform_config_selectorIdLb1EEEZNS1_14transform_implILb1ES3_S5_PdS7_NS0_8identityIdEEEE10hipError_tT2_T3_mT4_P12ihipStream_tbEUlT_E_NS1_11comp_targetILNS1_3genE0ELNS1_11target_archE4294967295ELNS1_3gpuE0ELNS1_3repE0EEENS1_30default_config_static_selectorELNS0_4arch9wavefront6targetE1EEEvT1_.kd
    .uniform_work_group_size: 1
    .uses_dynamic_stack: false
    .vgpr_count:     3
    .vgpr_spill_count: 0
    .wavefront_size: 64
  - .agpr_count:     0
    .args:
      - .offset:         0
        .size:           40
        .value_kind:     by_value
    .group_segment_fixed_size: 0
    .kernarg_segment_align: 8
    .kernarg_segment_size: 40
    .language:       OpenCL C
    .language_version:
      - 2
      - 0
    .max_flat_workgroup_size: 1024
    .name:           _ZN7rocprim17ROCPRIM_400000_NS6detail17trampoline_kernelINS0_14default_configENS1_25transform_config_selectorIdLb1EEEZNS1_14transform_implILb1ES3_S5_PdS7_NS0_8identityIdEEEE10hipError_tT2_T3_mT4_P12ihipStream_tbEUlT_E_NS1_11comp_targetILNS1_3genE10ELNS1_11target_archE1201ELNS1_3gpuE5ELNS1_3repE0EEENS1_30default_config_static_selectorELNS0_4arch9wavefront6targetE1EEEvT1_
    .private_segment_fixed_size: 0
    .sgpr_count:     6
    .sgpr_spill_count: 0
    .symbol:         _ZN7rocprim17ROCPRIM_400000_NS6detail17trampoline_kernelINS0_14default_configENS1_25transform_config_selectorIdLb1EEEZNS1_14transform_implILb1ES3_S5_PdS7_NS0_8identityIdEEEE10hipError_tT2_T3_mT4_P12ihipStream_tbEUlT_E_NS1_11comp_targetILNS1_3genE10ELNS1_11target_archE1201ELNS1_3gpuE5ELNS1_3repE0EEENS1_30default_config_static_selectorELNS0_4arch9wavefront6targetE1EEEvT1_.kd
    .uniform_work_group_size: 1
    .uses_dynamic_stack: false
    .vgpr_count:     0
    .vgpr_spill_count: 0
    .wavefront_size: 64
  - .agpr_count:     0
    .args:
      - .offset:         0
        .size:           40
        .value_kind:     by_value
    .group_segment_fixed_size: 0
    .kernarg_segment_align: 8
    .kernarg_segment_size: 40
    .language:       OpenCL C
    .language_version:
      - 2
      - 0
    .max_flat_workgroup_size: 1024
    .name:           _ZN7rocprim17ROCPRIM_400000_NS6detail17trampoline_kernelINS0_14default_configENS1_25transform_config_selectorIdLb1EEEZNS1_14transform_implILb1ES3_S5_PdS7_NS0_8identityIdEEEE10hipError_tT2_T3_mT4_P12ihipStream_tbEUlT_E_NS1_11comp_targetILNS1_3genE5ELNS1_11target_archE942ELNS1_3gpuE9ELNS1_3repE0EEENS1_30default_config_static_selectorELNS0_4arch9wavefront6targetE1EEEvT1_
    .private_segment_fixed_size: 0
    .sgpr_count:     6
    .sgpr_spill_count: 0
    .symbol:         _ZN7rocprim17ROCPRIM_400000_NS6detail17trampoline_kernelINS0_14default_configENS1_25transform_config_selectorIdLb1EEEZNS1_14transform_implILb1ES3_S5_PdS7_NS0_8identityIdEEEE10hipError_tT2_T3_mT4_P12ihipStream_tbEUlT_E_NS1_11comp_targetILNS1_3genE5ELNS1_11target_archE942ELNS1_3gpuE9ELNS1_3repE0EEENS1_30default_config_static_selectorELNS0_4arch9wavefront6targetE1EEEvT1_.kd
    .uniform_work_group_size: 1
    .uses_dynamic_stack: false
    .vgpr_count:     0
    .vgpr_spill_count: 0
    .wavefront_size: 64
  - .agpr_count:     0
    .args:
      - .offset:         0
        .size:           40
        .value_kind:     by_value
    .group_segment_fixed_size: 0
    .kernarg_segment_align: 8
    .kernarg_segment_size: 40
    .language:       OpenCL C
    .language_version:
      - 2
      - 0
    .max_flat_workgroup_size: 1024
    .name:           _ZN7rocprim17ROCPRIM_400000_NS6detail17trampoline_kernelINS0_14default_configENS1_25transform_config_selectorIdLb1EEEZNS1_14transform_implILb1ES3_S5_PdS7_NS0_8identityIdEEEE10hipError_tT2_T3_mT4_P12ihipStream_tbEUlT_E_NS1_11comp_targetILNS1_3genE4ELNS1_11target_archE910ELNS1_3gpuE8ELNS1_3repE0EEENS1_30default_config_static_selectorELNS0_4arch9wavefront6targetE1EEEvT1_
    .private_segment_fixed_size: 0
    .sgpr_count:     6
    .sgpr_spill_count: 0
    .symbol:         _ZN7rocprim17ROCPRIM_400000_NS6detail17trampoline_kernelINS0_14default_configENS1_25transform_config_selectorIdLb1EEEZNS1_14transform_implILb1ES3_S5_PdS7_NS0_8identityIdEEEE10hipError_tT2_T3_mT4_P12ihipStream_tbEUlT_E_NS1_11comp_targetILNS1_3genE4ELNS1_11target_archE910ELNS1_3gpuE8ELNS1_3repE0EEENS1_30default_config_static_selectorELNS0_4arch9wavefront6targetE1EEEvT1_.kd
    .uniform_work_group_size: 1
    .uses_dynamic_stack: false
    .vgpr_count:     0
    .vgpr_spill_count: 0
    .wavefront_size: 64
  - .agpr_count:     0
    .args:
      - .offset:         0
        .size:           40
        .value_kind:     by_value
    .group_segment_fixed_size: 0
    .kernarg_segment_align: 8
    .kernarg_segment_size: 40
    .language:       OpenCL C
    .language_version:
      - 2
      - 0
    .max_flat_workgroup_size: 128
    .name:           _ZN7rocprim17ROCPRIM_400000_NS6detail17trampoline_kernelINS0_14default_configENS1_25transform_config_selectorIdLb1EEEZNS1_14transform_implILb1ES3_S5_PdS7_NS0_8identityIdEEEE10hipError_tT2_T3_mT4_P12ihipStream_tbEUlT_E_NS1_11comp_targetILNS1_3genE3ELNS1_11target_archE908ELNS1_3gpuE7ELNS1_3repE0EEENS1_30default_config_static_selectorELNS0_4arch9wavefront6targetE1EEEvT1_
    .private_segment_fixed_size: 0
    .sgpr_count:     6
    .sgpr_spill_count: 0
    .symbol:         _ZN7rocprim17ROCPRIM_400000_NS6detail17trampoline_kernelINS0_14default_configENS1_25transform_config_selectorIdLb1EEEZNS1_14transform_implILb1ES3_S5_PdS7_NS0_8identityIdEEEE10hipError_tT2_T3_mT4_P12ihipStream_tbEUlT_E_NS1_11comp_targetILNS1_3genE3ELNS1_11target_archE908ELNS1_3gpuE7ELNS1_3repE0EEENS1_30default_config_static_selectorELNS0_4arch9wavefront6targetE1EEEvT1_.kd
    .uniform_work_group_size: 1
    .uses_dynamic_stack: false
    .vgpr_count:     0
    .vgpr_spill_count: 0
    .wavefront_size: 64
  - .agpr_count:     0
    .args:
      - .offset:         0
        .size:           40
        .value_kind:     by_value
    .group_segment_fixed_size: 0
    .kernarg_segment_align: 8
    .kernarg_segment_size: 40
    .language:       OpenCL C
    .language_version:
      - 2
      - 0
    .max_flat_workgroup_size: 1024
    .name:           _ZN7rocprim17ROCPRIM_400000_NS6detail17trampoline_kernelINS0_14default_configENS1_25transform_config_selectorIdLb1EEEZNS1_14transform_implILb1ES3_S5_PdS7_NS0_8identityIdEEEE10hipError_tT2_T3_mT4_P12ihipStream_tbEUlT_E_NS1_11comp_targetILNS1_3genE2ELNS1_11target_archE906ELNS1_3gpuE6ELNS1_3repE0EEENS1_30default_config_static_selectorELNS0_4arch9wavefront6targetE1EEEvT1_
    .private_segment_fixed_size: 0
    .sgpr_count:     6
    .sgpr_spill_count: 0
    .symbol:         _ZN7rocprim17ROCPRIM_400000_NS6detail17trampoline_kernelINS0_14default_configENS1_25transform_config_selectorIdLb1EEEZNS1_14transform_implILb1ES3_S5_PdS7_NS0_8identityIdEEEE10hipError_tT2_T3_mT4_P12ihipStream_tbEUlT_E_NS1_11comp_targetILNS1_3genE2ELNS1_11target_archE906ELNS1_3gpuE6ELNS1_3repE0EEENS1_30default_config_static_selectorELNS0_4arch9wavefront6targetE1EEEvT1_.kd
    .uniform_work_group_size: 1
    .uses_dynamic_stack: false
    .vgpr_count:     0
    .vgpr_spill_count: 0
    .wavefront_size: 64
  - .agpr_count:     0
    .args:
      - .offset:         0
        .size:           40
        .value_kind:     by_value
    .group_segment_fixed_size: 0
    .kernarg_segment_align: 8
    .kernarg_segment_size: 40
    .language:       OpenCL C
    .language_version:
      - 2
      - 0
    .max_flat_workgroup_size: 1024
    .name:           _ZN7rocprim17ROCPRIM_400000_NS6detail17trampoline_kernelINS0_14default_configENS1_25transform_config_selectorIdLb1EEEZNS1_14transform_implILb1ES3_S5_PdS7_NS0_8identityIdEEEE10hipError_tT2_T3_mT4_P12ihipStream_tbEUlT_E_NS1_11comp_targetILNS1_3genE9ELNS1_11target_archE1100ELNS1_3gpuE3ELNS1_3repE0EEENS1_30default_config_static_selectorELNS0_4arch9wavefront6targetE1EEEvT1_
    .private_segment_fixed_size: 0
    .sgpr_count:     6
    .sgpr_spill_count: 0
    .symbol:         _ZN7rocprim17ROCPRIM_400000_NS6detail17trampoline_kernelINS0_14default_configENS1_25transform_config_selectorIdLb1EEEZNS1_14transform_implILb1ES3_S5_PdS7_NS0_8identityIdEEEE10hipError_tT2_T3_mT4_P12ihipStream_tbEUlT_E_NS1_11comp_targetILNS1_3genE9ELNS1_11target_archE1100ELNS1_3gpuE3ELNS1_3repE0EEENS1_30default_config_static_selectorELNS0_4arch9wavefront6targetE1EEEvT1_.kd
    .uniform_work_group_size: 1
    .uses_dynamic_stack: false
    .vgpr_count:     0
    .vgpr_spill_count: 0
    .wavefront_size: 64
  - .agpr_count:     0
    .args:
      - .offset:         0
        .size:           40
        .value_kind:     by_value
    .group_segment_fixed_size: 0
    .kernarg_segment_align: 8
    .kernarg_segment_size: 40
    .language:       OpenCL C
    .language_version:
      - 2
      - 0
    .max_flat_workgroup_size: 1024
    .name:           _ZN7rocprim17ROCPRIM_400000_NS6detail17trampoline_kernelINS0_14default_configENS1_25transform_config_selectorIdLb1EEEZNS1_14transform_implILb1ES3_S5_PdS7_NS0_8identityIdEEEE10hipError_tT2_T3_mT4_P12ihipStream_tbEUlT_E_NS1_11comp_targetILNS1_3genE8ELNS1_11target_archE1030ELNS1_3gpuE2ELNS1_3repE0EEENS1_30default_config_static_selectorELNS0_4arch9wavefront6targetE1EEEvT1_
    .private_segment_fixed_size: 0
    .sgpr_count:     6
    .sgpr_spill_count: 0
    .symbol:         _ZN7rocprim17ROCPRIM_400000_NS6detail17trampoline_kernelINS0_14default_configENS1_25transform_config_selectorIdLb1EEEZNS1_14transform_implILb1ES3_S5_PdS7_NS0_8identityIdEEEE10hipError_tT2_T3_mT4_P12ihipStream_tbEUlT_E_NS1_11comp_targetILNS1_3genE8ELNS1_11target_archE1030ELNS1_3gpuE2ELNS1_3repE0EEENS1_30default_config_static_selectorELNS0_4arch9wavefront6targetE1EEEvT1_.kd
    .uniform_work_group_size: 1
    .uses_dynamic_stack: false
    .vgpr_count:     0
    .vgpr_spill_count: 0
    .wavefront_size: 64
  - .agpr_count:     0
    .args:
      - .offset:         0
        .size:           40
        .value_kind:     by_value
    .group_segment_fixed_size: 12288
    .kernarg_segment_align: 8
    .kernarg_segment_size: 40
    .language:       OpenCL C
    .language_version:
      - 2
      - 0
    .max_flat_workgroup_size: 256
    .name:           _ZN7rocprim17ROCPRIM_400000_NS6detail17trampoline_kernelINS0_14default_configENS1_20scan_config_selectorIdEEZZNS1_9scan_implILNS1_25lookback_scan_determinismE0ELb0ELb0ES3_PKdPddZZZN2at6native31launch_logcumsumexp_cuda_kernelERKNSB_10TensorBaseESF_lENKUlvE_clEvENKUlvE_clEvEUlddE_dEEDaPvRmT3_T4_T5_mT6_P12ihipStream_tbENKUlT_T0_E_clISt17integral_constantIbLb0EESW_EEDaSR_SS_EUlSR_E0_NS1_11comp_targetILNS1_3genE0ELNS1_11target_archE4294967295ELNS1_3gpuE0ELNS1_3repE0EEENS1_30default_config_static_selectorELNS0_4arch9wavefront6targetE1EEEvT1_
    .private_segment_fixed_size: 0
    .sgpr_count:     48
    .sgpr_spill_count: 0
    .symbol:         _ZN7rocprim17ROCPRIM_400000_NS6detail17trampoline_kernelINS0_14default_configENS1_20scan_config_selectorIdEEZZNS1_9scan_implILNS1_25lookback_scan_determinismE0ELb0ELb0ES3_PKdPddZZZN2at6native31launch_logcumsumexp_cuda_kernelERKNSB_10TensorBaseESF_lENKUlvE_clEvENKUlvE_clEvEUlddE_dEEDaPvRmT3_T4_T5_mT6_P12ihipStream_tbENKUlT_T0_E_clISt17integral_constantIbLb0EESW_EEDaSR_SS_EUlSR_E0_NS1_11comp_targetILNS1_3genE0ELNS1_11target_archE4294967295ELNS1_3gpuE0ELNS1_3repE0EEENS1_30default_config_static_selectorELNS0_4arch9wavefront6targetE1EEEvT1_.kd
    .uniform_work_group_size: 1
    .uses_dynamic_stack: false
    .vgpr_count:     65
    .vgpr_spill_count: 0
    .wavefront_size: 64
  - .agpr_count:     0
    .args:
      - .offset:         0
        .size:           40
        .value_kind:     by_value
    .group_segment_fixed_size: 0
    .kernarg_segment_align: 8
    .kernarg_segment_size: 40
    .language:       OpenCL C
    .language_version:
      - 2
      - 0
    .max_flat_workgroup_size: 256
    .name:           _ZN7rocprim17ROCPRIM_400000_NS6detail17trampoline_kernelINS0_14default_configENS1_20scan_config_selectorIdEEZZNS1_9scan_implILNS1_25lookback_scan_determinismE0ELb0ELb0ES3_PKdPddZZZN2at6native31launch_logcumsumexp_cuda_kernelERKNSB_10TensorBaseESF_lENKUlvE_clEvENKUlvE_clEvEUlddE_dEEDaPvRmT3_T4_T5_mT6_P12ihipStream_tbENKUlT_T0_E_clISt17integral_constantIbLb0EESW_EEDaSR_SS_EUlSR_E0_NS1_11comp_targetILNS1_3genE5ELNS1_11target_archE942ELNS1_3gpuE9ELNS1_3repE0EEENS1_30default_config_static_selectorELNS0_4arch9wavefront6targetE1EEEvT1_
    .private_segment_fixed_size: 0
    .sgpr_count:     6
    .sgpr_spill_count: 0
    .symbol:         _ZN7rocprim17ROCPRIM_400000_NS6detail17trampoline_kernelINS0_14default_configENS1_20scan_config_selectorIdEEZZNS1_9scan_implILNS1_25lookback_scan_determinismE0ELb0ELb0ES3_PKdPddZZZN2at6native31launch_logcumsumexp_cuda_kernelERKNSB_10TensorBaseESF_lENKUlvE_clEvENKUlvE_clEvEUlddE_dEEDaPvRmT3_T4_T5_mT6_P12ihipStream_tbENKUlT_T0_E_clISt17integral_constantIbLb0EESW_EEDaSR_SS_EUlSR_E0_NS1_11comp_targetILNS1_3genE5ELNS1_11target_archE942ELNS1_3gpuE9ELNS1_3repE0EEENS1_30default_config_static_selectorELNS0_4arch9wavefront6targetE1EEEvT1_.kd
    .uniform_work_group_size: 1
    .uses_dynamic_stack: false
    .vgpr_count:     0
    .vgpr_spill_count: 0
    .wavefront_size: 64
  - .agpr_count:     0
    .args:
      - .offset:         0
        .size:           40
        .value_kind:     by_value
    .group_segment_fixed_size: 0
    .kernarg_segment_align: 8
    .kernarg_segment_size: 40
    .language:       OpenCL C
    .language_version:
      - 2
      - 0
    .max_flat_workgroup_size: 128
    .name:           _ZN7rocprim17ROCPRIM_400000_NS6detail17trampoline_kernelINS0_14default_configENS1_20scan_config_selectorIdEEZZNS1_9scan_implILNS1_25lookback_scan_determinismE0ELb0ELb0ES3_PKdPddZZZN2at6native31launch_logcumsumexp_cuda_kernelERKNSB_10TensorBaseESF_lENKUlvE_clEvENKUlvE_clEvEUlddE_dEEDaPvRmT3_T4_T5_mT6_P12ihipStream_tbENKUlT_T0_E_clISt17integral_constantIbLb0EESW_EEDaSR_SS_EUlSR_E0_NS1_11comp_targetILNS1_3genE4ELNS1_11target_archE910ELNS1_3gpuE8ELNS1_3repE0EEENS1_30default_config_static_selectorELNS0_4arch9wavefront6targetE1EEEvT1_
    .private_segment_fixed_size: 0
    .sgpr_count:     6
    .sgpr_spill_count: 0
    .symbol:         _ZN7rocprim17ROCPRIM_400000_NS6detail17trampoline_kernelINS0_14default_configENS1_20scan_config_selectorIdEEZZNS1_9scan_implILNS1_25lookback_scan_determinismE0ELb0ELb0ES3_PKdPddZZZN2at6native31launch_logcumsumexp_cuda_kernelERKNSB_10TensorBaseESF_lENKUlvE_clEvENKUlvE_clEvEUlddE_dEEDaPvRmT3_T4_T5_mT6_P12ihipStream_tbENKUlT_T0_E_clISt17integral_constantIbLb0EESW_EEDaSR_SS_EUlSR_E0_NS1_11comp_targetILNS1_3genE4ELNS1_11target_archE910ELNS1_3gpuE8ELNS1_3repE0EEENS1_30default_config_static_selectorELNS0_4arch9wavefront6targetE1EEEvT1_.kd
    .uniform_work_group_size: 1
    .uses_dynamic_stack: false
    .vgpr_count:     0
    .vgpr_spill_count: 0
    .wavefront_size: 64
  - .agpr_count:     0
    .args:
      - .offset:         0
        .size:           40
        .value_kind:     by_value
    .group_segment_fixed_size: 0
    .kernarg_segment_align: 8
    .kernarg_segment_size: 40
    .language:       OpenCL C
    .language_version:
      - 2
      - 0
    .max_flat_workgroup_size: 256
    .name:           _ZN7rocprim17ROCPRIM_400000_NS6detail17trampoline_kernelINS0_14default_configENS1_20scan_config_selectorIdEEZZNS1_9scan_implILNS1_25lookback_scan_determinismE0ELb0ELb0ES3_PKdPddZZZN2at6native31launch_logcumsumexp_cuda_kernelERKNSB_10TensorBaseESF_lENKUlvE_clEvENKUlvE_clEvEUlddE_dEEDaPvRmT3_T4_T5_mT6_P12ihipStream_tbENKUlT_T0_E_clISt17integral_constantIbLb0EESW_EEDaSR_SS_EUlSR_E0_NS1_11comp_targetILNS1_3genE3ELNS1_11target_archE908ELNS1_3gpuE7ELNS1_3repE0EEENS1_30default_config_static_selectorELNS0_4arch9wavefront6targetE1EEEvT1_
    .private_segment_fixed_size: 0
    .sgpr_count:     6
    .sgpr_spill_count: 0
    .symbol:         _ZN7rocprim17ROCPRIM_400000_NS6detail17trampoline_kernelINS0_14default_configENS1_20scan_config_selectorIdEEZZNS1_9scan_implILNS1_25lookback_scan_determinismE0ELb0ELb0ES3_PKdPddZZZN2at6native31launch_logcumsumexp_cuda_kernelERKNSB_10TensorBaseESF_lENKUlvE_clEvENKUlvE_clEvEUlddE_dEEDaPvRmT3_T4_T5_mT6_P12ihipStream_tbENKUlT_T0_E_clISt17integral_constantIbLb0EESW_EEDaSR_SS_EUlSR_E0_NS1_11comp_targetILNS1_3genE3ELNS1_11target_archE908ELNS1_3gpuE7ELNS1_3repE0EEENS1_30default_config_static_selectorELNS0_4arch9wavefront6targetE1EEEvT1_.kd
    .uniform_work_group_size: 1
    .uses_dynamic_stack: false
    .vgpr_count:     0
    .vgpr_spill_count: 0
    .wavefront_size: 64
  - .agpr_count:     0
    .args:
      - .offset:         0
        .size:           40
        .value_kind:     by_value
    .group_segment_fixed_size: 0
    .kernarg_segment_align: 8
    .kernarg_segment_size: 40
    .language:       OpenCL C
    .language_version:
      - 2
      - 0
    .max_flat_workgroup_size: 128
    .name:           _ZN7rocprim17ROCPRIM_400000_NS6detail17trampoline_kernelINS0_14default_configENS1_20scan_config_selectorIdEEZZNS1_9scan_implILNS1_25lookback_scan_determinismE0ELb0ELb0ES3_PKdPddZZZN2at6native31launch_logcumsumexp_cuda_kernelERKNSB_10TensorBaseESF_lENKUlvE_clEvENKUlvE_clEvEUlddE_dEEDaPvRmT3_T4_T5_mT6_P12ihipStream_tbENKUlT_T0_E_clISt17integral_constantIbLb0EESW_EEDaSR_SS_EUlSR_E0_NS1_11comp_targetILNS1_3genE2ELNS1_11target_archE906ELNS1_3gpuE6ELNS1_3repE0EEENS1_30default_config_static_selectorELNS0_4arch9wavefront6targetE1EEEvT1_
    .private_segment_fixed_size: 0
    .sgpr_count:     6
    .sgpr_spill_count: 0
    .symbol:         _ZN7rocprim17ROCPRIM_400000_NS6detail17trampoline_kernelINS0_14default_configENS1_20scan_config_selectorIdEEZZNS1_9scan_implILNS1_25lookback_scan_determinismE0ELb0ELb0ES3_PKdPddZZZN2at6native31launch_logcumsumexp_cuda_kernelERKNSB_10TensorBaseESF_lENKUlvE_clEvENKUlvE_clEvEUlddE_dEEDaPvRmT3_T4_T5_mT6_P12ihipStream_tbENKUlT_T0_E_clISt17integral_constantIbLb0EESW_EEDaSR_SS_EUlSR_E0_NS1_11comp_targetILNS1_3genE2ELNS1_11target_archE906ELNS1_3gpuE6ELNS1_3repE0EEENS1_30default_config_static_selectorELNS0_4arch9wavefront6targetE1EEEvT1_.kd
    .uniform_work_group_size: 1
    .uses_dynamic_stack: false
    .vgpr_count:     0
    .vgpr_spill_count: 0
    .wavefront_size: 64
  - .agpr_count:     0
    .args:
      - .offset:         0
        .size:           40
        .value_kind:     by_value
    .group_segment_fixed_size: 0
    .kernarg_segment_align: 8
    .kernarg_segment_size: 40
    .language:       OpenCL C
    .language_version:
      - 2
      - 0
    .max_flat_workgroup_size: 256
    .name:           _ZN7rocprim17ROCPRIM_400000_NS6detail17trampoline_kernelINS0_14default_configENS1_20scan_config_selectorIdEEZZNS1_9scan_implILNS1_25lookback_scan_determinismE0ELb0ELb0ES3_PKdPddZZZN2at6native31launch_logcumsumexp_cuda_kernelERKNSB_10TensorBaseESF_lENKUlvE_clEvENKUlvE_clEvEUlddE_dEEDaPvRmT3_T4_T5_mT6_P12ihipStream_tbENKUlT_T0_E_clISt17integral_constantIbLb0EESW_EEDaSR_SS_EUlSR_E0_NS1_11comp_targetILNS1_3genE10ELNS1_11target_archE1201ELNS1_3gpuE5ELNS1_3repE0EEENS1_30default_config_static_selectorELNS0_4arch9wavefront6targetE1EEEvT1_
    .private_segment_fixed_size: 0
    .sgpr_count:     6
    .sgpr_spill_count: 0
    .symbol:         _ZN7rocprim17ROCPRIM_400000_NS6detail17trampoline_kernelINS0_14default_configENS1_20scan_config_selectorIdEEZZNS1_9scan_implILNS1_25lookback_scan_determinismE0ELb0ELb0ES3_PKdPddZZZN2at6native31launch_logcumsumexp_cuda_kernelERKNSB_10TensorBaseESF_lENKUlvE_clEvENKUlvE_clEvEUlddE_dEEDaPvRmT3_T4_T5_mT6_P12ihipStream_tbENKUlT_T0_E_clISt17integral_constantIbLb0EESW_EEDaSR_SS_EUlSR_E0_NS1_11comp_targetILNS1_3genE10ELNS1_11target_archE1201ELNS1_3gpuE5ELNS1_3repE0EEENS1_30default_config_static_selectorELNS0_4arch9wavefront6targetE1EEEvT1_.kd
    .uniform_work_group_size: 1
    .uses_dynamic_stack: false
    .vgpr_count:     0
    .vgpr_spill_count: 0
    .wavefront_size: 64
  - .agpr_count:     0
    .args:
      - .offset:         0
        .size:           40
        .value_kind:     by_value
    .group_segment_fixed_size: 0
    .kernarg_segment_align: 8
    .kernarg_segment_size: 40
    .language:       OpenCL C
    .language_version:
      - 2
      - 0
    .max_flat_workgroup_size: 256
    .name:           _ZN7rocprim17ROCPRIM_400000_NS6detail17trampoline_kernelINS0_14default_configENS1_20scan_config_selectorIdEEZZNS1_9scan_implILNS1_25lookback_scan_determinismE0ELb0ELb0ES3_PKdPddZZZN2at6native31launch_logcumsumexp_cuda_kernelERKNSB_10TensorBaseESF_lENKUlvE_clEvENKUlvE_clEvEUlddE_dEEDaPvRmT3_T4_T5_mT6_P12ihipStream_tbENKUlT_T0_E_clISt17integral_constantIbLb0EESW_EEDaSR_SS_EUlSR_E0_NS1_11comp_targetILNS1_3genE10ELNS1_11target_archE1200ELNS1_3gpuE4ELNS1_3repE0EEENS1_30default_config_static_selectorELNS0_4arch9wavefront6targetE1EEEvT1_
    .private_segment_fixed_size: 0
    .sgpr_count:     6
    .sgpr_spill_count: 0
    .symbol:         _ZN7rocprim17ROCPRIM_400000_NS6detail17trampoline_kernelINS0_14default_configENS1_20scan_config_selectorIdEEZZNS1_9scan_implILNS1_25lookback_scan_determinismE0ELb0ELb0ES3_PKdPddZZZN2at6native31launch_logcumsumexp_cuda_kernelERKNSB_10TensorBaseESF_lENKUlvE_clEvENKUlvE_clEvEUlddE_dEEDaPvRmT3_T4_T5_mT6_P12ihipStream_tbENKUlT_T0_E_clISt17integral_constantIbLb0EESW_EEDaSR_SS_EUlSR_E0_NS1_11comp_targetILNS1_3genE10ELNS1_11target_archE1200ELNS1_3gpuE4ELNS1_3repE0EEENS1_30default_config_static_selectorELNS0_4arch9wavefront6targetE1EEEvT1_.kd
    .uniform_work_group_size: 1
    .uses_dynamic_stack: false
    .vgpr_count:     0
    .vgpr_spill_count: 0
    .wavefront_size: 64
  - .agpr_count:     0
    .args:
      - .offset:         0
        .size:           40
        .value_kind:     by_value
    .group_segment_fixed_size: 0
    .kernarg_segment_align: 8
    .kernarg_segment_size: 40
    .language:       OpenCL C
    .language_version:
      - 2
      - 0
    .max_flat_workgroup_size: 256
    .name:           _ZN7rocprim17ROCPRIM_400000_NS6detail17trampoline_kernelINS0_14default_configENS1_20scan_config_selectorIdEEZZNS1_9scan_implILNS1_25lookback_scan_determinismE0ELb0ELb0ES3_PKdPddZZZN2at6native31launch_logcumsumexp_cuda_kernelERKNSB_10TensorBaseESF_lENKUlvE_clEvENKUlvE_clEvEUlddE_dEEDaPvRmT3_T4_T5_mT6_P12ihipStream_tbENKUlT_T0_E_clISt17integral_constantIbLb0EESW_EEDaSR_SS_EUlSR_E0_NS1_11comp_targetILNS1_3genE9ELNS1_11target_archE1100ELNS1_3gpuE3ELNS1_3repE0EEENS1_30default_config_static_selectorELNS0_4arch9wavefront6targetE1EEEvT1_
    .private_segment_fixed_size: 0
    .sgpr_count:     6
    .sgpr_spill_count: 0
    .symbol:         _ZN7rocprim17ROCPRIM_400000_NS6detail17trampoline_kernelINS0_14default_configENS1_20scan_config_selectorIdEEZZNS1_9scan_implILNS1_25lookback_scan_determinismE0ELb0ELb0ES3_PKdPddZZZN2at6native31launch_logcumsumexp_cuda_kernelERKNSB_10TensorBaseESF_lENKUlvE_clEvENKUlvE_clEvEUlddE_dEEDaPvRmT3_T4_T5_mT6_P12ihipStream_tbENKUlT_T0_E_clISt17integral_constantIbLb0EESW_EEDaSR_SS_EUlSR_E0_NS1_11comp_targetILNS1_3genE9ELNS1_11target_archE1100ELNS1_3gpuE3ELNS1_3repE0EEENS1_30default_config_static_selectorELNS0_4arch9wavefront6targetE1EEEvT1_.kd
    .uniform_work_group_size: 1
    .uses_dynamic_stack: false
    .vgpr_count:     0
    .vgpr_spill_count: 0
    .wavefront_size: 64
  - .agpr_count:     0
    .args:
      - .offset:         0
        .size:           40
        .value_kind:     by_value
    .group_segment_fixed_size: 0
    .kernarg_segment_align: 8
    .kernarg_segment_size: 40
    .language:       OpenCL C
    .language_version:
      - 2
      - 0
    .max_flat_workgroup_size: 128
    .name:           _ZN7rocprim17ROCPRIM_400000_NS6detail17trampoline_kernelINS0_14default_configENS1_20scan_config_selectorIdEEZZNS1_9scan_implILNS1_25lookback_scan_determinismE0ELb0ELb0ES3_PKdPddZZZN2at6native31launch_logcumsumexp_cuda_kernelERKNSB_10TensorBaseESF_lENKUlvE_clEvENKUlvE_clEvEUlddE_dEEDaPvRmT3_T4_T5_mT6_P12ihipStream_tbENKUlT_T0_E_clISt17integral_constantIbLb0EESW_EEDaSR_SS_EUlSR_E0_NS1_11comp_targetILNS1_3genE8ELNS1_11target_archE1030ELNS1_3gpuE2ELNS1_3repE0EEENS1_30default_config_static_selectorELNS0_4arch9wavefront6targetE1EEEvT1_
    .private_segment_fixed_size: 0
    .sgpr_count:     6
    .sgpr_spill_count: 0
    .symbol:         _ZN7rocprim17ROCPRIM_400000_NS6detail17trampoline_kernelINS0_14default_configENS1_20scan_config_selectorIdEEZZNS1_9scan_implILNS1_25lookback_scan_determinismE0ELb0ELb0ES3_PKdPddZZZN2at6native31launch_logcumsumexp_cuda_kernelERKNSB_10TensorBaseESF_lENKUlvE_clEvENKUlvE_clEvEUlddE_dEEDaPvRmT3_T4_T5_mT6_P12ihipStream_tbENKUlT_T0_E_clISt17integral_constantIbLb0EESW_EEDaSR_SS_EUlSR_E0_NS1_11comp_targetILNS1_3genE8ELNS1_11target_archE1030ELNS1_3gpuE2ELNS1_3repE0EEENS1_30default_config_static_selectorELNS0_4arch9wavefront6targetE1EEEvT1_.kd
    .uniform_work_group_size: 1
    .uses_dynamic_stack: false
    .vgpr_count:     0
    .vgpr_spill_count: 0
    .wavefront_size: 64
  - .agpr_count:     0
    .args:
      - .address_space:  global
        .offset:         0
        .size:           8
        .value_kind:     global_buffer
      - .offset:         8
        .size:           4
        .value_kind:     by_value
      - .address_space:  global
        .offset:         16
        .size:           8
        .value_kind:     global_buffer
      - .offset:         24
        .size:           4
        .value_kind:     by_value
      - .address_space:  global
        .offset:         32
        .size:           8
        .value_kind:     global_buffer
      - .offset:         40
        .size:           4
        .value_kind:     hidden_block_count_x
      - .offset:         44
        .size:           4
        .value_kind:     hidden_block_count_y
      - .offset:         48
        .size:           4
        .value_kind:     hidden_block_count_z
      - .offset:         52
        .size:           2
        .value_kind:     hidden_group_size_x
      - .offset:         54
        .size:           2
        .value_kind:     hidden_group_size_y
      - .offset:         56
        .size:           2
        .value_kind:     hidden_group_size_z
      - .offset:         58
        .size:           2
        .value_kind:     hidden_remainder_x
      - .offset:         60
        .size:           2
        .value_kind:     hidden_remainder_y
      - .offset:         62
        .size:           2
        .value_kind:     hidden_remainder_z
      - .offset:         80
        .size:           8
        .value_kind:     hidden_global_offset_x
      - .offset:         88
        .size:           8
        .value_kind:     hidden_global_offset_y
      - .offset:         96
        .size:           8
        .value_kind:     hidden_global_offset_z
      - .offset:         104
        .size:           2
        .value_kind:     hidden_grid_dims
    .group_segment_fixed_size: 0
    .kernarg_segment_align: 8
    .kernarg_segment_size: 296
    .language:       OpenCL C
    .language_version:
      - 2
      - 0
    .max_flat_workgroup_size: 256
    .name:           _ZN7rocprim17ROCPRIM_400000_NS6detail31init_lookback_scan_state_kernelINS1_19lookback_scan_stateIdLb1ELb1EEENS1_16block_id_wrapperIjLb1EEEEEvT_jT0_jPNS7_10value_typeE
    .private_segment_fixed_size: 0
    .sgpr_count:     22
    .sgpr_spill_count: 0
    .symbol:         _ZN7rocprim17ROCPRIM_400000_NS6detail31init_lookback_scan_state_kernelINS1_19lookback_scan_stateIdLb1ELb1EEENS1_16block_id_wrapperIjLb1EEEEEvT_jT0_jPNS7_10value_typeE.kd
    .uniform_work_group_size: 1
    .uses_dynamic_stack: false
    .vgpr_count:     10
    .vgpr_spill_count: 0
    .wavefront_size: 64
  - .agpr_count:     0
    .args:
      - .offset:         0
        .size:           104
        .value_kind:     by_value
    .group_segment_fixed_size: 0
    .kernarg_segment_align: 8
    .kernarg_segment_size: 104
    .language:       OpenCL C
    .language_version:
      - 2
      - 0
    .max_flat_workgroup_size: 256
    .name:           _ZN7rocprim17ROCPRIM_400000_NS6detail17trampoline_kernelINS0_14default_configENS1_20scan_config_selectorIdEEZZNS1_9scan_implILNS1_25lookback_scan_determinismE0ELb0ELb0ES3_PKdPddZZZN2at6native31launch_logcumsumexp_cuda_kernelERKNSB_10TensorBaseESF_lENKUlvE_clEvENKUlvE_clEvEUlddE_dEEDaPvRmT3_T4_T5_mT6_P12ihipStream_tbENKUlT_T0_E_clISt17integral_constantIbLb1EESW_EEDaSR_SS_EUlSR_E_NS1_11comp_targetILNS1_3genE0ELNS1_11target_archE4294967295ELNS1_3gpuE0ELNS1_3repE0EEENS1_30default_config_static_selectorELNS0_4arch9wavefront6targetE1EEEvT1_
    .private_segment_fixed_size: 0
    .sgpr_count:     6
    .sgpr_spill_count: 0
    .symbol:         _ZN7rocprim17ROCPRIM_400000_NS6detail17trampoline_kernelINS0_14default_configENS1_20scan_config_selectorIdEEZZNS1_9scan_implILNS1_25lookback_scan_determinismE0ELb0ELb0ES3_PKdPddZZZN2at6native31launch_logcumsumexp_cuda_kernelERKNSB_10TensorBaseESF_lENKUlvE_clEvENKUlvE_clEvEUlddE_dEEDaPvRmT3_T4_T5_mT6_P12ihipStream_tbENKUlT_T0_E_clISt17integral_constantIbLb1EESW_EEDaSR_SS_EUlSR_E_NS1_11comp_targetILNS1_3genE0ELNS1_11target_archE4294967295ELNS1_3gpuE0ELNS1_3repE0EEENS1_30default_config_static_selectorELNS0_4arch9wavefront6targetE1EEEvT1_.kd
    .uniform_work_group_size: 1
    .uses_dynamic_stack: false
    .vgpr_count:     0
    .vgpr_spill_count: 0
    .wavefront_size: 64
  - .agpr_count:     0
    .args:
      - .offset:         0
        .size:           104
        .value_kind:     by_value
    .group_segment_fixed_size: 0
    .kernarg_segment_align: 8
    .kernarg_segment_size: 104
    .language:       OpenCL C
    .language_version:
      - 2
      - 0
    .max_flat_workgroup_size: 256
    .name:           _ZN7rocprim17ROCPRIM_400000_NS6detail17trampoline_kernelINS0_14default_configENS1_20scan_config_selectorIdEEZZNS1_9scan_implILNS1_25lookback_scan_determinismE0ELb0ELb0ES3_PKdPddZZZN2at6native31launch_logcumsumexp_cuda_kernelERKNSB_10TensorBaseESF_lENKUlvE_clEvENKUlvE_clEvEUlddE_dEEDaPvRmT3_T4_T5_mT6_P12ihipStream_tbENKUlT_T0_E_clISt17integral_constantIbLb1EESW_EEDaSR_SS_EUlSR_E_NS1_11comp_targetILNS1_3genE5ELNS1_11target_archE942ELNS1_3gpuE9ELNS1_3repE0EEENS1_30default_config_static_selectorELNS0_4arch9wavefront6targetE1EEEvT1_
    .private_segment_fixed_size: 0
    .sgpr_count:     6
    .sgpr_spill_count: 0
    .symbol:         _ZN7rocprim17ROCPRIM_400000_NS6detail17trampoline_kernelINS0_14default_configENS1_20scan_config_selectorIdEEZZNS1_9scan_implILNS1_25lookback_scan_determinismE0ELb0ELb0ES3_PKdPddZZZN2at6native31launch_logcumsumexp_cuda_kernelERKNSB_10TensorBaseESF_lENKUlvE_clEvENKUlvE_clEvEUlddE_dEEDaPvRmT3_T4_T5_mT6_P12ihipStream_tbENKUlT_T0_E_clISt17integral_constantIbLb1EESW_EEDaSR_SS_EUlSR_E_NS1_11comp_targetILNS1_3genE5ELNS1_11target_archE942ELNS1_3gpuE9ELNS1_3repE0EEENS1_30default_config_static_selectorELNS0_4arch9wavefront6targetE1EEEvT1_.kd
    .uniform_work_group_size: 1
    .uses_dynamic_stack: false
    .vgpr_count:     0
    .vgpr_spill_count: 0
    .wavefront_size: 64
  - .agpr_count:     0
    .args:
      - .offset:         0
        .size:           104
        .value_kind:     by_value
    .group_segment_fixed_size: 0
    .kernarg_segment_align: 8
    .kernarg_segment_size: 104
    .language:       OpenCL C
    .language_version:
      - 2
      - 0
    .max_flat_workgroup_size: 128
    .name:           _ZN7rocprim17ROCPRIM_400000_NS6detail17trampoline_kernelINS0_14default_configENS1_20scan_config_selectorIdEEZZNS1_9scan_implILNS1_25lookback_scan_determinismE0ELb0ELb0ES3_PKdPddZZZN2at6native31launch_logcumsumexp_cuda_kernelERKNSB_10TensorBaseESF_lENKUlvE_clEvENKUlvE_clEvEUlddE_dEEDaPvRmT3_T4_T5_mT6_P12ihipStream_tbENKUlT_T0_E_clISt17integral_constantIbLb1EESW_EEDaSR_SS_EUlSR_E_NS1_11comp_targetILNS1_3genE4ELNS1_11target_archE910ELNS1_3gpuE8ELNS1_3repE0EEENS1_30default_config_static_selectorELNS0_4arch9wavefront6targetE1EEEvT1_
    .private_segment_fixed_size: 0
    .sgpr_count:     6
    .sgpr_spill_count: 0
    .symbol:         _ZN7rocprim17ROCPRIM_400000_NS6detail17trampoline_kernelINS0_14default_configENS1_20scan_config_selectorIdEEZZNS1_9scan_implILNS1_25lookback_scan_determinismE0ELb0ELb0ES3_PKdPddZZZN2at6native31launch_logcumsumexp_cuda_kernelERKNSB_10TensorBaseESF_lENKUlvE_clEvENKUlvE_clEvEUlddE_dEEDaPvRmT3_T4_T5_mT6_P12ihipStream_tbENKUlT_T0_E_clISt17integral_constantIbLb1EESW_EEDaSR_SS_EUlSR_E_NS1_11comp_targetILNS1_3genE4ELNS1_11target_archE910ELNS1_3gpuE8ELNS1_3repE0EEENS1_30default_config_static_selectorELNS0_4arch9wavefront6targetE1EEEvT1_.kd
    .uniform_work_group_size: 1
    .uses_dynamic_stack: false
    .vgpr_count:     0
    .vgpr_spill_count: 0
    .wavefront_size: 64
  - .agpr_count:     0
    .args:
      - .offset:         0
        .size:           104
        .value_kind:     by_value
    .group_segment_fixed_size: 0
    .kernarg_segment_align: 8
    .kernarg_segment_size: 104
    .language:       OpenCL C
    .language_version:
      - 2
      - 0
    .max_flat_workgroup_size: 256
    .name:           _ZN7rocprim17ROCPRIM_400000_NS6detail17trampoline_kernelINS0_14default_configENS1_20scan_config_selectorIdEEZZNS1_9scan_implILNS1_25lookback_scan_determinismE0ELb0ELb0ES3_PKdPddZZZN2at6native31launch_logcumsumexp_cuda_kernelERKNSB_10TensorBaseESF_lENKUlvE_clEvENKUlvE_clEvEUlddE_dEEDaPvRmT3_T4_T5_mT6_P12ihipStream_tbENKUlT_T0_E_clISt17integral_constantIbLb1EESW_EEDaSR_SS_EUlSR_E_NS1_11comp_targetILNS1_3genE3ELNS1_11target_archE908ELNS1_3gpuE7ELNS1_3repE0EEENS1_30default_config_static_selectorELNS0_4arch9wavefront6targetE1EEEvT1_
    .private_segment_fixed_size: 0
    .sgpr_count:     6
    .sgpr_spill_count: 0
    .symbol:         _ZN7rocprim17ROCPRIM_400000_NS6detail17trampoline_kernelINS0_14default_configENS1_20scan_config_selectorIdEEZZNS1_9scan_implILNS1_25lookback_scan_determinismE0ELb0ELb0ES3_PKdPddZZZN2at6native31launch_logcumsumexp_cuda_kernelERKNSB_10TensorBaseESF_lENKUlvE_clEvENKUlvE_clEvEUlddE_dEEDaPvRmT3_T4_T5_mT6_P12ihipStream_tbENKUlT_T0_E_clISt17integral_constantIbLb1EESW_EEDaSR_SS_EUlSR_E_NS1_11comp_targetILNS1_3genE3ELNS1_11target_archE908ELNS1_3gpuE7ELNS1_3repE0EEENS1_30default_config_static_selectorELNS0_4arch9wavefront6targetE1EEEvT1_.kd
    .uniform_work_group_size: 1
    .uses_dynamic_stack: false
    .vgpr_count:     0
    .vgpr_spill_count: 0
    .wavefront_size: 64
  - .agpr_count:     0
    .args:
      - .offset:         0
        .size:           104
        .value_kind:     by_value
    .group_segment_fixed_size: 0
    .kernarg_segment_align: 8
    .kernarg_segment_size: 104
    .language:       OpenCL C
    .language_version:
      - 2
      - 0
    .max_flat_workgroup_size: 128
    .name:           _ZN7rocprim17ROCPRIM_400000_NS6detail17trampoline_kernelINS0_14default_configENS1_20scan_config_selectorIdEEZZNS1_9scan_implILNS1_25lookback_scan_determinismE0ELb0ELb0ES3_PKdPddZZZN2at6native31launch_logcumsumexp_cuda_kernelERKNSB_10TensorBaseESF_lENKUlvE_clEvENKUlvE_clEvEUlddE_dEEDaPvRmT3_T4_T5_mT6_P12ihipStream_tbENKUlT_T0_E_clISt17integral_constantIbLb1EESW_EEDaSR_SS_EUlSR_E_NS1_11comp_targetILNS1_3genE2ELNS1_11target_archE906ELNS1_3gpuE6ELNS1_3repE0EEENS1_30default_config_static_selectorELNS0_4arch9wavefront6targetE1EEEvT1_
    .private_segment_fixed_size: 0
    .sgpr_count:     6
    .sgpr_spill_count: 0
    .symbol:         _ZN7rocprim17ROCPRIM_400000_NS6detail17trampoline_kernelINS0_14default_configENS1_20scan_config_selectorIdEEZZNS1_9scan_implILNS1_25lookback_scan_determinismE0ELb0ELb0ES3_PKdPddZZZN2at6native31launch_logcumsumexp_cuda_kernelERKNSB_10TensorBaseESF_lENKUlvE_clEvENKUlvE_clEvEUlddE_dEEDaPvRmT3_T4_T5_mT6_P12ihipStream_tbENKUlT_T0_E_clISt17integral_constantIbLb1EESW_EEDaSR_SS_EUlSR_E_NS1_11comp_targetILNS1_3genE2ELNS1_11target_archE906ELNS1_3gpuE6ELNS1_3repE0EEENS1_30default_config_static_selectorELNS0_4arch9wavefront6targetE1EEEvT1_.kd
    .uniform_work_group_size: 1
    .uses_dynamic_stack: false
    .vgpr_count:     0
    .vgpr_spill_count: 0
    .wavefront_size: 64
  - .agpr_count:     0
    .args:
      - .offset:         0
        .size:           104
        .value_kind:     by_value
    .group_segment_fixed_size: 0
    .kernarg_segment_align: 8
    .kernarg_segment_size: 104
    .language:       OpenCL C
    .language_version:
      - 2
      - 0
    .max_flat_workgroup_size: 256
    .name:           _ZN7rocprim17ROCPRIM_400000_NS6detail17trampoline_kernelINS0_14default_configENS1_20scan_config_selectorIdEEZZNS1_9scan_implILNS1_25lookback_scan_determinismE0ELb0ELb0ES3_PKdPddZZZN2at6native31launch_logcumsumexp_cuda_kernelERKNSB_10TensorBaseESF_lENKUlvE_clEvENKUlvE_clEvEUlddE_dEEDaPvRmT3_T4_T5_mT6_P12ihipStream_tbENKUlT_T0_E_clISt17integral_constantIbLb1EESW_EEDaSR_SS_EUlSR_E_NS1_11comp_targetILNS1_3genE10ELNS1_11target_archE1201ELNS1_3gpuE5ELNS1_3repE0EEENS1_30default_config_static_selectorELNS0_4arch9wavefront6targetE1EEEvT1_
    .private_segment_fixed_size: 0
    .sgpr_count:     6
    .sgpr_spill_count: 0
    .symbol:         _ZN7rocprim17ROCPRIM_400000_NS6detail17trampoline_kernelINS0_14default_configENS1_20scan_config_selectorIdEEZZNS1_9scan_implILNS1_25lookback_scan_determinismE0ELb0ELb0ES3_PKdPddZZZN2at6native31launch_logcumsumexp_cuda_kernelERKNSB_10TensorBaseESF_lENKUlvE_clEvENKUlvE_clEvEUlddE_dEEDaPvRmT3_T4_T5_mT6_P12ihipStream_tbENKUlT_T0_E_clISt17integral_constantIbLb1EESW_EEDaSR_SS_EUlSR_E_NS1_11comp_targetILNS1_3genE10ELNS1_11target_archE1201ELNS1_3gpuE5ELNS1_3repE0EEENS1_30default_config_static_selectorELNS0_4arch9wavefront6targetE1EEEvT1_.kd
    .uniform_work_group_size: 1
    .uses_dynamic_stack: false
    .vgpr_count:     0
    .vgpr_spill_count: 0
    .wavefront_size: 64
  - .agpr_count:     0
    .args:
      - .offset:         0
        .size:           104
        .value_kind:     by_value
    .group_segment_fixed_size: 0
    .kernarg_segment_align: 8
    .kernarg_segment_size: 104
    .language:       OpenCL C
    .language_version:
      - 2
      - 0
    .max_flat_workgroup_size: 256
    .name:           _ZN7rocprim17ROCPRIM_400000_NS6detail17trampoline_kernelINS0_14default_configENS1_20scan_config_selectorIdEEZZNS1_9scan_implILNS1_25lookback_scan_determinismE0ELb0ELb0ES3_PKdPddZZZN2at6native31launch_logcumsumexp_cuda_kernelERKNSB_10TensorBaseESF_lENKUlvE_clEvENKUlvE_clEvEUlddE_dEEDaPvRmT3_T4_T5_mT6_P12ihipStream_tbENKUlT_T0_E_clISt17integral_constantIbLb1EESW_EEDaSR_SS_EUlSR_E_NS1_11comp_targetILNS1_3genE10ELNS1_11target_archE1200ELNS1_3gpuE4ELNS1_3repE0EEENS1_30default_config_static_selectorELNS0_4arch9wavefront6targetE1EEEvT1_
    .private_segment_fixed_size: 0
    .sgpr_count:     6
    .sgpr_spill_count: 0
    .symbol:         _ZN7rocprim17ROCPRIM_400000_NS6detail17trampoline_kernelINS0_14default_configENS1_20scan_config_selectorIdEEZZNS1_9scan_implILNS1_25lookback_scan_determinismE0ELb0ELb0ES3_PKdPddZZZN2at6native31launch_logcumsumexp_cuda_kernelERKNSB_10TensorBaseESF_lENKUlvE_clEvENKUlvE_clEvEUlddE_dEEDaPvRmT3_T4_T5_mT6_P12ihipStream_tbENKUlT_T0_E_clISt17integral_constantIbLb1EESW_EEDaSR_SS_EUlSR_E_NS1_11comp_targetILNS1_3genE10ELNS1_11target_archE1200ELNS1_3gpuE4ELNS1_3repE0EEENS1_30default_config_static_selectorELNS0_4arch9wavefront6targetE1EEEvT1_.kd
    .uniform_work_group_size: 1
    .uses_dynamic_stack: false
    .vgpr_count:     0
    .vgpr_spill_count: 0
    .wavefront_size: 64
  - .agpr_count:     0
    .args:
      - .offset:         0
        .size:           104
        .value_kind:     by_value
    .group_segment_fixed_size: 0
    .kernarg_segment_align: 8
    .kernarg_segment_size: 104
    .language:       OpenCL C
    .language_version:
      - 2
      - 0
    .max_flat_workgroup_size: 256
    .name:           _ZN7rocprim17ROCPRIM_400000_NS6detail17trampoline_kernelINS0_14default_configENS1_20scan_config_selectorIdEEZZNS1_9scan_implILNS1_25lookback_scan_determinismE0ELb0ELb0ES3_PKdPddZZZN2at6native31launch_logcumsumexp_cuda_kernelERKNSB_10TensorBaseESF_lENKUlvE_clEvENKUlvE_clEvEUlddE_dEEDaPvRmT3_T4_T5_mT6_P12ihipStream_tbENKUlT_T0_E_clISt17integral_constantIbLb1EESW_EEDaSR_SS_EUlSR_E_NS1_11comp_targetILNS1_3genE9ELNS1_11target_archE1100ELNS1_3gpuE3ELNS1_3repE0EEENS1_30default_config_static_selectorELNS0_4arch9wavefront6targetE1EEEvT1_
    .private_segment_fixed_size: 0
    .sgpr_count:     6
    .sgpr_spill_count: 0
    .symbol:         _ZN7rocprim17ROCPRIM_400000_NS6detail17trampoline_kernelINS0_14default_configENS1_20scan_config_selectorIdEEZZNS1_9scan_implILNS1_25lookback_scan_determinismE0ELb0ELb0ES3_PKdPddZZZN2at6native31launch_logcumsumexp_cuda_kernelERKNSB_10TensorBaseESF_lENKUlvE_clEvENKUlvE_clEvEUlddE_dEEDaPvRmT3_T4_T5_mT6_P12ihipStream_tbENKUlT_T0_E_clISt17integral_constantIbLb1EESW_EEDaSR_SS_EUlSR_E_NS1_11comp_targetILNS1_3genE9ELNS1_11target_archE1100ELNS1_3gpuE3ELNS1_3repE0EEENS1_30default_config_static_selectorELNS0_4arch9wavefront6targetE1EEEvT1_.kd
    .uniform_work_group_size: 1
    .uses_dynamic_stack: false
    .vgpr_count:     0
    .vgpr_spill_count: 0
    .wavefront_size: 64
  - .agpr_count:     0
    .args:
      - .offset:         0
        .size:           104
        .value_kind:     by_value
    .group_segment_fixed_size: 0
    .kernarg_segment_align: 8
    .kernarg_segment_size: 104
    .language:       OpenCL C
    .language_version:
      - 2
      - 0
    .max_flat_workgroup_size: 128
    .name:           _ZN7rocprim17ROCPRIM_400000_NS6detail17trampoline_kernelINS0_14default_configENS1_20scan_config_selectorIdEEZZNS1_9scan_implILNS1_25lookback_scan_determinismE0ELb0ELb0ES3_PKdPddZZZN2at6native31launch_logcumsumexp_cuda_kernelERKNSB_10TensorBaseESF_lENKUlvE_clEvENKUlvE_clEvEUlddE_dEEDaPvRmT3_T4_T5_mT6_P12ihipStream_tbENKUlT_T0_E_clISt17integral_constantIbLb1EESW_EEDaSR_SS_EUlSR_E_NS1_11comp_targetILNS1_3genE8ELNS1_11target_archE1030ELNS1_3gpuE2ELNS1_3repE0EEENS1_30default_config_static_selectorELNS0_4arch9wavefront6targetE1EEEvT1_
    .private_segment_fixed_size: 0
    .sgpr_count:     6
    .sgpr_spill_count: 0
    .symbol:         _ZN7rocprim17ROCPRIM_400000_NS6detail17trampoline_kernelINS0_14default_configENS1_20scan_config_selectorIdEEZZNS1_9scan_implILNS1_25lookback_scan_determinismE0ELb0ELb0ES3_PKdPddZZZN2at6native31launch_logcumsumexp_cuda_kernelERKNSB_10TensorBaseESF_lENKUlvE_clEvENKUlvE_clEvEUlddE_dEEDaPvRmT3_T4_T5_mT6_P12ihipStream_tbENKUlT_T0_E_clISt17integral_constantIbLb1EESW_EEDaSR_SS_EUlSR_E_NS1_11comp_targetILNS1_3genE8ELNS1_11target_archE1030ELNS1_3gpuE2ELNS1_3repE0EEENS1_30default_config_static_selectorELNS0_4arch9wavefront6targetE1EEEvT1_.kd
    .uniform_work_group_size: 1
    .uses_dynamic_stack: false
    .vgpr_count:     0
    .vgpr_spill_count: 0
    .wavefront_size: 64
  - .agpr_count:     0
    .args:
      - .offset:         0
        .size:           40
        .value_kind:     by_value
    .group_segment_fixed_size: 12288
    .kernarg_segment_align: 8
    .kernarg_segment_size: 40
    .language:       OpenCL C
    .language_version:
      - 2
      - 0
    .max_flat_workgroup_size: 256
    .name:           _ZN7rocprim17ROCPRIM_400000_NS6detail17trampoline_kernelINS0_14default_configENS1_20scan_config_selectorIdEEZZNS1_9scan_implILNS1_25lookback_scan_determinismE0ELb0ELb0ES3_PKdPddZZZN2at6native31launch_logcumsumexp_cuda_kernelERKNSB_10TensorBaseESF_lENKUlvE_clEvENKUlvE_clEvEUlddE_dEEDaPvRmT3_T4_T5_mT6_P12ihipStream_tbENKUlT_T0_E_clISt17integral_constantIbLb1EESW_EEDaSR_SS_EUlSR_E0_NS1_11comp_targetILNS1_3genE0ELNS1_11target_archE4294967295ELNS1_3gpuE0ELNS1_3repE0EEENS1_30default_config_static_selectorELNS0_4arch9wavefront6targetE1EEEvT1_
    .private_segment_fixed_size: 0
    .sgpr_count:     48
    .sgpr_spill_count: 0
    .symbol:         _ZN7rocprim17ROCPRIM_400000_NS6detail17trampoline_kernelINS0_14default_configENS1_20scan_config_selectorIdEEZZNS1_9scan_implILNS1_25lookback_scan_determinismE0ELb0ELb0ES3_PKdPddZZZN2at6native31launch_logcumsumexp_cuda_kernelERKNSB_10TensorBaseESF_lENKUlvE_clEvENKUlvE_clEvEUlddE_dEEDaPvRmT3_T4_T5_mT6_P12ihipStream_tbENKUlT_T0_E_clISt17integral_constantIbLb1EESW_EEDaSR_SS_EUlSR_E0_NS1_11comp_targetILNS1_3genE0ELNS1_11target_archE4294967295ELNS1_3gpuE0ELNS1_3repE0EEENS1_30default_config_static_selectorELNS0_4arch9wavefront6targetE1EEEvT1_.kd
    .uniform_work_group_size: 1
    .uses_dynamic_stack: false
    .vgpr_count:     65
    .vgpr_spill_count: 0
    .wavefront_size: 64
  - .agpr_count:     0
    .args:
      - .offset:         0
        .size:           40
        .value_kind:     by_value
    .group_segment_fixed_size: 0
    .kernarg_segment_align: 8
    .kernarg_segment_size: 40
    .language:       OpenCL C
    .language_version:
      - 2
      - 0
    .max_flat_workgroup_size: 256
    .name:           _ZN7rocprim17ROCPRIM_400000_NS6detail17trampoline_kernelINS0_14default_configENS1_20scan_config_selectorIdEEZZNS1_9scan_implILNS1_25lookback_scan_determinismE0ELb0ELb0ES3_PKdPddZZZN2at6native31launch_logcumsumexp_cuda_kernelERKNSB_10TensorBaseESF_lENKUlvE_clEvENKUlvE_clEvEUlddE_dEEDaPvRmT3_T4_T5_mT6_P12ihipStream_tbENKUlT_T0_E_clISt17integral_constantIbLb1EESW_EEDaSR_SS_EUlSR_E0_NS1_11comp_targetILNS1_3genE5ELNS1_11target_archE942ELNS1_3gpuE9ELNS1_3repE0EEENS1_30default_config_static_selectorELNS0_4arch9wavefront6targetE1EEEvT1_
    .private_segment_fixed_size: 0
    .sgpr_count:     6
    .sgpr_spill_count: 0
    .symbol:         _ZN7rocprim17ROCPRIM_400000_NS6detail17trampoline_kernelINS0_14default_configENS1_20scan_config_selectorIdEEZZNS1_9scan_implILNS1_25lookback_scan_determinismE0ELb0ELb0ES3_PKdPddZZZN2at6native31launch_logcumsumexp_cuda_kernelERKNSB_10TensorBaseESF_lENKUlvE_clEvENKUlvE_clEvEUlddE_dEEDaPvRmT3_T4_T5_mT6_P12ihipStream_tbENKUlT_T0_E_clISt17integral_constantIbLb1EESW_EEDaSR_SS_EUlSR_E0_NS1_11comp_targetILNS1_3genE5ELNS1_11target_archE942ELNS1_3gpuE9ELNS1_3repE0EEENS1_30default_config_static_selectorELNS0_4arch9wavefront6targetE1EEEvT1_.kd
    .uniform_work_group_size: 1
    .uses_dynamic_stack: false
    .vgpr_count:     0
    .vgpr_spill_count: 0
    .wavefront_size: 64
  - .agpr_count:     0
    .args:
      - .offset:         0
        .size:           40
        .value_kind:     by_value
    .group_segment_fixed_size: 0
    .kernarg_segment_align: 8
    .kernarg_segment_size: 40
    .language:       OpenCL C
    .language_version:
      - 2
      - 0
    .max_flat_workgroup_size: 128
    .name:           _ZN7rocprim17ROCPRIM_400000_NS6detail17trampoline_kernelINS0_14default_configENS1_20scan_config_selectorIdEEZZNS1_9scan_implILNS1_25lookback_scan_determinismE0ELb0ELb0ES3_PKdPddZZZN2at6native31launch_logcumsumexp_cuda_kernelERKNSB_10TensorBaseESF_lENKUlvE_clEvENKUlvE_clEvEUlddE_dEEDaPvRmT3_T4_T5_mT6_P12ihipStream_tbENKUlT_T0_E_clISt17integral_constantIbLb1EESW_EEDaSR_SS_EUlSR_E0_NS1_11comp_targetILNS1_3genE4ELNS1_11target_archE910ELNS1_3gpuE8ELNS1_3repE0EEENS1_30default_config_static_selectorELNS0_4arch9wavefront6targetE1EEEvT1_
    .private_segment_fixed_size: 0
    .sgpr_count:     6
    .sgpr_spill_count: 0
    .symbol:         _ZN7rocprim17ROCPRIM_400000_NS6detail17trampoline_kernelINS0_14default_configENS1_20scan_config_selectorIdEEZZNS1_9scan_implILNS1_25lookback_scan_determinismE0ELb0ELb0ES3_PKdPddZZZN2at6native31launch_logcumsumexp_cuda_kernelERKNSB_10TensorBaseESF_lENKUlvE_clEvENKUlvE_clEvEUlddE_dEEDaPvRmT3_T4_T5_mT6_P12ihipStream_tbENKUlT_T0_E_clISt17integral_constantIbLb1EESW_EEDaSR_SS_EUlSR_E0_NS1_11comp_targetILNS1_3genE4ELNS1_11target_archE910ELNS1_3gpuE8ELNS1_3repE0EEENS1_30default_config_static_selectorELNS0_4arch9wavefront6targetE1EEEvT1_.kd
    .uniform_work_group_size: 1
    .uses_dynamic_stack: false
    .vgpr_count:     0
    .vgpr_spill_count: 0
    .wavefront_size: 64
  - .agpr_count:     0
    .args:
      - .offset:         0
        .size:           40
        .value_kind:     by_value
    .group_segment_fixed_size: 0
    .kernarg_segment_align: 8
    .kernarg_segment_size: 40
    .language:       OpenCL C
    .language_version:
      - 2
      - 0
    .max_flat_workgroup_size: 256
    .name:           _ZN7rocprim17ROCPRIM_400000_NS6detail17trampoline_kernelINS0_14default_configENS1_20scan_config_selectorIdEEZZNS1_9scan_implILNS1_25lookback_scan_determinismE0ELb0ELb0ES3_PKdPddZZZN2at6native31launch_logcumsumexp_cuda_kernelERKNSB_10TensorBaseESF_lENKUlvE_clEvENKUlvE_clEvEUlddE_dEEDaPvRmT3_T4_T5_mT6_P12ihipStream_tbENKUlT_T0_E_clISt17integral_constantIbLb1EESW_EEDaSR_SS_EUlSR_E0_NS1_11comp_targetILNS1_3genE3ELNS1_11target_archE908ELNS1_3gpuE7ELNS1_3repE0EEENS1_30default_config_static_selectorELNS0_4arch9wavefront6targetE1EEEvT1_
    .private_segment_fixed_size: 0
    .sgpr_count:     6
    .sgpr_spill_count: 0
    .symbol:         _ZN7rocprim17ROCPRIM_400000_NS6detail17trampoline_kernelINS0_14default_configENS1_20scan_config_selectorIdEEZZNS1_9scan_implILNS1_25lookback_scan_determinismE0ELb0ELb0ES3_PKdPddZZZN2at6native31launch_logcumsumexp_cuda_kernelERKNSB_10TensorBaseESF_lENKUlvE_clEvENKUlvE_clEvEUlddE_dEEDaPvRmT3_T4_T5_mT6_P12ihipStream_tbENKUlT_T0_E_clISt17integral_constantIbLb1EESW_EEDaSR_SS_EUlSR_E0_NS1_11comp_targetILNS1_3genE3ELNS1_11target_archE908ELNS1_3gpuE7ELNS1_3repE0EEENS1_30default_config_static_selectorELNS0_4arch9wavefront6targetE1EEEvT1_.kd
    .uniform_work_group_size: 1
    .uses_dynamic_stack: false
    .vgpr_count:     0
    .vgpr_spill_count: 0
    .wavefront_size: 64
  - .agpr_count:     0
    .args:
      - .offset:         0
        .size:           40
        .value_kind:     by_value
    .group_segment_fixed_size: 0
    .kernarg_segment_align: 8
    .kernarg_segment_size: 40
    .language:       OpenCL C
    .language_version:
      - 2
      - 0
    .max_flat_workgroup_size: 128
    .name:           _ZN7rocprim17ROCPRIM_400000_NS6detail17trampoline_kernelINS0_14default_configENS1_20scan_config_selectorIdEEZZNS1_9scan_implILNS1_25lookback_scan_determinismE0ELb0ELb0ES3_PKdPddZZZN2at6native31launch_logcumsumexp_cuda_kernelERKNSB_10TensorBaseESF_lENKUlvE_clEvENKUlvE_clEvEUlddE_dEEDaPvRmT3_T4_T5_mT6_P12ihipStream_tbENKUlT_T0_E_clISt17integral_constantIbLb1EESW_EEDaSR_SS_EUlSR_E0_NS1_11comp_targetILNS1_3genE2ELNS1_11target_archE906ELNS1_3gpuE6ELNS1_3repE0EEENS1_30default_config_static_selectorELNS0_4arch9wavefront6targetE1EEEvT1_
    .private_segment_fixed_size: 0
    .sgpr_count:     6
    .sgpr_spill_count: 0
    .symbol:         _ZN7rocprim17ROCPRIM_400000_NS6detail17trampoline_kernelINS0_14default_configENS1_20scan_config_selectorIdEEZZNS1_9scan_implILNS1_25lookback_scan_determinismE0ELb0ELb0ES3_PKdPddZZZN2at6native31launch_logcumsumexp_cuda_kernelERKNSB_10TensorBaseESF_lENKUlvE_clEvENKUlvE_clEvEUlddE_dEEDaPvRmT3_T4_T5_mT6_P12ihipStream_tbENKUlT_T0_E_clISt17integral_constantIbLb1EESW_EEDaSR_SS_EUlSR_E0_NS1_11comp_targetILNS1_3genE2ELNS1_11target_archE906ELNS1_3gpuE6ELNS1_3repE0EEENS1_30default_config_static_selectorELNS0_4arch9wavefront6targetE1EEEvT1_.kd
    .uniform_work_group_size: 1
    .uses_dynamic_stack: false
    .vgpr_count:     0
    .vgpr_spill_count: 0
    .wavefront_size: 64
  - .agpr_count:     0
    .args:
      - .offset:         0
        .size:           40
        .value_kind:     by_value
    .group_segment_fixed_size: 0
    .kernarg_segment_align: 8
    .kernarg_segment_size: 40
    .language:       OpenCL C
    .language_version:
      - 2
      - 0
    .max_flat_workgroup_size: 256
    .name:           _ZN7rocprim17ROCPRIM_400000_NS6detail17trampoline_kernelINS0_14default_configENS1_20scan_config_selectorIdEEZZNS1_9scan_implILNS1_25lookback_scan_determinismE0ELb0ELb0ES3_PKdPddZZZN2at6native31launch_logcumsumexp_cuda_kernelERKNSB_10TensorBaseESF_lENKUlvE_clEvENKUlvE_clEvEUlddE_dEEDaPvRmT3_T4_T5_mT6_P12ihipStream_tbENKUlT_T0_E_clISt17integral_constantIbLb1EESW_EEDaSR_SS_EUlSR_E0_NS1_11comp_targetILNS1_3genE10ELNS1_11target_archE1201ELNS1_3gpuE5ELNS1_3repE0EEENS1_30default_config_static_selectorELNS0_4arch9wavefront6targetE1EEEvT1_
    .private_segment_fixed_size: 0
    .sgpr_count:     6
    .sgpr_spill_count: 0
    .symbol:         _ZN7rocprim17ROCPRIM_400000_NS6detail17trampoline_kernelINS0_14default_configENS1_20scan_config_selectorIdEEZZNS1_9scan_implILNS1_25lookback_scan_determinismE0ELb0ELb0ES3_PKdPddZZZN2at6native31launch_logcumsumexp_cuda_kernelERKNSB_10TensorBaseESF_lENKUlvE_clEvENKUlvE_clEvEUlddE_dEEDaPvRmT3_T4_T5_mT6_P12ihipStream_tbENKUlT_T0_E_clISt17integral_constantIbLb1EESW_EEDaSR_SS_EUlSR_E0_NS1_11comp_targetILNS1_3genE10ELNS1_11target_archE1201ELNS1_3gpuE5ELNS1_3repE0EEENS1_30default_config_static_selectorELNS0_4arch9wavefront6targetE1EEEvT1_.kd
    .uniform_work_group_size: 1
    .uses_dynamic_stack: false
    .vgpr_count:     0
    .vgpr_spill_count: 0
    .wavefront_size: 64
  - .agpr_count:     0
    .args:
      - .offset:         0
        .size:           40
        .value_kind:     by_value
    .group_segment_fixed_size: 0
    .kernarg_segment_align: 8
    .kernarg_segment_size: 40
    .language:       OpenCL C
    .language_version:
      - 2
      - 0
    .max_flat_workgroup_size: 256
    .name:           _ZN7rocprim17ROCPRIM_400000_NS6detail17trampoline_kernelINS0_14default_configENS1_20scan_config_selectorIdEEZZNS1_9scan_implILNS1_25lookback_scan_determinismE0ELb0ELb0ES3_PKdPddZZZN2at6native31launch_logcumsumexp_cuda_kernelERKNSB_10TensorBaseESF_lENKUlvE_clEvENKUlvE_clEvEUlddE_dEEDaPvRmT3_T4_T5_mT6_P12ihipStream_tbENKUlT_T0_E_clISt17integral_constantIbLb1EESW_EEDaSR_SS_EUlSR_E0_NS1_11comp_targetILNS1_3genE10ELNS1_11target_archE1200ELNS1_3gpuE4ELNS1_3repE0EEENS1_30default_config_static_selectorELNS0_4arch9wavefront6targetE1EEEvT1_
    .private_segment_fixed_size: 0
    .sgpr_count:     6
    .sgpr_spill_count: 0
    .symbol:         _ZN7rocprim17ROCPRIM_400000_NS6detail17trampoline_kernelINS0_14default_configENS1_20scan_config_selectorIdEEZZNS1_9scan_implILNS1_25lookback_scan_determinismE0ELb0ELb0ES3_PKdPddZZZN2at6native31launch_logcumsumexp_cuda_kernelERKNSB_10TensorBaseESF_lENKUlvE_clEvENKUlvE_clEvEUlddE_dEEDaPvRmT3_T4_T5_mT6_P12ihipStream_tbENKUlT_T0_E_clISt17integral_constantIbLb1EESW_EEDaSR_SS_EUlSR_E0_NS1_11comp_targetILNS1_3genE10ELNS1_11target_archE1200ELNS1_3gpuE4ELNS1_3repE0EEENS1_30default_config_static_selectorELNS0_4arch9wavefront6targetE1EEEvT1_.kd
    .uniform_work_group_size: 1
    .uses_dynamic_stack: false
    .vgpr_count:     0
    .vgpr_spill_count: 0
    .wavefront_size: 64
  - .agpr_count:     0
    .args:
      - .offset:         0
        .size:           40
        .value_kind:     by_value
    .group_segment_fixed_size: 0
    .kernarg_segment_align: 8
    .kernarg_segment_size: 40
    .language:       OpenCL C
    .language_version:
      - 2
      - 0
    .max_flat_workgroup_size: 256
    .name:           _ZN7rocprim17ROCPRIM_400000_NS6detail17trampoline_kernelINS0_14default_configENS1_20scan_config_selectorIdEEZZNS1_9scan_implILNS1_25lookback_scan_determinismE0ELb0ELb0ES3_PKdPddZZZN2at6native31launch_logcumsumexp_cuda_kernelERKNSB_10TensorBaseESF_lENKUlvE_clEvENKUlvE_clEvEUlddE_dEEDaPvRmT3_T4_T5_mT6_P12ihipStream_tbENKUlT_T0_E_clISt17integral_constantIbLb1EESW_EEDaSR_SS_EUlSR_E0_NS1_11comp_targetILNS1_3genE9ELNS1_11target_archE1100ELNS1_3gpuE3ELNS1_3repE0EEENS1_30default_config_static_selectorELNS0_4arch9wavefront6targetE1EEEvT1_
    .private_segment_fixed_size: 0
    .sgpr_count:     6
    .sgpr_spill_count: 0
    .symbol:         _ZN7rocprim17ROCPRIM_400000_NS6detail17trampoline_kernelINS0_14default_configENS1_20scan_config_selectorIdEEZZNS1_9scan_implILNS1_25lookback_scan_determinismE0ELb0ELb0ES3_PKdPddZZZN2at6native31launch_logcumsumexp_cuda_kernelERKNSB_10TensorBaseESF_lENKUlvE_clEvENKUlvE_clEvEUlddE_dEEDaPvRmT3_T4_T5_mT6_P12ihipStream_tbENKUlT_T0_E_clISt17integral_constantIbLb1EESW_EEDaSR_SS_EUlSR_E0_NS1_11comp_targetILNS1_3genE9ELNS1_11target_archE1100ELNS1_3gpuE3ELNS1_3repE0EEENS1_30default_config_static_selectorELNS0_4arch9wavefront6targetE1EEEvT1_.kd
    .uniform_work_group_size: 1
    .uses_dynamic_stack: false
    .vgpr_count:     0
    .vgpr_spill_count: 0
    .wavefront_size: 64
  - .agpr_count:     0
    .args:
      - .offset:         0
        .size:           40
        .value_kind:     by_value
    .group_segment_fixed_size: 0
    .kernarg_segment_align: 8
    .kernarg_segment_size: 40
    .language:       OpenCL C
    .language_version:
      - 2
      - 0
    .max_flat_workgroup_size: 128
    .name:           _ZN7rocprim17ROCPRIM_400000_NS6detail17trampoline_kernelINS0_14default_configENS1_20scan_config_selectorIdEEZZNS1_9scan_implILNS1_25lookback_scan_determinismE0ELb0ELb0ES3_PKdPddZZZN2at6native31launch_logcumsumexp_cuda_kernelERKNSB_10TensorBaseESF_lENKUlvE_clEvENKUlvE_clEvEUlddE_dEEDaPvRmT3_T4_T5_mT6_P12ihipStream_tbENKUlT_T0_E_clISt17integral_constantIbLb1EESW_EEDaSR_SS_EUlSR_E0_NS1_11comp_targetILNS1_3genE8ELNS1_11target_archE1030ELNS1_3gpuE2ELNS1_3repE0EEENS1_30default_config_static_selectorELNS0_4arch9wavefront6targetE1EEEvT1_
    .private_segment_fixed_size: 0
    .sgpr_count:     6
    .sgpr_spill_count: 0
    .symbol:         _ZN7rocprim17ROCPRIM_400000_NS6detail17trampoline_kernelINS0_14default_configENS1_20scan_config_selectorIdEEZZNS1_9scan_implILNS1_25lookback_scan_determinismE0ELb0ELb0ES3_PKdPddZZZN2at6native31launch_logcumsumexp_cuda_kernelERKNSB_10TensorBaseESF_lENKUlvE_clEvENKUlvE_clEvEUlddE_dEEDaPvRmT3_T4_T5_mT6_P12ihipStream_tbENKUlT_T0_E_clISt17integral_constantIbLb1EESW_EEDaSR_SS_EUlSR_E0_NS1_11comp_targetILNS1_3genE8ELNS1_11target_archE1030ELNS1_3gpuE2ELNS1_3repE0EEENS1_30default_config_static_selectorELNS0_4arch9wavefront6targetE1EEEvT1_.kd
    .uniform_work_group_size: 1
    .uses_dynamic_stack: false
    .vgpr_count:     0
    .vgpr_spill_count: 0
    .wavefront_size: 64
  - .agpr_count:     0
    .args:
      - .address_space:  global
        .offset:         0
        .size:           8
        .value_kind:     global_buffer
      - .offset:         8
        .size:           4
        .value_kind:     by_value
      - .offset:         12
        .size:           1
        .value_kind:     by_value
      - .offset:         16
        .size:           4
        .value_kind:     by_value
      - .address_space:  global
        .offset:         24
        .size:           8
        .value_kind:     global_buffer
      - .offset:         32
        .size:           4
        .value_kind:     hidden_block_count_x
      - .offset:         36
        .size:           4
        .value_kind:     hidden_block_count_y
      - .offset:         40
        .size:           4
        .value_kind:     hidden_block_count_z
      - .offset:         44
        .size:           2
        .value_kind:     hidden_group_size_x
      - .offset:         46
        .size:           2
        .value_kind:     hidden_group_size_y
      - .offset:         48
        .size:           2
        .value_kind:     hidden_group_size_z
      - .offset:         50
        .size:           2
        .value_kind:     hidden_remainder_x
      - .offset:         52
        .size:           2
        .value_kind:     hidden_remainder_y
      - .offset:         54
        .size:           2
        .value_kind:     hidden_remainder_z
      - .offset:         72
        .size:           8
        .value_kind:     hidden_global_offset_x
      - .offset:         80
        .size:           8
        .value_kind:     hidden_global_offset_y
      - .offset:         88
        .size:           8
        .value_kind:     hidden_global_offset_z
      - .offset:         96
        .size:           2
        .value_kind:     hidden_grid_dims
    .group_segment_fixed_size: 0
    .kernarg_segment_align: 8
    .kernarg_segment_size: 288
    .language:       OpenCL C
    .language_version:
      - 2
      - 0
    .max_flat_workgroup_size: 256
    .name:           _ZN7rocprim17ROCPRIM_400000_NS6detail31init_lookback_scan_state_kernelINS1_19lookback_scan_stateIdLb1ELb1EEENS1_16block_id_wrapperIjLb0EEEEEvT_jT0_jPNS7_10value_typeE
    .private_segment_fixed_size: 0
    .sgpr_count:     20
    .sgpr_spill_count: 0
    .symbol:         _ZN7rocprim17ROCPRIM_400000_NS6detail31init_lookback_scan_state_kernelINS1_19lookback_scan_stateIdLb1ELb1EEENS1_16block_id_wrapperIjLb0EEEEEvT_jT0_jPNS7_10value_typeE.kd
    .uniform_work_group_size: 1
    .uses_dynamic_stack: false
    .vgpr_count:     10
    .vgpr_spill_count: 0
    .wavefront_size: 64
  - .agpr_count:     0
    .args:
      - .offset:         0
        .size:           104
        .value_kind:     by_value
    .group_segment_fixed_size: 0
    .kernarg_segment_align: 8
    .kernarg_segment_size: 104
    .language:       OpenCL C
    .language_version:
      - 2
      - 0
    .max_flat_workgroup_size: 256
    .name:           _ZN7rocprim17ROCPRIM_400000_NS6detail17trampoline_kernelINS0_14default_configENS1_20scan_config_selectorIdEEZZNS1_9scan_implILNS1_25lookback_scan_determinismE0ELb0ELb0ES3_PKdPddZZZN2at6native31launch_logcumsumexp_cuda_kernelERKNSB_10TensorBaseESF_lENKUlvE_clEvENKUlvE_clEvEUlddE_dEEDaPvRmT3_T4_T5_mT6_P12ihipStream_tbENKUlT_T0_E_clISt17integral_constantIbLb1EESV_IbLb0EEEEDaSR_SS_EUlSR_E_NS1_11comp_targetILNS1_3genE0ELNS1_11target_archE4294967295ELNS1_3gpuE0ELNS1_3repE0EEENS1_30default_config_static_selectorELNS0_4arch9wavefront6targetE1EEEvT1_
    .private_segment_fixed_size: 0
    .sgpr_count:     6
    .sgpr_spill_count: 0
    .symbol:         _ZN7rocprim17ROCPRIM_400000_NS6detail17trampoline_kernelINS0_14default_configENS1_20scan_config_selectorIdEEZZNS1_9scan_implILNS1_25lookback_scan_determinismE0ELb0ELb0ES3_PKdPddZZZN2at6native31launch_logcumsumexp_cuda_kernelERKNSB_10TensorBaseESF_lENKUlvE_clEvENKUlvE_clEvEUlddE_dEEDaPvRmT3_T4_T5_mT6_P12ihipStream_tbENKUlT_T0_E_clISt17integral_constantIbLb1EESV_IbLb0EEEEDaSR_SS_EUlSR_E_NS1_11comp_targetILNS1_3genE0ELNS1_11target_archE4294967295ELNS1_3gpuE0ELNS1_3repE0EEENS1_30default_config_static_selectorELNS0_4arch9wavefront6targetE1EEEvT1_.kd
    .uniform_work_group_size: 1
    .uses_dynamic_stack: false
    .vgpr_count:     0
    .vgpr_spill_count: 0
    .wavefront_size: 64
  - .agpr_count:     0
    .args:
      - .offset:         0
        .size:           104
        .value_kind:     by_value
    .group_segment_fixed_size: 0
    .kernarg_segment_align: 8
    .kernarg_segment_size: 104
    .language:       OpenCL C
    .language_version:
      - 2
      - 0
    .max_flat_workgroup_size: 256
    .name:           _ZN7rocprim17ROCPRIM_400000_NS6detail17trampoline_kernelINS0_14default_configENS1_20scan_config_selectorIdEEZZNS1_9scan_implILNS1_25lookback_scan_determinismE0ELb0ELb0ES3_PKdPddZZZN2at6native31launch_logcumsumexp_cuda_kernelERKNSB_10TensorBaseESF_lENKUlvE_clEvENKUlvE_clEvEUlddE_dEEDaPvRmT3_T4_T5_mT6_P12ihipStream_tbENKUlT_T0_E_clISt17integral_constantIbLb1EESV_IbLb0EEEEDaSR_SS_EUlSR_E_NS1_11comp_targetILNS1_3genE5ELNS1_11target_archE942ELNS1_3gpuE9ELNS1_3repE0EEENS1_30default_config_static_selectorELNS0_4arch9wavefront6targetE1EEEvT1_
    .private_segment_fixed_size: 0
    .sgpr_count:     6
    .sgpr_spill_count: 0
    .symbol:         _ZN7rocprim17ROCPRIM_400000_NS6detail17trampoline_kernelINS0_14default_configENS1_20scan_config_selectorIdEEZZNS1_9scan_implILNS1_25lookback_scan_determinismE0ELb0ELb0ES3_PKdPddZZZN2at6native31launch_logcumsumexp_cuda_kernelERKNSB_10TensorBaseESF_lENKUlvE_clEvENKUlvE_clEvEUlddE_dEEDaPvRmT3_T4_T5_mT6_P12ihipStream_tbENKUlT_T0_E_clISt17integral_constantIbLb1EESV_IbLb0EEEEDaSR_SS_EUlSR_E_NS1_11comp_targetILNS1_3genE5ELNS1_11target_archE942ELNS1_3gpuE9ELNS1_3repE0EEENS1_30default_config_static_selectorELNS0_4arch9wavefront6targetE1EEEvT1_.kd
    .uniform_work_group_size: 1
    .uses_dynamic_stack: false
    .vgpr_count:     0
    .vgpr_spill_count: 0
    .wavefront_size: 64
  - .agpr_count:     0
    .args:
      - .offset:         0
        .size:           104
        .value_kind:     by_value
    .group_segment_fixed_size: 0
    .kernarg_segment_align: 8
    .kernarg_segment_size: 104
    .language:       OpenCL C
    .language_version:
      - 2
      - 0
    .max_flat_workgroup_size: 128
    .name:           _ZN7rocprim17ROCPRIM_400000_NS6detail17trampoline_kernelINS0_14default_configENS1_20scan_config_selectorIdEEZZNS1_9scan_implILNS1_25lookback_scan_determinismE0ELb0ELb0ES3_PKdPddZZZN2at6native31launch_logcumsumexp_cuda_kernelERKNSB_10TensorBaseESF_lENKUlvE_clEvENKUlvE_clEvEUlddE_dEEDaPvRmT3_T4_T5_mT6_P12ihipStream_tbENKUlT_T0_E_clISt17integral_constantIbLb1EESV_IbLb0EEEEDaSR_SS_EUlSR_E_NS1_11comp_targetILNS1_3genE4ELNS1_11target_archE910ELNS1_3gpuE8ELNS1_3repE0EEENS1_30default_config_static_selectorELNS0_4arch9wavefront6targetE1EEEvT1_
    .private_segment_fixed_size: 0
    .sgpr_count:     6
    .sgpr_spill_count: 0
    .symbol:         _ZN7rocprim17ROCPRIM_400000_NS6detail17trampoline_kernelINS0_14default_configENS1_20scan_config_selectorIdEEZZNS1_9scan_implILNS1_25lookback_scan_determinismE0ELb0ELb0ES3_PKdPddZZZN2at6native31launch_logcumsumexp_cuda_kernelERKNSB_10TensorBaseESF_lENKUlvE_clEvENKUlvE_clEvEUlddE_dEEDaPvRmT3_T4_T5_mT6_P12ihipStream_tbENKUlT_T0_E_clISt17integral_constantIbLb1EESV_IbLb0EEEEDaSR_SS_EUlSR_E_NS1_11comp_targetILNS1_3genE4ELNS1_11target_archE910ELNS1_3gpuE8ELNS1_3repE0EEENS1_30default_config_static_selectorELNS0_4arch9wavefront6targetE1EEEvT1_.kd
    .uniform_work_group_size: 1
    .uses_dynamic_stack: false
    .vgpr_count:     0
    .vgpr_spill_count: 0
    .wavefront_size: 64
  - .agpr_count:     0
    .args:
      - .offset:         0
        .size:           104
        .value_kind:     by_value
    .group_segment_fixed_size: 0
    .kernarg_segment_align: 8
    .kernarg_segment_size: 104
    .language:       OpenCL C
    .language_version:
      - 2
      - 0
    .max_flat_workgroup_size: 256
    .name:           _ZN7rocprim17ROCPRIM_400000_NS6detail17trampoline_kernelINS0_14default_configENS1_20scan_config_selectorIdEEZZNS1_9scan_implILNS1_25lookback_scan_determinismE0ELb0ELb0ES3_PKdPddZZZN2at6native31launch_logcumsumexp_cuda_kernelERKNSB_10TensorBaseESF_lENKUlvE_clEvENKUlvE_clEvEUlddE_dEEDaPvRmT3_T4_T5_mT6_P12ihipStream_tbENKUlT_T0_E_clISt17integral_constantIbLb1EESV_IbLb0EEEEDaSR_SS_EUlSR_E_NS1_11comp_targetILNS1_3genE3ELNS1_11target_archE908ELNS1_3gpuE7ELNS1_3repE0EEENS1_30default_config_static_selectorELNS0_4arch9wavefront6targetE1EEEvT1_
    .private_segment_fixed_size: 0
    .sgpr_count:     6
    .sgpr_spill_count: 0
    .symbol:         _ZN7rocprim17ROCPRIM_400000_NS6detail17trampoline_kernelINS0_14default_configENS1_20scan_config_selectorIdEEZZNS1_9scan_implILNS1_25lookback_scan_determinismE0ELb0ELb0ES3_PKdPddZZZN2at6native31launch_logcumsumexp_cuda_kernelERKNSB_10TensorBaseESF_lENKUlvE_clEvENKUlvE_clEvEUlddE_dEEDaPvRmT3_T4_T5_mT6_P12ihipStream_tbENKUlT_T0_E_clISt17integral_constantIbLb1EESV_IbLb0EEEEDaSR_SS_EUlSR_E_NS1_11comp_targetILNS1_3genE3ELNS1_11target_archE908ELNS1_3gpuE7ELNS1_3repE0EEENS1_30default_config_static_selectorELNS0_4arch9wavefront6targetE1EEEvT1_.kd
    .uniform_work_group_size: 1
    .uses_dynamic_stack: false
    .vgpr_count:     0
    .vgpr_spill_count: 0
    .wavefront_size: 64
  - .agpr_count:     0
    .args:
      - .offset:         0
        .size:           104
        .value_kind:     by_value
    .group_segment_fixed_size: 0
    .kernarg_segment_align: 8
    .kernarg_segment_size: 104
    .language:       OpenCL C
    .language_version:
      - 2
      - 0
    .max_flat_workgroup_size: 128
    .name:           _ZN7rocprim17ROCPRIM_400000_NS6detail17trampoline_kernelINS0_14default_configENS1_20scan_config_selectorIdEEZZNS1_9scan_implILNS1_25lookback_scan_determinismE0ELb0ELb0ES3_PKdPddZZZN2at6native31launch_logcumsumexp_cuda_kernelERKNSB_10TensorBaseESF_lENKUlvE_clEvENKUlvE_clEvEUlddE_dEEDaPvRmT3_T4_T5_mT6_P12ihipStream_tbENKUlT_T0_E_clISt17integral_constantIbLb1EESV_IbLb0EEEEDaSR_SS_EUlSR_E_NS1_11comp_targetILNS1_3genE2ELNS1_11target_archE906ELNS1_3gpuE6ELNS1_3repE0EEENS1_30default_config_static_selectorELNS0_4arch9wavefront6targetE1EEEvT1_
    .private_segment_fixed_size: 0
    .sgpr_count:     6
    .sgpr_spill_count: 0
    .symbol:         _ZN7rocprim17ROCPRIM_400000_NS6detail17trampoline_kernelINS0_14default_configENS1_20scan_config_selectorIdEEZZNS1_9scan_implILNS1_25lookback_scan_determinismE0ELb0ELb0ES3_PKdPddZZZN2at6native31launch_logcumsumexp_cuda_kernelERKNSB_10TensorBaseESF_lENKUlvE_clEvENKUlvE_clEvEUlddE_dEEDaPvRmT3_T4_T5_mT6_P12ihipStream_tbENKUlT_T0_E_clISt17integral_constantIbLb1EESV_IbLb0EEEEDaSR_SS_EUlSR_E_NS1_11comp_targetILNS1_3genE2ELNS1_11target_archE906ELNS1_3gpuE6ELNS1_3repE0EEENS1_30default_config_static_selectorELNS0_4arch9wavefront6targetE1EEEvT1_.kd
    .uniform_work_group_size: 1
    .uses_dynamic_stack: false
    .vgpr_count:     0
    .vgpr_spill_count: 0
    .wavefront_size: 64
  - .agpr_count:     0
    .args:
      - .offset:         0
        .size:           104
        .value_kind:     by_value
    .group_segment_fixed_size: 0
    .kernarg_segment_align: 8
    .kernarg_segment_size: 104
    .language:       OpenCL C
    .language_version:
      - 2
      - 0
    .max_flat_workgroup_size: 256
    .name:           _ZN7rocprim17ROCPRIM_400000_NS6detail17trampoline_kernelINS0_14default_configENS1_20scan_config_selectorIdEEZZNS1_9scan_implILNS1_25lookback_scan_determinismE0ELb0ELb0ES3_PKdPddZZZN2at6native31launch_logcumsumexp_cuda_kernelERKNSB_10TensorBaseESF_lENKUlvE_clEvENKUlvE_clEvEUlddE_dEEDaPvRmT3_T4_T5_mT6_P12ihipStream_tbENKUlT_T0_E_clISt17integral_constantIbLb1EESV_IbLb0EEEEDaSR_SS_EUlSR_E_NS1_11comp_targetILNS1_3genE10ELNS1_11target_archE1201ELNS1_3gpuE5ELNS1_3repE0EEENS1_30default_config_static_selectorELNS0_4arch9wavefront6targetE1EEEvT1_
    .private_segment_fixed_size: 0
    .sgpr_count:     6
    .sgpr_spill_count: 0
    .symbol:         _ZN7rocprim17ROCPRIM_400000_NS6detail17trampoline_kernelINS0_14default_configENS1_20scan_config_selectorIdEEZZNS1_9scan_implILNS1_25lookback_scan_determinismE0ELb0ELb0ES3_PKdPddZZZN2at6native31launch_logcumsumexp_cuda_kernelERKNSB_10TensorBaseESF_lENKUlvE_clEvENKUlvE_clEvEUlddE_dEEDaPvRmT3_T4_T5_mT6_P12ihipStream_tbENKUlT_T0_E_clISt17integral_constantIbLb1EESV_IbLb0EEEEDaSR_SS_EUlSR_E_NS1_11comp_targetILNS1_3genE10ELNS1_11target_archE1201ELNS1_3gpuE5ELNS1_3repE0EEENS1_30default_config_static_selectorELNS0_4arch9wavefront6targetE1EEEvT1_.kd
    .uniform_work_group_size: 1
    .uses_dynamic_stack: false
    .vgpr_count:     0
    .vgpr_spill_count: 0
    .wavefront_size: 64
  - .agpr_count:     0
    .args:
      - .offset:         0
        .size:           104
        .value_kind:     by_value
    .group_segment_fixed_size: 0
    .kernarg_segment_align: 8
    .kernarg_segment_size: 104
    .language:       OpenCL C
    .language_version:
      - 2
      - 0
    .max_flat_workgroup_size: 256
    .name:           _ZN7rocprim17ROCPRIM_400000_NS6detail17trampoline_kernelINS0_14default_configENS1_20scan_config_selectorIdEEZZNS1_9scan_implILNS1_25lookback_scan_determinismE0ELb0ELb0ES3_PKdPddZZZN2at6native31launch_logcumsumexp_cuda_kernelERKNSB_10TensorBaseESF_lENKUlvE_clEvENKUlvE_clEvEUlddE_dEEDaPvRmT3_T4_T5_mT6_P12ihipStream_tbENKUlT_T0_E_clISt17integral_constantIbLb1EESV_IbLb0EEEEDaSR_SS_EUlSR_E_NS1_11comp_targetILNS1_3genE10ELNS1_11target_archE1200ELNS1_3gpuE4ELNS1_3repE0EEENS1_30default_config_static_selectorELNS0_4arch9wavefront6targetE1EEEvT1_
    .private_segment_fixed_size: 0
    .sgpr_count:     6
    .sgpr_spill_count: 0
    .symbol:         _ZN7rocprim17ROCPRIM_400000_NS6detail17trampoline_kernelINS0_14default_configENS1_20scan_config_selectorIdEEZZNS1_9scan_implILNS1_25lookback_scan_determinismE0ELb0ELb0ES3_PKdPddZZZN2at6native31launch_logcumsumexp_cuda_kernelERKNSB_10TensorBaseESF_lENKUlvE_clEvENKUlvE_clEvEUlddE_dEEDaPvRmT3_T4_T5_mT6_P12ihipStream_tbENKUlT_T0_E_clISt17integral_constantIbLb1EESV_IbLb0EEEEDaSR_SS_EUlSR_E_NS1_11comp_targetILNS1_3genE10ELNS1_11target_archE1200ELNS1_3gpuE4ELNS1_3repE0EEENS1_30default_config_static_selectorELNS0_4arch9wavefront6targetE1EEEvT1_.kd
    .uniform_work_group_size: 1
    .uses_dynamic_stack: false
    .vgpr_count:     0
    .vgpr_spill_count: 0
    .wavefront_size: 64
  - .agpr_count:     0
    .args:
      - .offset:         0
        .size:           104
        .value_kind:     by_value
    .group_segment_fixed_size: 0
    .kernarg_segment_align: 8
    .kernarg_segment_size: 104
    .language:       OpenCL C
    .language_version:
      - 2
      - 0
    .max_flat_workgroup_size: 256
    .name:           _ZN7rocprim17ROCPRIM_400000_NS6detail17trampoline_kernelINS0_14default_configENS1_20scan_config_selectorIdEEZZNS1_9scan_implILNS1_25lookback_scan_determinismE0ELb0ELb0ES3_PKdPddZZZN2at6native31launch_logcumsumexp_cuda_kernelERKNSB_10TensorBaseESF_lENKUlvE_clEvENKUlvE_clEvEUlddE_dEEDaPvRmT3_T4_T5_mT6_P12ihipStream_tbENKUlT_T0_E_clISt17integral_constantIbLb1EESV_IbLb0EEEEDaSR_SS_EUlSR_E_NS1_11comp_targetILNS1_3genE9ELNS1_11target_archE1100ELNS1_3gpuE3ELNS1_3repE0EEENS1_30default_config_static_selectorELNS0_4arch9wavefront6targetE1EEEvT1_
    .private_segment_fixed_size: 0
    .sgpr_count:     6
    .sgpr_spill_count: 0
    .symbol:         _ZN7rocprim17ROCPRIM_400000_NS6detail17trampoline_kernelINS0_14default_configENS1_20scan_config_selectorIdEEZZNS1_9scan_implILNS1_25lookback_scan_determinismE0ELb0ELb0ES3_PKdPddZZZN2at6native31launch_logcumsumexp_cuda_kernelERKNSB_10TensorBaseESF_lENKUlvE_clEvENKUlvE_clEvEUlddE_dEEDaPvRmT3_T4_T5_mT6_P12ihipStream_tbENKUlT_T0_E_clISt17integral_constantIbLb1EESV_IbLb0EEEEDaSR_SS_EUlSR_E_NS1_11comp_targetILNS1_3genE9ELNS1_11target_archE1100ELNS1_3gpuE3ELNS1_3repE0EEENS1_30default_config_static_selectorELNS0_4arch9wavefront6targetE1EEEvT1_.kd
    .uniform_work_group_size: 1
    .uses_dynamic_stack: false
    .vgpr_count:     0
    .vgpr_spill_count: 0
    .wavefront_size: 64
  - .agpr_count:     0
    .args:
      - .offset:         0
        .size:           104
        .value_kind:     by_value
    .group_segment_fixed_size: 0
    .kernarg_segment_align: 8
    .kernarg_segment_size: 104
    .language:       OpenCL C
    .language_version:
      - 2
      - 0
    .max_flat_workgroup_size: 128
    .name:           _ZN7rocprim17ROCPRIM_400000_NS6detail17trampoline_kernelINS0_14default_configENS1_20scan_config_selectorIdEEZZNS1_9scan_implILNS1_25lookback_scan_determinismE0ELb0ELb0ES3_PKdPddZZZN2at6native31launch_logcumsumexp_cuda_kernelERKNSB_10TensorBaseESF_lENKUlvE_clEvENKUlvE_clEvEUlddE_dEEDaPvRmT3_T4_T5_mT6_P12ihipStream_tbENKUlT_T0_E_clISt17integral_constantIbLb1EESV_IbLb0EEEEDaSR_SS_EUlSR_E_NS1_11comp_targetILNS1_3genE8ELNS1_11target_archE1030ELNS1_3gpuE2ELNS1_3repE0EEENS1_30default_config_static_selectorELNS0_4arch9wavefront6targetE1EEEvT1_
    .private_segment_fixed_size: 0
    .sgpr_count:     6
    .sgpr_spill_count: 0
    .symbol:         _ZN7rocprim17ROCPRIM_400000_NS6detail17trampoline_kernelINS0_14default_configENS1_20scan_config_selectorIdEEZZNS1_9scan_implILNS1_25lookback_scan_determinismE0ELb0ELb0ES3_PKdPddZZZN2at6native31launch_logcumsumexp_cuda_kernelERKNSB_10TensorBaseESF_lENKUlvE_clEvENKUlvE_clEvEUlddE_dEEDaPvRmT3_T4_T5_mT6_P12ihipStream_tbENKUlT_T0_E_clISt17integral_constantIbLb1EESV_IbLb0EEEEDaSR_SS_EUlSR_E_NS1_11comp_targetILNS1_3genE8ELNS1_11target_archE1030ELNS1_3gpuE2ELNS1_3repE0EEENS1_30default_config_static_selectorELNS0_4arch9wavefront6targetE1EEEvT1_.kd
    .uniform_work_group_size: 1
    .uses_dynamic_stack: false
    .vgpr_count:     0
    .vgpr_spill_count: 0
    .wavefront_size: 64
  - .agpr_count:     0
    .args:
      - .offset:         0
        .size:           40
        .value_kind:     by_value
    .group_segment_fixed_size: 12288
    .kernarg_segment_align: 8
    .kernarg_segment_size: 40
    .language:       OpenCL C
    .language_version:
      - 2
      - 0
    .max_flat_workgroup_size: 256
    .name:           _ZN7rocprim17ROCPRIM_400000_NS6detail17trampoline_kernelINS0_14default_configENS1_20scan_config_selectorIdEEZZNS1_9scan_implILNS1_25lookback_scan_determinismE0ELb0ELb0ES3_PKdPddZZZN2at6native31launch_logcumsumexp_cuda_kernelERKNSB_10TensorBaseESF_lENKUlvE_clEvENKUlvE_clEvEUlddE_dEEDaPvRmT3_T4_T5_mT6_P12ihipStream_tbENKUlT_T0_E_clISt17integral_constantIbLb1EESV_IbLb0EEEEDaSR_SS_EUlSR_E0_NS1_11comp_targetILNS1_3genE0ELNS1_11target_archE4294967295ELNS1_3gpuE0ELNS1_3repE0EEENS1_30default_config_static_selectorELNS0_4arch9wavefront6targetE1EEEvT1_
    .private_segment_fixed_size: 0
    .sgpr_count:     48
    .sgpr_spill_count: 0
    .symbol:         _ZN7rocprim17ROCPRIM_400000_NS6detail17trampoline_kernelINS0_14default_configENS1_20scan_config_selectorIdEEZZNS1_9scan_implILNS1_25lookback_scan_determinismE0ELb0ELb0ES3_PKdPddZZZN2at6native31launch_logcumsumexp_cuda_kernelERKNSB_10TensorBaseESF_lENKUlvE_clEvENKUlvE_clEvEUlddE_dEEDaPvRmT3_T4_T5_mT6_P12ihipStream_tbENKUlT_T0_E_clISt17integral_constantIbLb1EESV_IbLb0EEEEDaSR_SS_EUlSR_E0_NS1_11comp_targetILNS1_3genE0ELNS1_11target_archE4294967295ELNS1_3gpuE0ELNS1_3repE0EEENS1_30default_config_static_selectorELNS0_4arch9wavefront6targetE1EEEvT1_.kd
    .uniform_work_group_size: 1
    .uses_dynamic_stack: false
    .vgpr_count:     65
    .vgpr_spill_count: 0
    .wavefront_size: 64
  - .agpr_count:     0
    .args:
      - .offset:         0
        .size:           40
        .value_kind:     by_value
    .group_segment_fixed_size: 0
    .kernarg_segment_align: 8
    .kernarg_segment_size: 40
    .language:       OpenCL C
    .language_version:
      - 2
      - 0
    .max_flat_workgroup_size: 256
    .name:           _ZN7rocprim17ROCPRIM_400000_NS6detail17trampoline_kernelINS0_14default_configENS1_20scan_config_selectorIdEEZZNS1_9scan_implILNS1_25lookback_scan_determinismE0ELb0ELb0ES3_PKdPddZZZN2at6native31launch_logcumsumexp_cuda_kernelERKNSB_10TensorBaseESF_lENKUlvE_clEvENKUlvE_clEvEUlddE_dEEDaPvRmT3_T4_T5_mT6_P12ihipStream_tbENKUlT_T0_E_clISt17integral_constantIbLb1EESV_IbLb0EEEEDaSR_SS_EUlSR_E0_NS1_11comp_targetILNS1_3genE5ELNS1_11target_archE942ELNS1_3gpuE9ELNS1_3repE0EEENS1_30default_config_static_selectorELNS0_4arch9wavefront6targetE1EEEvT1_
    .private_segment_fixed_size: 0
    .sgpr_count:     6
    .sgpr_spill_count: 0
    .symbol:         _ZN7rocprim17ROCPRIM_400000_NS6detail17trampoline_kernelINS0_14default_configENS1_20scan_config_selectorIdEEZZNS1_9scan_implILNS1_25lookback_scan_determinismE0ELb0ELb0ES3_PKdPddZZZN2at6native31launch_logcumsumexp_cuda_kernelERKNSB_10TensorBaseESF_lENKUlvE_clEvENKUlvE_clEvEUlddE_dEEDaPvRmT3_T4_T5_mT6_P12ihipStream_tbENKUlT_T0_E_clISt17integral_constantIbLb1EESV_IbLb0EEEEDaSR_SS_EUlSR_E0_NS1_11comp_targetILNS1_3genE5ELNS1_11target_archE942ELNS1_3gpuE9ELNS1_3repE0EEENS1_30default_config_static_selectorELNS0_4arch9wavefront6targetE1EEEvT1_.kd
    .uniform_work_group_size: 1
    .uses_dynamic_stack: false
    .vgpr_count:     0
    .vgpr_spill_count: 0
    .wavefront_size: 64
  - .agpr_count:     0
    .args:
      - .offset:         0
        .size:           40
        .value_kind:     by_value
    .group_segment_fixed_size: 0
    .kernarg_segment_align: 8
    .kernarg_segment_size: 40
    .language:       OpenCL C
    .language_version:
      - 2
      - 0
    .max_flat_workgroup_size: 128
    .name:           _ZN7rocprim17ROCPRIM_400000_NS6detail17trampoline_kernelINS0_14default_configENS1_20scan_config_selectorIdEEZZNS1_9scan_implILNS1_25lookback_scan_determinismE0ELb0ELb0ES3_PKdPddZZZN2at6native31launch_logcumsumexp_cuda_kernelERKNSB_10TensorBaseESF_lENKUlvE_clEvENKUlvE_clEvEUlddE_dEEDaPvRmT3_T4_T5_mT6_P12ihipStream_tbENKUlT_T0_E_clISt17integral_constantIbLb1EESV_IbLb0EEEEDaSR_SS_EUlSR_E0_NS1_11comp_targetILNS1_3genE4ELNS1_11target_archE910ELNS1_3gpuE8ELNS1_3repE0EEENS1_30default_config_static_selectorELNS0_4arch9wavefront6targetE1EEEvT1_
    .private_segment_fixed_size: 0
    .sgpr_count:     6
    .sgpr_spill_count: 0
    .symbol:         _ZN7rocprim17ROCPRIM_400000_NS6detail17trampoline_kernelINS0_14default_configENS1_20scan_config_selectorIdEEZZNS1_9scan_implILNS1_25lookback_scan_determinismE0ELb0ELb0ES3_PKdPddZZZN2at6native31launch_logcumsumexp_cuda_kernelERKNSB_10TensorBaseESF_lENKUlvE_clEvENKUlvE_clEvEUlddE_dEEDaPvRmT3_T4_T5_mT6_P12ihipStream_tbENKUlT_T0_E_clISt17integral_constantIbLb1EESV_IbLb0EEEEDaSR_SS_EUlSR_E0_NS1_11comp_targetILNS1_3genE4ELNS1_11target_archE910ELNS1_3gpuE8ELNS1_3repE0EEENS1_30default_config_static_selectorELNS0_4arch9wavefront6targetE1EEEvT1_.kd
    .uniform_work_group_size: 1
    .uses_dynamic_stack: false
    .vgpr_count:     0
    .vgpr_spill_count: 0
    .wavefront_size: 64
  - .agpr_count:     0
    .args:
      - .offset:         0
        .size:           40
        .value_kind:     by_value
    .group_segment_fixed_size: 0
    .kernarg_segment_align: 8
    .kernarg_segment_size: 40
    .language:       OpenCL C
    .language_version:
      - 2
      - 0
    .max_flat_workgroup_size: 256
    .name:           _ZN7rocprim17ROCPRIM_400000_NS6detail17trampoline_kernelINS0_14default_configENS1_20scan_config_selectorIdEEZZNS1_9scan_implILNS1_25lookback_scan_determinismE0ELb0ELb0ES3_PKdPddZZZN2at6native31launch_logcumsumexp_cuda_kernelERKNSB_10TensorBaseESF_lENKUlvE_clEvENKUlvE_clEvEUlddE_dEEDaPvRmT3_T4_T5_mT6_P12ihipStream_tbENKUlT_T0_E_clISt17integral_constantIbLb1EESV_IbLb0EEEEDaSR_SS_EUlSR_E0_NS1_11comp_targetILNS1_3genE3ELNS1_11target_archE908ELNS1_3gpuE7ELNS1_3repE0EEENS1_30default_config_static_selectorELNS0_4arch9wavefront6targetE1EEEvT1_
    .private_segment_fixed_size: 0
    .sgpr_count:     6
    .sgpr_spill_count: 0
    .symbol:         _ZN7rocprim17ROCPRIM_400000_NS6detail17trampoline_kernelINS0_14default_configENS1_20scan_config_selectorIdEEZZNS1_9scan_implILNS1_25lookback_scan_determinismE0ELb0ELb0ES3_PKdPddZZZN2at6native31launch_logcumsumexp_cuda_kernelERKNSB_10TensorBaseESF_lENKUlvE_clEvENKUlvE_clEvEUlddE_dEEDaPvRmT3_T4_T5_mT6_P12ihipStream_tbENKUlT_T0_E_clISt17integral_constantIbLb1EESV_IbLb0EEEEDaSR_SS_EUlSR_E0_NS1_11comp_targetILNS1_3genE3ELNS1_11target_archE908ELNS1_3gpuE7ELNS1_3repE0EEENS1_30default_config_static_selectorELNS0_4arch9wavefront6targetE1EEEvT1_.kd
    .uniform_work_group_size: 1
    .uses_dynamic_stack: false
    .vgpr_count:     0
    .vgpr_spill_count: 0
    .wavefront_size: 64
  - .agpr_count:     0
    .args:
      - .offset:         0
        .size:           40
        .value_kind:     by_value
    .group_segment_fixed_size: 0
    .kernarg_segment_align: 8
    .kernarg_segment_size: 40
    .language:       OpenCL C
    .language_version:
      - 2
      - 0
    .max_flat_workgroup_size: 128
    .name:           _ZN7rocprim17ROCPRIM_400000_NS6detail17trampoline_kernelINS0_14default_configENS1_20scan_config_selectorIdEEZZNS1_9scan_implILNS1_25lookback_scan_determinismE0ELb0ELb0ES3_PKdPddZZZN2at6native31launch_logcumsumexp_cuda_kernelERKNSB_10TensorBaseESF_lENKUlvE_clEvENKUlvE_clEvEUlddE_dEEDaPvRmT3_T4_T5_mT6_P12ihipStream_tbENKUlT_T0_E_clISt17integral_constantIbLb1EESV_IbLb0EEEEDaSR_SS_EUlSR_E0_NS1_11comp_targetILNS1_3genE2ELNS1_11target_archE906ELNS1_3gpuE6ELNS1_3repE0EEENS1_30default_config_static_selectorELNS0_4arch9wavefront6targetE1EEEvT1_
    .private_segment_fixed_size: 0
    .sgpr_count:     6
    .sgpr_spill_count: 0
    .symbol:         _ZN7rocprim17ROCPRIM_400000_NS6detail17trampoline_kernelINS0_14default_configENS1_20scan_config_selectorIdEEZZNS1_9scan_implILNS1_25lookback_scan_determinismE0ELb0ELb0ES3_PKdPddZZZN2at6native31launch_logcumsumexp_cuda_kernelERKNSB_10TensorBaseESF_lENKUlvE_clEvENKUlvE_clEvEUlddE_dEEDaPvRmT3_T4_T5_mT6_P12ihipStream_tbENKUlT_T0_E_clISt17integral_constantIbLb1EESV_IbLb0EEEEDaSR_SS_EUlSR_E0_NS1_11comp_targetILNS1_3genE2ELNS1_11target_archE906ELNS1_3gpuE6ELNS1_3repE0EEENS1_30default_config_static_selectorELNS0_4arch9wavefront6targetE1EEEvT1_.kd
    .uniform_work_group_size: 1
    .uses_dynamic_stack: false
    .vgpr_count:     0
    .vgpr_spill_count: 0
    .wavefront_size: 64
  - .agpr_count:     0
    .args:
      - .offset:         0
        .size:           40
        .value_kind:     by_value
    .group_segment_fixed_size: 0
    .kernarg_segment_align: 8
    .kernarg_segment_size: 40
    .language:       OpenCL C
    .language_version:
      - 2
      - 0
    .max_flat_workgroup_size: 256
    .name:           _ZN7rocprim17ROCPRIM_400000_NS6detail17trampoline_kernelINS0_14default_configENS1_20scan_config_selectorIdEEZZNS1_9scan_implILNS1_25lookback_scan_determinismE0ELb0ELb0ES3_PKdPddZZZN2at6native31launch_logcumsumexp_cuda_kernelERKNSB_10TensorBaseESF_lENKUlvE_clEvENKUlvE_clEvEUlddE_dEEDaPvRmT3_T4_T5_mT6_P12ihipStream_tbENKUlT_T0_E_clISt17integral_constantIbLb1EESV_IbLb0EEEEDaSR_SS_EUlSR_E0_NS1_11comp_targetILNS1_3genE10ELNS1_11target_archE1201ELNS1_3gpuE5ELNS1_3repE0EEENS1_30default_config_static_selectorELNS0_4arch9wavefront6targetE1EEEvT1_
    .private_segment_fixed_size: 0
    .sgpr_count:     6
    .sgpr_spill_count: 0
    .symbol:         _ZN7rocprim17ROCPRIM_400000_NS6detail17trampoline_kernelINS0_14default_configENS1_20scan_config_selectorIdEEZZNS1_9scan_implILNS1_25lookback_scan_determinismE0ELb0ELb0ES3_PKdPddZZZN2at6native31launch_logcumsumexp_cuda_kernelERKNSB_10TensorBaseESF_lENKUlvE_clEvENKUlvE_clEvEUlddE_dEEDaPvRmT3_T4_T5_mT6_P12ihipStream_tbENKUlT_T0_E_clISt17integral_constantIbLb1EESV_IbLb0EEEEDaSR_SS_EUlSR_E0_NS1_11comp_targetILNS1_3genE10ELNS1_11target_archE1201ELNS1_3gpuE5ELNS1_3repE0EEENS1_30default_config_static_selectorELNS0_4arch9wavefront6targetE1EEEvT1_.kd
    .uniform_work_group_size: 1
    .uses_dynamic_stack: false
    .vgpr_count:     0
    .vgpr_spill_count: 0
    .wavefront_size: 64
  - .agpr_count:     0
    .args:
      - .offset:         0
        .size:           40
        .value_kind:     by_value
    .group_segment_fixed_size: 0
    .kernarg_segment_align: 8
    .kernarg_segment_size: 40
    .language:       OpenCL C
    .language_version:
      - 2
      - 0
    .max_flat_workgroup_size: 256
    .name:           _ZN7rocprim17ROCPRIM_400000_NS6detail17trampoline_kernelINS0_14default_configENS1_20scan_config_selectorIdEEZZNS1_9scan_implILNS1_25lookback_scan_determinismE0ELb0ELb0ES3_PKdPddZZZN2at6native31launch_logcumsumexp_cuda_kernelERKNSB_10TensorBaseESF_lENKUlvE_clEvENKUlvE_clEvEUlddE_dEEDaPvRmT3_T4_T5_mT6_P12ihipStream_tbENKUlT_T0_E_clISt17integral_constantIbLb1EESV_IbLb0EEEEDaSR_SS_EUlSR_E0_NS1_11comp_targetILNS1_3genE10ELNS1_11target_archE1200ELNS1_3gpuE4ELNS1_3repE0EEENS1_30default_config_static_selectorELNS0_4arch9wavefront6targetE1EEEvT1_
    .private_segment_fixed_size: 0
    .sgpr_count:     6
    .sgpr_spill_count: 0
    .symbol:         _ZN7rocprim17ROCPRIM_400000_NS6detail17trampoline_kernelINS0_14default_configENS1_20scan_config_selectorIdEEZZNS1_9scan_implILNS1_25lookback_scan_determinismE0ELb0ELb0ES3_PKdPddZZZN2at6native31launch_logcumsumexp_cuda_kernelERKNSB_10TensorBaseESF_lENKUlvE_clEvENKUlvE_clEvEUlddE_dEEDaPvRmT3_T4_T5_mT6_P12ihipStream_tbENKUlT_T0_E_clISt17integral_constantIbLb1EESV_IbLb0EEEEDaSR_SS_EUlSR_E0_NS1_11comp_targetILNS1_3genE10ELNS1_11target_archE1200ELNS1_3gpuE4ELNS1_3repE0EEENS1_30default_config_static_selectorELNS0_4arch9wavefront6targetE1EEEvT1_.kd
    .uniform_work_group_size: 1
    .uses_dynamic_stack: false
    .vgpr_count:     0
    .vgpr_spill_count: 0
    .wavefront_size: 64
  - .agpr_count:     0
    .args:
      - .offset:         0
        .size:           40
        .value_kind:     by_value
    .group_segment_fixed_size: 0
    .kernarg_segment_align: 8
    .kernarg_segment_size: 40
    .language:       OpenCL C
    .language_version:
      - 2
      - 0
    .max_flat_workgroup_size: 256
    .name:           _ZN7rocprim17ROCPRIM_400000_NS6detail17trampoline_kernelINS0_14default_configENS1_20scan_config_selectorIdEEZZNS1_9scan_implILNS1_25lookback_scan_determinismE0ELb0ELb0ES3_PKdPddZZZN2at6native31launch_logcumsumexp_cuda_kernelERKNSB_10TensorBaseESF_lENKUlvE_clEvENKUlvE_clEvEUlddE_dEEDaPvRmT3_T4_T5_mT6_P12ihipStream_tbENKUlT_T0_E_clISt17integral_constantIbLb1EESV_IbLb0EEEEDaSR_SS_EUlSR_E0_NS1_11comp_targetILNS1_3genE9ELNS1_11target_archE1100ELNS1_3gpuE3ELNS1_3repE0EEENS1_30default_config_static_selectorELNS0_4arch9wavefront6targetE1EEEvT1_
    .private_segment_fixed_size: 0
    .sgpr_count:     6
    .sgpr_spill_count: 0
    .symbol:         _ZN7rocprim17ROCPRIM_400000_NS6detail17trampoline_kernelINS0_14default_configENS1_20scan_config_selectorIdEEZZNS1_9scan_implILNS1_25lookback_scan_determinismE0ELb0ELb0ES3_PKdPddZZZN2at6native31launch_logcumsumexp_cuda_kernelERKNSB_10TensorBaseESF_lENKUlvE_clEvENKUlvE_clEvEUlddE_dEEDaPvRmT3_T4_T5_mT6_P12ihipStream_tbENKUlT_T0_E_clISt17integral_constantIbLb1EESV_IbLb0EEEEDaSR_SS_EUlSR_E0_NS1_11comp_targetILNS1_3genE9ELNS1_11target_archE1100ELNS1_3gpuE3ELNS1_3repE0EEENS1_30default_config_static_selectorELNS0_4arch9wavefront6targetE1EEEvT1_.kd
    .uniform_work_group_size: 1
    .uses_dynamic_stack: false
    .vgpr_count:     0
    .vgpr_spill_count: 0
    .wavefront_size: 64
  - .agpr_count:     0
    .args:
      - .offset:         0
        .size:           40
        .value_kind:     by_value
    .group_segment_fixed_size: 0
    .kernarg_segment_align: 8
    .kernarg_segment_size: 40
    .language:       OpenCL C
    .language_version:
      - 2
      - 0
    .max_flat_workgroup_size: 128
    .name:           _ZN7rocprim17ROCPRIM_400000_NS6detail17trampoline_kernelINS0_14default_configENS1_20scan_config_selectorIdEEZZNS1_9scan_implILNS1_25lookback_scan_determinismE0ELb0ELb0ES3_PKdPddZZZN2at6native31launch_logcumsumexp_cuda_kernelERKNSB_10TensorBaseESF_lENKUlvE_clEvENKUlvE_clEvEUlddE_dEEDaPvRmT3_T4_T5_mT6_P12ihipStream_tbENKUlT_T0_E_clISt17integral_constantIbLb1EESV_IbLb0EEEEDaSR_SS_EUlSR_E0_NS1_11comp_targetILNS1_3genE8ELNS1_11target_archE1030ELNS1_3gpuE2ELNS1_3repE0EEENS1_30default_config_static_selectorELNS0_4arch9wavefront6targetE1EEEvT1_
    .private_segment_fixed_size: 0
    .sgpr_count:     6
    .sgpr_spill_count: 0
    .symbol:         _ZN7rocprim17ROCPRIM_400000_NS6detail17trampoline_kernelINS0_14default_configENS1_20scan_config_selectorIdEEZZNS1_9scan_implILNS1_25lookback_scan_determinismE0ELb0ELb0ES3_PKdPddZZZN2at6native31launch_logcumsumexp_cuda_kernelERKNSB_10TensorBaseESF_lENKUlvE_clEvENKUlvE_clEvEUlddE_dEEDaPvRmT3_T4_T5_mT6_P12ihipStream_tbENKUlT_T0_E_clISt17integral_constantIbLb1EESV_IbLb0EEEEDaSR_SS_EUlSR_E0_NS1_11comp_targetILNS1_3genE8ELNS1_11target_archE1030ELNS1_3gpuE2ELNS1_3repE0EEENS1_30default_config_static_selectorELNS0_4arch9wavefront6targetE1EEEvT1_.kd
    .uniform_work_group_size: 1
    .uses_dynamic_stack: false
    .vgpr_count:     0
    .vgpr_spill_count: 0
    .wavefront_size: 64
  - .agpr_count:     0
    .args:
      - .address_space:  global
        .offset:         0
        .size:           8
        .value_kind:     global_buffer
      - .offset:         8
        .size:           4
        .value_kind:     by_value
      - .address_space:  global
        .offset:         16
        .size:           8
        .value_kind:     global_buffer
      - .offset:         24
        .size:           4
        .value_kind:     by_value
      - .address_space:  global
        .offset:         32
        .size:           8
        .value_kind:     global_buffer
      - .offset:         40
        .size:           4
        .value_kind:     hidden_block_count_x
      - .offset:         44
        .size:           4
        .value_kind:     hidden_block_count_y
      - .offset:         48
        .size:           4
        .value_kind:     hidden_block_count_z
      - .offset:         52
        .size:           2
        .value_kind:     hidden_group_size_x
      - .offset:         54
        .size:           2
        .value_kind:     hidden_group_size_y
      - .offset:         56
        .size:           2
        .value_kind:     hidden_group_size_z
      - .offset:         58
        .size:           2
        .value_kind:     hidden_remainder_x
      - .offset:         60
        .size:           2
        .value_kind:     hidden_remainder_y
      - .offset:         62
        .size:           2
        .value_kind:     hidden_remainder_z
      - .offset:         80
        .size:           8
        .value_kind:     hidden_global_offset_x
      - .offset:         88
        .size:           8
        .value_kind:     hidden_global_offset_y
      - .offset:         96
        .size:           8
        .value_kind:     hidden_global_offset_z
      - .offset:         104
        .size:           2
        .value_kind:     hidden_grid_dims
    .group_segment_fixed_size: 0
    .kernarg_segment_align: 8
    .kernarg_segment_size: 296
    .language:       OpenCL C
    .language_version:
      - 2
      - 0
    .max_flat_workgroup_size: 256
    .name:           _ZN7rocprim17ROCPRIM_400000_NS6detail31init_lookback_scan_state_kernelINS1_19lookback_scan_stateIdLb0ELb1EEENS1_16block_id_wrapperIjLb1EEEEEvT_jT0_jPNS7_10value_typeE
    .private_segment_fixed_size: 0
    .sgpr_count:     21
    .sgpr_spill_count: 0
    .symbol:         _ZN7rocprim17ROCPRIM_400000_NS6detail31init_lookback_scan_state_kernelINS1_19lookback_scan_stateIdLb0ELb1EEENS1_16block_id_wrapperIjLb1EEEEEvT_jT0_jPNS7_10value_typeE.kd
    .uniform_work_group_size: 1
    .uses_dynamic_stack: false
    .vgpr_count:     10
    .vgpr_spill_count: 0
    .wavefront_size: 64
  - .agpr_count:     0
    .args:
      - .offset:         0
        .size:           104
        .value_kind:     by_value
    .group_segment_fixed_size: 12288
    .kernarg_segment_align: 8
    .kernarg_segment_size: 104
    .language:       OpenCL C
    .language_version:
      - 2
      - 0
    .max_flat_workgroup_size: 256
    .name:           _ZN7rocprim17ROCPRIM_400000_NS6detail17trampoline_kernelINS0_14default_configENS1_20scan_config_selectorIdEEZZNS1_9scan_implILNS1_25lookback_scan_determinismE0ELb0ELb0ES3_PKdPddZZZN2at6native31launch_logcumsumexp_cuda_kernelERKNSB_10TensorBaseESF_lENKUlvE_clEvENKUlvE_clEvEUlddE_dEEDaPvRmT3_T4_T5_mT6_P12ihipStream_tbENKUlT_T0_E_clISt17integral_constantIbLb0EESV_IbLb1EEEEDaSR_SS_EUlSR_E_NS1_11comp_targetILNS1_3genE0ELNS1_11target_archE4294967295ELNS1_3gpuE0ELNS1_3repE0EEENS1_30default_config_static_selectorELNS0_4arch9wavefront6targetE1EEEvT1_
    .private_segment_fixed_size: 0
    .sgpr_count:     77
    .sgpr_spill_count: 0
    .symbol:         _ZN7rocprim17ROCPRIM_400000_NS6detail17trampoline_kernelINS0_14default_configENS1_20scan_config_selectorIdEEZZNS1_9scan_implILNS1_25lookback_scan_determinismE0ELb0ELb0ES3_PKdPddZZZN2at6native31launch_logcumsumexp_cuda_kernelERKNSB_10TensorBaseESF_lENKUlvE_clEvENKUlvE_clEvEUlddE_dEEDaPvRmT3_T4_T5_mT6_P12ihipStream_tbENKUlT_T0_E_clISt17integral_constantIbLb0EESV_IbLb1EEEEDaSR_SS_EUlSR_E_NS1_11comp_targetILNS1_3genE0ELNS1_11target_archE4294967295ELNS1_3gpuE0ELNS1_3repE0EEENS1_30default_config_static_selectorELNS0_4arch9wavefront6targetE1EEEvT1_.kd
    .uniform_work_group_size: 1
    .uses_dynamic_stack: false
    .vgpr_count:     110
    .vgpr_spill_count: 0
    .wavefront_size: 64
  - .agpr_count:     0
    .args:
      - .offset:         0
        .size:           104
        .value_kind:     by_value
    .group_segment_fixed_size: 0
    .kernarg_segment_align: 8
    .kernarg_segment_size: 104
    .language:       OpenCL C
    .language_version:
      - 2
      - 0
    .max_flat_workgroup_size: 256
    .name:           _ZN7rocprim17ROCPRIM_400000_NS6detail17trampoline_kernelINS0_14default_configENS1_20scan_config_selectorIdEEZZNS1_9scan_implILNS1_25lookback_scan_determinismE0ELb0ELb0ES3_PKdPddZZZN2at6native31launch_logcumsumexp_cuda_kernelERKNSB_10TensorBaseESF_lENKUlvE_clEvENKUlvE_clEvEUlddE_dEEDaPvRmT3_T4_T5_mT6_P12ihipStream_tbENKUlT_T0_E_clISt17integral_constantIbLb0EESV_IbLb1EEEEDaSR_SS_EUlSR_E_NS1_11comp_targetILNS1_3genE5ELNS1_11target_archE942ELNS1_3gpuE9ELNS1_3repE0EEENS1_30default_config_static_selectorELNS0_4arch9wavefront6targetE1EEEvT1_
    .private_segment_fixed_size: 0
    .sgpr_count:     6
    .sgpr_spill_count: 0
    .symbol:         _ZN7rocprim17ROCPRIM_400000_NS6detail17trampoline_kernelINS0_14default_configENS1_20scan_config_selectorIdEEZZNS1_9scan_implILNS1_25lookback_scan_determinismE0ELb0ELb0ES3_PKdPddZZZN2at6native31launch_logcumsumexp_cuda_kernelERKNSB_10TensorBaseESF_lENKUlvE_clEvENKUlvE_clEvEUlddE_dEEDaPvRmT3_T4_T5_mT6_P12ihipStream_tbENKUlT_T0_E_clISt17integral_constantIbLb0EESV_IbLb1EEEEDaSR_SS_EUlSR_E_NS1_11comp_targetILNS1_3genE5ELNS1_11target_archE942ELNS1_3gpuE9ELNS1_3repE0EEENS1_30default_config_static_selectorELNS0_4arch9wavefront6targetE1EEEvT1_.kd
    .uniform_work_group_size: 1
    .uses_dynamic_stack: false
    .vgpr_count:     0
    .vgpr_spill_count: 0
    .wavefront_size: 64
  - .agpr_count:     0
    .args:
      - .offset:         0
        .size:           104
        .value_kind:     by_value
    .group_segment_fixed_size: 0
    .kernarg_segment_align: 8
    .kernarg_segment_size: 104
    .language:       OpenCL C
    .language_version:
      - 2
      - 0
    .max_flat_workgroup_size: 128
    .name:           _ZN7rocprim17ROCPRIM_400000_NS6detail17trampoline_kernelINS0_14default_configENS1_20scan_config_selectorIdEEZZNS1_9scan_implILNS1_25lookback_scan_determinismE0ELb0ELb0ES3_PKdPddZZZN2at6native31launch_logcumsumexp_cuda_kernelERKNSB_10TensorBaseESF_lENKUlvE_clEvENKUlvE_clEvEUlddE_dEEDaPvRmT3_T4_T5_mT6_P12ihipStream_tbENKUlT_T0_E_clISt17integral_constantIbLb0EESV_IbLb1EEEEDaSR_SS_EUlSR_E_NS1_11comp_targetILNS1_3genE4ELNS1_11target_archE910ELNS1_3gpuE8ELNS1_3repE0EEENS1_30default_config_static_selectorELNS0_4arch9wavefront6targetE1EEEvT1_
    .private_segment_fixed_size: 0
    .sgpr_count:     6
    .sgpr_spill_count: 0
    .symbol:         _ZN7rocprim17ROCPRIM_400000_NS6detail17trampoline_kernelINS0_14default_configENS1_20scan_config_selectorIdEEZZNS1_9scan_implILNS1_25lookback_scan_determinismE0ELb0ELb0ES3_PKdPddZZZN2at6native31launch_logcumsumexp_cuda_kernelERKNSB_10TensorBaseESF_lENKUlvE_clEvENKUlvE_clEvEUlddE_dEEDaPvRmT3_T4_T5_mT6_P12ihipStream_tbENKUlT_T0_E_clISt17integral_constantIbLb0EESV_IbLb1EEEEDaSR_SS_EUlSR_E_NS1_11comp_targetILNS1_3genE4ELNS1_11target_archE910ELNS1_3gpuE8ELNS1_3repE0EEENS1_30default_config_static_selectorELNS0_4arch9wavefront6targetE1EEEvT1_.kd
    .uniform_work_group_size: 1
    .uses_dynamic_stack: false
    .vgpr_count:     0
    .vgpr_spill_count: 0
    .wavefront_size: 64
  - .agpr_count:     0
    .args:
      - .offset:         0
        .size:           104
        .value_kind:     by_value
    .group_segment_fixed_size: 0
    .kernarg_segment_align: 8
    .kernarg_segment_size: 104
    .language:       OpenCL C
    .language_version:
      - 2
      - 0
    .max_flat_workgroup_size: 256
    .name:           _ZN7rocprim17ROCPRIM_400000_NS6detail17trampoline_kernelINS0_14default_configENS1_20scan_config_selectorIdEEZZNS1_9scan_implILNS1_25lookback_scan_determinismE0ELb0ELb0ES3_PKdPddZZZN2at6native31launch_logcumsumexp_cuda_kernelERKNSB_10TensorBaseESF_lENKUlvE_clEvENKUlvE_clEvEUlddE_dEEDaPvRmT3_T4_T5_mT6_P12ihipStream_tbENKUlT_T0_E_clISt17integral_constantIbLb0EESV_IbLb1EEEEDaSR_SS_EUlSR_E_NS1_11comp_targetILNS1_3genE3ELNS1_11target_archE908ELNS1_3gpuE7ELNS1_3repE0EEENS1_30default_config_static_selectorELNS0_4arch9wavefront6targetE1EEEvT1_
    .private_segment_fixed_size: 0
    .sgpr_count:     6
    .sgpr_spill_count: 0
    .symbol:         _ZN7rocprim17ROCPRIM_400000_NS6detail17trampoline_kernelINS0_14default_configENS1_20scan_config_selectorIdEEZZNS1_9scan_implILNS1_25lookback_scan_determinismE0ELb0ELb0ES3_PKdPddZZZN2at6native31launch_logcumsumexp_cuda_kernelERKNSB_10TensorBaseESF_lENKUlvE_clEvENKUlvE_clEvEUlddE_dEEDaPvRmT3_T4_T5_mT6_P12ihipStream_tbENKUlT_T0_E_clISt17integral_constantIbLb0EESV_IbLb1EEEEDaSR_SS_EUlSR_E_NS1_11comp_targetILNS1_3genE3ELNS1_11target_archE908ELNS1_3gpuE7ELNS1_3repE0EEENS1_30default_config_static_selectorELNS0_4arch9wavefront6targetE1EEEvT1_.kd
    .uniform_work_group_size: 1
    .uses_dynamic_stack: false
    .vgpr_count:     0
    .vgpr_spill_count: 0
    .wavefront_size: 64
  - .agpr_count:     0
    .args:
      - .offset:         0
        .size:           104
        .value_kind:     by_value
    .group_segment_fixed_size: 0
    .kernarg_segment_align: 8
    .kernarg_segment_size: 104
    .language:       OpenCL C
    .language_version:
      - 2
      - 0
    .max_flat_workgroup_size: 128
    .name:           _ZN7rocprim17ROCPRIM_400000_NS6detail17trampoline_kernelINS0_14default_configENS1_20scan_config_selectorIdEEZZNS1_9scan_implILNS1_25lookback_scan_determinismE0ELb0ELb0ES3_PKdPddZZZN2at6native31launch_logcumsumexp_cuda_kernelERKNSB_10TensorBaseESF_lENKUlvE_clEvENKUlvE_clEvEUlddE_dEEDaPvRmT3_T4_T5_mT6_P12ihipStream_tbENKUlT_T0_E_clISt17integral_constantIbLb0EESV_IbLb1EEEEDaSR_SS_EUlSR_E_NS1_11comp_targetILNS1_3genE2ELNS1_11target_archE906ELNS1_3gpuE6ELNS1_3repE0EEENS1_30default_config_static_selectorELNS0_4arch9wavefront6targetE1EEEvT1_
    .private_segment_fixed_size: 0
    .sgpr_count:     6
    .sgpr_spill_count: 0
    .symbol:         _ZN7rocprim17ROCPRIM_400000_NS6detail17trampoline_kernelINS0_14default_configENS1_20scan_config_selectorIdEEZZNS1_9scan_implILNS1_25lookback_scan_determinismE0ELb0ELb0ES3_PKdPddZZZN2at6native31launch_logcumsumexp_cuda_kernelERKNSB_10TensorBaseESF_lENKUlvE_clEvENKUlvE_clEvEUlddE_dEEDaPvRmT3_T4_T5_mT6_P12ihipStream_tbENKUlT_T0_E_clISt17integral_constantIbLb0EESV_IbLb1EEEEDaSR_SS_EUlSR_E_NS1_11comp_targetILNS1_3genE2ELNS1_11target_archE906ELNS1_3gpuE6ELNS1_3repE0EEENS1_30default_config_static_selectorELNS0_4arch9wavefront6targetE1EEEvT1_.kd
    .uniform_work_group_size: 1
    .uses_dynamic_stack: false
    .vgpr_count:     0
    .vgpr_spill_count: 0
    .wavefront_size: 64
  - .agpr_count:     0
    .args:
      - .offset:         0
        .size:           104
        .value_kind:     by_value
    .group_segment_fixed_size: 0
    .kernarg_segment_align: 8
    .kernarg_segment_size: 104
    .language:       OpenCL C
    .language_version:
      - 2
      - 0
    .max_flat_workgroup_size: 256
    .name:           _ZN7rocprim17ROCPRIM_400000_NS6detail17trampoline_kernelINS0_14default_configENS1_20scan_config_selectorIdEEZZNS1_9scan_implILNS1_25lookback_scan_determinismE0ELb0ELb0ES3_PKdPddZZZN2at6native31launch_logcumsumexp_cuda_kernelERKNSB_10TensorBaseESF_lENKUlvE_clEvENKUlvE_clEvEUlddE_dEEDaPvRmT3_T4_T5_mT6_P12ihipStream_tbENKUlT_T0_E_clISt17integral_constantIbLb0EESV_IbLb1EEEEDaSR_SS_EUlSR_E_NS1_11comp_targetILNS1_3genE10ELNS1_11target_archE1201ELNS1_3gpuE5ELNS1_3repE0EEENS1_30default_config_static_selectorELNS0_4arch9wavefront6targetE1EEEvT1_
    .private_segment_fixed_size: 0
    .sgpr_count:     6
    .sgpr_spill_count: 0
    .symbol:         _ZN7rocprim17ROCPRIM_400000_NS6detail17trampoline_kernelINS0_14default_configENS1_20scan_config_selectorIdEEZZNS1_9scan_implILNS1_25lookback_scan_determinismE0ELb0ELb0ES3_PKdPddZZZN2at6native31launch_logcumsumexp_cuda_kernelERKNSB_10TensorBaseESF_lENKUlvE_clEvENKUlvE_clEvEUlddE_dEEDaPvRmT3_T4_T5_mT6_P12ihipStream_tbENKUlT_T0_E_clISt17integral_constantIbLb0EESV_IbLb1EEEEDaSR_SS_EUlSR_E_NS1_11comp_targetILNS1_3genE10ELNS1_11target_archE1201ELNS1_3gpuE5ELNS1_3repE0EEENS1_30default_config_static_selectorELNS0_4arch9wavefront6targetE1EEEvT1_.kd
    .uniform_work_group_size: 1
    .uses_dynamic_stack: false
    .vgpr_count:     0
    .vgpr_spill_count: 0
    .wavefront_size: 64
  - .agpr_count:     0
    .args:
      - .offset:         0
        .size:           104
        .value_kind:     by_value
    .group_segment_fixed_size: 0
    .kernarg_segment_align: 8
    .kernarg_segment_size: 104
    .language:       OpenCL C
    .language_version:
      - 2
      - 0
    .max_flat_workgroup_size: 256
    .name:           _ZN7rocprim17ROCPRIM_400000_NS6detail17trampoline_kernelINS0_14default_configENS1_20scan_config_selectorIdEEZZNS1_9scan_implILNS1_25lookback_scan_determinismE0ELb0ELb0ES3_PKdPddZZZN2at6native31launch_logcumsumexp_cuda_kernelERKNSB_10TensorBaseESF_lENKUlvE_clEvENKUlvE_clEvEUlddE_dEEDaPvRmT3_T4_T5_mT6_P12ihipStream_tbENKUlT_T0_E_clISt17integral_constantIbLb0EESV_IbLb1EEEEDaSR_SS_EUlSR_E_NS1_11comp_targetILNS1_3genE10ELNS1_11target_archE1200ELNS1_3gpuE4ELNS1_3repE0EEENS1_30default_config_static_selectorELNS0_4arch9wavefront6targetE1EEEvT1_
    .private_segment_fixed_size: 0
    .sgpr_count:     6
    .sgpr_spill_count: 0
    .symbol:         _ZN7rocprim17ROCPRIM_400000_NS6detail17trampoline_kernelINS0_14default_configENS1_20scan_config_selectorIdEEZZNS1_9scan_implILNS1_25lookback_scan_determinismE0ELb0ELb0ES3_PKdPddZZZN2at6native31launch_logcumsumexp_cuda_kernelERKNSB_10TensorBaseESF_lENKUlvE_clEvENKUlvE_clEvEUlddE_dEEDaPvRmT3_T4_T5_mT6_P12ihipStream_tbENKUlT_T0_E_clISt17integral_constantIbLb0EESV_IbLb1EEEEDaSR_SS_EUlSR_E_NS1_11comp_targetILNS1_3genE10ELNS1_11target_archE1200ELNS1_3gpuE4ELNS1_3repE0EEENS1_30default_config_static_selectorELNS0_4arch9wavefront6targetE1EEEvT1_.kd
    .uniform_work_group_size: 1
    .uses_dynamic_stack: false
    .vgpr_count:     0
    .vgpr_spill_count: 0
    .wavefront_size: 64
  - .agpr_count:     0
    .args:
      - .offset:         0
        .size:           104
        .value_kind:     by_value
    .group_segment_fixed_size: 0
    .kernarg_segment_align: 8
    .kernarg_segment_size: 104
    .language:       OpenCL C
    .language_version:
      - 2
      - 0
    .max_flat_workgroup_size: 256
    .name:           _ZN7rocprim17ROCPRIM_400000_NS6detail17trampoline_kernelINS0_14default_configENS1_20scan_config_selectorIdEEZZNS1_9scan_implILNS1_25lookback_scan_determinismE0ELb0ELb0ES3_PKdPddZZZN2at6native31launch_logcumsumexp_cuda_kernelERKNSB_10TensorBaseESF_lENKUlvE_clEvENKUlvE_clEvEUlddE_dEEDaPvRmT3_T4_T5_mT6_P12ihipStream_tbENKUlT_T0_E_clISt17integral_constantIbLb0EESV_IbLb1EEEEDaSR_SS_EUlSR_E_NS1_11comp_targetILNS1_3genE9ELNS1_11target_archE1100ELNS1_3gpuE3ELNS1_3repE0EEENS1_30default_config_static_selectorELNS0_4arch9wavefront6targetE1EEEvT1_
    .private_segment_fixed_size: 0
    .sgpr_count:     6
    .sgpr_spill_count: 0
    .symbol:         _ZN7rocprim17ROCPRIM_400000_NS6detail17trampoline_kernelINS0_14default_configENS1_20scan_config_selectorIdEEZZNS1_9scan_implILNS1_25lookback_scan_determinismE0ELb0ELb0ES3_PKdPddZZZN2at6native31launch_logcumsumexp_cuda_kernelERKNSB_10TensorBaseESF_lENKUlvE_clEvENKUlvE_clEvEUlddE_dEEDaPvRmT3_T4_T5_mT6_P12ihipStream_tbENKUlT_T0_E_clISt17integral_constantIbLb0EESV_IbLb1EEEEDaSR_SS_EUlSR_E_NS1_11comp_targetILNS1_3genE9ELNS1_11target_archE1100ELNS1_3gpuE3ELNS1_3repE0EEENS1_30default_config_static_selectorELNS0_4arch9wavefront6targetE1EEEvT1_.kd
    .uniform_work_group_size: 1
    .uses_dynamic_stack: false
    .vgpr_count:     0
    .vgpr_spill_count: 0
    .wavefront_size: 64
  - .agpr_count:     0
    .args:
      - .offset:         0
        .size:           104
        .value_kind:     by_value
    .group_segment_fixed_size: 0
    .kernarg_segment_align: 8
    .kernarg_segment_size: 104
    .language:       OpenCL C
    .language_version:
      - 2
      - 0
    .max_flat_workgroup_size: 128
    .name:           _ZN7rocprim17ROCPRIM_400000_NS6detail17trampoline_kernelINS0_14default_configENS1_20scan_config_selectorIdEEZZNS1_9scan_implILNS1_25lookback_scan_determinismE0ELb0ELb0ES3_PKdPddZZZN2at6native31launch_logcumsumexp_cuda_kernelERKNSB_10TensorBaseESF_lENKUlvE_clEvENKUlvE_clEvEUlddE_dEEDaPvRmT3_T4_T5_mT6_P12ihipStream_tbENKUlT_T0_E_clISt17integral_constantIbLb0EESV_IbLb1EEEEDaSR_SS_EUlSR_E_NS1_11comp_targetILNS1_3genE8ELNS1_11target_archE1030ELNS1_3gpuE2ELNS1_3repE0EEENS1_30default_config_static_selectorELNS0_4arch9wavefront6targetE1EEEvT1_
    .private_segment_fixed_size: 0
    .sgpr_count:     6
    .sgpr_spill_count: 0
    .symbol:         _ZN7rocprim17ROCPRIM_400000_NS6detail17trampoline_kernelINS0_14default_configENS1_20scan_config_selectorIdEEZZNS1_9scan_implILNS1_25lookback_scan_determinismE0ELb0ELb0ES3_PKdPddZZZN2at6native31launch_logcumsumexp_cuda_kernelERKNSB_10TensorBaseESF_lENKUlvE_clEvENKUlvE_clEvEUlddE_dEEDaPvRmT3_T4_T5_mT6_P12ihipStream_tbENKUlT_T0_E_clISt17integral_constantIbLb0EESV_IbLb1EEEEDaSR_SS_EUlSR_E_NS1_11comp_targetILNS1_3genE8ELNS1_11target_archE1030ELNS1_3gpuE2ELNS1_3repE0EEENS1_30default_config_static_selectorELNS0_4arch9wavefront6targetE1EEEvT1_.kd
    .uniform_work_group_size: 1
    .uses_dynamic_stack: false
    .vgpr_count:     0
    .vgpr_spill_count: 0
    .wavefront_size: 64
  - .agpr_count:     0
    .args:
      - .offset:         0
        .size:           40
        .value_kind:     by_value
    .group_segment_fixed_size: 12288
    .kernarg_segment_align: 8
    .kernarg_segment_size: 40
    .language:       OpenCL C
    .language_version:
      - 2
      - 0
    .max_flat_workgroup_size: 256
    .name:           _ZN7rocprim17ROCPRIM_400000_NS6detail17trampoline_kernelINS0_14default_configENS1_20scan_config_selectorIdEEZZNS1_9scan_implILNS1_25lookback_scan_determinismE0ELb0ELb0ES3_PKdPddZZZN2at6native31launch_logcumsumexp_cuda_kernelERKNSB_10TensorBaseESF_lENKUlvE_clEvENKUlvE_clEvEUlddE_dEEDaPvRmT3_T4_T5_mT6_P12ihipStream_tbENKUlT_T0_E_clISt17integral_constantIbLb0EESV_IbLb1EEEEDaSR_SS_EUlSR_E0_NS1_11comp_targetILNS1_3genE0ELNS1_11target_archE4294967295ELNS1_3gpuE0ELNS1_3repE0EEENS1_30default_config_static_selectorELNS0_4arch9wavefront6targetE1EEEvT1_
    .private_segment_fixed_size: 0
    .sgpr_count:     48
    .sgpr_spill_count: 0
    .symbol:         _ZN7rocprim17ROCPRIM_400000_NS6detail17trampoline_kernelINS0_14default_configENS1_20scan_config_selectorIdEEZZNS1_9scan_implILNS1_25lookback_scan_determinismE0ELb0ELb0ES3_PKdPddZZZN2at6native31launch_logcumsumexp_cuda_kernelERKNSB_10TensorBaseESF_lENKUlvE_clEvENKUlvE_clEvEUlddE_dEEDaPvRmT3_T4_T5_mT6_P12ihipStream_tbENKUlT_T0_E_clISt17integral_constantIbLb0EESV_IbLb1EEEEDaSR_SS_EUlSR_E0_NS1_11comp_targetILNS1_3genE0ELNS1_11target_archE4294967295ELNS1_3gpuE0ELNS1_3repE0EEENS1_30default_config_static_selectorELNS0_4arch9wavefront6targetE1EEEvT1_.kd
    .uniform_work_group_size: 1
    .uses_dynamic_stack: false
    .vgpr_count:     65
    .vgpr_spill_count: 0
    .wavefront_size: 64
  - .agpr_count:     0
    .args:
      - .offset:         0
        .size:           40
        .value_kind:     by_value
    .group_segment_fixed_size: 0
    .kernarg_segment_align: 8
    .kernarg_segment_size: 40
    .language:       OpenCL C
    .language_version:
      - 2
      - 0
    .max_flat_workgroup_size: 256
    .name:           _ZN7rocprim17ROCPRIM_400000_NS6detail17trampoline_kernelINS0_14default_configENS1_20scan_config_selectorIdEEZZNS1_9scan_implILNS1_25lookback_scan_determinismE0ELb0ELb0ES3_PKdPddZZZN2at6native31launch_logcumsumexp_cuda_kernelERKNSB_10TensorBaseESF_lENKUlvE_clEvENKUlvE_clEvEUlddE_dEEDaPvRmT3_T4_T5_mT6_P12ihipStream_tbENKUlT_T0_E_clISt17integral_constantIbLb0EESV_IbLb1EEEEDaSR_SS_EUlSR_E0_NS1_11comp_targetILNS1_3genE5ELNS1_11target_archE942ELNS1_3gpuE9ELNS1_3repE0EEENS1_30default_config_static_selectorELNS0_4arch9wavefront6targetE1EEEvT1_
    .private_segment_fixed_size: 0
    .sgpr_count:     6
    .sgpr_spill_count: 0
    .symbol:         _ZN7rocprim17ROCPRIM_400000_NS6detail17trampoline_kernelINS0_14default_configENS1_20scan_config_selectorIdEEZZNS1_9scan_implILNS1_25lookback_scan_determinismE0ELb0ELb0ES3_PKdPddZZZN2at6native31launch_logcumsumexp_cuda_kernelERKNSB_10TensorBaseESF_lENKUlvE_clEvENKUlvE_clEvEUlddE_dEEDaPvRmT3_T4_T5_mT6_P12ihipStream_tbENKUlT_T0_E_clISt17integral_constantIbLb0EESV_IbLb1EEEEDaSR_SS_EUlSR_E0_NS1_11comp_targetILNS1_3genE5ELNS1_11target_archE942ELNS1_3gpuE9ELNS1_3repE0EEENS1_30default_config_static_selectorELNS0_4arch9wavefront6targetE1EEEvT1_.kd
    .uniform_work_group_size: 1
    .uses_dynamic_stack: false
    .vgpr_count:     0
    .vgpr_spill_count: 0
    .wavefront_size: 64
  - .agpr_count:     0
    .args:
      - .offset:         0
        .size:           40
        .value_kind:     by_value
    .group_segment_fixed_size: 0
    .kernarg_segment_align: 8
    .kernarg_segment_size: 40
    .language:       OpenCL C
    .language_version:
      - 2
      - 0
    .max_flat_workgroup_size: 128
    .name:           _ZN7rocprim17ROCPRIM_400000_NS6detail17trampoline_kernelINS0_14default_configENS1_20scan_config_selectorIdEEZZNS1_9scan_implILNS1_25lookback_scan_determinismE0ELb0ELb0ES3_PKdPddZZZN2at6native31launch_logcumsumexp_cuda_kernelERKNSB_10TensorBaseESF_lENKUlvE_clEvENKUlvE_clEvEUlddE_dEEDaPvRmT3_T4_T5_mT6_P12ihipStream_tbENKUlT_T0_E_clISt17integral_constantIbLb0EESV_IbLb1EEEEDaSR_SS_EUlSR_E0_NS1_11comp_targetILNS1_3genE4ELNS1_11target_archE910ELNS1_3gpuE8ELNS1_3repE0EEENS1_30default_config_static_selectorELNS0_4arch9wavefront6targetE1EEEvT1_
    .private_segment_fixed_size: 0
    .sgpr_count:     6
    .sgpr_spill_count: 0
    .symbol:         _ZN7rocprim17ROCPRIM_400000_NS6detail17trampoline_kernelINS0_14default_configENS1_20scan_config_selectorIdEEZZNS1_9scan_implILNS1_25lookback_scan_determinismE0ELb0ELb0ES3_PKdPddZZZN2at6native31launch_logcumsumexp_cuda_kernelERKNSB_10TensorBaseESF_lENKUlvE_clEvENKUlvE_clEvEUlddE_dEEDaPvRmT3_T4_T5_mT6_P12ihipStream_tbENKUlT_T0_E_clISt17integral_constantIbLb0EESV_IbLb1EEEEDaSR_SS_EUlSR_E0_NS1_11comp_targetILNS1_3genE4ELNS1_11target_archE910ELNS1_3gpuE8ELNS1_3repE0EEENS1_30default_config_static_selectorELNS0_4arch9wavefront6targetE1EEEvT1_.kd
    .uniform_work_group_size: 1
    .uses_dynamic_stack: false
    .vgpr_count:     0
    .vgpr_spill_count: 0
    .wavefront_size: 64
  - .agpr_count:     0
    .args:
      - .offset:         0
        .size:           40
        .value_kind:     by_value
    .group_segment_fixed_size: 0
    .kernarg_segment_align: 8
    .kernarg_segment_size: 40
    .language:       OpenCL C
    .language_version:
      - 2
      - 0
    .max_flat_workgroup_size: 256
    .name:           _ZN7rocprim17ROCPRIM_400000_NS6detail17trampoline_kernelINS0_14default_configENS1_20scan_config_selectorIdEEZZNS1_9scan_implILNS1_25lookback_scan_determinismE0ELb0ELb0ES3_PKdPddZZZN2at6native31launch_logcumsumexp_cuda_kernelERKNSB_10TensorBaseESF_lENKUlvE_clEvENKUlvE_clEvEUlddE_dEEDaPvRmT3_T4_T5_mT6_P12ihipStream_tbENKUlT_T0_E_clISt17integral_constantIbLb0EESV_IbLb1EEEEDaSR_SS_EUlSR_E0_NS1_11comp_targetILNS1_3genE3ELNS1_11target_archE908ELNS1_3gpuE7ELNS1_3repE0EEENS1_30default_config_static_selectorELNS0_4arch9wavefront6targetE1EEEvT1_
    .private_segment_fixed_size: 0
    .sgpr_count:     6
    .sgpr_spill_count: 0
    .symbol:         _ZN7rocprim17ROCPRIM_400000_NS6detail17trampoline_kernelINS0_14default_configENS1_20scan_config_selectorIdEEZZNS1_9scan_implILNS1_25lookback_scan_determinismE0ELb0ELb0ES3_PKdPddZZZN2at6native31launch_logcumsumexp_cuda_kernelERKNSB_10TensorBaseESF_lENKUlvE_clEvENKUlvE_clEvEUlddE_dEEDaPvRmT3_T4_T5_mT6_P12ihipStream_tbENKUlT_T0_E_clISt17integral_constantIbLb0EESV_IbLb1EEEEDaSR_SS_EUlSR_E0_NS1_11comp_targetILNS1_3genE3ELNS1_11target_archE908ELNS1_3gpuE7ELNS1_3repE0EEENS1_30default_config_static_selectorELNS0_4arch9wavefront6targetE1EEEvT1_.kd
    .uniform_work_group_size: 1
    .uses_dynamic_stack: false
    .vgpr_count:     0
    .vgpr_spill_count: 0
    .wavefront_size: 64
  - .agpr_count:     0
    .args:
      - .offset:         0
        .size:           40
        .value_kind:     by_value
    .group_segment_fixed_size: 0
    .kernarg_segment_align: 8
    .kernarg_segment_size: 40
    .language:       OpenCL C
    .language_version:
      - 2
      - 0
    .max_flat_workgroup_size: 128
    .name:           _ZN7rocprim17ROCPRIM_400000_NS6detail17trampoline_kernelINS0_14default_configENS1_20scan_config_selectorIdEEZZNS1_9scan_implILNS1_25lookback_scan_determinismE0ELb0ELb0ES3_PKdPddZZZN2at6native31launch_logcumsumexp_cuda_kernelERKNSB_10TensorBaseESF_lENKUlvE_clEvENKUlvE_clEvEUlddE_dEEDaPvRmT3_T4_T5_mT6_P12ihipStream_tbENKUlT_T0_E_clISt17integral_constantIbLb0EESV_IbLb1EEEEDaSR_SS_EUlSR_E0_NS1_11comp_targetILNS1_3genE2ELNS1_11target_archE906ELNS1_3gpuE6ELNS1_3repE0EEENS1_30default_config_static_selectorELNS0_4arch9wavefront6targetE1EEEvT1_
    .private_segment_fixed_size: 0
    .sgpr_count:     6
    .sgpr_spill_count: 0
    .symbol:         _ZN7rocprim17ROCPRIM_400000_NS6detail17trampoline_kernelINS0_14default_configENS1_20scan_config_selectorIdEEZZNS1_9scan_implILNS1_25lookback_scan_determinismE0ELb0ELb0ES3_PKdPddZZZN2at6native31launch_logcumsumexp_cuda_kernelERKNSB_10TensorBaseESF_lENKUlvE_clEvENKUlvE_clEvEUlddE_dEEDaPvRmT3_T4_T5_mT6_P12ihipStream_tbENKUlT_T0_E_clISt17integral_constantIbLb0EESV_IbLb1EEEEDaSR_SS_EUlSR_E0_NS1_11comp_targetILNS1_3genE2ELNS1_11target_archE906ELNS1_3gpuE6ELNS1_3repE0EEENS1_30default_config_static_selectorELNS0_4arch9wavefront6targetE1EEEvT1_.kd
    .uniform_work_group_size: 1
    .uses_dynamic_stack: false
    .vgpr_count:     0
    .vgpr_spill_count: 0
    .wavefront_size: 64
  - .agpr_count:     0
    .args:
      - .offset:         0
        .size:           40
        .value_kind:     by_value
    .group_segment_fixed_size: 0
    .kernarg_segment_align: 8
    .kernarg_segment_size: 40
    .language:       OpenCL C
    .language_version:
      - 2
      - 0
    .max_flat_workgroup_size: 256
    .name:           _ZN7rocprim17ROCPRIM_400000_NS6detail17trampoline_kernelINS0_14default_configENS1_20scan_config_selectorIdEEZZNS1_9scan_implILNS1_25lookback_scan_determinismE0ELb0ELb0ES3_PKdPddZZZN2at6native31launch_logcumsumexp_cuda_kernelERKNSB_10TensorBaseESF_lENKUlvE_clEvENKUlvE_clEvEUlddE_dEEDaPvRmT3_T4_T5_mT6_P12ihipStream_tbENKUlT_T0_E_clISt17integral_constantIbLb0EESV_IbLb1EEEEDaSR_SS_EUlSR_E0_NS1_11comp_targetILNS1_3genE10ELNS1_11target_archE1201ELNS1_3gpuE5ELNS1_3repE0EEENS1_30default_config_static_selectorELNS0_4arch9wavefront6targetE1EEEvT1_
    .private_segment_fixed_size: 0
    .sgpr_count:     6
    .sgpr_spill_count: 0
    .symbol:         _ZN7rocprim17ROCPRIM_400000_NS6detail17trampoline_kernelINS0_14default_configENS1_20scan_config_selectorIdEEZZNS1_9scan_implILNS1_25lookback_scan_determinismE0ELb0ELb0ES3_PKdPddZZZN2at6native31launch_logcumsumexp_cuda_kernelERKNSB_10TensorBaseESF_lENKUlvE_clEvENKUlvE_clEvEUlddE_dEEDaPvRmT3_T4_T5_mT6_P12ihipStream_tbENKUlT_T0_E_clISt17integral_constantIbLb0EESV_IbLb1EEEEDaSR_SS_EUlSR_E0_NS1_11comp_targetILNS1_3genE10ELNS1_11target_archE1201ELNS1_3gpuE5ELNS1_3repE0EEENS1_30default_config_static_selectorELNS0_4arch9wavefront6targetE1EEEvT1_.kd
    .uniform_work_group_size: 1
    .uses_dynamic_stack: false
    .vgpr_count:     0
    .vgpr_spill_count: 0
    .wavefront_size: 64
  - .agpr_count:     0
    .args:
      - .offset:         0
        .size:           40
        .value_kind:     by_value
    .group_segment_fixed_size: 0
    .kernarg_segment_align: 8
    .kernarg_segment_size: 40
    .language:       OpenCL C
    .language_version:
      - 2
      - 0
    .max_flat_workgroup_size: 256
    .name:           _ZN7rocprim17ROCPRIM_400000_NS6detail17trampoline_kernelINS0_14default_configENS1_20scan_config_selectorIdEEZZNS1_9scan_implILNS1_25lookback_scan_determinismE0ELb0ELb0ES3_PKdPddZZZN2at6native31launch_logcumsumexp_cuda_kernelERKNSB_10TensorBaseESF_lENKUlvE_clEvENKUlvE_clEvEUlddE_dEEDaPvRmT3_T4_T5_mT6_P12ihipStream_tbENKUlT_T0_E_clISt17integral_constantIbLb0EESV_IbLb1EEEEDaSR_SS_EUlSR_E0_NS1_11comp_targetILNS1_3genE10ELNS1_11target_archE1200ELNS1_3gpuE4ELNS1_3repE0EEENS1_30default_config_static_selectorELNS0_4arch9wavefront6targetE1EEEvT1_
    .private_segment_fixed_size: 0
    .sgpr_count:     6
    .sgpr_spill_count: 0
    .symbol:         _ZN7rocprim17ROCPRIM_400000_NS6detail17trampoline_kernelINS0_14default_configENS1_20scan_config_selectorIdEEZZNS1_9scan_implILNS1_25lookback_scan_determinismE0ELb0ELb0ES3_PKdPddZZZN2at6native31launch_logcumsumexp_cuda_kernelERKNSB_10TensorBaseESF_lENKUlvE_clEvENKUlvE_clEvEUlddE_dEEDaPvRmT3_T4_T5_mT6_P12ihipStream_tbENKUlT_T0_E_clISt17integral_constantIbLb0EESV_IbLb1EEEEDaSR_SS_EUlSR_E0_NS1_11comp_targetILNS1_3genE10ELNS1_11target_archE1200ELNS1_3gpuE4ELNS1_3repE0EEENS1_30default_config_static_selectorELNS0_4arch9wavefront6targetE1EEEvT1_.kd
    .uniform_work_group_size: 1
    .uses_dynamic_stack: false
    .vgpr_count:     0
    .vgpr_spill_count: 0
    .wavefront_size: 64
  - .agpr_count:     0
    .args:
      - .offset:         0
        .size:           40
        .value_kind:     by_value
    .group_segment_fixed_size: 0
    .kernarg_segment_align: 8
    .kernarg_segment_size: 40
    .language:       OpenCL C
    .language_version:
      - 2
      - 0
    .max_flat_workgroup_size: 256
    .name:           _ZN7rocprim17ROCPRIM_400000_NS6detail17trampoline_kernelINS0_14default_configENS1_20scan_config_selectorIdEEZZNS1_9scan_implILNS1_25lookback_scan_determinismE0ELb0ELb0ES3_PKdPddZZZN2at6native31launch_logcumsumexp_cuda_kernelERKNSB_10TensorBaseESF_lENKUlvE_clEvENKUlvE_clEvEUlddE_dEEDaPvRmT3_T4_T5_mT6_P12ihipStream_tbENKUlT_T0_E_clISt17integral_constantIbLb0EESV_IbLb1EEEEDaSR_SS_EUlSR_E0_NS1_11comp_targetILNS1_3genE9ELNS1_11target_archE1100ELNS1_3gpuE3ELNS1_3repE0EEENS1_30default_config_static_selectorELNS0_4arch9wavefront6targetE1EEEvT1_
    .private_segment_fixed_size: 0
    .sgpr_count:     6
    .sgpr_spill_count: 0
    .symbol:         _ZN7rocprim17ROCPRIM_400000_NS6detail17trampoline_kernelINS0_14default_configENS1_20scan_config_selectorIdEEZZNS1_9scan_implILNS1_25lookback_scan_determinismE0ELb0ELb0ES3_PKdPddZZZN2at6native31launch_logcumsumexp_cuda_kernelERKNSB_10TensorBaseESF_lENKUlvE_clEvENKUlvE_clEvEUlddE_dEEDaPvRmT3_T4_T5_mT6_P12ihipStream_tbENKUlT_T0_E_clISt17integral_constantIbLb0EESV_IbLb1EEEEDaSR_SS_EUlSR_E0_NS1_11comp_targetILNS1_3genE9ELNS1_11target_archE1100ELNS1_3gpuE3ELNS1_3repE0EEENS1_30default_config_static_selectorELNS0_4arch9wavefront6targetE1EEEvT1_.kd
    .uniform_work_group_size: 1
    .uses_dynamic_stack: false
    .vgpr_count:     0
    .vgpr_spill_count: 0
    .wavefront_size: 64
  - .agpr_count:     0
    .args:
      - .offset:         0
        .size:           40
        .value_kind:     by_value
    .group_segment_fixed_size: 0
    .kernarg_segment_align: 8
    .kernarg_segment_size: 40
    .language:       OpenCL C
    .language_version:
      - 2
      - 0
    .max_flat_workgroup_size: 128
    .name:           _ZN7rocprim17ROCPRIM_400000_NS6detail17trampoline_kernelINS0_14default_configENS1_20scan_config_selectorIdEEZZNS1_9scan_implILNS1_25lookback_scan_determinismE0ELb0ELb0ES3_PKdPddZZZN2at6native31launch_logcumsumexp_cuda_kernelERKNSB_10TensorBaseESF_lENKUlvE_clEvENKUlvE_clEvEUlddE_dEEDaPvRmT3_T4_T5_mT6_P12ihipStream_tbENKUlT_T0_E_clISt17integral_constantIbLb0EESV_IbLb1EEEEDaSR_SS_EUlSR_E0_NS1_11comp_targetILNS1_3genE8ELNS1_11target_archE1030ELNS1_3gpuE2ELNS1_3repE0EEENS1_30default_config_static_selectorELNS0_4arch9wavefront6targetE1EEEvT1_
    .private_segment_fixed_size: 0
    .sgpr_count:     6
    .sgpr_spill_count: 0
    .symbol:         _ZN7rocprim17ROCPRIM_400000_NS6detail17trampoline_kernelINS0_14default_configENS1_20scan_config_selectorIdEEZZNS1_9scan_implILNS1_25lookback_scan_determinismE0ELb0ELb0ES3_PKdPddZZZN2at6native31launch_logcumsumexp_cuda_kernelERKNSB_10TensorBaseESF_lENKUlvE_clEvENKUlvE_clEvEUlddE_dEEDaPvRmT3_T4_T5_mT6_P12ihipStream_tbENKUlT_T0_E_clISt17integral_constantIbLb0EESV_IbLb1EEEEDaSR_SS_EUlSR_E0_NS1_11comp_targetILNS1_3genE8ELNS1_11target_archE1030ELNS1_3gpuE2ELNS1_3repE0EEENS1_30default_config_static_selectorELNS0_4arch9wavefront6targetE1EEEvT1_.kd
    .uniform_work_group_size: 1
    .uses_dynamic_stack: false
    .vgpr_count:     0
    .vgpr_spill_count: 0
    .wavefront_size: 64
  - .agpr_count:     0
    .args:
      - .address_space:  global
        .offset:         0
        .size:           8
        .value_kind:     global_buffer
      - .address_space:  global
        .offset:         8
        .size:           8
        .value_kind:     global_buffer
      - .offset:         16
        .size:           4
        .value_kind:     by_value
      - .offset:         20
        .size:           4
        .value_kind:     by_value
      - .offset:         24
        .size:           4
        .value_kind:     by_value
      - .offset:         32
        .size:           8
        .value_kind:     by_value
      - .offset:         40
        .size:           1
        .value_kind:     by_value
      - .offset:         48
        .size:           4
        .value_kind:     hidden_block_count_x
      - .offset:         52
        .size:           4
        .value_kind:     hidden_block_count_y
      - .offset:         56
        .size:           4
        .value_kind:     hidden_block_count_z
      - .offset:         60
        .size:           2
        .value_kind:     hidden_group_size_x
      - .offset:         62
        .size:           2
        .value_kind:     hidden_group_size_y
      - .offset:         64
        .size:           2
        .value_kind:     hidden_group_size_z
      - .offset:         66
        .size:           2
        .value_kind:     hidden_remainder_x
      - .offset:         68
        .size:           2
        .value_kind:     hidden_remainder_y
      - .offset:         70
        .size:           2
        .value_kind:     hidden_remainder_z
      - .offset:         88
        .size:           8
        .value_kind:     hidden_global_offset_x
      - .offset:         96
        .size:           8
        .value_kind:     hidden_global_offset_y
      - .offset:         104
        .size:           8
        .value_kind:     hidden_global_offset_z
      - .offset:         112
        .size:           2
        .value_kind:     hidden_grid_dims
      - .offset:         168
        .size:           4
        .value_kind:     hidden_dynamic_lds_size
    .group_segment_fixed_size: 0
    .kernarg_segment_align: 8
    .kernarg_segment_size: 304
    .language:       OpenCL C
    .language_version:
      - 2
      - 0
    .max_flat_workgroup_size: 1024
    .name:           _ZN2at6native32tensor_kernel_scan_innermost_dimIdZZZNS0_31launch_logcumsumexp_cuda_kernelERKNS_10TensorBaseES4_lENKUlvE_clEvENKUlvE_clEvEUlddE_EEvPT_PKS8_jjjS8_T0_
    .private_segment_fixed_size: 0
    .sgpr_count:     66
    .sgpr_spill_count: 0
    .symbol:         _ZN2at6native32tensor_kernel_scan_innermost_dimIdZZZNS0_31launch_logcumsumexp_cuda_kernelERKNS_10TensorBaseES4_lENKUlvE_clEvENKUlvE_clEvEUlddE_EEvPT_PKS8_jjjS8_T0_.kd
    .uniform_work_group_size: 1
    .uses_dynamic_stack: false
    .vgpr_count:     76
    .vgpr_spill_count: 0
    .wavefront_size: 64
  - .agpr_count:     0
    .args:
      - .address_space:  global
        .offset:         0
        .size:           8
        .value_kind:     global_buffer
      - .address_space:  global
        .offset:         8
        .size:           8
        .value_kind:     global_buffer
      - .offset:         16
        .size:           4
        .value_kind:     by_value
      - .offset:         20
        .size:           4
        .value_kind:     by_value
      - .offset:         24
        .size:           4
        .value_kind:     by_value
      - .offset:         32
        .size:           8
        .value_kind:     by_value
      - .offset:         40
        .size:           1
        .value_kind:     by_value
      - .offset:         48
        .size:           4
        .value_kind:     hidden_block_count_x
      - .offset:         52
        .size:           4
        .value_kind:     hidden_block_count_y
      - .offset:         56
        .size:           4
        .value_kind:     hidden_block_count_z
      - .offset:         60
        .size:           2
        .value_kind:     hidden_group_size_x
      - .offset:         62
        .size:           2
        .value_kind:     hidden_group_size_y
      - .offset:         64
        .size:           2
        .value_kind:     hidden_group_size_z
      - .offset:         66
        .size:           2
        .value_kind:     hidden_remainder_x
      - .offset:         68
        .size:           2
        .value_kind:     hidden_remainder_y
      - .offset:         70
        .size:           2
        .value_kind:     hidden_remainder_z
      - .offset:         88
        .size:           8
        .value_kind:     hidden_global_offset_x
      - .offset:         96
        .size:           8
        .value_kind:     hidden_global_offset_y
      - .offset:         104
        .size:           8
        .value_kind:     hidden_global_offset_z
      - .offset:         112
        .size:           2
        .value_kind:     hidden_grid_dims
    .group_segment_fixed_size: 0
    .kernarg_segment_align: 8
    .kernarg_segment_size: 304
    .language:       OpenCL C
    .language_version:
      - 2
      - 0
    .max_flat_workgroup_size: 1024
    .name:           _ZN2at6native28tensor_kernel_scan_outer_dimIdjZZZNS0_31launch_logcumsumexp_cuda_kernelERKNS_10TensorBaseES4_lENKUlvE_clEvENKUlvE_clEvEUlddE_EEvPT_PKS8_jjjS8_T1_
    .private_segment_fixed_size: 0
    .sgpr_count:     65
    .sgpr_spill_count: 0
    .symbol:         _ZN2at6native28tensor_kernel_scan_outer_dimIdjZZZNS0_31launch_logcumsumexp_cuda_kernelERKNS_10TensorBaseES4_lENKUlvE_clEvENKUlvE_clEvEUlddE_EEvPT_PKS8_jjjS8_T1_.kd
    .uniform_work_group_size: 1
    .uses_dynamic_stack: false
    .vgpr_count:     62
    .vgpr_spill_count: 0
    .wavefront_size: 64
  - .agpr_count:     0
    .args:
      - .address_space:  global
        .offset:         0
        .size:           8
        .value_kind:     global_buffer
      - .address_space:  global
        .offset:         8
        .size:           8
        .value_kind:     global_buffer
      - .offset:         16
        .size:           4
        .value_kind:     by_value
      - .offset:         20
        .size:           4
        .value_kind:     by_value
      - .offset:         24
        .size:           4
        .value_kind:     by_value
      - .offset:         32
        .size:           8
        .value_kind:     by_value
      - .offset:         40
        .size:           1
        .value_kind:     by_value
      - .offset:         48
        .size:           4
        .value_kind:     hidden_block_count_x
      - .offset:         52
        .size:           4
        .value_kind:     hidden_block_count_y
      - .offset:         56
        .size:           4
        .value_kind:     hidden_block_count_z
      - .offset:         60
        .size:           2
        .value_kind:     hidden_group_size_x
      - .offset:         62
        .size:           2
        .value_kind:     hidden_group_size_y
      - .offset:         64
        .size:           2
        .value_kind:     hidden_group_size_z
      - .offset:         66
        .size:           2
        .value_kind:     hidden_remainder_x
      - .offset:         68
        .size:           2
        .value_kind:     hidden_remainder_y
      - .offset:         70
        .size:           2
        .value_kind:     hidden_remainder_z
      - .offset:         88
        .size:           8
        .value_kind:     hidden_global_offset_x
      - .offset:         96
        .size:           8
        .value_kind:     hidden_global_offset_y
      - .offset:         104
        .size:           8
        .value_kind:     hidden_global_offset_z
      - .offset:         112
        .size:           2
        .value_kind:     hidden_grid_dims
    .group_segment_fixed_size: 0
    .kernarg_segment_align: 8
    .kernarg_segment_size: 304
    .language:       OpenCL C
    .language_version:
      - 2
      - 0
    .max_flat_workgroup_size: 1024
    .name:           _ZN2at6native28tensor_kernel_scan_outer_dimIdmZZZNS0_31launch_logcumsumexp_cuda_kernelERKNS_10TensorBaseES4_lENKUlvE_clEvENKUlvE_clEvEUlddE_EEvPT_PKS8_jjjS8_T1_
    .private_segment_fixed_size: 0
    .sgpr_count:     64
    .sgpr_spill_count: 0
    .symbol:         _ZN2at6native28tensor_kernel_scan_outer_dimIdmZZZNS0_31launch_logcumsumexp_cuda_kernelERKNS_10TensorBaseES4_lENKUlvE_clEvENKUlvE_clEvEUlddE_EEvPT_PKS8_jjjS8_T1_.kd
    .uniform_work_group_size: 1
    .uses_dynamic_stack: false
    .vgpr_count:     62
    .vgpr_spill_count: 0
    .wavefront_size: 64
  - .agpr_count:     0
    .args:
      - .address_space:  global
        .offset:         0
        .size:           8
        .value_kind:     global_buffer
      - .offset:         8
        .size:           4
        .value_kind:     by_value
      - .offset:         12
        .size:           1
        .value_kind:     by_value
      - .offset:         16
        .size:           4
        .value_kind:     by_value
      - .address_space:  global
        .offset:         24
        .size:           8
        .value_kind:     global_buffer
      - .offset:         32
        .size:           4
        .value_kind:     hidden_block_count_x
      - .offset:         36
        .size:           4
        .value_kind:     hidden_block_count_y
      - .offset:         40
        .size:           4
        .value_kind:     hidden_block_count_z
      - .offset:         44
        .size:           2
        .value_kind:     hidden_group_size_x
      - .offset:         46
        .size:           2
        .value_kind:     hidden_group_size_y
      - .offset:         48
        .size:           2
        .value_kind:     hidden_group_size_z
      - .offset:         50
        .size:           2
        .value_kind:     hidden_remainder_x
      - .offset:         52
        .size:           2
        .value_kind:     hidden_remainder_y
      - .offset:         54
        .size:           2
        .value_kind:     hidden_remainder_z
      - .offset:         72
        .size:           8
        .value_kind:     hidden_global_offset_x
      - .offset:         80
        .size:           8
        .value_kind:     hidden_global_offset_y
      - .offset:         88
        .size:           8
        .value_kind:     hidden_global_offset_z
      - .offset:         96
        .size:           2
        .value_kind:     hidden_grid_dims
    .group_segment_fixed_size: 0
    .kernarg_segment_align: 8
    .kernarg_segment_size: 288
    .language:       OpenCL C
    .language_version:
      - 2
      - 0
    .max_flat_workgroup_size: 256
    .name:           _ZN7rocprim17ROCPRIM_400000_NS6detail31init_lookback_scan_state_kernelINS1_19lookback_scan_stateIfLb0ELb1EEENS1_16block_id_wrapperIjLb0EEEEEvT_jT0_jPNS7_10value_typeE
    .private_segment_fixed_size: 0
    .sgpr_count:     15
    .sgpr_spill_count: 0
    .symbol:         _ZN7rocprim17ROCPRIM_400000_NS6detail31init_lookback_scan_state_kernelINS1_19lookback_scan_stateIfLb0ELb1EEENS1_16block_id_wrapperIjLb0EEEEEvT_jT0_jPNS7_10value_typeE.kd
    .uniform_work_group_size: 1
    .uses_dynamic_stack: false
    .vgpr_count:     6
    .vgpr_spill_count: 0
    .wavefront_size: 64
  - .agpr_count:     0
    .args:
      - .offset:         0
        .size:           96
        .value_kind:     by_value
    .group_segment_fixed_size: 14336
    .kernarg_segment_align: 8
    .kernarg_segment_size: 96
    .language:       OpenCL C
    .language_version:
      - 2
      - 0
    .max_flat_workgroup_size: 256
    .name:           _ZN7rocprim17ROCPRIM_400000_NS6detail17trampoline_kernelINS0_14default_configENS1_20scan_config_selectorIfEEZZNS1_9scan_implILNS1_25lookback_scan_determinismE0ELb0ELb0ES3_PKfPffZZZN2at6native31launch_logcumsumexp_cuda_kernelERKNSB_10TensorBaseESF_lENKUlvE_clEvENKUlvE0_clEvEUlffE_fEEDaPvRmT3_T4_T5_mT6_P12ihipStream_tbENKUlT_T0_E_clISt17integral_constantIbLb0EESW_EEDaSR_SS_EUlSR_E_NS1_11comp_targetILNS1_3genE0ELNS1_11target_archE4294967295ELNS1_3gpuE0ELNS1_3repE0EEENS1_30default_config_static_selectorELNS0_4arch9wavefront6targetE1EEEvT1_
    .private_segment_fixed_size: 0
    .sgpr_count:     72
    .sgpr_spill_count: 0
    .symbol:         _ZN7rocprim17ROCPRIM_400000_NS6detail17trampoline_kernelINS0_14default_configENS1_20scan_config_selectorIfEEZZNS1_9scan_implILNS1_25lookback_scan_determinismE0ELb0ELb0ES3_PKfPffZZZN2at6native31launch_logcumsumexp_cuda_kernelERKNSB_10TensorBaseESF_lENKUlvE_clEvENKUlvE0_clEvEUlffE_fEEDaPvRmT3_T4_T5_mT6_P12ihipStream_tbENKUlT_T0_E_clISt17integral_constantIbLb0EESW_EEDaSR_SS_EUlSR_E_NS1_11comp_targetILNS1_3genE0ELNS1_11target_archE4294967295ELNS1_3gpuE0ELNS1_3repE0EEENS1_30default_config_static_selectorELNS0_4arch9wavefront6targetE1EEEvT1_.kd
    .uniform_work_group_size: 1
    .uses_dynamic_stack: false
    .vgpr_count:     74
    .vgpr_spill_count: 0
    .wavefront_size: 64
  - .agpr_count:     0
    .args:
      - .offset:         0
        .size:           96
        .value_kind:     by_value
    .group_segment_fixed_size: 0
    .kernarg_segment_align: 8
    .kernarg_segment_size: 96
    .language:       OpenCL C
    .language_version:
      - 2
      - 0
    .max_flat_workgroup_size: 256
    .name:           _ZN7rocprim17ROCPRIM_400000_NS6detail17trampoline_kernelINS0_14default_configENS1_20scan_config_selectorIfEEZZNS1_9scan_implILNS1_25lookback_scan_determinismE0ELb0ELb0ES3_PKfPffZZZN2at6native31launch_logcumsumexp_cuda_kernelERKNSB_10TensorBaseESF_lENKUlvE_clEvENKUlvE0_clEvEUlffE_fEEDaPvRmT3_T4_T5_mT6_P12ihipStream_tbENKUlT_T0_E_clISt17integral_constantIbLb0EESW_EEDaSR_SS_EUlSR_E_NS1_11comp_targetILNS1_3genE5ELNS1_11target_archE942ELNS1_3gpuE9ELNS1_3repE0EEENS1_30default_config_static_selectorELNS0_4arch9wavefront6targetE1EEEvT1_
    .private_segment_fixed_size: 0
    .sgpr_count:     6
    .sgpr_spill_count: 0
    .symbol:         _ZN7rocprim17ROCPRIM_400000_NS6detail17trampoline_kernelINS0_14default_configENS1_20scan_config_selectorIfEEZZNS1_9scan_implILNS1_25lookback_scan_determinismE0ELb0ELb0ES3_PKfPffZZZN2at6native31launch_logcumsumexp_cuda_kernelERKNSB_10TensorBaseESF_lENKUlvE_clEvENKUlvE0_clEvEUlffE_fEEDaPvRmT3_T4_T5_mT6_P12ihipStream_tbENKUlT_T0_E_clISt17integral_constantIbLb0EESW_EEDaSR_SS_EUlSR_E_NS1_11comp_targetILNS1_3genE5ELNS1_11target_archE942ELNS1_3gpuE9ELNS1_3repE0EEENS1_30default_config_static_selectorELNS0_4arch9wavefront6targetE1EEEvT1_.kd
    .uniform_work_group_size: 1
    .uses_dynamic_stack: false
    .vgpr_count:     0
    .vgpr_spill_count: 0
    .wavefront_size: 64
  - .agpr_count:     0
    .args:
      - .offset:         0
        .size:           96
        .value_kind:     by_value
    .group_segment_fixed_size: 0
    .kernarg_segment_align: 8
    .kernarg_segment_size: 96
    .language:       OpenCL C
    .language_version:
      - 2
      - 0
    .max_flat_workgroup_size: 128
    .name:           _ZN7rocprim17ROCPRIM_400000_NS6detail17trampoline_kernelINS0_14default_configENS1_20scan_config_selectorIfEEZZNS1_9scan_implILNS1_25lookback_scan_determinismE0ELb0ELb0ES3_PKfPffZZZN2at6native31launch_logcumsumexp_cuda_kernelERKNSB_10TensorBaseESF_lENKUlvE_clEvENKUlvE0_clEvEUlffE_fEEDaPvRmT3_T4_T5_mT6_P12ihipStream_tbENKUlT_T0_E_clISt17integral_constantIbLb0EESW_EEDaSR_SS_EUlSR_E_NS1_11comp_targetILNS1_3genE4ELNS1_11target_archE910ELNS1_3gpuE8ELNS1_3repE0EEENS1_30default_config_static_selectorELNS0_4arch9wavefront6targetE1EEEvT1_
    .private_segment_fixed_size: 0
    .sgpr_count:     6
    .sgpr_spill_count: 0
    .symbol:         _ZN7rocprim17ROCPRIM_400000_NS6detail17trampoline_kernelINS0_14default_configENS1_20scan_config_selectorIfEEZZNS1_9scan_implILNS1_25lookback_scan_determinismE0ELb0ELb0ES3_PKfPffZZZN2at6native31launch_logcumsumexp_cuda_kernelERKNSB_10TensorBaseESF_lENKUlvE_clEvENKUlvE0_clEvEUlffE_fEEDaPvRmT3_T4_T5_mT6_P12ihipStream_tbENKUlT_T0_E_clISt17integral_constantIbLb0EESW_EEDaSR_SS_EUlSR_E_NS1_11comp_targetILNS1_3genE4ELNS1_11target_archE910ELNS1_3gpuE8ELNS1_3repE0EEENS1_30default_config_static_selectorELNS0_4arch9wavefront6targetE1EEEvT1_.kd
    .uniform_work_group_size: 1
    .uses_dynamic_stack: false
    .vgpr_count:     0
    .vgpr_spill_count: 0
    .wavefront_size: 64
  - .agpr_count:     0
    .args:
      - .offset:         0
        .size:           96
        .value_kind:     by_value
    .group_segment_fixed_size: 0
    .kernarg_segment_align: 8
    .kernarg_segment_size: 96
    .language:       OpenCL C
    .language_version:
      - 2
      - 0
    .max_flat_workgroup_size: 256
    .name:           _ZN7rocprim17ROCPRIM_400000_NS6detail17trampoline_kernelINS0_14default_configENS1_20scan_config_selectorIfEEZZNS1_9scan_implILNS1_25lookback_scan_determinismE0ELb0ELb0ES3_PKfPffZZZN2at6native31launch_logcumsumexp_cuda_kernelERKNSB_10TensorBaseESF_lENKUlvE_clEvENKUlvE0_clEvEUlffE_fEEDaPvRmT3_T4_T5_mT6_P12ihipStream_tbENKUlT_T0_E_clISt17integral_constantIbLb0EESW_EEDaSR_SS_EUlSR_E_NS1_11comp_targetILNS1_3genE3ELNS1_11target_archE908ELNS1_3gpuE7ELNS1_3repE0EEENS1_30default_config_static_selectorELNS0_4arch9wavefront6targetE1EEEvT1_
    .private_segment_fixed_size: 0
    .sgpr_count:     6
    .sgpr_spill_count: 0
    .symbol:         _ZN7rocprim17ROCPRIM_400000_NS6detail17trampoline_kernelINS0_14default_configENS1_20scan_config_selectorIfEEZZNS1_9scan_implILNS1_25lookback_scan_determinismE0ELb0ELb0ES3_PKfPffZZZN2at6native31launch_logcumsumexp_cuda_kernelERKNSB_10TensorBaseESF_lENKUlvE_clEvENKUlvE0_clEvEUlffE_fEEDaPvRmT3_T4_T5_mT6_P12ihipStream_tbENKUlT_T0_E_clISt17integral_constantIbLb0EESW_EEDaSR_SS_EUlSR_E_NS1_11comp_targetILNS1_3genE3ELNS1_11target_archE908ELNS1_3gpuE7ELNS1_3repE0EEENS1_30default_config_static_selectorELNS0_4arch9wavefront6targetE1EEEvT1_.kd
    .uniform_work_group_size: 1
    .uses_dynamic_stack: false
    .vgpr_count:     0
    .vgpr_spill_count: 0
    .wavefront_size: 64
  - .agpr_count:     0
    .args:
      - .offset:         0
        .size:           96
        .value_kind:     by_value
    .group_segment_fixed_size: 0
    .kernarg_segment_align: 8
    .kernarg_segment_size: 96
    .language:       OpenCL C
    .language_version:
      - 2
      - 0
    .max_flat_workgroup_size: 256
    .name:           _ZN7rocprim17ROCPRIM_400000_NS6detail17trampoline_kernelINS0_14default_configENS1_20scan_config_selectorIfEEZZNS1_9scan_implILNS1_25lookback_scan_determinismE0ELb0ELb0ES3_PKfPffZZZN2at6native31launch_logcumsumexp_cuda_kernelERKNSB_10TensorBaseESF_lENKUlvE_clEvENKUlvE0_clEvEUlffE_fEEDaPvRmT3_T4_T5_mT6_P12ihipStream_tbENKUlT_T0_E_clISt17integral_constantIbLb0EESW_EEDaSR_SS_EUlSR_E_NS1_11comp_targetILNS1_3genE2ELNS1_11target_archE906ELNS1_3gpuE6ELNS1_3repE0EEENS1_30default_config_static_selectorELNS0_4arch9wavefront6targetE1EEEvT1_
    .private_segment_fixed_size: 0
    .sgpr_count:     6
    .sgpr_spill_count: 0
    .symbol:         _ZN7rocprim17ROCPRIM_400000_NS6detail17trampoline_kernelINS0_14default_configENS1_20scan_config_selectorIfEEZZNS1_9scan_implILNS1_25lookback_scan_determinismE0ELb0ELb0ES3_PKfPffZZZN2at6native31launch_logcumsumexp_cuda_kernelERKNSB_10TensorBaseESF_lENKUlvE_clEvENKUlvE0_clEvEUlffE_fEEDaPvRmT3_T4_T5_mT6_P12ihipStream_tbENKUlT_T0_E_clISt17integral_constantIbLb0EESW_EEDaSR_SS_EUlSR_E_NS1_11comp_targetILNS1_3genE2ELNS1_11target_archE906ELNS1_3gpuE6ELNS1_3repE0EEENS1_30default_config_static_selectorELNS0_4arch9wavefront6targetE1EEEvT1_.kd
    .uniform_work_group_size: 1
    .uses_dynamic_stack: false
    .vgpr_count:     0
    .vgpr_spill_count: 0
    .wavefront_size: 64
  - .agpr_count:     0
    .args:
      - .offset:         0
        .size:           96
        .value_kind:     by_value
    .group_segment_fixed_size: 0
    .kernarg_segment_align: 8
    .kernarg_segment_size: 96
    .language:       OpenCL C
    .language_version:
      - 2
      - 0
    .max_flat_workgroup_size: 256
    .name:           _ZN7rocprim17ROCPRIM_400000_NS6detail17trampoline_kernelINS0_14default_configENS1_20scan_config_selectorIfEEZZNS1_9scan_implILNS1_25lookback_scan_determinismE0ELb0ELb0ES3_PKfPffZZZN2at6native31launch_logcumsumexp_cuda_kernelERKNSB_10TensorBaseESF_lENKUlvE_clEvENKUlvE0_clEvEUlffE_fEEDaPvRmT3_T4_T5_mT6_P12ihipStream_tbENKUlT_T0_E_clISt17integral_constantIbLb0EESW_EEDaSR_SS_EUlSR_E_NS1_11comp_targetILNS1_3genE10ELNS1_11target_archE1201ELNS1_3gpuE5ELNS1_3repE0EEENS1_30default_config_static_selectorELNS0_4arch9wavefront6targetE1EEEvT1_
    .private_segment_fixed_size: 0
    .sgpr_count:     6
    .sgpr_spill_count: 0
    .symbol:         _ZN7rocprim17ROCPRIM_400000_NS6detail17trampoline_kernelINS0_14default_configENS1_20scan_config_selectorIfEEZZNS1_9scan_implILNS1_25lookback_scan_determinismE0ELb0ELb0ES3_PKfPffZZZN2at6native31launch_logcumsumexp_cuda_kernelERKNSB_10TensorBaseESF_lENKUlvE_clEvENKUlvE0_clEvEUlffE_fEEDaPvRmT3_T4_T5_mT6_P12ihipStream_tbENKUlT_T0_E_clISt17integral_constantIbLb0EESW_EEDaSR_SS_EUlSR_E_NS1_11comp_targetILNS1_3genE10ELNS1_11target_archE1201ELNS1_3gpuE5ELNS1_3repE0EEENS1_30default_config_static_selectorELNS0_4arch9wavefront6targetE1EEEvT1_.kd
    .uniform_work_group_size: 1
    .uses_dynamic_stack: false
    .vgpr_count:     0
    .vgpr_spill_count: 0
    .wavefront_size: 64
  - .agpr_count:     0
    .args:
      - .offset:         0
        .size:           96
        .value_kind:     by_value
    .group_segment_fixed_size: 0
    .kernarg_segment_align: 8
    .kernarg_segment_size: 96
    .language:       OpenCL C
    .language_version:
      - 2
      - 0
    .max_flat_workgroup_size: 256
    .name:           _ZN7rocprim17ROCPRIM_400000_NS6detail17trampoline_kernelINS0_14default_configENS1_20scan_config_selectorIfEEZZNS1_9scan_implILNS1_25lookback_scan_determinismE0ELb0ELb0ES3_PKfPffZZZN2at6native31launch_logcumsumexp_cuda_kernelERKNSB_10TensorBaseESF_lENKUlvE_clEvENKUlvE0_clEvEUlffE_fEEDaPvRmT3_T4_T5_mT6_P12ihipStream_tbENKUlT_T0_E_clISt17integral_constantIbLb0EESW_EEDaSR_SS_EUlSR_E_NS1_11comp_targetILNS1_3genE10ELNS1_11target_archE1200ELNS1_3gpuE4ELNS1_3repE0EEENS1_30default_config_static_selectorELNS0_4arch9wavefront6targetE1EEEvT1_
    .private_segment_fixed_size: 0
    .sgpr_count:     6
    .sgpr_spill_count: 0
    .symbol:         _ZN7rocprim17ROCPRIM_400000_NS6detail17trampoline_kernelINS0_14default_configENS1_20scan_config_selectorIfEEZZNS1_9scan_implILNS1_25lookback_scan_determinismE0ELb0ELb0ES3_PKfPffZZZN2at6native31launch_logcumsumexp_cuda_kernelERKNSB_10TensorBaseESF_lENKUlvE_clEvENKUlvE0_clEvEUlffE_fEEDaPvRmT3_T4_T5_mT6_P12ihipStream_tbENKUlT_T0_E_clISt17integral_constantIbLb0EESW_EEDaSR_SS_EUlSR_E_NS1_11comp_targetILNS1_3genE10ELNS1_11target_archE1200ELNS1_3gpuE4ELNS1_3repE0EEENS1_30default_config_static_selectorELNS0_4arch9wavefront6targetE1EEEvT1_.kd
    .uniform_work_group_size: 1
    .uses_dynamic_stack: false
    .vgpr_count:     0
    .vgpr_spill_count: 0
    .wavefront_size: 64
  - .agpr_count:     0
    .args:
      - .offset:         0
        .size:           96
        .value_kind:     by_value
    .group_segment_fixed_size: 0
    .kernarg_segment_align: 8
    .kernarg_segment_size: 96
    .language:       OpenCL C
    .language_version:
      - 2
      - 0
    .max_flat_workgroup_size: 256
    .name:           _ZN7rocprim17ROCPRIM_400000_NS6detail17trampoline_kernelINS0_14default_configENS1_20scan_config_selectorIfEEZZNS1_9scan_implILNS1_25lookback_scan_determinismE0ELb0ELb0ES3_PKfPffZZZN2at6native31launch_logcumsumexp_cuda_kernelERKNSB_10TensorBaseESF_lENKUlvE_clEvENKUlvE0_clEvEUlffE_fEEDaPvRmT3_T4_T5_mT6_P12ihipStream_tbENKUlT_T0_E_clISt17integral_constantIbLb0EESW_EEDaSR_SS_EUlSR_E_NS1_11comp_targetILNS1_3genE9ELNS1_11target_archE1100ELNS1_3gpuE3ELNS1_3repE0EEENS1_30default_config_static_selectorELNS0_4arch9wavefront6targetE1EEEvT1_
    .private_segment_fixed_size: 0
    .sgpr_count:     6
    .sgpr_spill_count: 0
    .symbol:         _ZN7rocprim17ROCPRIM_400000_NS6detail17trampoline_kernelINS0_14default_configENS1_20scan_config_selectorIfEEZZNS1_9scan_implILNS1_25lookback_scan_determinismE0ELb0ELb0ES3_PKfPffZZZN2at6native31launch_logcumsumexp_cuda_kernelERKNSB_10TensorBaseESF_lENKUlvE_clEvENKUlvE0_clEvEUlffE_fEEDaPvRmT3_T4_T5_mT6_P12ihipStream_tbENKUlT_T0_E_clISt17integral_constantIbLb0EESW_EEDaSR_SS_EUlSR_E_NS1_11comp_targetILNS1_3genE9ELNS1_11target_archE1100ELNS1_3gpuE3ELNS1_3repE0EEENS1_30default_config_static_selectorELNS0_4arch9wavefront6targetE1EEEvT1_.kd
    .uniform_work_group_size: 1
    .uses_dynamic_stack: false
    .vgpr_count:     0
    .vgpr_spill_count: 0
    .wavefront_size: 64
  - .agpr_count:     0
    .args:
      - .offset:         0
        .size:           96
        .value_kind:     by_value
    .group_segment_fixed_size: 0
    .kernarg_segment_align: 8
    .kernarg_segment_size: 96
    .language:       OpenCL C
    .language_version:
      - 2
      - 0
    .max_flat_workgroup_size: 64
    .name:           _ZN7rocprim17ROCPRIM_400000_NS6detail17trampoline_kernelINS0_14default_configENS1_20scan_config_selectorIfEEZZNS1_9scan_implILNS1_25lookback_scan_determinismE0ELb0ELb0ES3_PKfPffZZZN2at6native31launch_logcumsumexp_cuda_kernelERKNSB_10TensorBaseESF_lENKUlvE_clEvENKUlvE0_clEvEUlffE_fEEDaPvRmT3_T4_T5_mT6_P12ihipStream_tbENKUlT_T0_E_clISt17integral_constantIbLb0EESW_EEDaSR_SS_EUlSR_E_NS1_11comp_targetILNS1_3genE8ELNS1_11target_archE1030ELNS1_3gpuE2ELNS1_3repE0EEENS1_30default_config_static_selectorELNS0_4arch9wavefront6targetE1EEEvT1_
    .private_segment_fixed_size: 0
    .sgpr_count:     6
    .sgpr_spill_count: 0
    .symbol:         _ZN7rocprim17ROCPRIM_400000_NS6detail17trampoline_kernelINS0_14default_configENS1_20scan_config_selectorIfEEZZNS1_9scan_implILNS1_25lookback_scan_determinismE0ELb0ELb0ES3_PKfPffZZZN2at6native31launch_logcumsumexp_cuda_kernelERKNSB_10TensorBaseESF_lENKUlvE_clEvENKUlvE0_clEvEUlffE_fEEDaPvRmT3_T4_T5_mT6_P12ihipStream_tbENKUlT_T0_E_clISt17integral_constantIbLb0EESW_EEDaSR_SS_EUlSR_E_NS1_11comp_targetILNS1_3genE8ELNS1_11target_archE1030ELNS1_3gpuE2ELNS1_3repE0EEENS1_30default_config_static_selectorELNS0_4arch9wavefront6targetE1EEEvT1_.kd
    .uniform_work_group_size: 1
    .uses_dynamic_stack: false
    .vgpr_count:     0
    .vgpr_spill_count: 0
    .wavefront_size: 64
  - .agpr_count:     0
    .args:
      - .offset:         0
        .size:           40
        .value_kind:     by_value
      - .offset:         40
        .size:           4
        .value_kind:     hidden_block_count_x
      - .offset:         44
        .size:           4
        .value_kind:     hidden_block_count_y
      - .offset:         48
        .size:           4
        .value_kind:     hidden_block_count_z
      - .offset:         52
        .size:           2
        .value_kind:     hidden_group_size_x
      - .offset:         54
        .size:           2
        .value_kind:     hidden_group_size_y
      - .offset:         56
        .size:           2
        .value_kind:     hidden_group_size_z
      - .offset:         58
        .size:           2
        .value_kind:     hidden_remainder_x
      - .offset:         60
        .size:           2
        .value_kind:     hidden_remainder_y
      - .offset:         62
        .size:           2
        .value_kind:     hidden_remainder_z
      - .offset:         80
        .size:           8
        .value_kind:     hidden_global_offset_x
      - .offset:         88
        .size:           8
        .value_kind:     hidden_global_offset_y
      - .offset:         96
        .size:           8
        .value_kind:     hidden_global_offset_z
      - .offset:         104
        .size:           2
        .value_kind:     hidden_grid_dims
    .group_segment_fixed_size: 0
    .kernarg_segment_align: 8
    .kernarg_segment_size: 296
    .language:       OpenCL C
    .language_version:
      - 2
      - 0
    .max_flat_workgroup_size: 128
    .name:           _ZN7rocprim17ROCPRIM_400000_NS6detail17trampoline_kernelINS0_14default_configENS1_25transform_config_selectorIfLb1EEEZNS1_14transform_implILb1ES3_S5_PfS7_NS0_8identityIfEEEE10hipError_tT2_T3_mT4_P12ihipStream_tbEUlT_E_NS1_11comp_targetILNS1_3genE0ELNS1_11target_archE4294967295ELNS1_3gpuE0ELNS1_3repE0EEENS1_30default_config_static_selectorELNS0_4arch9wavefront6targetE1EEEvT1_
    .private_segment_fixed_size: 0
    .sgpr_count:     20
    .sgpr_spill_count: 0
    .symbol:         _ZN7rocprim17ROCPRIM_400000_NS6detail17trampoline_kernelINS0_14default_configENS1_25transform_config_selectorIfLb1EEEZNS1_14transform_implILb1ES3_S5_PfS7_NS0_8identityIfEEEE10hipError_tT2_T3_mT4_P12ihipStream_tbEUlT_E_NS1_11comp_targetILNS1_3genE0ELNS1_11target_archE4294967295ELNS1_3gpuE0ELNS1_3repE0EEENS1_30default_config_static_selectorELNS0_4arch9wavefront6targetE1EEEvT1_.kd
    .uniform_work_group_size: 1
    .uses_dynamic_stack: false
    .vgpr_count:     6
    .vgpr_spill_count: 0
    .wavefront_size: 64
  - .agpr_count:     0
    .args:
      - .offset:         0
        .size:           40
        .value_kind:     by_value
    .group_segment_fixed_size: 0
    .kernarg_segment_align: 8
    .kernarg_segment_size: 40
    .language:       OpenCL C
    .language_version:
      - 2
      - 0
    .max_flat_workgroup_size: 1024
    .name:           _ZN7rocprim17ROCPRIM_400000_NS6detail17trampoline_kernelINS0_14default_configENS1_25transform_config_selectorIfLb1EEEZNS1_14transform_implILb1ES3_S5_PfS7_NS0_8identityIfEEEE10hipError_tT2_T3_mT4_P12ihipStream_tbEUlT_E_NS1_11comp_targetILNS1_3genE10ELNS1_11target_archE1201ELNS1_3gpuE5ELNS1_3repE0EEENS1_30default_config_static_selectorELNS0_4arch9wavefront6targetE1EEEvT1_
    .private_segment_fixed_size: 0
    .sgpr_count:     6
    .sgpr_spill_count: 0
    .symbol:         _ZN7rocprim17ROCPRIM_400000_NS6detail17trampoline_kernelINS0_14default_configENS1_25transform_config_selectorIfLb1EEEZNS1_14transform_implILb1ES3_S5_PfS7_NS0_8identityIfEEEE10hipError_tT2_T3_mT4_P12ihipStream_tbEUlT_E_NS1_11comp_targetILNS1_3genE10ELNS1_11target_archE1201ELNS1_3gpuE5ELNS1_3repE0EEENS1_30default_config_static_selectorELNS0_4arch9wavefront6targetE1EEEvT1_.kd
    .uniform_work_group_size: 1
    .uses_dynamic_stack: false
    .vgpr_count:     0
    .vgpr_spill_count: 0
    .wavefront_size: 64
  - .agpr_count:     0
    .args:
      - .offset:         0
        .size:           40
        .value_kind:     by_value
    .group_segment_fixed_size: 0
    .kernarg_segment_align: 8
    .kernarg_segment_size: 40
    .language:       OpenCL C
    .language_version:
      - 2
      - 0
    .max_flat_workgroup_size: 256
    .name:           _ZN7rocprim17ROCPRIM_400000_NS6detail17trampoline_kernelINS0_14default_configENS1_25transform_config_selectorIfLb1EEEZNS1_14transform_implILb1ES3_S5_PfS7_NS0_8identityIfEEEE10hipError_tT2_T3_mT4_P12ihipStream_tbEUlT_E_NS1_11comp_targetILNS1_3genE5ELNS1_11target_archE942ELNS1_3gpuE9ELNS1_3repE0EEENS1_30default_config_static_selectorELNS0_4arch9wavefront6targetE1EEEvT1_
    .private_segment_fixed_size: 0
    .sgpr_count:     6
    .sgpr_spill_count: 0
    .symbol:         _ZN7rocprim17ROCPRIM_400000_NS6detail17trampoline_kernelINS0_14default_configENS1_25transform_config_selectorIfLb1EEEZNS1_14transform_implILb1ES3_S5_PfS7_NS0_8identityIfEEEE10hipError_tT2_T3_mT4_P12ihipStream_tbEUlT_E_NS1_11comp_targetILNS1_3genE5ELNS1_11target_archE942ELNS1_3gpuE9ELNS1_3repE0EEENS1_30default_config_static_selectorELNS0_4arch9wavefront6targetE1EEEvT1_.kd
    .uniform_work_group_size: 1
    .uses_dynamic_stack: false
    .vgpr_count:     0
    .vgpr_spill_count: 0
    .wavefront_size: 64
  - .agpr_count:     0
    .args:
      - .offset:         0
        .size:           40
        .value_kind:     by_value
    .group_segment_fixed_size: 0
    .kernarg_segment_align: 8
    .kernarg_segment_size: 40
    .language:       OpenCL C
    .language_version:
      - 2
      - 0
    .max_flat_workgroup_size: 1024
    .name:           _ZN7rocprim17ROCPRIM_400000_NS6detail17trampoline_kernelINS0_14default_configENS1_25transform_config_selectorIfLb1EEEZNS1_14transform_implILb1ES3_S5_PfS7_NS0_8identityIfEEEE10hipError_tT2_T3_mT4_P12ihipStream_tbEUlT_E_NS1_11comp_targetILNS1_3genE4ELNS1_11target_archE910ELNS1_3gpuE8ELNS1_3repE0EEENS1_30default_config_static_selectorELNS0_4arch9wavefront6targetE1EEEvT1_
    .private_segment_fixed_size: 0
    .sgpr_count:     6
    .sgpr_spill_count: 0
    .symbol:         _ZN7rocprim17ROCPRIM_400000_NS6detail17trampoline_kernelINS0_14default_configENS1_25transform_config_selectorIfLb1EEEZNS1_14transform_implILb1ES3_S5_PfS7_NS0_8identityIfEEEE10hipError_tT2_T3_mT4_P12ihipStream_tbEUlT_E_NS1_11comp_targetILNS1_3genE4ELNS1_11target_archE910ELNS1_3gpuE8ELNS1_3repE0EEENS1_30default_config_static_selectorELNS0_4arch9wavefront6targetE1EEEvT1_.kd
    .uniform_work_group_size: 1
    .uses_dynamic_stack: false
    .vgpr_count:     0
    .vgpr_spill_count: 0
    .wavefront_size: 64
  - .agpr_count:     0
    .args:
      - .offset:         0
        .size:           40
        .value_kind:     by_value
    .group_segment_fixed_size: 0
    .kernarg_segment_align: 8
    .kernarg_segment_size: 40
    .language:       OpenCL C
    .language_version:
      - 2
      - 0
    .max_flat_workgroup_size: 128
    .name:           _ZN7rocprim17ROCPRIM_400000_NS6detail17trampoline_kernelINS0_14default_configENS1_25transform_config_selectorIfLb1EEEZNS1_14transform_implILb1ES3_S5_PfS7_NS0_8identityIfEEEE10hipError_tT2_T3_mT4_P12ihipStream_tbEUlT_E_NS1_11comp_targetILNS1_3genE3ELNS1_11target_archE908ELNS1_3gpuE7ELNS1_3repE0EEENS1_30default_config_static_selectorELNS0_4arch9wavefront6targetE1EEEvT1_
    .private_segment_fixed_size: 0
    .sgpr_count:     6
    .sgpr_spill_count: 0
    .symbol:         _ZN7rocprim17ROCPRIM_400000_NS6detail17trampoline_kernelINS0_14default_configENS1_25transform_config_selectorIfLb1EEEZNS1_14transform_implILb1ES3_S5_PfS7_NS0_8identityIfEEEE10hipError_tT2_T3_mT4_P12ihipStream_tbEUlT_E_NS1_11comp_targetILNS1_3genE3ELNS1_11target_archE908ELNS1_3gpuE7ELNS1_3repE0EEENS1_30default_config_static_selectorELNS0_4arch9wavefront6targetE1EEEvT1_.kd
    .uniform_work_group_size: 1
    .uses_dynamic_stack: false
    .vgpr_count:     0
    .vgpr_spill_count: 0
    .wavefront_size: 64
  - .agpr_count:     0
    .args:
      - .offset:         0
        .size:           40
        .value_kind:     by_value
    .group_segment_fixed_size: 0
    .kernarg_segment_align: 8
    .kernarg_segment_size: 40
    .language:       OpenCL C
    .language_version:
      - 2
      - 0
    .max_flat_workgroup_size: 1024
    .name:           _ZN7rocprim17ROCPRIM_400000_NS6detail17trampoline_kernelINS0_14default_configENS1_25transform_config_selectorIfLb1EEEZNS1_14transform_implILb1ES3_S5_PfS7_NS0_8identityIfEEEE10hipError_tT2_T3_mT4_P12ihipStream_tbEUlT_E_NS1_11comp_targetILNS1_3genE2ELNS1_11target_archE906ELNS1_3gpuE6ELNS1_3repE0EEENS1_30default_config_static_selectorELNS0_4arch9wavefront6targetE1EEEvT1_
    .private_segment_fixed_size: 0
    .sgpr_count:     6
    .sgpr_spill_count: 0
    .symbol:         _ZN7rocprim17ROCPRIM_400000_NS6detail17trampoline_kernelINS0_14default_configENS1_25transform_config_selectorIfLb1EEEZNS1_14transform_implILb1ES3_S5_PfS7_NS0_8identityIfEEEE10hipError_tT2_T3_mT4_P12ihipStream_tbEUlT_E_NS1_11comp_targetILNS1_3genE2ELNS1_11target_archE906ELNS1_3gpuE6ELNS1_3repE0EEENS1_30default_config_static_selectorELNS0_4arch9wavefront6targetE1EEEvT1_.kd
    .uniform_work_group_size: 1
    .uses_dynamic_stack: false
    .vgpr_count:     0
    .vgpr_spill_count: 0
    .wavefront_size: 64
  - .agpr_count:     0
    .args:
      - .offset:         0
        .size:           40
        .value_kind:     by_value
    .group_segment_fixed_size: 0
    .kernarg_segment_align: 8
    .kernarg_segment_size: 40
    .language:       OpenCL C
    .language_version:
      - 2
      - 0
    .max_flat_workgroup_size: 1024
    .name:           _ZN7rocprim17ROCPRIM_400000_NS6detail17trampoline_kernelINS0_14default_configENS1_25transform_config_selectorIfLb1EEEZNS1_14transform_implILb1ES3_S5_PfS7_NS0_8identityIfEEEE10hipError_tT2_T3_mT4_P12ihipStream_tbEUlT_E_NS1_11comp_targetILNS1_3genE9ELNS1_11target_archE1100ELNS1_3gpuE3ELNS1_3repE0EEENS1_30default_config_static_selectorELNS0_4arch9wavefront6targetE1EEEvT1_
    .private_segment_fixed_size: 0
    .sgpr_count:     6
    .sgpr_spill_count: 0
    .symbol:         _ZN7rocprim17ROCPRIM_400000_NS6detail17trampoline_kernelINS0_14default_configENS1_25transform_config_selectorIfLb1EEEZNS1_14transform_implILb1ES3_S5_PfS7_NS0_8identityIfEEEE10hipError_tT2_T3_mT4_P12ihipStream_tbEUlT_E_NS1_11comp_targetILNS1_3genE9ELNS1_11target_archE1100ELNS1_3gpuE3ELNS1_3repE0EEENS1_30default_config_static_selectorELNS0_4arch9wavefront6targetE1EEEvT1_.kd
    .uniform_work_group_size: 1
    .uses_dynamic_stack: false
    .vgpr_count:     0
    .vgpr_spill_count: 0
    .wavefront_size: 64
  - .agpr_count:     0
    .args:
      - .offset:         0
        .size:           40
        .value_kind:     by_value
    .group_segment_fixed_size: 0
    .kernarg_segment_align: 8
    .kernarg_segment_size: 40
    .language:       OpenCL C
    .language_version:
      - 2
      - 0
    .max_flat_workgroup_size: 1024
    .name:           _ZN7rocprim17ROCPRIM_400000_NS6detail17trampoline_kernelINS0_14default_configENS1_25transform_config_selectorIfLb1EEEZNS1_14transform_implILb1ES3_S5_PfS7_NS0_8identityIfEEEE10hipError_tT2_T3_mT4_P12ihipStream_tbEUlT_E_NS1_11comp_targetILNS1_3genE8ELNS1_11target_archE1030ELNS1_3gpuE2ELNS1_3repE0EEENS1_30default_config_static_selectorELNS0_4arch9wavefront6targetE1EEEvT1_
    .private_segment_fixed_size: 0
    .sgpr_count:     6
    .sgpr_spill_count: 0
    .symbol:         _ZN7rocprim17ROCPRIM_400000_NS6detail17trampoline_kernelINS0_14default_configENS1_25transform_config_selectorIfLb1EEEZNS1_14transform_implILb1ES3_S5_PfS7_NS0_8identityIfEEEE10hipError_tT2_T3_mT4_P12ihipStream_tbEUlT_E_NS1_11comp_targetILNS1_3genE8ELNS1_11target_archE1030ELNS1_3gpuE2ELNS1_3repE0EEENS1_30default_config_static_selectorELNS0_4arch9wavefront6targetE1EEEvT1_.kd
    .uniform_work_group_size: 1
    .uses_dynamic_stack: false
    .vgpr_count:     0
    .vgpr_spill_count: 0
    .wavefront_size: 64
  - .agpr_count:     0
    .args:
      - .offset:         0
        .size:           32
        .value_kind:     by_value
    .group_segment_fixed_size: 14336
    .kernarg_segment_align: 8
    .kernarg_segment_size: 32
    .language:       OpenCL C
    .language_version:
      - 2
      - 0
    .max_flat_workgroup_size: 256
    .name:           _ZN7rocprim17ROCPRIM_400000_NS6detail17trampoline_kernelINS0_14default_configENS1_20scan_config_selectorIfEEZZNS1_9scan_implILNS1_25lookback_scan_determinismE0ELb0ELb0ES3_PKfPffZZZN2at6native31launch_logcumsumexp_cuda_kernelERKNSB_10TensorBaseESF_lENKUlvE_clEvENKUlvE0_clEvEUlffE_fEEDaPvRmT3_T4_T5_mT6_P12ihipStream_tbENKUlT_T0_E_clISt17integral_constantIbLb0EESW_EEDaSR_SS_EUlSR_E0_NS1_11comp_targetILNS1_3genE0ELNS1_11target_archE4294967295ELNS1_3gpuE0ELNS1_3repE0EEENS1_30default_config_static_selectorELNS0_4arch9wavefront6targetE1EEEvT1_
    .private_segment_fixed_size: 0
    .sgpr_count:     75
    .sgpr_spill_count: 0
    .symbol:         _ZN7rocprim17ROCPRIM_400000_NS6detail17trampoline_kernelINS0_14default_configENS1_20scan_config_selectorIfEEZZNS1_9scan_implILNS1_25lookback_scan_determinismE0ELb0ELb0ES3_PKfPffZZZN2at6native31launch_logcumsumexp_cuda_kernelERKNSB_10TensorBaseESF_lENKUlvE_clEvENKUlvE0_clEvEUlffE_fEEDaPvRmT3_T4_T5_mT6_P12ihipStream_tbENKUlT_T0_E_clISt17integral_constantIbLb0EESW_EEDaSR_SS_EUlSR_E0_NS1_11comp_targetILNS1_3genE0ELNS1_11target_archE4294967295ELNS1_3gpuE0ELNS1_3repE0EEENS1_30default_config_static_selectorELNS0_4arch9wavefront6targetE1EEEvT1_.kd
    .uniform_work_group_size: 1
    .uses_dynamic_stack: false
    .vgpr_count:     55
    .vgpr_spill_count: 0
    .wavefront_size: 64
  - .agpr_count:     0
    .args:
      - .offset:         0
        .size:           32
        .value_kind:     by_value
    .group_segment_fixed_size: 0
    .kernarg_segment_align: 8
    .kernarg_segment_size: 32
    .language:       OpenCL C
    .language_version:
      - 2
      - 0
    .max_flat_workgroup_size: 256
    .name:           _ZN7rocprim17ROCPRIM_400000_NS6detail17trampoline_kernelINS0_14default_configENS1_20scan_config_selectorIfEEZZNS1_9scan_implILNS1_25lookback_scan_determinismE0ELb0ELb0ES3_PKfPffZZZN2at6native31launch_logcumsumexp_cuda_kernelERKNSB_10TensorBaseESF_lENKUlvE_clEvENKUlvE0_clEvEUlffE_fEEDaPvRmT3_T4_T5_mT6_P12ihipStream_tbENKUlT_T0_E_clISt17integral_constantIbLb0EESW_EEDaSR_SS_EUlSR_E0_NS1_11comp_targetILNS1_3genE5ELNS1_11target_archE942ELNS1_3gpuE9ELNS1_3repE0EEENS1_30default_config_static_selectorELNS0_4arch9wavefront6targetE1EEEvT1_
    .private_segment_fixed_size: 0
    .sgpr_count:     6
    .sgpr_spill_count: 0
    .symbol:         _ZN7rocprim17ROCPRIM_400000_NS6detail17trampoline_kernelINS0_14default_configENS1_20scan_config_selectorIfEEZZNS1_9scan_implILNS1_25lookback_scan_determinismE0ELb0ELb0ES3_PKfPffZZZN2at6native31launch_logcumsumexp_cuda_kernelERKNSB_10TensorBaseESF_lENKUlvE_clEvENKUlvE0_clEvEUlffE_fEEDaPvRmT3_T4_T5_mT6_P12ihipStream_tbENKUlT_T0_E_clISt17integral_constantIbLb0EESW_EEDaSR_SS_EUlSR_E0_NS1_11comp_targetILNS1_3genE5ELNS1_11target_archE942ELNS1_3gpuE9ELNS1_3repE0EEENS1_30default_config_static_selectorELNS0_4arch9wavefront6targetE1EEEvT1_.kd
    .uniform_work_group_size: 1
    .uses_dynamic_stack: false
    .vgpr_count:     0
    .vgpr_spill_count: 0
    .wavefront_size: 64
  - .agpr_count:     0
    .args:
      - .offset:         0
        .size:           32
        .value_kind:     by_value
    .group_segment_fixed_size: 0
    .kernarg_segment_align: 8
    .kernarg_segment_size: 32
    .language:       OpenCL C
    .language_version:
      - 2
      - 0
    .max_flat_workgroup_size: 128
    .name:           _ZN7rocprim17ROCPRIM_400000_NS6detail17trampoline_kernelINS0_14default_configENS1_20scan_config_selectorIfEEZZNS1_9scan_implILNS1_25lookback_scan_determinismE0ELb0ELb0ES3_PKfPffZZZN2at6native31launch_logcumsumexp_cuda_kernelERKNSB_10TensorBaseESF_lENKUlvE_clEvENKUlvE0_clEvEUlffE_fEEDaPvRmT3_T4_T5_mT6_P12ihipStream_tbENKUlT_T0_E_clISt17integral_constantIbLb0EESW_EEDaSR_SS_EUlSR_E0_NS1_11comp_targetILNS1_3genE4ELNS1_11target_archE910ELNS1_3gpuE8ELNS1_3repE0EEENS1_30default_config_static_selectorELNS0_4arch9wavefront6targetE1EEEvT1_
    .private_segment_fixed_size: 0
    .sgpr_count:     6
    .sgpr_spill_count: 0
    .symbol:         _ZN7rocprim17ROCPRIM_400000_NS6detail17trampoline_kernelINS0_14default_configENS1_20scan_config_selectorIfEEZZNS1_9scan_implILNS1_25lookback_scan_determinismE0ELb0ELb0ES3_PKfPffZZZN2at6native31launch_logcumsumexp_cuda_kernelERKNSB_10TensorBaseESF_lENKUlvE_clEvENKUlvE0_clEvEUlffE_fEEDaPvRmT3_T4_T5_mT6_P12ihipStream_tbENKUlT_T0_E_clISt17integral_constantIbLb0EESW_EEDaSR_SS_EUlSR_E0_NS1_11comp_targetILNS1_3genE4ELNS1_11target_archE910ELNS1_3gpuE8ELNS1_3repE0EEENS1_30default_config_static_selectorELNS0_4arch9wavefront6targetE1EEEvT1_.kd
    .uniform_work_group_size: 1
    .uses_dynamic_stack: false
    .vgpr_count:     0
    .vgpr_spill_count: 0
    .wavefront_size: 64
  - .agpr_count:     0
    .args:
      - .offset:         0
        .size:           32
        .value_kind:     by_value
    .group_segment_fixed_size: 0
    .kernarg_segment_align: 8
    .kernarg_segment_size: 32
    .language:       OpenCL C
    .language_version:
      - 2
      - 0
    .max_flat_workgroup_size: 256
    .name:           _ZN7rocprim17ROCPRIM_400000_NS6detail17trampoline_kernelINS0_14default_configENS1_20scan_config_selectorIfEEZZNS1_9scan_implILNS1_25lookback_scan_determinismE0ELb0ELb0ES3_PKfPffZZZN2at6native31launch_logcumsumexp_cuda_kernelERKNSB_10TensorBaseESF_lENKUlvE_clEvENKUlvE0_clEvEUlffE_fEEDaPvRmT3_T4_T5_mT6_P12ihipStream_tbENKUlT_T0_E_clISt17integral_constantIbLb0EESW_EEDaSR_SS_EUlSR_E0_NS1_11comp_targetILNS1_3genE3ELNS1_11target_archE908ELNS1_3gpuE7ELNS1_3repE0EEENS1_30default_config_static_selectorELNS0_4arch9wavefront6targetE1EEEvT1_
    .private_segment_fixed_size: 0
    .sgpr_count:     6
    .sgpr_spill_count: 0
    .symbol:         _ZN7rocprim17ROCPRIM_400000_NS6detail17trampoline_kernelINS0_14default_configENS1_20scan_config_selectorIfEEZZNS1_9scan_implILNS1_25lookback_scan_determinismE0ELb0ELb0ES3_PKfPffZZZN2at6native31launch_logcumsumexp_cuda_kernelERKNSB_10TensorBaseESF_lENKUlvE_clEvENKUlvE0_clEvEUlffE_fEEDaPvRmT3_T4_T5_mT6_P12ihipStream_tbENKUlT_T0_E_clISt17integral_constantIbLb0EESW_EEDaSR_SS_EUlSR_E0_NS1_11comp_targetILNS1_3genE3ELNS1_11target_archE908ELNS1_3gpuE7ELNS1_3repE0EEENS1_30default_config_static_selectorELNS0_4arch9wavefront6targetE1EEEvT1_.kd
    .uniform_work_group_size: 1
    .uses_dynamic_stack: false
    .vgpr_count:     0
    .vgpr_spill_count: 0
    .wavefront_size: 64
  - .agpr_count:     0
    .args:
      - .offset:         0
        .size:           32
        .value_kind:     by_value
    .group_segment_fixed_size: 0
    .kernarg_segment_align: 8
    .kernarg_segment_size: 32
    .language:       OpenCL C
    .language_version:
      - 2
      - 0
    .max_flat_workgroup_size: 256
    .name:           _ZN7rocprim17ROCPRIM_400000_NS6detail17trampoline_kernelINS0_14default_configENS1_20scan_config_selectorIfEEZZNS1_9scan_implILNS1_25lookback_scan_determinismE0ELb0ELb0ES3_PKfPffZZZN2at6native31launch_logcumsumexp_cuda_kernelERKNSB_10TensorBaseESF_lENKUlvE_clEvENKUlvE0_clEvEUlffE_fEEDaPvRmT3_T4_T5_mT6_P12ihipStream_tbENKUlT_T0_E_clISt17integral_constantIbLb0EESW_EEDaSR_SS_EUlSR_E0_NS1_11comp_targetILNS1_3genE2ELNS1_11target_archE906ELNS1_3gpuE6ELNS1_3repE0EEENS1_30default_config_static_selectorELNS0_4arch9wavefront6targetE1EEEvT1_
    .private_segment_fixed_size: 0
    .sgpr_count:     6
    .sgpr_spill_count: 0
    .symbol:         _ZN7rocprim17ROCPRIM_400000_NS6detail17trampoline_kernelINS0_14default_configENS1_20scan_config_selectorIfEEZZNS1_9scan_implILNS1_25lookback_scan_determinismE0ELb0ELb0ES3_PKfPffZZZN2at6native31launch_logcumsumexp_cuda_kernelERKNSB_10TensorBaseESF_lENKUlvE_clEvENKUlvE0_clEvEUlffE_fEEDaPvRmT3_T4_T5_mT6_P12ihipStream_tbENKUlT_T0_E_clISt17integral_constantIbLb0EESW_EEDaSR_SS_EUlSR_E0_NS1_11comp_targetILNS1_3genE2ELNS1_11target_archE906ELNS1_3gpuE6ELNS1_3repE0EEENS1_30default_config_static_selectorELNS0_4arch9wavefront6targetE1EEEvT1_.kd
    .uniform_work_group_size: 1
    .uses_dynamic_stack: false
    .vgpr_count:     0
    .vgpr_spill_count: 0
    .wavefront_size: 64
  - .agpr_count:     0
    .args:
      - .offset:         0
        .size:           32
        .value_kind:     by_value
    .group_segment_fixed_size: 0
    .kernarg_segment_align: 8
    .kernarg_segment_size: 32
    .language:       OpenCL C
    .language_version:
      - 2
      - 0
    .max_flat_workgroup_size: 256
    .name:           _ZN7rocprim17ROCPRIM_400000_NS6detail17trampoline_kernelINS0_14default_configENS1_20scan_config_selectorIfEEZZNS1_9scan_implILNS1_25lookback_scan_determinismE0ELb0ELb0ES3_PKfPffZZZN2at6native31launch_logcumsumexp_cuda_kernelERKNSB_10TensorBaseESF_lENKUlvE_clEvENKUlvE0_clEvEUlffE_fEEDaPvRmT3_T4_T5_mT6_P12ihipStream_tbENKUlT_T0_E_clISt17integral_constantIbLb0EESW_EEDaSR_SS_EUlSR_E0_NS1_11comp_targetILNS1_3genE10ELNS1_11target_archE1201ELNS1_3gpuE5ELNS1_3repE0EEENS1_30default_config_static_selectorELNS0_4arch9wavefront6targetE1EEEvT1_
    .private_segment_fixed_size: 0
    .sgpr_count:     6
    .sgpr_spill_count: 0
    .symbol:         _ZN7rocprim17ROCPRIM_400000_NS6detail17trampoline_kernelINS0_14default_configENS1_20scan_config_selectorIfEEZZNS1_9scan_implILNS1_25lookback_scan_determinismE0ELb0ELb0ES3_PKfPffZZZN2at6native31launch_logcumsumexp_cuda_kernelERKNSB_10TensorBaseESF_lENKUlvE_clEvENKUlvE0_clEvEUlffE_fEEDaPvRmT3_T4_T5_mT6_P12ihipStream_tbENKUlT_T0_E_clISt17integral_constantIbLb0EESW_EEDaSR_SS_EUlSR_E0_NS1_11comp_targetILNS1_3genE10ELNS1_11target_archE1201ELNS1_3gpuE5ELNS1_3repE0EEENS1_30default_config_static_selectorELNS0_4arch9wavefront6targetE1EEEvT1_.kd
    .uniform_work_group_size: 1
    .uses_dynamic_stack: false
    .vgpr_count:     0
    .vgpr_spill_count: 0
    .wavefront_size: 64
  - .agpr_count:     0
    .args:
      - .offset:         0
        .size:           32
        .value_kind:     by_value
    .group_segment_fixed_size: 0
    .kernarg_segment_align: 8
    .kernarg_segment_size: 32
    .language:       OpenCL C
    .language_version:
      - 2
      - 0
    .max_flat_workgroup_size: 256
    .name:           _ZN7rocprim17ROCPRIM_400000_NS6detail17trampoline_kernelINS0_14default_configENS1_20scan_config_selectorIfEEZZNS1_9scan_implILNS1_25lookback_scan_determinismE0ELb0ELb0ES3_PKfPffZZZN2at6native31launch_logcumsumexp_cuda_kernelERKNSB_10TensorBaseESF_lENKUlvE_clEvENKUlvE0_clEvEUlffE_fEEDaPvRmT3_T4_T5_mT6_P12ihipStream_tbENKUlT_T0_E_clISt17integral_constantIbLb0EESW_EEDaSR_SS_EUlSR_E0_NS1_11comp_targetILNS1_3genE10ELNS1_11target_archE1200ELNS1_3gpuE4ELNS1_3repE0EEENS1_30default_config_static_selectorELNS0_4arch9wavefront6targetE1EEEvT1_
    .private_segment_fixed_size: 0
    .sgpr_count:     6
    .sgpr_spill_count: 0
    .symbol:         _ZN7rocprim17ROCPRIM_400000_NS6detail17trampoline_kernelINS0_14default_configENS1_20scan_config_selectorIfEEZZNS1_9scan_implILNS1_25lookback_scan_determinismE0ELb0ELb0ES3_PKfPffZZZN2at6native31launch_logcumsumexp_cuda_kernelERKNSB_10TensorBaseESF_lENKUlvE_clEvENKUlvE0_clEvEUlffE_fEEDaPvRmT3_T4_T5_mT6_P12ihipStream_tbENKUlT_T0_E_clISt17integral_constantIbLb0EESW_EEDaSR_SS_EUlSR_E0_NS1_11comp_targetILNS1_3genE10ELNS1_11target_archE1200ELNS1_3gpuE4ELNS1_3repE0EEENS1_30default_config_static_selectorELNS0_4arch9wavefront6targetE1EEEvT1_.kd
    .uniform_work_group_size: 1
    .uses_dynamic_stack: false
    .vgpr_count:     0
    .vgpr_spill_count: 0
    .wavefront_size: 64
  - .agpr_count:     0
    .args:
      - .offset:         0
        .size:           32
        .value_kind:     by_value
    .group_segment_fixed_size: 0
    .kernarg_segment_align: 8
    .kernarg_segment_size: 32
    .language:       OpenCL C
    .language_version:
      - 2
      - 0
    .max_flat_workgroup_size: 256
    .name:           _ZN7rocprim17ROCPRIM_400000_NS6detail17trampoline_kernelINS0_14default_configENS1_20scan_config_selectorIfEEZZNS1_9scan_implILNS1_25lookback_scan_determinismE0ELb0ELb0ES3_PKfPffZZZN2at6native31launch_logcumsumexp_cuda_kernelERKNSB_10TensorBaseESF_lENKUlvE_clEvENKUlvE0_clEvEUlffE_fEEDaPvRmT3_T4_T5_mT6_P12ihipStream_tbENKUlT_T0_E_clISt17integral_constantIbLb0EESW_EEDaSR_SS_EUlSR_E0_NS1_11comp_targetILNS1_3genE9ELNS1_11target_archE1100ELNS1_3gpuE3ELNS1_3repE0EEENS1_30default_config_static_selectorELNS0_4arch9wavefront6targetE1EEEvT1_
    .private_segment_fixed_size: 0
    .sgpr_count:     6
    .sgpr_spill_count: 0
    .symbol:         _ZN7rocprim17ROCPRIM_400000_NS6detail17trampoline_kernelINS0_14default_configENS1_20scan_config_selectorIfEEZZNS1_9scan_implILNS1_25lookback_scan_determinismE0ELb0ELb0ES3_PKfPffZZZN2at6native31launch_logcumsumexp_cuda_kernelERKNSB_10TensorBaseESF_lENKUlvE_clEvENKUlvE0_clEvEUlffE_fEEDaPvRmT3_T4_T5_mT6_P12ihipStream_tbENKUlT_T0_E_clISt17integral_constantIbLb0EESW_EEDaSR_SS_EUlSR_E0_NS1_11comp_targetILNS1_3genE9ELNS1_11target_archE1100ELNS1_3gpuE3ELNS1_3repE0EEENS1_30default_config_static_selectorELNS0_4arch9wavefront6targetE1EEEvT1_.kd
    .uniform_work_group_size: 1
    .uses_dynamic_stack: false
    .vgpr_count:     0
    .vgpr_spill_count: 0
    .wavefront_size: 64
  - .agpr_count:     0
    .args:
      - .offset:         0
        .size:           32
        .value_kind:     by_value
    .group_segment_fixed_size: 0
    .kernarg_segment_align: 8
    .kernarg_segment_size: 32
    .language:       OpenCL C
    .language_version:
      - 2
      - 0
    .max_flat_workgroup_size: 64
    .name:           _ZN7rocprim17ROCPRIM_400000_NS6detail17trampoline_kernelINS0_14default_configENS1_20scan_config_selectorIfEEZZNS1_9scan_implILNS1_25lookback_scan_determinismE0ELb0ELb0ES3_PKfPffZZZN2at6native31launch_logcumsumexp_cuda_kernelERKNSB_10TensorBaseESF_lENKUlvE_clEvENKUlvE0_clEvEUlffE_fEEDaPvRmT3_T4_T5_mT6_P12ihipStream_tbENKUlT_T0_E_clISt17integral_constantIbLb0EESW_EEDaSR_SS_EUlSR_E0_NS1_11comp_targetILNS1_3genE8ELNS1_11target_archE1030ELNS1_3gpuE2ELNS1_3repE0EEENS1_30default_config_static_selectorELNS0_4arch9wavefront6targetE1EEEvT1_
    .private_segment_fixed_size: 0
    .sgpr_count:     6
    .sgpr_spill_count: 0
    .symbol:         _ZN7rocprim17ROCPRIM_400000_NS6detail17trampoline_kernelINS0_14default_configENS1_20scan_config_selectorIfEEZZNS1_9scan_implILNS1_25lookback_scan_determinismE0ELb0ELb0ES3_PKfPffZZZN2at6native31launch_logcumsumexp_cuda_kernelERKNSB_10TensorBaseESF_lENKUlvE_clEvENKUlvE0_clEvEUlffE_fEEDaPvRmT3_T4_T5_mT6_P12ihipStream_tbENKUlT_T0_E_clISt17integral_constantIbLb0EESW_EEDaSR_SS_EUlSR_E0_NS1_11comp_targetILNS1_3genE8ELNS1_11target_archE1030ELNS1_3gpuE2ELNS1_3repE0EEENS1_30default_config_static_selectorELNS0_4arch9wavefront6targetE1EEEvT1_.kd
    .uniform_work_group_size: 1
    .uses_dynamic_stack: false
    .vgpr_count:     0
    .vgpr_spill_count: 0
    .wavefront_size: 64
  - .agpr_count:     0
    .args:
      - .address_space:  global
        .offset:         0
        .size:           8
        .value_kind:     global_buffer
      - .offset:         8
        .size:           4
        .value_kind:     by_value
      - .address_space:  global
        .offset:         16
        .size:           8
        .value_kind:     global_buffer
      - .offset:         24
        .size:           4
        .value_kind:     by_value
      - .address_space:  global
        .offset:         32
        .size:           8
        .value_kind:     global_buffer
      - .offset:         40
        .size:           4
        .value_kind:     hidden_block_count_x
      - .offset:         44
        .size:           4
        .value_kind:     hidden_block_count_y
      - .offset:         48
        .size:           4
        .value_kind:     hidden_block_count_z
      - .offset:         52
        .size:           2
        .value_kind:     hidden_group_size_x
      - .offset:         54
        .size:           2
        .value_kind:     hidden_group_size_y
      - .offset:         56
        .size:           2
        .value_kind:     hidden_group_size_z
      - .offset:         58
        .size:           2
        .value_kind:     hidden_remainder_x
      - .offset:         60
        .size:           2
        .value_kind:     hidden_remainder_y
      - .offset:         62
        .size:           2
        .value_kind:     hidden_remainder_z
      - .offset:         80
        .size:           8
        .value_kind:     hidden_global_offset_x
      - .offset:         88
        .size:           8
        .value_kind:     hidden_global_offset_y
      - .offset:         96
        .size:           8
        .value_kind:     hidden_global_offset_z
      - .offset:         104
        .size:           2
        .value_kind:     hidden_grid_dims
    .group_segment_fixed_size: 0
    .kernarg_segment_align: 8
    .kernarg_segment_size: 296
    .language:       OpenCL C
    .language_version:
      - 2
      - 0
    .max_flat_workgroup_size: 256
    .name:           _ZN7rocprim17ROCPRIM_400000_NS6detail31init_lookback_scan_state_kernelINS1_19lookback_scan_stateIfLb1ELb1EEENS1_16block_id_wrapperIjLb1EEEEEvT_jT0_jPNS7_10value_typeE
    .private_segment_fixed_size: 0
    .sgpr_count:     20
    .sgpr_spill_count: 0
    .symbol:         _ZN7rocprim17ROCPRIM_400000_NS6detail31init_lookback_scan_state_kernelINS1_19lookback_scan_stateIfLb1ELb1EEENS1_16block_id_wrapperIjLb1EEEEEvT_jT0_jPNS7_10value_typeE.kd
    .uniform_work_group_size: 1
    .uses_dynamic_stack: false
    .vgpr_count:     6
    .vgpr_spill_count: 0
    .wavefront_size: 64
  - .agpr_count:     0
    .args:
      - .offset:         0
        .size:           96
        .value_kind:     by_value
    .group_segment_fixed_size: 0
    .kernarg_segment_align: 8
    .kernarg_segment_size: 96
    .language:       OpenCL C
    .language_version:
      - 2
      - 0
    .max_flat_workgroup_size: 256
    .name:           _ZN7rocprim17ROCPRIM_400000_NS6detail17trampoline_kernelINS0_14default_configENS1_20scan_config_selectorIfEEZZNS1_9scan_implILNS1_25lookback_scan_determinismE0ELb0ELb0ES3_PKfPffZZZN2at6native31launch_logcumsumexp_cuda_kernelERKNSB_10TensorBaseESF_lENKUlvE_clEvENKUlvE0_clEvEUlffE_fEEDaPvRmT3_T4_T5_mT6_P12ihipStream_tbENKUlT_T0_E_clISt17integral_constantIbLb1EESW_EEDaSR_SS_EUlSR_E_NS1_11comp_targetILNS1_3genE0ELNS1_11target_archE4294967295ELNS1_3gpuE0ELNS1_3repE0EEENS1_30default_config_static_selectorELNS0_4arch9wavefront6targetE1EEEvT1_
    .private_segment_fixed_size: 0
    .sgpr_count:     6
    .sgpr_spill_count: 0
    .symbol:         _ZN7rocprim17ROCPRIM_400000_NS6detail17trampoline_kernelINS0_14default_configENS1_20scan_config_selectorIfEEZZNS1_9scan_implILNS1_25lookback_scan_determinismE0ELb0ELb0ES3_PKfPffZZZN2at6native31launch_logcumsumexp_cuda_kernelERKNSB_10TensorBaseESF_lENKUlvE_clEvENKUlvE0_clEvEUlffE_fEEDaPvRmT3_T4_T5_mT6_P12ihipStream_tbENKUlT_T0_E_clISt17integral_constantIbLb1EESW_EEDaSR_SS_EUlSR_E_NS1_11comp_targetILNS1_3genE0ELNS1_11target_archE4294967295ELNS1_3gpuE0ELNS1_3repE0EEENS1_30default_config_static_selectorELNS0_4arch9wavefront6targetE1EEEvT1_.kd
    .uniform_work_group_size: 1
    .uses_dynamic_stack: false
    .vgpr_count:     0
    .vgpr_spill_count: 0
    .wavefront_size: 64
  - .agpr_count:     0
    .args:
      - .offset:         0
        .size:           96
        .value_kind:     by_value
    .group_segment_fixed_size: 0
    .kernarg_segment_align: 8
    .kernarg_segment_size: 96
    .language:       OpenCL C
    .language_version:
      - 2
      - 0
    .max_flat_workgroup_size: 256
    .name:           _ZN7rocprim17ROCPRIM_400000_NS6detail17trampoline_kernelINS0_14default_configENS1_20scan_config_selectorIfEEZZNS1_9scan_implILNS1_25lookback_scan_determinismE0ELb0ELb0ES3_PKfPffZZZN2at6native31launch_logcumsumexp_cuda_kernelERKNSB_10TensorBaseESF_lENKUlvE_clEvENKUlvE0_clEvEUlffE_fEEDaPvRmT3_T4_T5_mT6_P12ihipStream_tbENKUlT_T0_E_clISt17integral_constantIbLb1EESW_EEDaSR_SS_EUlSR_E_NS1_11comp_targetILNS1_3genE5ELNS1_11target_archE942ELNS1_3gpuE9ELNS1_3repE0EEENS1_30default_config_static_selectorELNS0_4arch9wavefront6targetE1EEEvT1_
    .private_segment_fixed_size: 0
    .sgpr_count:     6
    .sgpr_spill_count: 0
    .symbol:         _ZN7rocprim17ROCPRIM_400000_NS6detail17trampoline_kernelINS0_14default_configENS1_20scan_config_selectorIfEEZZNS1_9scan_implILNS1_25lookback_scan_determinismE0ELb0ELb0ES3_PKfPffZZZN2at6native31launch_logcumsumexp_cuda_kernelERKNSB_10TensorBaseESF_lENKUlvE_clEvENKUlvE0_clEvEUlffE_fEEDaPvRmT3_T4_T5_mT6_P12ihipStream_tbENKUlT_T0_E_clISt17integral_constantIbLb1EESW_EEDaSR_SS_EUlSR_E_NS1_11comp_targetILNS1_3genE5ELNS1_11target_archE942ELNS1_3gpuE9ELNS1_3repE0EEENS1_30default_config_static_selectorELNS0_4arch9wavefront6targetE1EEEvT1_.kd
    .uniform_work_group_size: 1
    .uses_dynamic_stack: false
    .vgpr_count:     0
    .vgpr_spill_count: 0
    .wavefront_size: 64
  - .agpr_count:     0
    .args:
      - .offset:         0
        .size:           96
        .value_kind:     by_value
    .group_segment_fixed_size: 0
    .kernarg_segment_align: 8
    .kernarg_segment_size: 96
    .language:       OpenCL C
    .language_version:
      - 2
      - 0
    .max_flat_workgroup_size: 128
    .name:           _ZN7rocprim17ROCPRIM_400000_NS6detail17trampoline_kernelINS0_14default_configENS1_20scan_config_selectorIfEEZZNS1_9scan_implILNS1_25lookback_scan_determinismE0ELb0ELb0ES3_PKfPffZZZN2at6native31launch_logcumsumexp_cuda_kernelERKNSB_10TensorBaseESF_lENKUlvE_clEvENKUlvE0_clEvEUlffE_fEEDaPvRmT3_T4_T5_mT6_P12ihipStream_tbENKUlT_T0_E_clISt17integral_constantIbLb1EESW_EEDaSR_SS_EUlSR_E_NS1_11comp_targetILNS1_3genE4ELNS1_11target_archE910ELNS1_3gpuE8ELNS1_3repE0EEENS1_30default_config_static_selectorELNS0_4arch9wavefront6targetE1EEEvT1_
    .private_segment_fixed_size: 0
    .sgpr_count:     6
    .sgpr_spill_count: 0
    .symbol:         _ZN7rocprim17ROCPRIM_400000_NS6detail17trampoline_kernelINS0_14default_configENS1_20scan_config_selectorIfEEZZNS1_9scan_implILNS1_25lookback_scan_determinismE0ELb0ELb0ES3_PKfPffZZZN2at6native31launch_logcumsumexp_cuda_kernelERKNSB_10TensorBaseESF_lENKUlvE_clEvENKUlvE0_clEvEUlffE_fEEDaPvRmT3_T4_T5_mT6_P12ihipStream_tbENKUlT_T0_E_clISt17integral_constantIbLb1EESW_EEDaSR_SS_EUlSR_E_NS1_11comp_targetILNS1_3genE4ELNS1_11target_archE910ELNS1_3gpuE8ELNS1_3repE0EEENS1_30default_config_static_selectorELNS0_4arch9wavefront6targetE1EEEvT1_.kd
    .uniform_work_group_size: 1
    .uses_dynamic_stack: false
    .vgpr_count:     0
    .vgpr_spill_count: 0
    .wavefront_size: 64
  - .agpr_count:     0
    .args:
      - .offset:         0
        .size:           96
        .value_kind:     by_value
    .group_segment_fixed_size: 0
    .kernarg_segment_align: 8
    .kernarg_segment_size: 96
    .language:       OpenCL C
    .language_version:
      - 2
      - 0
    .max_flat_workgroup_size: 256
    .name:           _ZN7rocprim17ROCPRIM_400000_NS6detail17trampoline_kernelINS0_14default_configENS1_20scan_config_selectorIfEEZZNS1_9scan_implILNS1_25lookback_scan_determinismE0ELb0ELb0ES3_PKfPffZZZN2at6native31launch_logcumsumexp_cuda_kernelERKNSB_10TensorBaseESF_lENKUlvE_clEvENKUlvE0_clEvEUlffE_fEEDaPvRmT3_T4_T5_mT6_P12ihipStream_tbENKUlT_T0_E_clISt17integral_constantIbLb1EESW_EEDaSR_SS_EUlSR_E_NS1_11comp_targetILNS1_3genE3ELNS1_11target_archE908ELNS1_3gpuE7ELNS1_3repE0EEENS1_30default_config_static_selectorELNS0_4arch9wavefront6targetE1EEEvT1_
    .private_segment_fixed_size: 0
    .sgpr_count:     6
    .sgpr_spill_count: 0
    .symbol:         _ZN7rocprim17ROCPRIM_400000_NS6detail17trampoline_kernelINS0_14default_configENS1_20scan_config_selectorIfEEZZNS1_9scan_implILNS1_25lookback_scan_determinismE0ELb0ELb0ES3_PKfPffZZZN2at6native31launch_logcumsumexp_cuda_kernelERKNSB_10TensorBaseESF_lENKUlvE_clEvENKUlvE0_clEvEUlffE_fEEDaPvRmT3_T4_T5_mT6_P12ihipStream_tbENKUlT_T0_E_clISt17integral_constantIbLb1EESW_EEDaSR_SS_EUlSR_E_NS1_11comp_targetILNS1_3genE3ELNS1_11target_archE908ELNS1_3gpuE7ELNS1_3repE0EEENS1_30default_config_static_selectorELNS0_4arch9wavefront6targetE1EEEvT1_.kd
    .uniform_work_group_size: 1
    .uses_dynamic_stack: false
    .vgpr_count:     0
    .vgpr_spill_count: 0
    .wavefront_size: 64
  - .agpr_count:     0
    .args:
      - .offset:         0
        .size:           96
        .value_kind:     by_value
    .group_segment_fixed_size: 0
    .kernarg_segment_align: 8
    .kernarg_segment_size: 96
    .language:       OpenCL C
    .language_version:
      - 2
      - 0
    .max_flat_workgroup_size: 256
    .name:           _ZN7rocprim17ROCPRIM_400000_NS6detail17trampoline_kernelINS0_14default_configENS1_20scan_config_selectorIfEEZZNS1_9scan_implILNS1_25lookback_scan_determinismE0ELb0ELb0ES3_PKfPffZZZN2at6native31launch_logcumsumexp_cuda_kernelERKNSB_10TensorBaseESF_lENKUlvE_clEvENKUlvE0_clEvEUlffE_fEEDaPvRmT3_T4_T5_mT6_P12ihipStream_tbENKUlT_T0_E_clISt17integral_constantIbLb1EESW_EEDaSR_SS_EUlSR_E_NS1_11comp_targetILNS1_3genE2ELNS1_11target_archE906ELNS1_3gpuE6ELNS1_3repE0EEENS1_30default_config_static_selectorELNS0_4arch9wavefront6targetE1EEEvT1_
    .private_segment_fixed_size: 0
    .sgpr_count:     6
    .sgpr_spill_count: 0
    .symbol:         _ZN7rocprim17ROCPRIM_400000_NS6detail17trampoline_kernelINS0_14default_configENS1_20scan_config_selectorIfEEZZNS1_9scan_implILNS1_25lookback_scan_determinismE0ELb0ELb0ES3_PKfPffZZZN2at6native31launch_logcumsumexp_cuda_kernelERKNSB_10TensorBaseESF_lENKUlvE_clEvENKUlvE0_clEvEUlffE_fEEDaPvRmT3_T4_T5_mT6_P12ihipStream_tbENKUlT_T0_E_clISt17integral_constantIbLb1EESW_EEDaSR_SS_EUlSR_E_NS1_11comp_targetILNS1_3genE2ELNS1_11target_archE906ELNS1_3gpuE6ELNS1_3repE0EEENS1_30default_config_static_selectorELNS0_4arch9wavefront6targetE1EEEvT1_.kd
    .uniform_work_group_size: 1
    .uses_dynamic_stack: false
    .vgpr_count:     0
    .vgpr_spill_count: 0
    .wavefront_size: 64
  - .agpr_count:     0
    .args:
      - .offset:         0
        .size:           96
        .value_kind:     by_value
    .group_segment_fixed_size: 0
    .kernarg_segment_align: 8
    .kernarg_segment_size: 96
    .language:       OpenCL C
    .language_version:
      - 2
      - 0
    .max_flat_workgroup_size: 256
    .name:           _ZN7rocprim17ROCPRIM_400000_NS6detail17trampoline_kernelINS0_14default_configENS1_20scan_config_selectorIfEEZZNS1_9scan_implILNS1_25lookback_scan_determinismE0ELb0ELb0ES3_PKfPffZZZN2at6native31launch_logcumsumexp_cuda_kernelERKNSB_10TensorBaseESF_lENKUlvE_clEvENKUlvE0_clEvEUlffE_fEEDaPvRmT3_T4_T5_mT6_P12ihipStream_tbENKUlT_T0_E_clISt17integral_constantIbLb1EESW_EEDaSR_SS_EUlSR_E_NS1_11comp_targetILNS1_3genE10ELNS1_11target_archE1201ELNS1_3gpuE5ELNS1_3repE0EEENS1_30default_config_static_selectorELNS0_4arch9wavefront6targetE1EEEvT1_
    .private_segment_fixed_size: 0
    .sgpr_count:     6
    .sgpr_spill_count: 0
    .symbol:         _ZN7rocprim17ROCPRIM_400000_NS6detail17trampoline_kernelINS0_14default_configENS1_20scan_config_selectorIfEEZZNS1_9scan_implILNS1_25lookback_scan_determinismE0ELb0ELb0ES3_PKfPffZZZN2at6native31launch_logcumsumexp_cuda_kernelERKNSB_10TensorBaseESF_lENKUlvE_clEvENKUlvE0_clEvEUlffE_fEEDaPvRmT3_T4_T5_mT6_P12ihipStream_tbENKUlT_T0_E_clISt17integral_constantIbLb1EESW_EEDaSR_SS_EUlSR_E_NS1_11comp_targetILNS1_3genE10ELNS1_11target_archE1201ELNS1_3gpuE5ELNS1_3repE0EEENS1_30default_config_static_selectorELNS0_4arch9wavefront6targetE1EEEvT1_.kd
    .uniform_work_group_size: 1
    .uses_dynamic_stack: false
    .vgpr_count:     0
    .vgpr_spill_count: 0
    .wavefront_size: 64
  - .agpr_count:     0
    .args:
      - .offset:         0
        .size:           96
        .value_kind:     by_value
    .group_segment_fixed_size: 0
    .kernarg_segment_align: 8
    .kernarg_segment_size: 96
    .language:       OpenCL C
    .language_version:
      - 2
      - 0
    .max_flat_workgroup_size: 256
    .name:           _ZN7rocprim17ROCPRIM_400000_NS6detail17trampoline_kernelINS0_14default_configENS1_20scan_config_selectorIfEEZZNS1_9scan_implILNS1_25lookback_scan_determinismE0ELb0ELb0ES3_PKfPffZZZN2at6native31launch_logcumsumexp_cuda_kernelERKNSB_10TensorBaseESF_lENKUlvE_clEvENKUlvE0_clEvEUlffE_fEEDaPvRmT3_T4_T5_mT6_P12ihipStream_tbENKUlT_T0_E_clISt17integral_constantIbLb1EESW_EEDaSR_SS_EUlSR_E_NS1_11comp_targetILNS1_3genE10ELNS1_11target_archE1200ELNS1_3gpuE4ELNS1_3repE0EEENS1_30default_config_static_selectorELNS0_4arch9wavefront6targetE1EEEvT1_
    .private_segment_fixed_size: 0
    .sgpr_count:     6
    .sgpr_spill_count: 0
    .symbol:         _ZN7rocprim17ROCPRIM_400000_NS6detail17trampoline_kernelINS0_14default_configENS1_20scan_config_selectorIfEEZZNS1_9scan_implILNS1_25lookback_scan_determinismE0ELb0ELb0ES3_PKfPffZZZN2at6native31launch_logcumsumexp_cuda_kernelERKNSB_10TensorBaseESF_lENKUlvE_clEvENKUlvE0_clEvEUlffE_fEEDaPvRmT3_T4_T5_mT6_P12ihipStream_tbENKUlT_T0_E_clISt17integral_constantIbLb1EESW_EEDaSR_SS_EUlSR_E_NS1_11comp_targetILNS1_3genE10ELNS1_11target_archE1200ELNS1_3gpuE4ELNS1_3repE0EEENS1_30default_config_static_selectorELNS0_4arch9wavefront6targetE1EEEvT1_.kd
    .uniform_work_group_size: 1
    .uses_dynamic_stack: false
    .vgpr_count:     0
    .vgpr_spill_count: 0
    .wavefront_size: 64
  - .agpr_count:     0
    .args:
      - .offset:         0
        .size:           96
        .value_kind:     by_value
    .group_segment_fixed_size: 0
    .kernarg_segment_align: 8
    .kernarg_segment_size: 96
    .language:       OpenCL C
    .language_version:
      - 2
      - 0
    .max_flat_workgroup_size: 256
    .name:           _ZN7rocprim17ROCPRIM_400000_NS6detail17trampoline_kernelINS0_14default_configENS1_20scan_config_selectorIfEEZZNS1_9scan_implILNS1_25lookback_scan_determinismE0ELb0ELb0ES3_PKfPffZZZN2at6native31launch_logcumsumexp_cuda_kernelERKNSB_10TensorBaseESF_lENKUlvE_clEvENKUlvE0_clEvEUlffE_fEEDaPvRmT3_T4_T5_mT6_P12ihipStream_tbENKUlT_T0_E_clISt17integral_constantIbLb1EESW_EEDaSR_SS_EUlSR_E_NS1_11comp_targetILNS1_3genE9ELNS1_11target_archE1100ELNS1_3gpuE3ELNS1_3repE0EEENS1_30default_config_static_selectorELNS0_4arch9wavefront6targetE1EEEvT1_
    .private_segment_fixed_size: 0
    .sgpr_count:     6
    .sgpr_spill_count: 0
    .symbol:         _ZN7rocprim17ROCPRIM_400000_NS6detail17trampoline_kernelINS0_14default_configENS1_20scan_config_selectorIfEEZZNS1_9scan_implILNS1_25lookback_scan_determinismE0ELb0ELb0ES3_PKfPffZZZN2at6native31launch_logcumsumexp_cuda_kernelERKNSB_10TensorBaseESF_lENKUlvE_clEvENKUlvE0_clEvEUlffE_fEEDaPvRmT3_T4_T5_mT6_P12ihipStream_tbENKUlT_T0_E_clISt17integral_constantIbLb1EESW_EEDaSR_SS_EUlSR_E_NS1_11comp_targetILNS1_3genE9ELNS1_11target_archE1100ELNS1_3gpuE3ELNS1_3repE0EEENS1_30default_config_static_selectorELNS0_4arch9wavefront6targetE1EEEvT1_.kd
    .uniform_work_group_size: 1
    .uses_dynamic_stack: false
    .vgpr_count:     0
    .vgpr_spill_count: 0
    .wavefront_size: 64
  - .agpr_count:     0
    .args:
      - .offset:         0
        .size:           96
        .value_kind:     by_value
    .group_segment_fixed_size: 0
    .kernarg_segment_align: 8
    .kernarg_segment_size: 96
    .language:       OpenCL C
    .language_version:
      - 2
      - 0
    .max_flat_workgroup_size: 64
    .name:           _ZN7rocprim17ROCPRIM_400000_NS6detail17trampoline_kernelINS0_14default_configENS1_20scan_config_selectorIfEEZZNS1_9scan_implILNS1_25lookback_scan_determinismE0ELb0ELb0ES3_PKfPffZZZN2at6native31launch_logcumsumexp_cuda_kernelERKNSB_10TensorBaseESF_lENKUlvE_clEvENKUlvE0_clEvEUlffE_fEEDaPvRmT3_T4_T5_mT6_P12ihipStream_tbENKUlT_T0_E_clISt17integral_constantIbLb1EESW_EEDaSR_SS_EUlSR_E_NS1_11comp_targetILNS1_3genE8ELNS1_11target_archE1030ELNS1_3gpuE2ELNS1_3repE0EEENS1_30default_config_static_selectorELNS0_4arch9wavefront6targetE1EEEvT1_
    .private_segment_fixed_size: 0
    .sgpr_count:     6
    .sgpr_spill_count: 0
    .symbol:         _ZN7rocprim17ROCPRIM_400000_NS6detail17trampoline_kernelINS0_14default_configENS1_20scan_config_selectorIfEEZZNS1_9scan_implILNS1_25lookback_scan_determinismE0ELb0ELb0ES3_PKfPffZZZN2at6native31launch_logcumsumexp_cuda_kernelERKNSB_10TensorBaseESF_lENKUlvE_clEvENKUlvE0_clEvEUlffE_fEEDaPvRmT3_T4_T5_mT6_P12ihipStream_tbENKUlT_T0_E_clISt17integral_constantIbLb1EESW_EEDaSR_SS_EUlSR_E_NS1_11comp_targetILNS1_3genE8ELNS1_11target_archE1030ELNS1_3gpuE2ELNS1_3repE0EEENS1_30default_config_static_selectorELNS0_4arch9wavefront6targetE1EEEvT1_.kd
    .uniform_work_group_size: 1
    .uses_dynamic_stack: false
    .vgpr_count:     0
    .vgpr_spill_count: 0
    .wavefront_size: 64
  - .agpr_count:     0
    .args:
      - .offset:         0
        .size:           32
        .value_kind:     by_value
    .group_segment_fixed_size: 14336
    .kernarg_segment_align: 8
    .kernarg_segment_size: 32
    .language:       OpenCL C
    .language_version:
      - 2
      - 0
    .max_flat_workgroup_size: 256
    .name:           _ZN7rocprim17ROCPRIM_400000_NS6detail17trampoline_kernelINS0_14default_configENS1_20scan_config_selectorIfEEZZNS1_9scan_implILNS1_25lookback_scan_determinismE0ELb0ELb0ES3_PKfPffZZZN2at6native31launch_logcumsumexp_cuda_kernelERKNSB_10TensorBaseESF_lENKUlvE_clEvENKUlvE0_clEvEUlffE_fEEDaPvRmT3_T4_T5_mT6_P12ihipStream_tbENKUlT_T0_E_clISt17integral_constantIbLb1EESW_EEDaSR_SS_EUlSR_E0_NS1_11comp_targetILNS1_3genE0ELNS1_11target_archE4294967295ELNS1_3gpuE0ELNS1_3repE0EEENS1_30default_config_static_selectorELNS0_4arch9wavefront6targetE1EEEvT1_
    .private_segment_fixed_size: 0
    .sgpr_count:     75
    .sgpr_spill_count: 0
    .symbol:         _ZN7rocprim17ROCPRIM_400000_NS6detail17trampoline_kernelINS0_14default_configENS1_20scan_config_selectorIfEEZZNS1_9scan_implILNS1_25lookback_scan_determinismE0ELb0ELb0ES3_PKfPffZZZN2at6native31launch_logcumsumexp_cuda_kernelERKNSB_10TensorBaseESF_lENKUlvE_clEvENKUlvE0_clEvEUlffE_fEEDaPvRmT3_T4_T5_mT6_P12ihipStream_tbENKUlT_T0_E_clISt17integral_constantIbLb1EESW_EEDaSR_SS_EUlSR_E0_NS1_11comp_targetILNS1_3genE0ELNS1_11target_archE4294967295ELNS1_3gpuE0ELNS1_3repE0EEENS1_30default_config_static_selectorELNS0_4arch9wavefront6targetE1EEEvT1_.kd
    .uniform_work_group_size: 1
    .uses_dynamic_stack: false
    .vgpr_count:     55
    .vgpr_spill_count: 0
    .wavefront_size: 64
  - .agpr_count:     0
    .args:
      - .offset:         0
        .size:           32
        .value_kind:     by_value
    .group_segment_fixed_size: 0
    .kernarg_segment_align: 8
    .kernarg_segment_size: 32
    .language:       OpenCL C
    .language_version:
      - 2
      - 0
    .max_flat_workgroup_size: 256
    .name:           _ZN7rocprim17ROCPRIM_400000_NS6detail17trampoline_kernelINS0_14default_configENS1_20scan_config_selectorIfEEZZNS1_9scan_implILNS1_25lookback_scan_determinismE0ELb0ELb0ES3_PKfPffZZZN2at6native31launch_logcumsumexp_cuda_kernelERKNSB_10TensorBaseESF_lENKUlvE_clEvENKUlvE0_clEvEUlffE_fEEDaPvRmT3_T4_T5_mT6_P12ihipStream_tbENKUlT_T0_E_clISt17integral_constantIbLb1EESW_EEDaSR_SS_EUlSR_E0_NS1_11comp_targetILNS1_3genE5ELNS1_11target_archE942ELNS1_3gpuE9ELNS1_3repE0EEENS1_30default_config_static_selectorELNS0_4arch9wavefront6targetE1EEEvT1_
    .private_segment_fixed_size: 0
    .sgpr_count:     6
    .sgpr_spill_count: 0
    .symbol:         _ZN7rocprim17ROCPRIM_400000_NS6detail17trampoline_kernelINS0_14default_configENS1_20scan_config_selectorIfEEZZNS1_9scan_implILNS1_25lookback_scan_determinismE0ELb0ELb0ES3_PKfPffZZZN2at6native31launch_logcumsumexp_cuda_kernelERKNSB_10TensorBaseESF_lENKUlvE_clEvENKUlvE0_clEvEUlffE_fEEDaPvRmT3_T4_T5_mT6_P12ihipStream_tbENKUlT_T0_E_clISt17integral_constantIbLb1EESW_EEDaSR_SS_EUlSR_E0_NS1_11comp_targetILNS1_3genE5ELNS1_11target_archE942ELNS1_3gpuE9ELNS1_3repE0EEENS1_30default_config_static_selectorELNS0_4arch9wavefront6targetE1EEEvT1_.kd
    .uniform_work_group_size: 1
    .uses_dynamic_stack: false
    .vgpr_count:     0
    .vgpr_spill_count: 0
    .wavefront_size: 64
  - .agpr_count:     0
    .args:
      - .offset:         0
        .size:           32
        .value_kind:     by_value
    .group_segment_fixed_size: 0
    .kernarg_segment_align: 8
    .kernarg_segment_size: 32
    .language:       OpenCL C
    .language_version:
      - 2
      - 0
    .max_flat_workgroup_size: 128
    .name:           _ZN7rocprim17ROCPRIM_400000_NS6detail17trampoline_kernelINS0_14default_configENS1_20scan_config_selectorIfEEZZNS1_9scan_implILNS1_25lookback_scan_determinismE0ELb0ELb0ES3_PKfPffZZZN2at6native31launch_logcumsumexp_cuda_kernelERKNSB_10TensorBaseESF_lENKUlvE_clEvENKUlvE0_clEvEUlffE_fEEDaPvRmT3_T4_T5_mT6_P12ihipStream_tbENKUlT_T0_E_clISt17integral_constantIbLb1EESW_EEDaSR_SS_EUlSR_E0_NS1_11comp_targetILNS1_3genE4ELNS1_11target_archE910ELNS1_3gpuE8ELNS1_3repE0EEENS1_30default_config_static_selectorELNS0_4arch9wavefront6targetE1EEEvT1_
    .private_segment_fixed_size: 0
    .sgpr_count:     6
    .sgpr_spill_count: 0
    .symbol:         _ZN7rocprim17ROCPRIM_400000_NS6detail17trampoline_kernelINS0_14default_configENS1_20scan_config_selectorIfEEZZNS1_9scan_implILNS1_25lookback_scan_determinismE0ELb0ELb0ES3_PKfPffZZZN2at6native31launch_logcumsumexp_cuda_kernelERKNSB_10TensorBaseESF_lENKUlvE_clEvENKUlvE0_clEvEUlffE_fEEDaPvRmT3_T4_T5_mT6_P12ihipStream_tbENKUlT_T0_E_clISt17integral_constantIbLb1EESW_EEDaSR_SS_EUlSR_E0_NS1_11comp_targetILNS1_3genE4ELNS1_11target_archE910ELNS1_3gpuE8ELNS1_3repE0EEENS1_30default_config_static_selectorELNS0_4arch9wavefront6targetE1EEEvT1_.kd
    .uniform_work_group_size: 1
    .uses_dynamic_stack: false
    .vgpr_count:     0
    .vgpr_spill_count: 0
    .wavefront_size: 64
  - .agpr_count:     0
    .args:
      - .offset:         0
        .size:           32
        .value_kind:     by_value
    .group_segment_fixed_size: 0
    .kernarg_segment_align: 8
    .kernarg_segment_size: 32
    .language:       OpenCL C
    .language_version:
      - 2
      - 0
    .max_flat_workgroup_size: 256
    .name:           _ZN7rocprim17ROCPRIM_400000_NS6detail17trampoline_kernelINS0_14default_configENS1_20scan_config_selectorIfEEZZNS1_9scan_implILNS1_25lookback_scan_determinismE0ELb0ELb0ES3_PKfPffZZZN2at6native31launch_logcumsumexp_cuda_kernelERKNSB_10TensorBaseESF_lENKUlvE_clEvENKUlvE0_clEvEUlffE_fEEDaPvRmT3_T4_T5_mT6_P12ihipStream_tbENKUlT_T0_E_clISt17integral_constantIbLb1EESW_EEDaSR_SS_EUlSR_E0_NS1_11comp_targetILNS1_3genE3ELNS1_11target_archE908ELNS1_3gpuE7ELNS1_3repE0EEENS1_30default_config_static_selectorELNS0_4arch9wavefront6targetE1EEEvT1_
    .private_segment_fixed_size: 0
    .sgpr_count:     6
    .sgpr_spill_count: 0
    .symbol:         _ZN7rocprim17ROCPRIM_400000_NS6detail17trampoline_kernelINS0_14default_configENS1_20scan_config_selectorIfEEZZNS1_9scan_implILNS1_25lookback_scan_determinismE0ELb0ELb0ES3_PKfPffZZZN2at6native31launch_logcumsumexp_cuda_kernelERKNSB_10TensorBaseESF_lENKUlvE_clEvENKUlvE0_clEvEUlffE_fEEDaPvRmT3_T4_T5_mT6_P12ihipStream_tbENKUlT_T0_E_clISt17integral_constantIbLb1EESW_EEDaSR_SS_EUlSR_E0_NS1_11comp_targetILNS1_3genE3ELNS1_11target_archE908ELNS1_3gpuE7ELNS1_3repE0EEENS1_30default_config_static_selectorELNS0_4arch9wavefront6targetE1EEEvT1_.kd
    .uniform_work_group_size: 1
    .uses_dynamic_stack: false
    .vgpr_count:     0
    .vgpr_spill_count: 0
    .wavefront_size: 64
  - .agpr_count:     0
    .args:
      - .offset:         0
        .size:           32
        .value_kind:     by_value
    .group_segment_fixed_size: 0
    .kernarg_segment_align: 8
    .kernarg_segment_size: 32
    .language:       OpenCL C
    .language_version:
      - 2
      - 0
    .max_flat_workgroup_size: 256
    .name:           _ZN7rocprim17ROCPRIM_400000_NS6detail17trampoline_kernelINS0_14default_configENS1_20scan_config_selectorIfEEZZNS1_9scan_implILNS1_25lookback_scan_determinismE0ELb0ELb0ES3_PKfPffZZZN2at6native31launch_logcumsumexp_cuda_kernelERKNSB_10TensorBaseESF_lENKUlvE_clEvENKUlvE0_clEvEUlffE_fEEDaPvRmT3_T4_T5_mT6_P12ihipStream_tbENKUlT_T0_E_clISt17integral_constantIbLb1EESW_EEDaSR_SS_EUlSR_E0_NS1_11comp_targetILNS1_3genE2ELNS1_11target_archE906ELNS1_3gpuE6ELNS1_3repE0EEENS1_30default_config_static_selectorELNS0_4arch9wavefront6targetE1EEEvT1_
    .private_segment_fixed_size: 0
    .sgpr_count:     6
    .sgpr_spill_count: 0
    .symbol:         _ZN7rocprim17ROCPRIM_400000_NS6detail17trampoline_kernelINS0_14default_configENS1_20scan_config_selectorIfEEZZNS1_9scan_implILNS1_25lookback_scan_determinismE0ELb0ELb0ES3_PKfPffZZZN2at6native31launch_logcumsumexp_cuda_kernelERKNSB_10TensorBaseESF_lENKUlvE_clEvENKUlvE0_clEvEUlffE_fEEDaPvRmT3_T4_T5_mT6_P12ihipStream_tbENKUlT_T0_E_clISt17integral_constantIbLb1EESW_EEDaSR_SS_EUlSR_E0_NS1_11comp_targetILNS1_3genE2ELNS1_11target_archE906ELNS1_3gpuE6ELNS1_3repE0EEENS1_30default_config_static_selectorELNS0_4arch9wavefront6targetE1EEEvT1_.kd
    .uniform_work_group_size: 1
    .uses_dynamic_stack: false
    .vgpr_count:     0
    .vgpr_spill_count: 0
    .wavefront_size: 64
  - .agpr_count:     0
    .args:
      - .offset:         0
        .size:           32
        .value_kind:     by_value
    .group_segment_fixed_size: 0
    .kernarg_segment_align: 8
    .kernarg_segment_size: 32
    .language:       OpenCL C
    .language_version:
      - 2
      - 0
    .max_flat_workgroup_size: 256
    .name:           _ZN7rocprim17ROCPRIM_400000_NS6detail17trampoline_kernelINS0_14default_configENS1_20scan_config_selectorIfEEZZNS1_9scan_implILNS1_25lookback_scan_determinismE0ELb0ELb0ES3_PKfPffZZZN2at6native31launch_logcumsumexp_cuda_kernelERKNSB_10TensorBaseESF_lENKUlvE_clEvENKUlvE0_clEvEUlffE_fEEDaPvRmT3_T4_T5_mT6_P12ihipStream_tbENKUlT_T0_E_clISt17integral_constantIbLb1EESW_EEDaSR_SS_EUlSR_E0_NS1_11comp_targetILNS1_3genE10ELNS1_11target_archE1201ELNS1_3gpuE5ELNS1_3repE0EEENS1_30default_config_static_selectorELNS0_4arch9wavefront6targetE1EEEvT1_
    .private_segment_fixed_size: 0
    .sgpr_count:     6
    .sgpr_spill_count: 0
    .symbol:         _ZN7rocprim17ROCPRIM_400000_NS6detail17trampoline_kernelINS0_14default_configENS1_20scan_config_selectorIfEEZZNS1_9scan_implILNS1_25lookback_scan_determinismE0ELb0ELb0ES3_PKfPffZZZN2at6native31launch_logcumsumexp_cuda_kernelERKNSB_10TensorBaseESF_lENKUlvE_clEvENKUlvE0_clEvEUlffE_fEEDaPvRmT3_T4_T5_mT6_P12ihipStream_tbENKUlT_T0_E_clISt17integral_constantIbLb1EESW_EEDaSR_SS_EUlSR_E0_NS1_11comp_targetILNS1_3genE10ELNS1_11target_archE1201ELNS1_3gpuE5ELNS1_3repE0EEENS1_30default_config_static_selectorELNS0_4arch9wavefront6targetE1EEEvT1_.kd
    .uniform_work_group_size: 1
    .uses_dynamic_stack: false
    .vgpr_count:     0
    .vgpr_spill_count: 0
    .wavefront_size: 64
  - .agpr_count:     0
    .args:
      - .offset:         0
        .size:           32
        .value_kind:     by_value
    .group_segment_fixed_size: 0
    .kernarg_segment_align: 8
    .kernarg_segment_size: 32
    .language:       OpenCL C
    .language_version:
      - 2
      - 0
    .max_flat_workgroup_size: 256
    .name:           _ZN7rocprim17ROCPRIM_400000_NS6detail17trampoline_kernelINS0_14default_configENS1_20scan_config_selectorIfEEZZNS1_9scan_implILNS1_25lookback_scan_determinismE0ELb0ELb0ES3_PKfPffZZZN2at6native31launch_logcumsumexp_cuda_kernelERKNSB_10TensorBaseESF_lENKUlvE_clEvENKUlvE0_clEvEUlffE_fEEDaPvRmT3_T4_T5_mT6_P12ihipStream_tbENKUlT_T0_E_clISt17integral_constantIbLb1EESW_EEDaSR_SS_EUlSR_E0_NS1_11comp_targetILNS1_3genE10ELNS1_11target_archE1200ELNS1_3gpuE4ELNS1_3repE0EEENS1_30default_config_static_selectorELNS0_4arch9wavefront6targetE1EEEvT1_
    .private_segment_fixed_size: 0
    .sgpr_count:     6
    .sgpr_spill_count: 0
    .symbol:         _ZN7rocprim17ROCPRIM_400000_NS6detail17trampoline_kernelINS0_14default_configENS1_20scan_config_selectorIfEEZZNS1_9scan_implILNS1_25lookback_scan_determinismE0ELb0ELb0ES3_PKfPffZZZN2at6native31launch_logcumsumexp_cuda_kernelERKNSB_10TensorBaseESF_lENKUlvE_clEvENKUlvE0_clEvEUlffE_fEEDaPvRmT3_T4_T5_mT6_P12ihipStream_tbENKUlT_T0_E_clISt17integral_constantIbLb1EESW_EEDaSR_SS_EUlSR_E0_NS1_11comp_targetILNS1_3genE10ELNS1_11target_archE1200ELNS1_3gpuE4ELNS1_3repE0EEENS1_30default_config_static_selectorELNS0_4arch9wavefront6targetE1EEEvT1_.kd
    .uniform_work_group_size: 1
    .uses_dynamic_stack: false
    .vgpr_count:     0
    .vgpr_spill_count: 0
    .wavefront_size: 64
  - .agpr_count:     0
    .args:
      - .offset:         0
        .size:           32
        .value_kind:     by_value
    .group_segment_fixed_size: 0
    .kernarg_segment_align: 8
    .kernarg_segment_size: 32
    .language:       OpenCL C
    .language_version:
      - 2
      - 0
    .max_flat_workgroup_size: 256
    .name:           _ZN7rocprim17ROCPRIM_400000_NS6detail17trampoline_kernelINS0_14default_configENS1_20scan_config_selectorIfEEZZNS1_9scan_implILNS1_25lookback_scan_determinismE0ELb0ELb0ES3_PKfPffZZZN2at6native31launch_logcumsumexp_cuda_kernelERKNSB_10TensorBaseESF_lENKUlvE_clEvENKUlvE0_clEvEUlffE_fEEDaPvRmT3_T4_T5_mT6_P12ihipStream_tbENKUlT_T0_E_clISt17integral_constantIbLb1EESW_EEDaSR_SS_EUlSR_E0_NS1_11comp_targetILNS1_3genE9ELNS1_11target_archE1100ELNS1_3gpuE3ELNS1_3repE0EEENS1_30default_config_static_selectorELNS0_4arch9wavefront6targetE1EEEvT1_
    .private_segment_fixed_size: 0
    .sgpr_count:     6
    .sgpr_spill_count: 0
    .symbol:         _ZN7rocprim17ROCPRIM_400000_NS6detail17trampoline_kernelINS0_14default_configENS1_20scan_config_selectorIfEEZZNS1_9scan_implILNS1_25lookback_scan_determinismE0ELb0ELb0ES3_PKfPffZZZN2at6native31launch_logcumsumexp_cuda_kernelERKNSB_10TensorBaseESF_lENKUlvE_clEvENKUlvE0_clEvEUlffE_fEEDaPvRmT3_T4_T5_mT6_P12ihipStream_tbENKUlT_T0_E_clISt17integral_constantIbLb1EESW_EEDaSR_SS_EUlSR_E0_NS1_11comp_targetILNS1_3genE9ELNS1_11target_archE1100ELNS1_3gpuE3ELNS1_3repE0EEENS1_30default_config_static_selectorELNS0_4arch9wavefront6targetE1EEEvT1_.kd
    .uniform_work_group_size: 1
    .uses_dynamic_stack: false
    .vgpr_count:     0
    .vgpr_spill_count: 0
    .wavefront_size: 64
  - .agpr_count:     0
    .args:
      - .offset:         0
        .size:           32
        .value_kind:     by_value
    .group_segment_fixed_size: 0
    .kernarg_segment_align: 8
    .kernarg_segment_size: 32
    .language:       OpenCL C
    .language_version:
      - 2
      - 0
    .max_flat_workgroup_size: 64
    .name:           _ZN7rocprim17ROCPRIM_400000_NS6detail17trampoline_kernelINS0_14default_configENS1_20scan_config_selectorIfEEZZNS1_9scan_implILNS1_25lookback_scan_determinismE0ELb0ELb0ES3_PKfPffZZZN2at6native31launch_logcumsumexp_cuda_kernelERKNSB_10TensorBaseESF_lENKUlvE_clEvENKUlvE0_clEvEUlffE_fEEDaPvRmT3_T4_T5_mT6_P12ihipStream_tbENKUlT_T0_E_clISt17integral_constantIbLb1EESW_EEDaSR_SS_EUlSR_E0_NS1_11comp_targetILNS1_3genE8ELNS1_11target_archE1030ELNS1_3gpuE2ELNS1_3repE0EEENS1_30default_config_static_selectorELNS0_4arch9wavefront6targetE1EEEvT1_
    .private_segment_fixed_size: 0
    .sgpr_count:     6
    .sgpr_spill_count: 0
    .symbol:         _ZN7rocprim17ROCPRIM_400000_NS6detail17trampoline_kernelINS0_14default_configENS1_20scan_config_selectorIfEEZZNS1_9scan_implILNS1_25lookback_scan_determinismE0ELb0ELb0ES3_PKfPffZZZN2at6native31launch_logcumsumexp_cuda_kernelERKNSB_10TensorBaseESF_lENKUlvE_clEvENKUlvE0_clEvEUlffE_fEEDaPvRmT3_T4_T5_mT6_P12ihipStream_tbENKUlT_T0_E_clISt17integral_constantIbLb1EESW_EEDaSR_SS_EUlSR_E0_NS1_11comp_targetILNS1_3genE8ELNS1_11target_archE1030ELNS1_3gpuE2ELNS1_3repE0EEENS1_30default_config_static_selectorELNS0_4arch9wavefront6targetE1EEEvT1_.kd
    .uniform_work_group_size: 1
    .uses_dynamic_stack: false
    .vgpr_count:     0
    .vgpr_spill_count: 0
    .wavefront_size: 64
  - .agpr_count:     0
    .args:
      - .address_space:  global
        .offset:         0
        .size:           8
        .value_kind:     global_buffer
      - .offset:         8
        .size:           4
        .value_kind:     by_value
      - .offset:         12
        .size:           1
        .value_kind:     by_value
      - .offset:         16
        .size:           4
        .value_kind:     by_value
      - .address_space:  global
        .offset:         24
        .size:           8
        .value_kind:     global_buffer
      - .offset:         32
        .size:           4
        .value_kind:     hidden_block_count_x
      - .offset:         36
        .size:           4
        .value_kind:     hidden_block_count_y
      - .offset:         40
        .size:           4
        .value_kind:     hidden_block_count_z
      - .offset:         44
        .size:           2
        .value_kind:     hidden_group_size_x
      - .offset:         46
        .size:           2
        .value_kind:     hidden_group_size_y
      - .offset:         48
        .size:           2
        .value_kind:     hidden_group_size_z
      - .offset:         50
        .size:           2
        .value_kind:     hidden_remainder_x
      - .offset:         52
        .size:           2
        .value_kind:     hidden_remainder_y
      - .offset:         54
        .size:           2
        .value_kind:     hidden_remainder_z
      - .offset:         72
        .size:           8
        .value_kind:     hidden_global_offset_x
      - .offset:         80
        .size:           8
        .value_kind:     hidden_global_offset_y
      - .offset:         88
        .size:           8
        .value_kind:     hidden_global_offset_z
      - .offset:         96
        .size:           2
        .value_kind:     hidden_grid_dims
    .group_segment_fixed_size: 0
    .kernarg_segment_align: 8
    .kernarg_segment_size: 288
    .language:       OpenCL C
    .language_version:
      - 2
      - 0
    .max_flat_workgroup_size: 256
    .name:           _ZN7rocprim17ROCPRIM_400000_NS6detail31init_lookback_scan_state_kernelINS1_19lookback_scan_stateIfLb1ELb1EEENS1_16block_id_wrapperIjLb0EEEEEvT_jT0_jPNS7_10value_typeE
    .private_segment_fixed_size: 0
    .sgpr_count:     18
    .sgpr_spill_count: 0
    .symbol:         _ZN7rocprim17ROCPRIM_400000_NS6detail31init_lookback_scan_state_kernelINS1_19lookback_scan_stateIfLb1ELb1EEENS1_16block_id_wrapperIjLb0EEEEEvT_jT0_jPNS7_10value_typeE.kd
    .uniform_work_group_size: 1
    .uses_dynamic_stack: false
    .vgpr_count:     6
    .vgpr_spill_count: 0
    .wavefront_size: 64
  - .agpr_count:     0
    .args:
      - .offset:         0
        .size:           96
        .value_kind:     by_value
    .group_segment_fixed_size: 0
    .kernarg_segment_align: 8
    .kernarg_segment_size: 96
    .language:       OpenCL C
    .language_version:
      - 2
      - 0
    .max_flat_workgroup_size: 256
    .name:           _ZN7rocprim17ROCPRIM_400000_NS6detail17trampoline_kernelINS0_14default_configENS1_20scan_config_selectorIfEEZZNS1_9scan_implILNS1_25lookback_scan_determinismE0ELb0ELb0ES3_PKfPffZZZN2at6native31launch_logcumsumexp_cuda_kernelERKNSB_10TensorBaseESF_lENKUlvE_clEvENKUlvE0_clEvEUlffE_fEEDaPvRmT3_T4_T5_mT6_P12ihipStream_tbENKUlT_T0_E_clISt17integral_constantIbLb1EESV_IbLb0EEEEDaSR_SS_EUlSR_E_NS1_11comp_targetILNS1_3genE0ELNS1_11target_archE4294967295ELNS1_3gpuE0ELNS1_3repE0EEENS1_30default_config_static_selectorELNS0_4arch9wavefront6targetE1EEEvT1_
    .private_segment_fixed_size: 0
    .sgpr_count:     6
    .sgpr_spill_count: 0
    .symbol:         _ZN7rocprim17ROCPRIM_400000_NS6detail17trampoline_kernelINS0_14default_configENS1_20scan_config_selectorIfEEZZNS1_9scan_implILNS1_25lookback_scan_determinismE0ELb0ELb0ES3_PKfPffZZZN2at6native31launch_logcumsumexp_cuda_kernelERKNSB_10TensorBaseESF_lENKUlvE_clEvENKUlvE0_clEvEUlffE_fEEDaPvRmT3_T4_T5_mT6_P12ihipStream_tbENKUlT_T0_E_clISt17integral_constantIbLb1EESV_IbLb0EEEEDaSR_SS_EUlSR_E_NS1_11comp_targetILNS1_3genE0ELNS1_11target_archE4294967295ELNS1_3gpuE0ELNS1_3repE0EEENS1_30default_config_static_selectorELNS0_4arch9wavefront6targetE1EEEvT1_.kd
    .uniform_work_group_size: 1
    .uses_dynamic_stack: false
    .vgpr_count:     0
    .vgpr_spill_count: 0
    .wavefront_size: 64
  - .agpr_count:     0
    .args:
      - .offset:         0
        .size:           96
        .value_kind:     by_value
    .group_segment_fixed_size: 0
    .kernarg_segment_align: 8
    .kernarg_segment_size: 96
    .language:       OpenCL C
    .language_version:
      - 2
      - 0
    .max_flat_workgroup_size: 256
    .name:           _ZN7rocprim17ROCPRIM_400000_NS6detail17trampoline_kernelINS0_14default_configENS1_20scan_config_selectorIfEEZZNS1_9scan_implILNS1_25lookback_scan_determinismE0ELb0ELb0ES3_PKfPffZZZN2at6native31launch_logcumsumexp_cuda_kernelERKNSB_10TensorBaseESF_lENKUlvE_clEvENKUlvE0_clEvEUlffE_fEEDaPvRmT3_T4_T5_mT6_P12ihipStream_tbENKUlT_T0_E_clISt17integral_constantIbLb1EESV_IbLb0EEEEDaSR_SS_EUlSR_E_NS1_11comp_targetILNS1_3genE5ELNS1_11target_archE942ELNS1_3gpuE9ELNS1_3repE0EEENS1_30default_config_static_selectorELNS0_4arch9wavefront6targetE1EEEvT1_
    .private_segment_fixed_size: 0
    .sgpr_count:     6
    .sgpr_spill_count: 0
    .symbol:         _ZN7rocprim17ROCPRIM_400000_NS6detail17trampoline_kernelINS0_14default_configENS1_20scan_config_selectorIfEEZZNS1_9scan_implILNS1_25lookback_scan_determinismE0ELb0ELb0ES3_PKfPffZZZN2at6native31launch_logcumsumexp_cuda_kernelERKNSB_10TensorBaseESF_lENKUlvE_clEvENKUlvE0_clEvEUlffE_fEEDaPvRmT3_T4_T5_mT6_P12ihipStream_tbENKUlT_T0_E_clISt17integral_constantIbLb1EESV_IbLb0EEEEDaSR_SS_EUlSR_E_NS1_11comp_targetILNS1_3genE5ELNS1_11target_archE942ELNS1_3gpuE9ELNS1_3repE0EEENS1_30default_config_static_selectorELNS0_4arch9wavefront6targetE1EEEvT1_.kd
    .uniform_work_group_size: 1
    .uses_dynamic_stack: false
    .vgpr_count:     0
    .vgpr_spill_count: 0
    .wavefront_size: 64
  - .agpr_count:     0
    .args:
      - .offset:         0
        .size:           96
        .value_kind:     by_value
    .group_segment_fixed_size: 0
    .kernarg_segment_align: 8
    .kernarg_segment_size: 96
    .language:       OpenCL C
    .language_version:
      - 2
      - 0
    .max_flat_workgroup_size: 128
    .name:           _ZN7rocprim17ROCPRIM_400000_NS6detail17trampoline_kernelINS0_14default_configENS1_20scan_config_selectorIfEEZZNS1_9scan_implILNS1_25lookback_scan_determinismE0ELb0ELb0ES3_PKfPffZZZN2at6native31launch_logcumsumexp_cuda_kernelERKNSB_10TensorBaseESF_lENKUlvE_clEvENKUlvE0_clEvEUlffE_fEEDaPvRmT3_T4_T5_mT6_P12ihipStream_tbENKUlT_T0_E_clISt17integral_constantIbLb1EESV_IbLb0EEEEDaSR_SS_EUlSR_E_NS1_11comp_targetILNS1_3genE4ELNS1_11target_archE910ELNS1_3gpuE8ELNS1_3repE0EEENS1_30default_config_static_selectorELNS0_4arch9wavefront6targetE1EEEvT1_
    .private_segment_fixed_size: 0
    .sgpr_count:     6
    .sgpr_spill_count: 0
    .symbol:         _ZN7rocprim17ROCPRIM_400000_NS6detail17trampoline_kernelINS0_14default_configENS1_20scan_config_selectorIfEEZZNS1_9scan_implILNS1_25lookback_scan_determinismE0ELb0ELb0ES3_PKfPffZZZN2at6native31launch_logcumsumexp_cuda_kernelERKNSB_10TensorBaseESF_lENKUlvE_clEvENKUlvE0_clEvEUlffE_fEEDaPvRmT3_T4_T5_mT6_P12ihipStream_tbENKUlT_T0_E_clISt17integral_constantIbLb1EESV_IbLb0EEEEDaSR_SS_EUlSR_E_NS1_11comp_targetILNS1_3genE4ELNS1_11target_archE910ELNS1_3gpuE8ELNS1_3repE0EEENS1_30default_config_static_selectorELNS0_4arch9wavefront6targetE1EEEvT1_.kd
    .uniform_work_group_size: 1
    .uses_dynamic_stack: false
    .vgpr_count:     0
    .vgpr_spill_count: 0
    .wavefront_size: 64
  - .agpr_count:     0
    .args:
      - .offset:         0
        .size:           96
        .value_kind:     by_value
    .group_segment_fixed_size: 0
    .kernarg_segment_align: 8
    .kernarg_segment_size: 96
    .language:       OpenCL C
    .language_version:
      - 2
      - 0
    .max_flat_workgroup_size: 256
    .name:           _ZN7rocprim17ROCPRIM_400000_NS6detail17trampoline_kernelINS0_14default_configENS1_20scan_config_selectorIfEEZZNS1_9scan_implILNS1_25lookback_scan_determinismE0ELb0ELb0ES3_PKfPffZZZN2at6native31launch_logcumsumexp_cuda_kernelERKNSB_10TensorBaseESF_lENKUlvE_clEvENKUlvE0_clEvEUlffE_fEEDaPvRmT3_T4_T5_mT6_P12ihipStream_tbENKUlT_T0_E_clISt17integral_constantIbLb1EESV_IbLb0EEEEDaSR_SS_EUlSR_E_NS1_11comp_targetILNS1_3genE3ELNS1_11target_archE908ELNS1_3gpuE7ELNS1_3repE0EEENS1_30default_config_static_selectorELNS0_4arch9wavefront6targetE1EEEvT1_
    .private_segment_fixed_size: 0
    .sgpr_count:     6
    .sgpr_spill_count: 0
    .symbol:         _ZN7rocprim17ROCPRIM_400000_NS6detail17trampoline_kernelINS0_14default_configENS1_20scan_config_selectorIfEEZZNS1_9scan_implILNS1_25lookback_scan_determinismE0ELb0ELb0ES3_PKfPffZZZN2at6native31launch_logcumsumexp_cuda_kernelERKNSB_10TensorBaseESF_lENKUlvE_clEvENKUlvE0_clEvEUlffE_fEEDaPvRmT3_T4_T5_mT6_P12ihipStream_tbENKUlT_T0_E_clISt17integral_constantIbLb1EESV_IbLb0EEEEDaSR_SS_EUlSR_E_NS1_11comp_targetILNS1_3genE3ELNS1_11target_archE908ELNS1_3gpuE7ELNS1_3repE0EEENS1_30default_config_static_selectorELNS0_4arch9wavefront6targetE1EEEvT1_.kd
    .uniform_work_group_size: 1
    .uses_dynamic_stack: false
    .vgpr_count:     0
    .vgpr_spill_count: 0
    .wavefront_size: 64
  - .agpr_count:     0
    .args:
      - .offset:         0
        .size:           96
        .value_kind:     by_value
    .group_segment_fixed_size: 0
    .kernarg_segment_align: 8
    .kernarg_segment_size: 96
    .language:       OpenCL C
    .language_version:
      - 2
      - 0
    .max_flat_workgroup_size: 256
    .name:           _ZN7rocprim17ROCPRIM_400000_NS6detail17trampoline_kernelINS0_14default_configENS1_20scan_config_selectorIfEEZZNS1_9scan_implILNS1_25lookback_scan_determinismE0ELb0ELb0ES3_PKfPffZZZN2at6native31launch_logcumsumexp_cuda_kernelERKNSB_10TensorBaseESF_lENKUlvE_clEvENKUlvE0_clEvEUlffE_fEEDaPvRmT3_T4_T5_mT6_P12ihipStream_tbENKUlT_T0_E_clISt17integral_constantIbLb1EESV_IbLb0EEEEDaSR_SS_EUlSR_E_NS1_11comp_targetILNS1_3genE2ELNS1_11target_archE906ELNS1_3gpuE6ELNS1_3repE0EEENS1_30default_config_static_selectorELNS0_4arch9wavefront6targetE1EEEvT1_
    .private_segment_fixed_size: 0
    .sgpr_count:     6
    .sgpr_spill_count: 0
    .symbol:         _ZN7rocprim17ROCPRIM_400000_NS6detail17trampoline_kernelINS0_14default_configENS1_20scan_config_selectorIfEEZZNS1_9scan_implILNS1_25lookback_scan_determinismE0ELb0ELb0ES3_PKfPffZZZN2at6native31launch_logcumsumexp_cuda_kernelERKNSB_10TensorBaseESF_lENKUlvE_clEvENKUlvE0_clEvEUlffE_fEEDaPvRmT3_T4_T5_mT6_P12ihipStream_tbENKUlT_T0_E_clISt17integral_constantIbLb1EESV_IbLb0EEEEDaSR_SS_EUlSR_E_NS1_11comp_targetILNS1_3genE2ELNS1_11target_archE906ELNS1_3gpuE6ELNS1_3repE0EEENS1_30default_config_static_selectorELNS0_4arch9wavefront6targetE1EEEvT1_.kd
    .uniform_work_group_size: 1
    .uses_dynamic_stack: false
    .vgpr_count:     0
    .vgpr_spill_count: 0
    .wavefront_size: 64
  - .agpr_count:     0
    .args:
      - .offset:         0
        .size:           96
        .value_kind:     by_value
    .group_segment_fixed_size: 0
    .kernarg_segment_align: 8
    .kernarg_segment_size: 96
    .language:       OpenCL C
    .language_version:
      - 2
      - 0
    .max_flat_workgroup_size: 256
    .name:           _ZN7rocprim17ROCPRIM_400000_NS6detail17trampoline_kernelINS0_14default_configENS1_20scan_config_selectorIfEEZZNS1_9scan_implILNS1_25lookback_scan_determinismE0ELb0ELb0ES3_PKfPffZZZN2at6native31launch_logcumsumexp_cuda_kernelERKNSB_10TensorBaseESF_lENKUlvE_clEvENKUlvE0_clEvEUlffE_fEEDaPvRmT3_T4_T5_mT6_P12ihipStream_tbENKUlT_T0_E_clISt17integral_constantIbLb1EESV_IbLb0EEEEDaSR_SS_EUlSR_E_NS1_11comp_targetILNS1_3genE10ELNS1_11target_archE1201ELNS1_3gpuE5ELNS1_3repE0EEENS1_30default_config_static_selectorELNS0_4arch9wavefront6targetE1EEEvT1_
    .private_segment_fixed_size: 0
    .sgpr_count:     6
    .sgpr_spill_count: 0
    .symbol:         _ZN7rocprim17ROCPRIM_400000_NS6detail17trampoline_kernelINS0_14default_configENS1_20scan_config_selectorIfEEZZNS1_9scan_implILNS1_25lookback_scan_determinismE0ELb0ELb0ES3_PKfPffZZZN2at6native31launch_logcumsumexp_cuda_kernelERKNSB_10TensorBaseESF_lENKUlvE_clEvENKUlvE0_clEvEUlffE_fEEDaPvRmT3_T4_T5_mT6_P12ihipStream_tbENKUlT_T0_E_clISt17integral_constantIbLb1EESV_IbLb0EEEEDaSR_SS_EUlSR_E_NS1_11comp_targetILNS1_3genE10ELNS1_11target_archE1201ELNS1_3gpuE5ELNS1_3repE0EEENS1_30default_config_static_selectorELNS0_4arch9wavefront6targetE1EEEvT1_.kd
    .uniform_work_group_size: 1
    .uses_dynamic_stack: false
    .vgpr_count:     0
    .vgpr_spill_count: 0
    .wavefront_size: 64
  - .agpr_count:     0
    .args:
      - .offset:         0
        .size:           96
        .value_kind:     by_value
    .group_segment_fixed_size: 0
    .kernarg_segment_align: 8
    .kernarg_segment_size: 96
    .language:       OpenCL C
    .language_version:
      - 2
      - 0
    .max_flat_workgroup_size: 256
    .name:           _ZN7rocprim17ROCPRIM_400000_NS6detail17trampoline_kernelINS0_14default_configENS1_20scan_config_selectorIfEEZZNS1_9scan_implILNS1_25lookback_scan_determinismE0ELb0ELb0ES3_PKfPffZZZN2at6native31launch_logcumsumexp_cuda_kernelERKNSB_10TensorBaseESF_lENKUlvE_clEvENKUlvE0_clEvEUlffE_fEEDaPvRmT3_T4_T5_mT6_P12ihipStream_tbENKUlT_T0_E_clISt17integral_constantIbLb1EESV_IbLb0EEEEDaSR_SS_EUlSR_E_NS1_11comp_targetILNS1_3genE10ELNS1_11target_archE1200ELNS1_3gpuE4ELNS1_3repE0EEENS1_30default_config_static_selectorELNS0_4arch9wavefront6targetE1EEEvT1_
    .private_segment_fixed_size: 0
    .sgpr_count:     6
    .sgpr_spill_count: 0
    .symbol:         _ZN7rocprim17ROCPRIM_400000_NS6detail17trampoline_kernelINS0_14default_configENS1_20scan_config_selectorIfEEZZNS1_9scan_implILNS1_25lookback_scan_determinismE0ELb0ELb0ES3_PKfPffZZZN2at6native31launch_logcumsumexp_cuda_kernelERKNSB_10TensorBaseESF_lENKUlvE_clEvENKUlvE0_clEvEUlffE_fEEDaPvRmT3_T4_T5_mT6_P12ihipStream_tbENKUlT_T0_E_clISt17integral_constantIbLb1EESV_IbLb0EEEEDaSR_SS_EUlSR_E_NS1_11comp_targetILNS1_3genE10ELNS1_11target_archE1200ELNS1_3gpuE4ELNS1_3repE0EEENS1_30default_config_static_selectorELNS0_4arch9wavefront6targetE1EEEvT1_.kd
    .uniform_work_group_size: 1
    .uses_dynamic_stack: false
    .vgpr_count:     0
    .vgpr_spill_count: 0
    .wavefront_size: 64
  - .agpr_count:     0
    .args:
      - .offset:         0
        .size:           96
        .value_kind:     by_value
    .group_segment_fixed_size: 0
    .kernarg_segment_align: 8
    .kernarg_segment_size: 96
    .language:       OpenCL C
    .language_version:
      - 2
      - 0
    .max_flat_workgroup_size: 256
    .name:           _ZN7rocprim17ROCPRIM_400000_NS6detail17trampoline_kernelINS0_14default_configENS1_20scan_config_selectorIfEEZZNS1_9scan_implILNS1_25lookback_scan_determinismE0ELb0ELb0ES3_PKfPffZZZN2at6native31launch_logcumsumexp_cuda_kernelERKNSB_10TensorBaseESF_lENKUlvE_clEvENKUlvE0_clEvEUlffE_fEEDaPvRmT3_T4_T5_mT6_P12ihipStream_tbENKUlT_T0_E_clISt17integral_constantIbLb1EESV_IbLb0EEEEDaSR_SS_EUlSR_E_NS1_11comp_targetILNS1_3genE9ELNS1_11target_archE1100ELNS1_3gpuE3ELNS1_3repE0EEENS1_30default_config_static_selectorELNS0_4arch9wavefront6targetE1EEEvT1_
    .private_segment_fixed_size: 0
    .sgpr_count:     6
    .sgpr_spill_count: 0
    .symbol:         _ZN7rocprim17ROCPRIM_400000_NS6detail17trampoline_kernelINS0_14default_configENS1_20scan_config_selectorIfEEZZNS1_9scan_implILNS1_25lookback_scan_determinismE0ELb0ELb0ES3_PKfPffZZZN2at6native31launch_logcumsumexp_cuda_kernelERKNSB_10TensorBaseESF_lENKUlvE_clEvENKUlvE0_clEvEUlffE_fEEDaPvRmT3_T4_T5_mT6_P12ihipStream_tbENKUlT_T0_E_clISt17integral_constantIbLb1EESV_IbLb0EEEEDaSR_SS_EUlSR_E_NS1_11comp_targetILNS1_3genE9ELNS1_11target_archE1100ELNS1_3gpuE3ELNS1_3repE0EEENS1_30default_config_static_selectorELNS0_4arch9wavefront6targetE1EEEvT1_.kd
    .uniform_work_group_size: 1
    .uses_dynamic_stack: false
    .vgpr_count:     0
    .vgpr_spill_count: 0
    .wavefront_size: 64
  - .agpr_count:     0
    .args:
      - .offset:         0
        .size:           96
        .value_kind:     by_value
    .group_segment_fixed_size: 0
    .kernarg_segment_align: 8
    .kernarg_segment_size: 96
    .language:       OpenCL C
    .language_version:
      - 2
      - 0
    .max_flat_workgroup_size: 64
    .name:           _ZN7rocprim17ROCPRIM_400000_NS6detail17trampoline_kernelINS0_14default_configENS1_20scan_config_selectorIfEEZZNS1_9scan_implILNS1_25lookback_scan_determinismE0ELb0ELb0ES3_PKfPffZZZN2at6native31launch_logcumsumexp_cuda_kernelERKNSB_10TensorBaseESF_lENKUlvE_clEvENKUlvE0_clEvEUlffE_fEEDaPvRmT3_T4_T5_mT6_P12ihipStream_tbENKUlT_T0_E_clISt17integral_constantIbLb1EESV_IbLb0EEEEDaSR_SS_EUlSR_E_NS1_11comp_targetILNS1_3genE8ELNS1_11target_archE1030ELNS1_3gpuE2ELNS1_3repE0EEENS1_30default_config_static_selectorELNS0_4arch9wavefront6targetE1EEEvT1_
    .private_segment_fixed_size: 0
    .sgpr_count:     6
    .sgpr_spill_count: 0
    .symbol:         _ZN7rocprim17ROCPRIM_400000_NS6detail17trampoline_kernelINS0_14default_configENS1_20scan_config_selectorIfEEZZNS1_9scan_implILNS1_25lookback_scan_determinismE0ELb0ELb0ES3_PKfPffZZZN2at6native31launch_logcumsumexp_cuda_kernelERKNSB_10TensorBaseESF_lENKUlvE_clEvENKUlvE0_clEvEUlffE_fEEDaPvRmT3_T4_T5_mT6_P12ihipStream_tbENKUlT_T0_E_clISt17integral_constantIbLb1EESV_IbLb0EEEEDaSR_SS_EUlSR_E_NS1_11comp_targetILNS1_3genE8ELNS1_11target_archE1030ELNS1_3gpuE2ELNS1_3repE0EEENS1_30default_config_static_selectorELNS0_4arch9wavefront6targetE1EEEvT1_.kd
    .uniform_work_group_size: 1
    .uses_dynamic_stack: false
    .vgpr_count:     0
    .vgpr_spill_count: 0
    .wavefront_size: 64
  - .agpr_count:     0
    .args:
      - .offset:         0
        .size:           32
        .value_kind:     by_value
    .group_segment_fixed_size: 14336
    .kernarg_segment_align: 8
    .kernarg_segment_size: 32
    .language:       OpenCL C
    .language_version:
      - 2
      - 0
    .max_flat_workgroup_size: 256
    .name:           _ZN7rocprim17ROCPRIM_400000_NS6detail17trampoline_kernelINS0_14default_configENS1_20scan_config_selectorIfEEZZNS1_9scan_implILNS1_25lookback_scan_determinismE0ELb0ELb0ES3_PKfPffZZZN2at6native31launch_logcumsumexp_cuda_kernelERKNSB_10TensorBaseESF_lENKUlvE_clEvENKUlvE0_clEvEUlffE_fEEDaPvRmT3_T4_T5_mT6_P12ihipStream_tbENKUlT_T0_E_clISt17integral_constantIbLb1EESV_IbLb0EEEEDaSR_SS_EUlSR_E0_NS1_11comp_targetILNS1_3genE0ELNS1_11target_archE4294967295ELNS1_3gpuE0ELNS1_3repE0EEENS1_30default_config_static_selectorELNS0_4arch9wavefront6targetE1EEEvT1_
    .private_segment_fixed_size: 0
    .sgpr_count:     75
    .sgpr_spill_count: 0
    .symbol:         _ZN7rocprim17ROCPRIM_400000_NS6detail17trampoline_kernelINS0_14default_configENS1_20scan_config_selectorIfEEZZNS1_9scan_implILNS1_25lookback_scan_determinismE0ELb0ELb0ES3_PKfPffZZZN2at6native31launch_logcumsumexp_cuda_kernelERKNSB_10TensorBaseESF_lENKUlvE_clEvENKUlvE0_clEvEUlffE_fEEDaPvRmT3_T4_T5_mT6_P12ihipStream_tbENKUlT_T0_E_clISt17integral_constantIbLb1EESV_IbLb0EEEEDaSR_SS_EUlSR_E0_NS1_11comp_targetILNS1_3genE0ELNS1_11target_archE4294967295ELNS1_3gpuE0ELNS1_3repE0EEENS1_30default_config_static_selectorELNS0_4arch9wavefront6targetE1EEEvT1_.kd
    .uniform_work_group_size: 1
    .uses_dynamic_stack: false
    .vgpr_count:     55
    .vgpr_spill_count: 0
    .wavefront_size: 64
  - .agpr_count:     0
    .args:
      - .offset:         0
        .size:           32
        .value_kind:     by_value
    .group_segment_fixed_size: 0
    .kernarg_segment_align: 8
    .kernarg_segment_size: 32
    .language:       OpenCL C
    .language_version:
      - 2
      - 0
    .max_flat_workgroup_size: 256
    .name:           _ZN7rocprim17ROCPRIM_400000_NS6detail17trampoline_kernelINS0_14default_configENS1_20scan_config_selectorIfEEZZNS1_9scan_implILNS1_25lookback_scan_determinismE0ELb0ELb0ES3_PKfPffZZZN2at6native31launch_logcumsumexp_cuda_kernelERKNSB_10TensorBaseESF_lENKUlvE_clEvENKUlvE0_clEvEUlffE_fEEDaPvRmT3_T4_T5_mT6_P12ihipStream_tbENKUlT_T0_E_clISt17integral_constantIbLb1EESV_IbLb0EEEEDaSR_SS_EUlSR_E0_NS1_11comp_targetILNS1_3genE5ELNS1_11target_archE942ELNS1_3gpuE9ELNS1_3repE0EEENS1_30default_config_static_selectorELNS0_4arch9wavefront6targetE1EEEvT1_
    .private_segment_fixed_size: 0
    .sgpr_count:     6
    .sgpr_spill_count: 0
    .symbol:         _ZN7rocprim17ROCPRIM_400000_NS6detail17trampoline_kernelINS0_14default_configENS1_20scan_config_selectorIfEEZZNS1_9scan_implILNS1_25lookback_scan_determinismE0ELb0ELb0ES3_PKfPffZZZN2at6native31launch_logcumsumexp_cuda_kernelERKNSB_10TensorBaseESF_lENKUlvE_clEvENKUlvE0_clEvEUlffE_fEEDaPvRmT3_T4_T5_mT6_P12ihipStream_tbENKUlT_T0_E_clISt17integral_constantIbLb1EESV_IbLb0EEEEDaSR_SS_EUlSR_E0_NS1_11comp_targetILNS1_3genE5ELNS1_11target_archE942ELNS1_3gpuE9ELNS1_3repE0EEENS1_30default_config_static_selectorELNS0_4arch9wavefront6targetE1EEEvT1_.kd
    .uniform_work_group_size: 1
    .uses_dynamic_stack: false
    .vgpr_count:     0
    .vgpr_spill_count: 0
    .wavefront_size: 64
  - .agpr_count:     0
    .args:
      - .offset:         0
        .size:           32
        .value_kind:     by_value
    .group_segment_fixed_size: 0
    .kernarg_segment_align: 8
    .kernarg_segment_size: 32
    .language:       OpenCL C
    .language_version:
      - 2
      - 0
    .max_flat_workgroup_size: 128
    .name:           _ZN7rocprim17ROCPRIM_400000_NS6detail17trampoline_kernelINS0_14default_configENS1_20scan_config_selectorIfEEZZNS1_9scan_implILNS1_25lookback_scan_determinismE0ELb0ELb0ES3_PKfPffZZZN2at6native31launch_logcumsumexp_cuda_kernelERKNSB_10TensorBaseESF_lENKUlvE_clEvENKUlvE0_clEvEUlffE_fEEDaPvRmT3_T4_T5_mT6_P12ihipStream_tbENKUlT_T0_E_clISt17integral_constantIbLb1EESV_IbLb0EEEEDaSR_SS_EUlSR_E0_NS1_11comp_targetILNS1_3genE4ELNS1_11target_archE910ELNS1_3gpuE8ELNS1_3repE0EEENS1_30default_config_static_selectorELNS0_4arch9wavefront6targetE1EEEvT1_
    .private_segment_fixed_size: 0
    .sgpr_count:     6
    .sgpr_spill_count: 0
    .symbol:         _ZN7rocprim17ROCPRIM_400000_NS6detail17trampoline_kernelINS0_14default_configENS1_20scan_config_selectorIfEEZZNS1_9scan_implILNS1_25lookback_scan_determinismE0ELb0ELb0ES3_PKfPffZZZN2at6native31launch_logcumsumexp_cuda_kernelERKNSB_10TensorBaseESF_lENKUlvE_clEvENKUlvE0_clEvEUlffE_fEEDaPvRmT3_T4_T5_mT6_P12ihipStream_tbENKUlT_T0_E_clISt17integral_constantIbLb1EESV_IbLb0EEEEDaSR_SS_EUlSR_E0_NS1_11comp_targetILNS1_3genE4ELNS1_11target_archE910ELNS1_3gpuE8ELNS1_3repE0EEENS1_30default_config_static_selectorELNS0_4arch9wavefront6targetE1EEEvT1_.kd
    .uniform_work_group_size: 1
    .uses_dynamic_stack: false
    .vgpr_count:     0
    .vgpr_spill_count: 0
    .wavefront_size: 64
  - .agpr_count:     0
    .args:
      - .offset:         0
        .size:           32
        .value_kind:     by_value
    .group_segment_fixed_size: 0
    .kernarg_segment_align: 8
    .kernarg_segment_size: 32
    .language:       OpenCL C
    .language_version:
      - 2
      - 0
    .max_flat_workgroup_size: 256
    .name:           _ZN7rocprim17ROCPRIM_400000_NS6detail17trampoline_kernelINS0_14default_configENS1_20scan_config_selectorIfEEZZNS1_9scan_implILNS1_25lookback_scan_determinismE0ELb0ELb0ES3_PKfPffZZZN2at6native31launch_logcumsumexp_cuda_kernelERKNSB_10TensorBaseESF_lENKUlvE_clEvENKUlvE0_clEvEUlffE_fEEDaPvRmT3_T4_T5_mT6_P12ihipStream_tbENKUlT_T0_E_clISt17integral_constantIbLb1EESV_IbLb0EEEEDaSR_SS_EUlSR_E0_NS1_11comp_targetILNS1_3genE3ELNS1_11target_archE908ELNS1_3gpuE7ELNS1_3repE0EEENS1_30default_config_static_selectorELNS0_4arch9wavefront6targetE1EEEvT1_
    .private_segment_fixed_size: 0
    .sgpr_count:     6
    .sgpr_spill_count: 0
    .symbol:         _ZN7rocprim17ROCPRIM_400000_NS6detail17trampoline_kernelINS0_14default_configENS1_20scan_config_selectorIfEEZZNS1_9scan_implILNS1_25lookback_scan_determinismE0ELb0ELb0ES3_PKfPffZZZN2at6native31launch_logcumsumexp_cuda_kernelERKNSB_10TensorBaseESF_lENKUlvE_clEvENKUlvE0_clEvEUlffE_fEEDaPvRmT3_T4_T5_mT6_P12ihipStream_tbENKUlT_T0_E_clISt17integral_constantIbLb1EESV_IbLb0EEEEDaSR_SS_EUlSR_E0_NS1_11comp_targetILNS1_3genE3ELNS1_11target_archE908ELNS1_3gpuE7ELNS1_3repE0EEENS1_30default_config_static_selectorELNS0_4arch9wavefront6targetE1EEEvT1_.kd
    .uniform_work_group_size: 1
    .uses_dynamic_stack: false
    .vgpr_count:     0
    .vgpr_spill_count: 0
    .wavefront_size: 64
  - .agpr_count:     0
    .args:
      - .offset:         0
        .size:           32
        .value_kind:     by_value
    .group_segment_fixed_size: 0
    .kernarg_segment_align: 8
    .kernarg_segment_size: 32
    .language:       OpenCL C
    .language_version:
      - 2
      - 0
    .max_flat_workgroup_size: 256
    .name:           _ZN7rocprim17ROCPRIM_400000_NS6detail17trampoline_kernelINS0_14default_configENS1_20scan_config_selectorIfEEZZNS1_9scan_implILNS1_25lookback_scan_determinismE0ELb0ELb0ES3_PKfPffZZZN2at6native31launch_logcumsumexp_cuda_kernelERKNSB_10TensorBaseESF_lENKUlvE_clEvENKUlvE0_clEvEUlffE_fEEDaPvRmT3_T4_T5_mT6_P12ihipStream_tbENKUlT_T0_E_clISt17integral_constantIbLb1EESV_IbLb0EEEEDaSR_SS_EUlSR_E0_NS1_11comp_targetILNS1_3genE2ELNS1_11target_archE906ELNS1_3gpuE6ELNS1_3repE0EEENS1_30default_config_static_selectorELNS0_4arch9wavefront6targetE1EEEvT1_
    .private_segment_fixed_size: 0
    .sgpr_count:     6
    .sgpr_spill_count: 0
    .symbol:         _ZN7rocprim17ROCPRIM_400000_NS6detail17trampoline_kernelINS0_14default_configENS1_20scan_config_selectorIfEEZZNS1_9scan_implILNS1_25lookback_scan_determinismE0ELb0ELb0ES3_PKfPffZZZN2at6native31launch_logcumsumexp_cuda_kernelERKNSB_10TensorBaseESF_lENKUlvE_clEvENKUlvE0_clEvEUlffE_fEEDaPvRmT3_T4_T5_mT6_P12ihipStream_tbENKUlT_T0_E_clISt17integral_constantIbLb1EESV_IbLb0EEEEDaSR_SS_EUlSR_E0_NS1_11comp_targetILNS1_3genE2ELNS1_11target_archE906ELNS1_3gpuE6ELNS1_3repE0EEENS1_30default_config_static_selectorELNS0_4arch9wavefront6targetE1EEEvT1_.kd
    .uniform_work_group_size: 1
    .uses_dynamic_stack: false
    .vgpr_count:     0
    .vgpr_spill_count: 0
    .wavefront_size: 64
  - .agpr_count:     0
    .args:
      - .offset:         0
        .size:           32
        .value_kind:     by_value
    .group_segment_fixed_size: 0
    .kernarg_segment_align: 8
    .kernarg_segment_size: 32
    .language:       OpenCL C
    .language_version:
      - 2
      - 0
    .max_flat_workgroup_size: 256
    .name:           _ZN7rocprim17ROCPRIM_400000_NS6detail17trampoline_kernelINS0_14default_configENS1_20scan_config_selectorIfEEZZNS1_9scan_implILNS1_25lookback_scan_determinismE0ELb0ELb0ES3_PKfPffZZZN2at6native31launch_logcumsumexp_cuda_kernelERKNSB_10TensorBaseESF_lENKUlvE_clEvENKUlvE0_clEvEUlffE_fEEDaPvRmT3_T4_T5_mT6_P12ihipStream_tbENKUlT_T0_E_clISt17integral_constantIbLb1EESV_IbLb0EEEEDaSR_SS_EUlSR_E0_NS1_11comp_targetILNS1_3genE10ELNS1_11target_archE1201ELNS1_3gpuE5ELNS1_3repE0EEENS1_30default_config_static_selectorELNS0_4arch9wavefront6targetE1EEEvT1_
    .private_segment_fixed_size: 0
    .sgpr_count:     6
    .sgpr_spill_count: 0
    .symbol:         _ZN7rocprim17ROCPRIM_400000_NS6detail17trampoline_kernelINS0_14default_configENS1_20scan_config_selectorIfEEZZNS1_9scan_implILNS1_25lookback_scan_determinismE0ELb0ELb0ES3_PKfPffZZZN2at6native31launch_logcumsumexp_cuda_kernelERKNSB_10TensorBaseESF_lENKUlvE_clEvENKUlvE0_clEvEUlffE_fEEDaPvRmT3_T4_T5_mT6_P12ihipStream_tbENKUlT_T0_E_clISt17integral_constantIbLb1EESV_IbLb0EEEEDaSR_SS_EUlSR_E0_NS1_11comp_targetILNS1_3genE10ELNS1_11target_archE1201ELNS1_3gpuE5ELNS1_3repE0EEENS1_30default_config_static_selectorELNS0_4arch9wavefront6targetE1EEEvT1_.kd
    .uniform_work_group_size: 1
    .uses_dynamic_stack: false
    .vgpr_count:     0
    .vgpr_spill_count: 0
    .wavefront_size: 64
  - .agpr_count:     0
    .args:
      - .offset:         0
        .size:           32
        .value_kind:     by_value
    .group_segment_fixed_size: 0
    .kernarg_segment_align: 8
    .kernarg_segment_size: 32
    .language:       OpenCL C
    .language_version:
      - 2
      - 0
    .max_flat_workgroup_size: 256
    .name:           _ZN7rocprim17ROCPRIM_400000_NS6detail17trampoline_kernelINS0_14default_configENS1_20scan_config_selectorIfEEZZNS1_9scan_implILNS1_25lookback_scan_determinismE0ELb0ELb0ES3_PKfPffZZZN2at6native31launch_logcumsumexp_cuda_kernelERKNSB_10TensorBaseESF_lENKUlvE_clEvENKUlvE0_clEvEUlffE_fEEDaPvRmT3_T4_T5_mT6_P12ihipStream_tbENKUlT_T0_E_clISt17integral_constantIbLb1EESV_IbLb0EEEEDaSR_SS_EUlSR_E0_NS1_11comp_targetILNS1_3genE10ELNS1_11target_archE1200ELNS1_3gpuE4ELNS1_3repE0EEENS1_30default_config_static_selectorELNS0_4arch9wavefront6targetE1EEEvT1_
    .private_segment_fixed_size: 0
    .sgpr_count:     6
    .sgpr_spill_count: 0
    .symbol:         _ZN7rocprim17ROCPRIM_400000_NS6detail17trampoline_kernelINS0_14default_configENS1_20scan_config_selectorIfEEZZNS1_9scan_implILNS1_25lookback_scan_determinismE0ELb0ELb0ES3_PKfPffZZZN2at6native31launch_logcumsumexp_cuda_kernelERKNSB_10TensorBaseESF_lENKUlvE_clEvENKUlvE0_clEvEUlffE_fEEDaPvRmT3_T4_T5_mT6_P12ihipStream_tbENKUlT_T0_E_clISt17integral_constantIbLb1EESV_IbLb0EEEEDaSR_SS_EUlSR_E0_NS1_11comp_targetILNS1_3genE10ELNS1_11target_archE1200ELNS1_3gpuE4ELNS1_3repE0EEENS1_30default_config_static_selectorELNS0_4arch9wavefront6targetE1EEEvT1_.kd
    .uniform_work_group_size: 1
    .uses_dynamic_stack: false
    .vgpr_count:     0
    .vgpr_spill_count: 0
    .wavefront_size: 64
  - .agpr_count:     0
    .args:
      - .offset:         0
        .size:           32
        .value_kind:     by_value
    .group_segment_fixed_size: 0
    .kernarg_segment_align: 8
    .kernarg_segment_size: 32
    .language:       OpenCL C
    .language_version:
      - 2
      - 0
    .max_flat_workgroup_size: 256
    .name:           _ZN7rocprim17ROCPRIM_400000_NS6detail17trampoline_kernelINS0_14default_configENS1_20scan_config_selectorIfEEZZNS1_9scan_implILNS1_25lookback_scan_determinismE0ELb0ELb0ES3_PKfPffZZZN2at6native31launch_logcumsumexp_cuda_kernelERKNSB_10TensorBaseESF_lENKUlvE_clEvENKUlvE0_clEvEUlffE_fEEDaPvRmT3_T4_T5_mT6_P12ihipStream_tbENKUlT_T0_E_clISt17integral_constantIbLb1EESV_IbLb0EEEEDaSR_SS_EUlSR_E0_NS1_11comp_targetILNS1_3genE9ELNS1_11target_archE1100ELNS1_3gpuE3ELNS1_3repE0EEENS1_30default_config_static_selectorELNS0_4arch9wavefront6targetE1EEEvT1_
    .private_segment_fixed_size: 0
    .sgpr_count:     6
    .sgpr_spill_count: 0
    .symbol:         _ZN7rocprim17ROCPRIM_400000_NS6detail17trampoline_kernelINS0_14default_configENS1_20scan_config_selectorIfEEZZNS1_9scan_implILNS1_25lookback_scan_determinismE0ELb0ELb0ES3_PKfPffZZZN2at6native31launch_logcumsumexp_cuda_kernelERKNSB_10TensorBaseESF_lENKUlvE_clEvENKUlvE0_clEvEUlffE_fEEDaPvRmT3_T4_T5_mT6_P12ihipStream_tbENKUlT_T0_E_clISt17integral_constantIbLb1EESV_IbLb0EEEEDaSR_SS_EUlSR_E0_NS1_11comp_targetILNS1_3genE9ELNS1_11target_archE1100ELNS1_3gpuE3ELNS1_3repE0EEENS1_30default_config_static_selectorELNS0_4arch9wavefront6targetE1EEEvT1_.kd
    .uniform_work_group_size: 1
    .uses_dynamic_stack: false
    .vgpr_count:     0
    .vgpr_spill_count: 0
    .wavefront_size: 64
  - .agpr_count:     0
    .args:
      - .offset:         0
        .size:           32
        .value_kind:     by_value
    .group_segment_fixed_size: 0
    .kernarg_segment_align: 8
    .kernarg_segment_size: 32
    .language:       OpenCL C
    .language_version:
      - 2
      - 0
    .max_flat_workgroup_size: 64
    .name:           _ZN7rocprim17ROCPRIM_400000_NS6detail17trampoline_kernelINS0_14default_configENS1_20scan_config_selectorIfEEZZNS1_9scan_implILNS1_25lookback_scan_determinismE0ELb0ELb0ES3_PKfPffZZZN2at6native31launch_logcumsumexp_cuda_kernelERKNSB_10TensorBaseESF_lENKUlvE_clEvENKUlvE0_clEvEUlffE_fEEDaPvRmT3_T4_T5_mT6_P12ihipStream_tbENKUlT_T0_E_clISt17integral_constantIbLb1EESV_IbLb0EEEEDaSR_SS_EUlSR_E0_NS1_11comp_targetILNS1_3genE8ELNS1_11target_archE1030ELNS1_3gpuE2ELNS1_3repE0EEENS1_30default_config_static_selectorELNS0_4arch9wavefront6targetE1EEEvT1_
    .private_segment_fixed_size: 0
    .sgpr_count:     6
    .sgpr_spill_count: 0
    .symbol:         _ZN7rocprim17ROCPRIM_400000_NS6detail17trampoline_kernelINS0_14default_configENS1_20scan_config_selectorIfEEZZNS1_9scan_implILNS1_25lookback_scan_determinismE0ELb0ELb0ES3_PKfPffZZZN2at6native31launch_logcumsumexp_cuda_kernelERKNSB_10TensorBaseESF_lENKUlvE_clEvENKUlvE0_clEvEUlffE_fEEDaPvRmT3_T4_T5_mT6_P12ihipStream_tbENKUlT_T0_E_clISt17integral_constantIbLb1EESV_IbLb0EEEEDaSR_SS_EUlSR_E0_NS1_11comp_targetILNS1_3genE8ELNS1_11target_archE1030ELNS1_3gpuE2ELNS1_3repE0EEENS1_30default_config_static_selectorELNS0_4arch9wavefront6targetE1EEEvT1_.kd
    .uniform_work_group_size: 1
    .uses_dynamic_stack: false
    .vgpr_count:     0
    .vgpr_spill_count: 0
    .wavefront_size: 64
  - .agpr_count:     0
    .args:
      - .address_space:  global
        .offset:         0
        .size:           8
        .value_kind:     global_buffer
      - .offset:         8
        .size:           4
        .value_kind:     by_value
      - .address_space:  global
        .offset:         16
        .size:           8
        .value_kind:     global_buffer
      - .offset:         24
        .size:           4
        .value_kind:     by_value
      - .address_space:  global
        .offset:         32
        .size:           8
        .value_kind:     global_buffer
      - .offset:         40
        .size:           4
        .value_kind:     hidden_block_count_x
      - .offset:         44
        .size:           4
        .value_kind:     hidden_block_count_y
      - .offset:         48
        .size:           4
        .value_kind:     hidden_block_count_z
      - .offset:         52
        .size:           2
        .value_kind:     hidden_group_size_x
      - .offset:         54
        .size:           2
        .value_kind:     hidden_group_size_y
      - .offset:         56
        .size:           2
        .value_kind:     hidden_group_size_z
      - .offset:         58
        .size:           2
        .value_kind:     hidden_remainder_x
      - .offset:         60
        .size:           2
        .value_kind:     hidden_remainder_y
      - .offset:         62
        .size:           2
        .value_kind:     hidden_remainder_z
      - .offset:         80
        .size:           8
        .value_kind:     hidden_global_offset_x
      - .offset:         88
        .size:           8
        .value_kind:     hidden_global_offset_y
      - .offset:         96
        .size:           8
        .value_kind:     hidden_global_offset_z
      - .offset:         104
        .size:           2
        .value_kind:     hidden_grid_dims
    .group_segment_fixed_size: 0
    .kernarg_segment_align: 8
    .kernarg_segment_size: 296
    .language:       OpenCL C
    .language_version:
      - 2
      - 0
    .max_flat_workgroup_size: 256
    .name:           _ZN7rocprim17ROCPRIM_400000_NS6detail31init_lookback_scan_state_kernelINS1_19lookback_scan_stateIfLb0ELb1EEENS1_16block_id_wrapperIjLb1EEEEEvT_jT0_jPNS7_10value_typeE
    .private_segment_fixed_size: 0
    .sgpr_count:     17
    .sgpr_spill_count: 0
    .symbol:         _ZN7rocprim17ROCPRIM_400000_NS6detail31init_lookback_scan_state_kernelINS1_19lookback_scan_stateIfLb0ELb1EEENS1_16block_id_wrapperIjLb1EEEEEvT_jT0_jPNS7_10value_typeE.kd
    .uniform_work_group_size: 1
    .uses_dynamic_stack: false
    .vgpr_count:     6
    .vgpr_spill_count: 0
    .wavefront_size: 64
  - .agpr_count:     0
    .args:
      - .offset:         0
        .size:           96
        .value_kind:     by_value
    .group_segment_fixed_size: 14336
    .kernarg_segment_align: 8
    .kernarg_segment_size: 96
    .language:       OpenCL C
    .language_version:
      - 2
      - 0
    .max_flat_workgroup_size: 256
    .name:           _ZN7rocprim17ROCPRIM_400000_NS6detail17trampoline_kernelINS0_14default_configENS1_20scan_config_selectorIfEEZZNS1_9scan_implILNS1_25lookback_scan_determinismE0ELb0ELb0ES3_PKfPffZZZN2at6native31launch_logcumsumexp_cuda_kernelERKNSB_10TensorBaseESF_lENKUlvE_clEvENKUlvE0_clEvEUlffE_fEEDaPvRmT3_T4_T5_mT6_P12ihipStream_tbENKUlT_T0_E_clISt17integral_constantIbLb0EESV_IbLb1EEEEDaSR_SS_EUlSR_E_NS1_11comp_targetILNS1_3genE0ELNS1_11target_archE4294967295ELNS1_3gpuE0ELNS1_3repE0EEENS1_30default_config_static_selectorELNS0_4arch9wavefront6targetE1EEEvT1_
    .private_segment_fixed_size: 0
    .sgpr_count:     78
    .sgpr_spill_count: 0
    .symbol:         _ZN7rocprim17ROCPRIM_400000_NS6detail17trampoline_kernelINS0_14default_configENS1_20scan_config_selectorIfEEZZNS1_9scan_implILNS1_25lookback_scan_determinismE0ELb0ELb0ES3_PKfPffZZZN2at6native31launch_logcumsumexp_cuda_kernelERKNSB_10TensorBaseESF_lENKUlvE_clEvENKUlvE0_clEvEUlffE_fEEDaPvRmT3_T4_T5_mT6_P12ihipStream_tbENKUlT_T0_E_clISt17integral_constantIbLb0EESV_IbLb1EEEEDaSR_SS_EUlSR_E_NS1_11comp_targetILNS1_3genE0ELNS1_11target_archE4294967295ELNS1_3gpuE0ELNS1_3repE0EEENS1_30default_config_static_selectorELNS0_4arch9wavefront6targetE1EEEvT1_.kd
    .uniform_work_group_size: 1
    .uses_dynamic_stack: false
    .vgpr_count:     74
    .vgpr_spill_count: 0
    .wavefront_size: 64
  - .agpr_count:     0
    .args:
      - .offset:         0
        .size:           96
        .value_kind:     by_value
    .group_segment_fixed_size: 0
    .kernarg_segment_align: 8
    .kernarg_segment_size: 96
    .language:       OpenCL C
    .language_version:
      - 2
      - 0
    .max_flat_workgroup_size: 256
    .name:           _ZN7rocprim17ROCPRIM_400000_NS6detail17trampoline_kernelINS0_14default_configENS1_20scan_config_selectorIfEEZZNS1_9scan_implILNS1_25lookback_scan_determinismE0ELb0ELb0ES3_PKfPffZZZN2at6native31launch_logcumsumexp_cuda_kernelERKNSB_10TensorBaseESF_lENKUlvE_clEvENKUlvE0_clEvEUlffE_fEEDaPvRmT3_T4_T5_mT6_P12ihipStream_tbENKUlT_T0_E_clISt17integral_constantIbLb0EESV_IbLb1EEEEDaSR_SS_EUlSR_E_NS1_11comp_targetILNS1_3genE5ELNS1_11target_archE942ELNS1_3gpuE9ELNS1_3repE0EEENS1_30default_config_static_selectorELNS0_4arch9wavefront6targetE1EEEvT1_
    .private_segment_fixed_size: 0
    .sgpr_count:     6
    .sgpr_spill_count: 0
    .symbol:         _ZN7rocprim17ROCPRIM_400000_NS6detail17trampoline_kernelINS0_14default_configENS1_20scan_config_selectorIfEEZZNS1_9scan_implILNS1_25lookback_scan_determinismE0ELb0ELb0ES3_PKfPffZZZN2at6native31launch_logcumsumexp_cuda_kernelERKNSB_10TensorBaseESF_lENKUlvE_clEvENKUlvE0_clEvEUlffE_fEEDaPvRmT3_T4_T5_mT6_P12ihipStream_tbENKUlT_T0_E_clISt17integral_constantIbLb0EESV_IbLb1EEEEDaSR_SS_EUlSR_E_NS1_11comp_targetILNS1_3genE5ELNS1_11target_archE942ELNS1_3gpuE9ELNS1_3repE0EEENS1_30default_config_static_selectorELNS0_4arch9wavefront6targetE1EEEvT1_.kd
    .uniform_work_group_size: 1
    .uses_dynamic_stack: false
    .vgpr_count:     0
    .vgpr_spill_count: 0
    .wavefront_size: 64
  - .agpr_count:     0
    .args:
      - .offset:         0
        .size:           96
        .value_kind:     by_value
    .group_segment_fixed_size: 0
    .kernarg_segment_align: 8
    .kernarg_segment_size: 96
    .language:       OpenCL C
    .language_version:
      - 2
      - 0
    .max_flat_workgroup_size: 128
    .name:           _ZN7rocprim17ROCPRIM_400000_NS6detail17trampoline_kernelINS0_14default_configENS1_20scan_config_selectorIfEEZZNS1_9scan_implILNS1_25lookback_scan_determinismE0ELb0ELb0ES3_PKfPffZZZN2at6native31launch_logcumsumexp_cuda_kernelERKNSB_10TensorBaseESF_lENKUlvE_clEvENKUlvE0_clEvEUlffE_fEEDaPvRmT3_T4_T5_mT6_P12ihipStream_tbENKUlT_T0_E_clISt17integral_constantIbLb0EESV_IbLb1EEEEDaSR_SS_EUlSR_E_NS1_11comp_targetILNS1_3genE4ELNS1_11target_archE910ELNS1_3gpuE8ELNS1_3repE0EEENS1_30default_config_static_selectorELNS0_4arch9wavefront6targetE1EEEvT1_
    .private_segment_fixed_size: 0
    .sgpr_count:     6
    .sgpr_spill_count: 0
    .symbol:         _ZN7rocprim17ROCPRIM_400000_NS6detail17trampoline_kernelINS0_14default_configENS1_20scan_config_selectorIfEEZZNS1_9scan_implILNS1_25lookback_scan_determinismE0ELb0ELb0ES3_PKfPffZZZN2at6native31launch_logcumsumexp_cuda_kernelERKNSB_10TensorBaseESF_lENKUlvE_clEvENKUlvE0_clEvEUlffE_fEEDaPvRmT3_T4_T5_mT6_P12ihipStream_tbENKUlT_T0_E_clISt17integral_constantIbLb0EESV_IbLb1EEEEDaSR_SS_EUlSR_E_NS1_11comp_targetILNS1_3genE4ELNS1_11target_archE910ELNS1_3gpuE8ELNS1_3repE0EEENS1_30default_config_static_selectorELNS0_4arch9wavefront6targetE1EEEvT1_.kd
    .uniform_work_group_size: 1
    .uses_dynamic_stack: false
    .vgpr_count:     0
    .vgpr_spill_count: 0
    .wavefront_size: 64
  - .agpr_count:     0
    .args:
      - .offset:         0
        .size:           96
        .value_kind:     by_value
    .group_segment_fixed_size: 0
    .kernarg_segment_align: 8
    .kernarg_segment_size: 96
    .language:       OpenCL C
    .language_version:
      - 2
      - 0
    .max_flat_workgroup_size: 256
    .name:           _ZN7rocprim17ROCPRIM_400000_NS6detail17trampoline_kernelINS0_14default_configENS1_20scan_config_selectorIfEEZZNS1_9scan_implILNS1_25lookback_scan_determinismE0ELb0ELb0ES3_PKfPffZZZN2at6native31launch_logcumsumexp_cuda_kernelERKNSB_10TensorBaseESF_lENKUlvE_clEvENKUlvE0_clEvEUlffE_fEEDaPvRmT3_T4_T5_mT6_P12ihipStream_tbENKUlT_T0_E_clISt17integral_constantIbLb0EESV_IbLb1EEEEDaSR_SS_EUlSR_E_NS1_11comp_targetILNS1_3genE3ELNS1_11target_archE908ELNS1_3gpuE7ELNS1_3repE0EEENS1_30default_config_static_selectorELNS0_4arch9wavefront6targetE1EEEvT1_
    .private_segment_fixed_size: 0
    .sgpr_count:     6
    .sgpr_spill_count: 0
    .symbol:         _ZN7rocprim17ROCPRIM_400000_NS6detail17trampoline_kernelINS0_14default_configENS1_20scan_config_selectorIfEEZZNS1_9scan_implILNS1_25lookback_scan_determinismE0ELb0ELb0ES3_PKfPffZZZN2at6native31launch_logcumsumexp_cuda_kernelERKNSB_10TensorBaseESF_lENKUlvE_clEvENKUlvE0_clEvEUlffE_fEEDaPvRmT3_T4_T5_mT6_P12ihipStream_tbENKUlT_T0_E_clISt17integral_constantIbLb0EESV_IbLb1EEEEDaSR_SS_EUlSR_E_NS1_11comp_targetILNS1_3genE3ELNS1_11target_archE908ELNS1_3gpuE7ELNS1_3repE0EEENS1_30default_config_static_selectorELNS0_4arch9wavefront6targetE1EEEvT1_.kd
    .uniform_work_group_size: 1
    .uses_dynamic_stack: false
    .vgpr_count:     0
    .vgpr_spill_count: 0
    .wavefront_size: 64
  - .agpr_count:     0
    .args:
      - .offset:         0
        .size:           96
        .value_kind:     by_value
    .group_segment_fixed_size: 0
    .kernarg_segment_align: 8
    .kernarg_segment_size: 96
    .language:       OpenCL C
    .language_version:
      - 2
      - 0
    .max_flat_workgroup_size: 256
    .name:           _ZN7rocprim17ROCPRIM_400000_NS6detail17trampoline_kernelINS0_14default_configENS1_20scan_config_selectorIfEEZZNS1_9scan_implILNS1_25lookback_scan_determinismE0ELb0ELb0ES3_PKfPffZZZN2at6native31launch_logcumsumexp_cuda_kernelERKNSB_10TensorBaseESF_lENKUlvE_clEvENKUlvE0_clEvEUlffE_fEEDaPvRmT3_T4_T5_mT6_P12ihipStream_tbENKUlT_T0_E_clISt17integral_constantIbLb0EESV_IbLb1EEEEDaSR_SS_EUlSR_E_NS1_11comp_targetILNS1_3genE2ELNS1_11target_archE906ELNS1_3gpuE6ELNS1_3repE0EEENS1_30default_config_static_selectorELNS0_4arch9wavefront6targetE1EEEvT1_
    .private_segment_fixed_size: 0
    .sgpr_count:     6
    .sgpr_spill_count: 0
    .symbol:         _ZN7rocprim17ROCPRIM_400000_NS6detail17trampoline_kernelINS0_14default_configENS1_20scan_config_selectorIfEEZZNS1_9scan_implILNS1_25lookback_scan_determinismE0ELb0ELb0ES3_PKfPffZZZN2at6native31launch_logcumsumexp_cuda_kernelERKNSB_10TensorBaseESF_lENKUlvE_clEvENKUlvE0_clEvEUlffE_fEEDaPvRmT3_T4_T5_mT6_P12ihipStream_tbENKUlT_T0_E_clISt17integral_constantIbLb0EESV_IbLb1EEEEDaSR_SS_EUlSR_E_NS1_11comp_targetILNS1_3genE2ELNS1_11target_archE906ELNS1_3gpuE6ELNS1_3repE0EEENS1_30default_config_static_selectorELNS0_4arch9wavefront6targetE1EEEvT1_.kd
    .uniform_work_group_size: 1
    .uses_dynamic_stack: false
    .vgpr_count:     0
    .vgpr_spill_count: 0
    .wavefront_size: 64
  - .agpr_count:     0
    .args:
      - .offset:         0
        .size:           96
        .value_kind:     by_value
    .group_segment_fixed_size: 0
    .kernarg_segment_align: 8
    .kernarg_segment_size: 96
    .language:       OpenCL C
    .language_version:
      - 2
      - 0
    .max_flat_workgroup_size: 256
    .name:           _ZN7rocprim17ROCPRIM_400000_NS6detail17trampoline_kernelINS0_14default_configENS1_20scan_config_selectorIfEEZZNS1_9scan_implILNS1_25lookback_scan_determinismE0ELb0ELb0ES3_PKfPffZZZN2at6native31launch_logcumsumexp_cuda_kernelERKNSB_10TensorBaseESF_lENKUlvE_clEvENKUlvE0_clEvEUlffE_fEEDaPvRmT3_T4_T5_mT6_P12ihipStream_tbENKUlT_T0_E_clISt17integral_constantIbLb0EESV_IbLb1EEEEDaSR_SS_EUlSR_E_NS1_11comp_targetILNS1_3genE10ELNS1_11target_archE1201ELNS1_3gpuE5ELNS1_3repE0EEENS1_30default_config_static_selectorELNS0_4arch9wavefront6targetE1EEEvT1_
    .private_segment_fixed_size: 0
    .sgpr_count:     6
    .sgpr_spill_count: 0
    .symbol:         _ZN7rocprim17ROCPRIM_400000_NS6detail17trampoline_kernelINS0_14default_configENS1_20scan_config_selectorIfEEZZNS1_9scan_implILNS1_25lookback_scan_determinismE0ELb0ELb0ES3_PKfPffZZZN2at6native31launch_logcumsumexp_cuda_kernelERKNSB_10TensorBaseESF_lENKUlvE_clEvENKUlvE0_clEvEUlffE_fEEDaPvRmT3_T4_T5_mT6_P12ihipStream_tbENKUlT_T0_E_clISt17integral_constantIbLb0EESV_IbLb1EEEEDaSR_SS_EUlSR_E_NS1_11comp_targetILNS1_3genE10ELNS1_11target_archE1201ELNS1_3gpuE5ELNS1_3repE0EEENS1_30default_config_static_selectorELNS0_4arch9wavefront6targetE1EEEvT1_.kd
    .uniform_work_group_size: 1
    .uses_dynamic_stack: false
    .vgpr_count:     0
    .vgpr_spill_count: 0
    .wavefront_size: 64
  - .agpr_count:     0
    .args:
      - .offset:         0
        .size:           96
        .value_kind:     by_value
    .group_segment_fixed_size: 0
    .kernarg_segment_align: 8
    .kernarg_segment_size: 96
    .language:       OpenCL C
    .language_version:
      - 2
      - 0
    .max_flat_workgroup_size: 256
    .name:           _ZN7rocprim17ROCPRIM_400000_NS6detail17trampoline_kernelINS0_14default_configENS1_20scan_config_selectorIfEEZZNS1_9scan_implILNS1_25lookback_scan_determinismE0ELb0ELb0ES3_PKfPffZZZN2at6native31launch_logcumsumexp_cuda_kernelERKNSB_10TensorBaseESF_lENKUlvE_clEvENKUlvE0_clEvEUlffE_fEEDaPvRmT3_T4_T5_mT6_P12ihipStream_tbENKUlT_T0_E_clISt17integral_constantIbLb0EESV_IbLb1EEEEDaSR_SS_EUlSR_E_NS1_11comp_targetILNS1_3genE10ELNS1_11target_archE1200ELNS1_3gpuE4ELNS1_3repE0EEENS1_30default_config_static_selectorELNS0_4arch9wavefront6targetE1EEEvT1_
    .private_segment_fixed_size: 0
    .sgpr_count:     6
    .sgpr_spill_count: 0
    .symbol:         _ZN7rocprim17ROCPRIM_400000_NS6detail17trampoline_kernelINS0_14default_configENS1_20scan_config_selectorIfEEZZNS1_9scan_implILNS1_25lookback_scan_determinismE0ELb0ELb0ES3_PKfPffZZZN2at6native31launch_logcumsumexp_cuda_kernelERKNSB_10TensorBaseESF_lENKUlvE_clEvENKUlvE0_clEvEUlffE_fEEDaPvRmT3_T4_T5_mT6_P12ihipStream_tbENKUlT_T0_E_clISt17integral_constantIbLb0EESV_IbLb1EEEEDaSR_SS_EUlSR_E_NS1_11comp_targetILNS1_3genE10ELNS1_11target_archE1200ELNS1_3gpuE4ELNS1_3repE0EEENS1_30default_config_static_selectorELNS0_4arch9wavefront6targetE1EEEvT1_.kd
    .uniform_work_group_size: 1
    .uses_dynamic_stack: false
    .vgpr_count:     0
    .vgpr_spill_count: 0
    .wavefront_size: 64
  - .agpr_count:     0
    .args:
      - .offset:         0
        .size:           96
        .value_kind:     by_value
    .group_segment_fixed_size: 0
    .kernarg_segment_align: 8
    .kernarg_segment_size: 96
    .language:       OpenCL C
    .language_version:
      - 2
      - 0
    .max_flat_workgroup_size: 256
    .name:           _ZN7rocprim17ROCPRIM_400000_NS6detail17trampoline_kernelINS0_14default_configENS1_20scan_config_selectorIfEEZZNS1_9scan_implILNS1_25lookback_scan_determinismE0ELb0ELb0ES3_PKfPffZZZN2at6native31launch_logcumsumexp_cuda_kernelERKNSB_10TensorBaseESF_lENKUlvE_clEvENKUlvE0_clEvEUlffE_fEEDaPvRmT3_T4_T5_mT6_P12ihipStream_tbENKUlT_T0_E_clISt17integral_constantIbLb0EESV_IbLb1EEEEDaSR_SS_EUlSR_E_NS1_11comp_targetILNS1_3genE9ELNS1_11target_archE1100ELNS1_3gpuE3ELNS1_3repE0EEENS1_30default_config_static_selectorELNS0_4arch9wavefront6targetE1EEEvT1_
    .private_segment_fixed_size: 0
    .sgpr_count:     6
    .sgpr_spill_count: 0
    .symbol:         _ZN7rocprim17ROCPRIM_400000_NS6detail17trampoline_kernelINS0_14default_configENS1_20scan_config_selectorIfEEZZNS1_9scan_implILNS1_25lookback_scan_determinismE0ELb0ELb0ES3_PKfPffZZZN2at6native31launch_logcumsumexp_cuda_kernelERKNSB_10TensorBaseESF_lENKUlvE_clEvENKUlvE0_clEvEUlffE_fEEDaPvRmT3_T4_T5_mT6_P12ihipStream_tbENKUlT_T0_E_clISt17integral_constantIbLb0EESV_IbLb1EEEEDaSR_SS_EUlSR_E_NS1_11comp_targetILNS1_3genE9ELNS1_11target_archE1100ELNS1_3gpuE3ELNS1_3repE0EEENS1_30default_config_static_selectorELNS0_4arch9wavefront6targetE1EEEvT1_.kd
    .uniform_work_group_size: 1
    .uses_dynamic_stack: false
    .vgpr_count:     0
    .vgpr_spill_count: 0
    .wavefront_size: 64
  - .agpr_count:     0
    .args:
      - .offset:         0
        .size:           96
        .value_kind:     by_value
    .group_segment_fixed_size: 0
    .kernarg_segment_align: 8
    .kernarg_segment_size: 96
    .language:       OpenCL C
    .language_version:
      - 2
      - 0
    .max_flat_workgroup_size: 64
    .name:           _ZN7rocprim17ROCPRIM_400000_NS6detail17trampoline_kernelINS0_14default_configENS1_20scan_config_selectorIfEEZZNS1_9scan_implILNS1_25lookback_scan_determinismE0ELb0ELb0ES3_PKfPffZZZN2at6native31launch_logcumsumexp_cuda_kernelERKNSB_10TensorBaseESF_lENKUlvE_clEvENKUlvE0_clEvEUlffE_fEEDaPvRmT3_T4_T5_mT6_P12ihipStream_tbENKUlT_T0_E_clISt17integral_constantIbLb0EESV_IbLb1EEEEDaSR_SS_EUlSR_E_NS1_11comp_targetILNS1_3genE8ELNS1_11target_archE1030ELNS1_3gpuE2ELNS1_3repE0EEENS1_30default_config_static_selectorELNS0_4arch9wavefront6targetE1EEEvT1_
    .private_segment_fixed_size: 0
    .sgpr_count:     6
    .sgpr_spill_count: 0
    .symbol:         _ZN7rocprim17ROCPRIM_400000_NS6detail17trampoline_kernelINS0_14default_configENS1_20scan_config_selectorIfEEZZNS1_9scan_implILNS1_25lookback_scan_determinismE0ELb0ELb0ES3_PKfPffZZZN2at6native31launch_logcumsumexp_cuda_kernelERKNSB_10TensorBaseESF_lENKUlvE_clEvENKUlvE0_clEvEUlffE_fEEDaPvRmT3_T4_T5_mT6_P12ihipStream_tbENKUlT_T0_E_clISt17integral_constantIbLb0EESV_IbLb1EEEEDaSR_SS_EUlSR_E_NS1_11comp_targetILNS1_3genE8ELNS1_11target_archE1030ELNS1_3gpuE2ELNS1_3repE0EEENS1_30default_config_static_selectorELNS0_4arch9wavefront6targetE1EEEvT1_.kd
    .uniform_work_group_size: 1
    .uses_dynamic_stack: false
    .vgpr_count:     0
    .vgpr_spill_count: 0
    .wavefront_size: 64
  - .agpr_count:     0
    .args:
      - .offset:         0
        .size:           32
        .value_kind:     by_value
    .group_segment_fixed_size: 14336
    .kernarg_segment_align: 8
    .kernarg_segment_size: 32
    .language:       OpenCL C
    .language_version:
      - 2
      - 0
    .max_flat_workgroup_size: 256
    .name:           _ZN7rocprim17ROCPRIM_400000_NS6detail17trampoline_kernelINS0_14default_configENS1_20scan_config_selectorIfEEZZNS1_9scan_implILNS1_25lookback_scan_determinismE0ELb0ELb0ES3_PKfPffZZZN2at6native31launch_logcumsumexp_cuda_kernelERKNSB_10TensorBaseESF_lENKUlvE_clEvENKUlvE0_clEvEUlffE_fEEDaPvRmT3_T4_T5_mT6_P12ihipStream_tbENKUlT_T0_E_clISt17integral_constantIbLb0EESV_IbLb1EEEEDaSR_SS_EUlSR_E0_NS1_11comp_targetILNS1_3genE0ELNS1_11target_archE4294967295ELNS1_3gpuE0ELNS1_3repE0EEENS1_30default_config_static_selectorELNS0_4arch9wavefront6targetE1EEEvT1_
    .private_segment_fixed_size: 0
    .sgpr_count:     75
    .sgpr_spill_count: 0
    .symbol:         _ZN7rocprim17ROCPRIM_400000_NS6detail17trampoline_kernelINS0_14default_configENS1_20scan_config_selectorIfEEZZNS1_9scan_implILNS1_25lookback_scan_determinismE0ELb0ELb0ES3_PKfPffZZZN2at6native31launch_logcumsumexp_cuda_kernelERKNSB_10TensorBaseESF_lENKUlvE_clEvENKUlvE0_clEvEUlffE_fEEDaPvRmT3_T4_T5_mT6_P12ihipStream_tbENKUlT_T0_E_clISt17integral_constantIbLb0EESV_IbLb1EEEEDaSR_SS_EUlSR_E0_NS1_11comp_targetILNS1_3genE0ELNS1_11target_archE4294967295ELNS1_3gpuE0ELNS1_3repE0EEENS1_30default_config_static_selectorELNS0_4arch9wavefront6targetE1EEEvT1_.kd
    .uniform_work_group_size: 1
    .uses_dynamic_stack: false
    .vgpr_count:     55
    .vgpr_spill_count: 0
    .wavefront_size: 64
  - .agpr_count:     0
    .args:
      - .offset:         0
        .size:           32
        .value_kind:     by_value
    .group_segment_fixed_size: 0
    .kernarg_segment_align: 8
    .kernarg_segment_size: 32
    .language:       OpenCL C
    .language_version:
      - 2
      - 0
    .max_flat_workgroup_size: 256
    .name:           _ZN7rocprim17ROCPRIM_400000_NS6detail17trampoline_kernelINS0_14default_configENS1_20scan_config_selectorIfEEZZNS1_9scan_implILNS1_25lookback_scan_determinismE0ELb0ELb0ES3_PKfPffZZZN2at6native31launch_logcumsumexp_cuda_kernelERKNSB_10TensorBaseESF_lENKUlvE_clEvENKUlvE0_clEvEUlffE_fEEDaPvRmT3_T4_T5_mT6_P12ihipStream_tbENKUlT_T0_E_clISt17integral_constantIbLb0EESV_IbLb1EEEEDaSR_SS_EUlSR_E0_NS1_11comp_targetILNS1_3genE5ELNS1_11target_archE942ELNS1_3gpuE9ELNS1_3repE0EEENS1_30default_config_static_selectorELNS0_4arch9wavefront6targetE1EEEvT1_
    .private_segment_fixed_size: 0
    .sgpr_count:     6
    .sgpr_spill_count: 0
    .symbol:         _ZN7rocprim17ROCPRIM_400000_NS6detail17trampoline_kernelINS0_14default_configENS1_20scan_config_selectorIfEEZZNS1_9scan_implILNS1_25lookback_scan_determinismE0ELb0ELb0ES3_PKfPffZZZN2at6native31launch_logcumsumexp_cuda_kernelERKNSB_10TensorBaseESF_lENKUlvE_clEvENKUlvE0_clEvEUlffE_fEEDaPvRmT3_T4_T5_mT6_P12ihipStream_tbENKUlT_T0_E_clISt17integral_constantIbLb0EESV_IbLb1EEEEDaSR_SS_EUlSR_E0_NS1_11comp_targetILNS1_3genE5ELNS1_11target_archE942ELNS1_3gpuE9ELNS1_3repE0EEENS1_30default_config_static_selectorELNS0_4arch9wavefront6targetE1EEEvT1_.kd
    .uniform_work_group_size: 1
    .uses_dynamic_stack: false
    .vgpr_count:     0
    .vgpr_spill_count: 0
    .wavefront_size: 64
  - .agpr_count:     0
    .args:
      - .offset:         0
        .size:           32
        .value_kind:     by_value
    .group_segment_fixed_size: 0
    .kernarg_segment_align: 8
    .kernarg_segment_size: 32
    .language:       OpenCL C
    .language_version:
      - 2
      - 0
    .max_flat_workgroup_size: 128
    .name:           _ZN7rocprim17ROCPRIM_400000_NS6detail17trampoline_kernelINS0_14default_configENS1_20scan_config_selectorIfEEZZNS1_9scan_implILNS1_25lookback_scan_determinismE0ELb0ELb0ES3_PKfPffZZZN2at6native31launch_logcumsumexp_cuda_kernelERKNSB_10TensorBaseESF_lENKUlvE_clEvENKUlvE0_clEvEUlffE_fEEDaPvRmT3_T4_T5_mT6_P12ihipStream_tbENKUlT_T0_E_clISt17integral_constantIbLb0EESV_IbLb1EEEEDaSR_SS_EUlSR_E0_NS1_11comp_targetILNS1_3genE4ELNS1_11target_archE910ELNS1_3gpuE8ELNS1_3repE0EEENS1_30default_config_static_selectorELNS0_4arch9wavefront6targetE1EEEvT1_
    .private_segment_fixed_size: 0
    .sgpr_count:     6
    .sgpr_spill_count: 0
    .symbol:         _ZN7rocprim17ROCPRIM_400000_NS6detail17trampoline_kernelINS0_14default_configENS1_20scan_config_selectorIfEEZZNS1_9scan_implILNS1_25lookback_scan_determinismE0ELb0ELb0ES3_PKfPffZZZN2at6native31launch_logcumsumexp_cuda_kernelERKNSB_10TensorBaseESF_lENKUlvE_clEvENKUlvE0_clEvEUlffE_fEEDaPvRmT3_T4_T5_mT6_P12ihipStream_tbENKUlT_T0_E_clISt17integral_constantIbLb0EESV_IbLb1EEEEDaSR_SS_EUlSR_E0_NS1_11comp_targetILNS1_3genE4ELNS1_11target_archE910ELNS1_3gpuE8ELNS1_3repE0EEENS1_30default_config_static_selectorELNS0_4arch9wavefront6targetE1EEEvT1_.kd
    .uniform_work_group_size: 1
    .uses_dynamic_stack: false
    .vgpr_count:     0
    .vgpr_spill_count: 0
    .wavefront_size: 64
  - .agpr_count:     0
    .args:
      - .offset:         0
        .size:           32
        .value_kind:     by_value
    .group_segment_fixed_size: 0
    .kernarg_segment_align: 8
    .kernarg_segment_size: 32
    .language:       OpenCL C
    .language_version:
      - 2
      - 0
    .max_flat_workgroup_size: 256
    .name:           _ZN7rocprim17ROCPRIM_400000_NS6detail17trampoline_kernelINS0_14default_configENS1_20scan_config_selectorIfEEZZNS1_9scan_implILNS1_25lookback_scan_determinismE0ELb0ELb0ES3_PKfPffZZZN2at6native31launch_logcumsumexp_cuda_kernelERKNSB_10TensorBaseESF_lENKUlvE_clEvENKUlvE0_clEvEUlffE_fEEDaPvRmT3_T4_T5_mT6_P12ihipStream_tbENKUlT_T0_E_clISt17integral_constantIbLb0EESV_IbLb1EEEEDaSR_SS_EUlSR_E0_NS1_11comp_targetILNS1_3genE3ELNS1_11target_archE908ELNS1_3gpuE7ELNS1_3repE0EEENS1_30default_config_static_selectorELNS0_4arch9wavefront6targetE1EEEvT1_
    .private_segment_fixed_size: 0
    .sgpr_count:     6
    .sgpr_spill_count: 0
    .symbol:         _ZN7rocprim17ROCPRIM_400000_NS6detail17trampoline_kernelINS0_14default_configENS1_20scan_config_selectorIfEEZZNS1_9scan_implILNS1_25lookback_scan_determinismE0ELb0ELb0ES3_PKfPffZZZN2at6native31launch_logcumsumexp_cuda_kernelERKNSB_10TensorBaseESF_lENKUlvE_clEvENKUlvE0_clEvEUlffE_fEEDaPvRmT3_T4_T5_mT6_P12ihipStream_tbENKUlT_T0_E_clISt17integral_constantIbLb0EESV_IbLb1EEEEDaSR_SS_EUlSR_E0_NS1_11comp_targetILNS1_3genE3ELNS1_11target_archE908ELNS1_3gpuE7ELNS1_3repE0EEENS1_30default_config_static_selectorELNS0_4arch9wavefront6targetE1EEEvT1_.kd
    .uniform_work_group_size: 1
    .uses_dynamic_stack: false
    .vgpr_count:     0
    .vgpr_spill_count: 0
    .wavefront_size: 64
  - .agpr_count:     0
    .args:
      - .offset:         0
        .size:           32
        .value_kind:     by_value
    .group_segment_fixed_size: 0
    .kernarg_segment_align: 8
    .kernarg_segment_size: 32
    .language:       OpenCL C
    .language_version:
      - 2
      - 0
    .max_flat_workgroup_size: 256
    .name:           _ZN7rocprim17ROCPRIM_400000_NS6detail17trampoline_kernelINS0_14default_configENS1_20scan_config_selectorIfEEZZNS1_9scan_implILNS1_25lookback_scan_determinismE0ELb0ELb0ES3_PKfPffZZZN2at6native31launch_logcumsumexp_cuda_kernelERKNSB_10TensorBaseESF_lENKUlvE_clEvENKUlvE0_clEvEUlffE_fEEDaPvRmT3_T4_T5_mT6_P12ihipStream_tbENKUlT_T0_E_clISt17integral_constantIbLb0EESV_IbLb1EEEEDaSR_SS_EUlSR_E0_NS1_11comp_targetILNS1_3genE2ELNS1_11target_archE906ELNS1_3gpuE6ELNS1_3repE0EEENS1_30default_config_static_selectorELNS0_4arch9wavefront6targetE1EEEvT1_
    .private_segment_fixed_size: 0
    .sgpr_count:     6
    .sgpr_spill_count: 0
    .symbol:         _ZN7rocprim17ROCPRIM_400000_NS6detail17trampoline_kernelINS0_14default_configENS1_20scan_config_selectorIfEEZZNS1_9scan_implILNS1_25lookback_scan_determinismE0ELb0ELb0ES3_PKfPffZZZN2at6native31launch_logcumsumexp_cuda_kernelERKNSB_10TensorBaseESF_lENKUlvE_clEvENKUlvE0_clEvEUlffE_fEEDaPvRmT3_T4_T5_mT6_P12ihipStream_tbENKUlT_T0_E_clISt17integral_constantIbLb0EESV_IbLb1EEEEDaSR_SS_EUlSR_E0_NS1_11comp_targetILNS1_3genE2ELNS1_11target_archE906ELNS1_3gpuE6ELNS1_3repE0EEENS1_30default_config_static_selectorELNS0_4arch9wavefront6targetE1EEEvT1_.kd
    .uniform_work_group_size: 1
    .uses_dynamic_stack: false
    .vgpr_count:     0
    .vgpr_spill_count: 0
    .wavefront_size: 64
  - .agpr_count:     0
    .args:
      - .offset:         0
        .size:           32
        .value_kind:     by_value
    .group_segment_fixed_size: 0
    .kernarg_segment_align: 8
    .kernarg_segment_size: 32
    .language:       OpenCL C
    .language_version:
      - 2
      - 0
    .max_flat_workgroup_size: 256
    .name:           _ZN7rocprim17ROCPRIM_400000_NS6detail17trampoline_kernelINS0_14default_configENS1_20scan_config_selectorIfEEZZNS1_9scan_implILNS1_25lookback_scan_determinismE0ELb0ELb0ES3_PKfPffZZZN2at6native31launch_logcumsumexp_cuda_kernelERKNSB_10TensorBaseESF_lENKUlvE_clEvENKUlvE0_clEvEUlffE_fEEDaPvRmT3_T4_T5_mT6_P12ihipStream_tbENKUlT_T0_E_clISt17integral_constantIbLb0EESV_IbLb1EEEEDaSR_SS_EUlSR_E0_NS1_11comp_targetILNS1_3genE10ELNS1_11target_archE1201ELNS1_3gpuE5ELNS1_3repE0EEENS1_30default_config_static_selectorELNS0_4arch9wavefront6targetE1EEEvT1_
    .private_segment_fixed_size: 0
    .sgpr_count:     6
    .sgpr_spill_count: 0
    .symbol:         _ZN7rocprim17ROCPRIM_400000_NS6detail17trampoline_kernelINS0_14default_configENS1_20scan_config_selectorIfEEZZNS1_9scan_implILNS1_25lookback_scan_determinismE0ELb0ELb0ES3_PKfPffZZZN2at6native31launch_logcumsumexp_cuda_kernelERKNSB_10TensorBaseESF_lENKUlvE_clEvENKUlvE0_clEvEUlffE_fEEDaPvRmT3_T4_T5_mT6_P12ihipStream_tbENKUlT_T0_E_clISt17integral_constantIbLb0EESV_IbLb1EEEEDaSR_SS_EUlSR_E0_NS1_11comp_targetILNS1_3genE10ELNS1_11target_archE1201ELNS1_3gpuE5ELNS1_3repE0EEENS1_30default_config_static_selectorELNS0_4arch9wavefront6targetE1EEEvT1_.kd
    .uniform_work_group_size: 1
    .uses_dynamic_stack: false
    .vgpr_count:     0
    .vgpr_spill_count: 0
    .wavefront_size: 64
  - .agpr_count:     0
    .args:
      - .offset:         0
        .size:           32
        .value_kind:     by_value
    .group_segment_fixed_size: 0
    .kernarg_segment_align: 8
    .kernarg_segment_size: 32
    .language:       OpenCL C
    .language_version:
      - 2
      - 0
    .max_flat_workgroup_size: 256
    .name:           _ZN7rocprim17ROCPRIM_400000_NS6detail17trampoline_kernelINS0_14default_configENS1_20scan_config_selectorIfEEZZNS1_9scan_implILNS1_25lookback_scan_determinismE0ELb0ELb0ES3_PKfPffZZZN2at6native31launch_logcumsumexp_cuda_kernelERKNSB_10TensorBaseESF_lENKUlvE_clEvENKUlvE0_clEvEUlffE_fEEDaPvRmT3_T4_T5_mT6_P12ihipStream_tbENKUlT_T0_E_clISt17integral_constantIbLb0EESV_IbLb1EEEEDaSR_SS_EUlSR_E0_NS1_11comp_targetILNS1_3genE10ELNS1_11target_archE1200ELNS1_3gpuE4ELNS1_3repE0EEENS1_30default_config_static_selectorELNS0_4arch9wavefront6targetE1EEEvT1_
    .private_segment_fixed_size: 0
    .sgpr_count:     6
    .sgpr_spill_count: 0
    .symbol:         _ZN7rocprim17ROCPRIM_400000_NS6detail17trampoline_kernelINS0_14default_configENS1_20scan_config_selectorIfEEZZNS1_9scan_implILNS1_25lookback_scan_determinismE0ELb0ELb0ES3_PKfPffZZZN2at6native31launch_logcumsumexp_cuda_kernelERKNSB_10TensorBaseESF_lENKUlvE_clEvENKUlvE0_clEvEUlffE_fEEDaPvRmT3_T4_T5_mT6_P12ihipStream_tbENKUlT_T0_E_clISt17integral_constantIbLb0EESV_IbLb1EEEEDaSR_SS_EUlSR_E0_NS1_11comp_targetILNS1_3genE10ELNS1_11target_archE1200ELNS1_3gpuE4ELNS1_3repE0EEENS1_30default_config_static_selectorELNS0_4arch9wavefront6targetE1EEEvT1_.kd
    .uniform_work_group_size: 1
    .uses_dynamic_stack: false
    .vgpr_count:     0
    .vgpr_spill_count: 0
    .wavefront_size: 64
  - .agpr_count:     0
    .args:
      - .offset:         0
        .size:           32
        .value_kind:     by_value
    .group_segment_fixed_size: 0
    .kernarg_segment_align: 8
    .kernarg_segment_size: 32
    .language:       OpenCL C
    .language_version:
      - 2
      - 0
    .max_flat_workgroup_size: 256
    .name:           _ZN7rocprim17ROCPRIM_400000_NS6detail17trampoline_kernelINS0_14default_configENS1_20scan_config_selectorIfEEZZNS1_9scan_implILNS1_25lookback_scan_determinismE0ELb0ELb0ES3_PKfPffZZZN2at6native31launch_logcumsumexp_cuda_kernelERKNSB_10TensorBaseESF_lENKUlvE_clEvENKUlvE0_clEvEUlffE_fEEDaPvRmT3_T4_T5_mT6_P12ihipStream_tbENKUlT_T0_E_clISt17integral_constantIbLb0EESV_IbLb1EEEEDaSR_SS_EUlSR_E0_NS1_11comp_targetILNS1_3genE9ELNS1_11target_archE1100ELNS1_3gpuE3ELNS1_3repE0EEENS1_30default_config_static_selectorELNS0_4arch9wavefront6targetE1EEEvT1_
    .private_segment_fixed_size: 0
    .sgpr_count:     6
    .sgpr_spill_count: 0
    .symbol:         _ZN7rocprim17ROCPRIM_400000_NS6detail17trampoline_kernelINS0_14default_configENS1_20scan_config_selectorIfEEZZNS1_9scan_implILNS1_25lookback_scan_determinismE0ELb0ELb0ES3_PKfPffZZZN2at6native31launch_logcumsumexp_cuda_kernelERKNSB_10TensorBaseESF_lENKUlvE_clEvENKUlvE0_clEvEUlffE_fEEDaPvRmT3_T4_T5_mT6_P12ihipStream_tbENKUlT_T0_E_clISt17integral_constantIbLb0EESV_IbLb1EEEEDaSR_SS_EUlSR_E0_NS1_11comp_targetILNS1_3genE9ELNS1_11target_archE1100ELNS1_3gpuE3ELNS1_3repE0EEENS1_30default_config_static_selectorELNS0_4arch9wavefront6targetE1EEEvT1_.kd
    .uniform_work_group_size: 1
    .uses_dynamic_stack: false
    .vgpr_count:     0
    .vgpr_spill_count: 0
    .wavefront_size: 64
  - .agpr_count:     0
    .args:
      - .offset:         0
        .size:           32
        .value_kind:     by_value
    .group_segment_fixed_size: 0
    .kernarg_segment_align: 8
    .kernarg_segment_size: 32
    .language:       OpenCL C
    .language_version:
      - 2
      - 0
    .max_flat_workgroup_size: 64
    .name:           _ZN7rocprim17ROCPRIM_400000_NS6detail17trampoline_kernelINS0_14default_configENS1_20scan_config_selectorIfEEZZNS1_9scan_implILNS1_25lookback_scan_determinismE0ELb0ELb0ES3_PKfPffZZZN2at6native31launch_logcumsumexp_cuda_kernelERKNSB_10TensorBaseESF_lENKUlvE_clEvENKUlvE0_clEvEUlffE_fEEDaPvRmT3_T4_T5_mT6_P12ihipStream_tbENKUlT_T0_E_clISt17integral_constantIbLb0EESV_IbLb1EEEEDaSR_SS_EUlSR_E0_NS1_11comp_targetILNS1_3genE8ELNS1_11target_archE1030ELNS1_3gpuE2ELNS1_3repE0EEENS1_30default_config_static_selectorELNS0_4arch9wavefront6targetE1EEEvT1_
    .private_segment_fixed_size: 0
    .sgpr_count:     6
    .sgpr_spill_count: 0
    .symbol:         _ZN7rocprim17ROCPRIM_400000_NS6detail17trampoline_kernelINS0_14default_configENS1_20scan_config_selectorIfEEZZNS1_9scan_implILNS1_25lookback_scan_determinismE0ELb0ELb0ES3_PKfPffZZZN2at6native31launch_logcumsumexp_cuda_kernelERKNSB_10TensorBaseESF_lENKUlvE_clEvENKUlvE0_clEvEUlffE_fEEDaPvRmT3_T4_T5_mT6_P12ihipStream_tbENKUlT_T0_E_clISt17integral_constantIbLb0EESV_IbLb1EEEEDaSR_SS_EUlSR_E0_NS1_11comp_targetILNS1_3genE8ELNS1_11target_archE1030ELNS1_3gpuE2ELNS1_3repE0EEENS1_30default_config_static_selectorELNS0_4arch9wavefront6targetE1EEEvT1_.kd
    .uniform_work_group_size: 1
    .uses_dynamic_stack: false
    .vgpr_count:     0
    .vgpr_spill_count: 0
    .wavefront_size: 64
  - .agpr_count:     0
    .args:
      - .address_space:  global
        .offset:         0
        .size:           8
        .value_kind:     global_buffer
      - .address_space:  global
        .offset:         8
        .size:           8
        .value_kind:     global_buffer
      - .offset:         16
        .size:           4
        .value_kind:     by_value
      - .offset:         20
        .size:           4
        .value_kind:     by_value
      - .offset:         24
        .size:           4
        .value_kind:     by_value
      - .offset:         28
        .size:           4
        .value_kind:     by_value
      - .offset:         32
        .size:           1
        .value_kind:     by_value
      - .offset:         40
        .size:           4
        .value_kind:     hidden_block_count_x
      - .offset:         44
        .size:           4
        .value_kind:     hidden_block_count_y
      - .offset:         48
        .size:           4
        .value_kind:     hidden_block_count_z
      - .offset:         52
        .size:           2
        .value_kind:     hidden_group_size_x
      - .offset:         54
        .size:           2
        .value_kind:     hidden_group_size_y
      - .offset:         56
        .size:           2
        .value_kind:     hidden_group_size_z
      - .offset:         58
        .size:           2
        .value_kind:     hidden_remainder_x
      - .offset:         60
        .size:           2
        .value_kind:     hidden_remainder_y
      - .offset:         62
        .size:           2
        .value_kind:     hidden_remainder_z
      - .offset:         80
        .size:           8
        .value_kind:     hidden_global_offset_x
      - .offset:         88
        .size:           8
        .value_kind:     hidden_global_offset_y
      - .offset:         96
        .size:           8
        .value_kind:     hidden_global_offset_z
      - .offset:         104
        .size:           2
        .value_kind:     hidden_grid_dims
      - .offset:         160
        .size:           4
        .value_kind:     hidden_dynamic_lds_size
    .group_segment_fixed_size: 0
    .kernarg_segment_align: 8
    .kernarg_segment_size: 296
    .language:       OpenCL C
    .language_version:
      - 2
      - 0
    .max_flat_workgroup_size: 1024
    .name:           _ZN2at6native32tensor_kernel_scan_innermost_dimIfZZZNS0_31launch_logcumsumexp_cuda_kernelERKNS_10TensorBaseES4_lENKUlvE_clEvENKUlvE0_clEvEUlffE_EEvPT_PKS8_jjjS8_T0_
    .private_segment_fixed_size: 0
    .sgpr_count:     50
    .sgpr_spill_count: 0
    .symbol:         _ZN2at6native32tensor_kernel_scan_innermost_dimIfZZZNS0_31launch_logcumsumexp_cuda_kernelERKNS_10TensorBaseES4_lENKUlvE_clEvENKUlvE0_clEvEUlffE_EEvPT_PKS8_jjjS8_T0_.kd
    .uniform_work_group_size: 1
    .uses_dynamic_stack: false
    .vgpr_count:     38
    .vgpr_spill_count: 0
    .wavefront_size: 64
  - .agpr_count:     0
    .args:
      - .address_space:  global
        .offset:         0
        .size:           8
        .value_kind:     global_buffer
      - .address_space:  global
        .offset:         8
        .size:           8
        .value_kind:     global_buffer
      - .offset:         16
        .size:           4
        .value_kind:     by_value
      - .offset:         20
        .size:           4
        .value_kind:     by_value
      - .offset:         24
        .size:           4
        .value_kind:     by_value
      - .offset:         28
        .size:           4
        .value_kind:     by_value
      - .offset:         32
        .size:           1
        .value_kind:     by_value
      - .offset:         40
        .size:           4
        .value_kind:     hidden_block_count_x
      - .offset:         44
        .size:           4
        .value_kind:     hidden_block_count_y
      - .offset:         48
        .size:           4
        .value_kind:     hidden_block_count_z
      - .offset:         52
        .size:           2
        .value_kind:     hidden_group_size_x
      - .offset:         54
        .size:           2
        .value_kind:     hidden_group_size_y
      - .offset:         56
        .size:           2
        .value_kind:     hidden_group_size_z
      - .offset:         58
        .size:           2
        .value_kind:     hidden_remainder_x
      - .offset:         60
        .size:           2
        .value_kind:     hidden_remainder_y
      - .offset:         62
        .size:           2
        .value_kind:     hidden_remainder_z
      - .offset:         80
        .size:           8
        .value_kind:     hidden_global_offset_x
      - .offset:         88
        .size:           8
        .value_kind:     hidden_global_offset_y
      - .offset:         96
        .size:           8
        .value_kind:     hidden_global_offset_z
      - .offset:         104
        .size:           2
        .value_kind:     hidden_grid_dims
    .group_segment_fixed_size: 0
    .kernarg_segment_align: 8
    .kernarg_segment_size: 296
    .language:       OpenCL C
    .language_version:
      - 2
      - 0
    .max_flat_workgroup_size: 1024
    .name:           _ZN2at6native28tensor_kernel_scan_outer_dimIfjZZZNS0_31launch_logcumsumexp_cuda_kernelERKNS_10TensorBaseES4_lENKUlvE_clEvENKUlvE0_clEvEUlffE_EEvPT_PKS8_jjjS8_T1_
    .private_segment_fixed_size: 0
    .sgpr_count:     50
    .sgpr_spill_count: 0
    .symbol:         _ZN2at6native28tensor_kernel_scan_outer_dimIfjZZZNS0_31launch_logcumsumexp_cuda_kernelERKNS_10TensorBaseES4_lENKUlvE_clEvENKUlvE0_clEvEUlffE_EEvPT_PKS8_jjjS8_T1_.kd
    .uniform_work_group_size: 1
    .uses_dynamic_stack: false
    .vgpr_count:     25
    .vgpr_spill_count: 0
    .wavefront_size: 64
  - .agpr_count:     0
    .args:
      - .address_space:  global
        .offset:         0
        .size:           8
        .value_kind:     global_buffer
      - .address_space:  global
        .offset:         8
        .size:           8
        .value_kind:     global_buffer
      - .offset:         16
        .size:           4
        .value_kind:     by_value
      - .offset:         20
        .size:           4
        .value_kind:     by_value
      - .offset:         24
        .size:           4
        .value_kind:     by_value
      - .offset:         28
        .size:           4
        .value_kind:     by_value
      - .offset:         32
        .size:           1
        .value_kind:     by_value
      - .offset:         40
        .size:           4
        .value_kind:     hidden_block_count_x
      - .offset:         44
        .size:           4
        .value_kind:     hidden_block_count_y
      - .offset:         48
        .size:           4
        .value_kind:     hidden_block_count_z
      - .offset:         52
        .size:           2
        .value_kind:     hidden_group_size_x
      - .offset:         54
        .size:           2
        .value_kind:     hidden_group_size_y
      - .offset:         56
        .size:           2
        .value_kind:     hidden_group_size_z
      - .offset:         58
        .size:           2
        .value_kind:     hidden_remainder_x
      - .offset:         60
        .size:           2
        .value_kind:     hidden_remainder_y
      - .offset:         62
        .size:           2
        .value_kind:     hidden_remainder_z
      - .offset:         80
        .size:           8
        .value_kind:     hidden_global_offset_x
      - .offset:         88
        .size:           8
        .value_kind:     hidden_global_offset_y
      - .offset:         96
        .size:           8
        .value_kind:     hidden_global_offset_z
      - .offset:         104
        .size:           2
        .value_kind:     hidden_grid_dims
    .group_segment_fixed_size: 0
    .kernarg_segment_align: 8
    .kernarg_segment_size: 296
    .language:       OpenCL C
    .language_version:
      - 2
      - 0
    .max_flat_workgroup_size: 1024
    .name:           _ZN2at6native28tensor_kernel_scan_outer_dimIfmZZZNS0_31launch_logcumsumexp_cuda_kernelERKNS_10TensorBaseES4_lENKUlvE_clEvENKUlvE0_clEvEUlffE_EEvPT_PKS8_jjjS8_T1_
    .private_segment_fixed_size: 0
    .sgpr_count:     48
    .sgpr_spill_count: 0
    .symbol:         _ZN2at6native28tensor_kernel_scan_outer_dimIfmZZZNS0_31launch_logcumsumexp_cuda_kernelERKNS_10TensorBaseES4_lENKUlvE_clEvENKUlvE0_clEvEUlffE_EEvPT_PKS8_jjjS8_T1_.kd
    .uniform_work_group_size: 1
    .uses_dynamic_stack: false
    .vgpr_count:     25
    .vgpr_spill_count: 0
    .wavefront_size: 64
  - .agpr_count:     0
    .args:
      - .offset:         0
        .size:           24
        .value_kind:     by_value
      - .offset:         24
        .size:           4
        .value_kind:     by_value
      - .offset:         28
        .size:           1
        .value_kind:     by_value
      - .offset:         32
        .size:           4
        .value_kind:     by_value
      - .address_space:  global
        .offset:         40
        .size:           8
        .value_kind:     global_buffer
      - .offset:         48
        .size:           4
        .value_kind:     hidden_block_count_x
      - .offset:         52
        .size:           4
        .value_kind:     hidden_block_count_y
      - .offset:         56
        .size:           4
        .value_kind:     hidden_block_count_z
      - .offset:         60
        .size:           2
        .value_kind:     hidden_group_size_x
      - .offset:         62
        .size:           2
        .value_kind:     hidden_group_size_y
      - .offset:         64
        .size:           2
        .value_kind:     hidden_group_size_z
      - .offset:         66
        .size:           2
        .value_kind:     hidden_remainder_x
      - .offset:         68
        .size:           2
        .value_kind:     hidden_remainder_y
      - .offset:         70
        .size:           2
        .value_kind:     hidden_remainder_z
      - .offset:         88
        .size:           8
        .value_kind:     hidden_global_offset_x
      - .offset:         96
        .size:           8
        .value_kind:     hidden_global_offset_y
      - .offset:         104
        .size:           8
        .value_kind:     hidden_global_offset_z
      - .offset:         112
        .size:           2
        .value_kind:     hidden_grid_dims
    .group_segment_fixed_size: 0
    .kernarg_segment_align: 8
    .kernarg_segment_size: 304
    .language:       OpenCL C
    .language_version:
      - 2
      - 0
    .max_flat_workgroup_size: 256
    .name:           _ZN7rocprim17ROCPRIM_400000_NS6detail31init_lookback_scan_state_kernelINS1_19lookback_scan_stateIN3c107complexIdEELb0ELb0EEENS1_16block_id_wrapperIjLb0EEEEEvT_jT0_jPNSA_10value_typeE
    .private_segment_fixed_size: 0
    .sgpr_count:     24
    .sgpr_spill_count: 0
    .symbol:         _ZN7rocprim17ROCPRIM_400000_NS6detail31init_lookback_scan_state_kernelINS1_19lookback_scan_stateIN3c107complexIdEELb0ELb0EEENS1_16block_id_wrapperIjLb0EEEEEvT_jT0_jPNSA_10value_typeE.kd
    .uniform_work_group_size: 1
    .uses_dynamic_stack: false
    .vgpr_count:     6
    .vgpr_spill_count: 0
    .wavefront_size: 64
  - .agpr_count:     0
    .args:
      - .offset:         0
        .size:           128
        .value_kind:     by_value
    .group_segment_fixed_size: 20480
    .kernarg_segment_align: 16
    .kernarg_segment_size: 128
    .language:       OpenCL C
    .language_version:
      - 2
      - 0
    .max_flat_workgroup_size: 128
    .name:           _ZN7rocprim17ROCPRIM_400000_NS6detail17trampoline_kernelINS0_14default_configENS1_20scan_config_selectorIN3c107complexIdEEEEZZNS1_9scan_implILNS1_25lookback_scan_determinismE0ELb0ELb0ES3_PKS7_PS7_S7_ZZZN2at6native31launch_logcumsumexp_cuda_kernelERKNSE_10TensorBaseESI_lENKUlvE_clEvENKUlvE1_clEvEUlS7_S7_E_S7_EEDaPvRmT3_T4_T5_mT6_P12ihipStream_tbENKUlT_T0_E_clISt17integral_constantIbLb0EESZ_EEDaSU_SV_EUlSU_E_NS1_11comp_targetILNS1_3genE0ELNS1_11target_archE4294967295ELNS1_3gpuE0ELNS1_3repE0EEENS1_30default_config_static_selectorELNS0_4arch9wavefront6targetE1EEEvT1_
    .private_segment_fixed_size: 0
    .sgpr_count:     74
    .sgpr_spill_count: 0
    .symbol:         _ZN7rocprim17ROCPRIM_400000_NS6detail17trampoline_kernelINS0_14default_configENS1_20scan_config_selectorIN3c107complexIdEEEEZZNS1_9scan_implILNS1_25lookback_scan_determinismE0ELb0ELb0ES3_PKS7_PS7_S7_ZZZN2at6native31launch_logcumsumexp_cuda_kernelERKNSE_10TensorBaseESI_lENKUlvE_clEvENKUlvE1_clEvEUlS7_S7_E_S7_EEDaPvRmT3_T4_T5_mT6_P12ihipStream_tbENKUlT_T0_E_clISt17integral_constantIbLb0EESZ_EEDaSU_SV_EUlSU_E_NS1_11comp_targetILNS1_3genE0ELNS1_11target_archE4294967295ELNS1_3gpuE0ELNS1_3repE0EEENS1_30default_config_static_selectorELNS0_4arch9wavefront6targetE1EEEvT1_.kd
    .uniform_work_group_size: 1
    .uses_dynamic_stack: false
    .vgpr_count:     133
    .vgpr_spill_count: 0
    .wavefront_size: 64
  - .agpr_count:     0
    .args:
      - .offset:         0
        .size:           128
        .value_kind:     by_value
    .group_segment_fixed_size: 0
    .kernarg_segment_align: 16
    .kernarg_segment_size: 128
    .language:       OpenCL C
    .language_version:
      - 2
      - 0
    .max_flat_workgroup_size: 256
    .name:           _ZN7rocprim17ROCPRIM_400000_NS6detail17trampoline_kernelINS0_14default_configENS1_20scan_config_selectorIN3c107complexIdEEEEZZNS1_9scan_implILNS1_25lookback_scan_determinismE0ELb0ELb0ES3_PKS7_PS7_S7_ZZZN2at6native31launch_logcumsumexp_cuda_kernelERKNSE_10TensorBaseESI_lENKUlvE_clEvENKUlvE1_clEvEUlS7_S7_E_S7_EEDaPvRmT3_T4_T5_mT6_P12ihipStream_tbENKUlT_T0_E_clISt17integral_constantIbLb0EESZ_EEDaSU_SV_EUlSU_E_NS1_11comp_targetILNS1_3genE5ELNS1_11target_archE942ELNS1_3gpuE9ELNS1_3repE0EEENS1_30default_config_static_selectorELNS0_4arch9wavefront6targetE1EEEvT1_
    .private_segment_fixed_size: 0
    .sgpr_count:     6
    .sgpr_spill_count: 0
    .symbol:         _ZN7rocprim17ROCPRIM_400000_NS6detail17trampoline_kernelINS0_14default_configENS1_20scan_config_selectorIN3c107complexIdEEEEZZNS1_9scan_implILNS1_25lookback_scan_determinismE0ELb0ELb0ES3_PKS7_PS7_S7_ZZZN2at6native31launch_logcumsumexp_cuda_kernelERKNSE_10TensorBaseESI_lENKUlvE_clEvENKUlvE1_clEvEUlS7_S7_E_S7_EEDaPvRmT3_T4_T5_mT6_P12ihipStream_tbENKUlT_T0_E_clISt17integral_constantIbLb0EESZ_EEDaSU_SV_EUlSU_E_NS1_11comp_targetILNS1_3genE5ELNS1_11target_archE942ELNS1_3gpuE9ELNS1_3repE0EEENS1_30default_config_static_selectorELNS0_4arch9wavefront6targetE1EEEvT1_.kd
    .uniform_work_group_size: 1
    .uses_dynamic_stack: false
    .vgpr_count:     0
    .vgpr_spill_count: 0
    .wavefront_size: 64
  - .agpr_count:     0
    .args:
      - .offset:         0
        .size:           128
        .value_kind:     by_value
    .group_segment_fixed_size: 0
    .kernarg_segment_align: 16
    .kernarg_segment_size: 128
    .language:       OpenCL C
    .language_version:
      - 2
      - 0
    .max_flat_workgroup_size: 64
    .name:           _ZN7rocprim17ROCPRIM_400000_NS6detail17trampoline_kernelINS0_14default_configENS1_20scan_config_selectorIN3c107complexIdEEEEZZNS1_9scan_implILNS1_25lookback_scan_determinismE0ELb0ELb0ES3_PKS7_PS7_S7_ZZZN2at6native31launch_logcumsumexp_cuda_kernelERKNSE_10TensorBaseESI_lENKUlvE_clEvENKUlvE1_clEvEUlS7_S7_E_S7_EEDaPvRmT3_T4_T5_mT6_P12ihipStream_tbENKUlT_T0_E_clISt17integral_constantIbLb0EESZ_EEDaSU_SV_EUlSU_E_NS1_11comp_targetILNS1_3genE4ELNS1_11target_archE910ELNS1_3gpuE8ELNS1_3repE0EEENS1_30default_config_static_selectorELNS0_4arch9wavefront6targetE1EEEvT1_
    .private_segment_fixed_size: 0
    .sgpr_count:     6
    .sgpr_spill_count: 0
    .symbol:         _ZN7rocprim17ROCPRIM_400000_NS6detail17trampoline_kernelINS0_14default_configENS1_20scan_config_selectorIN3c107complexIdEEEEZZNS1_9scan_implILNS1_25lookback_scan_determinismE0ELb0ELb0ES3_PKS7_PS7_S7_ZZZN2at6native31launch_logcumsumexp_cuda_kernelERKNSE_10TensorBaseESI_lENKUlvE_clEvENKUlvE1_clEvEUlS7_S7_E_S7_EEDaPvRmT3_T4_T5_mT6_P12ihipStream_tbENKUlT_T0_E_clISt17integral_constantIbLb0EESZ_EEDaSU_SV_EUlSU_E_NS1_11comp_targetILNS1_3genE4ELNS1_11target_archE910ELNS1_3gpuE8ELNS1_3repE0EEENS1_30default_config_static_selectorELNS0_4arch9wavefront6targetE1EEEvT1_.kd
    .uniform_work_group_size: 1
    .uses_dynamic_stack: false
    .vgpr_count:     0
    .vgpr_spill_count: 0
    .wavefront_size: 64
  - .agpr_count:     0
    .args:
      - .offset:         0
        .size:           128
        .value_kind:     by_value
    .group_segment_fixed_size: 0
    .kernarg_segment_align: 16
    .kernarg_segment_size: 128
    .language:       OpenCL C
    .language_version:
      - 2
      - 0
    .max_flat_workgroup_size: 128
    .name:           _ZN7rocprim17ROCPRIM_400000_NS6detail17trampoline_kernelINS0_14default_configENS1_20scan_config_selectorIN3c107complexIdEEEEZZNS1_9scan_implILNS1_25lookback_scan_determinismE0ELb0ELb0ES3_PKS7_PS7_S7_ZZZN2at6native31launch_logcumsumexp_cuda_kernelERKNSE_10TensorBaseESI_lENKUlvE_clEvENKUlvE1_clEvEUlS7_S7_E_S7_EEDaPvRmT3_T4_T5_mT6_P12ihipStream_tbENKUlT_T0_E_clISt17integral_constantIbLb0EESZ_EEDaSU_SV_EUlSU_E_NS1_11comp_targetILNS1_3genE3ELNS1_11target_archE908ELNS1_3gpuE7ELNS1_3repE0EEENS1_30default_config_static_selectorELNS0_4arch9wavefront6targetE1EEEvT1_
    .private_segment_fixed_size: 0
    .sgpr_count:     6
    .sgpr_spill_count: 0
    .symbol:         _ZN7rocprim17ROCPRIM_400000_NS6detail17trampoline_kernelINS0_14default_configENS1_20scan_config_selectorIN3c107complexIdEEEEZZNS1_9scan_implILNS1_25lookback_scan_determinismE0ELb0ELb0ES3_PKS7_PS7_S7_ZZZN2at6native31launch_logcumsumexp_cuda_kernelERKNSE_10TensorBaseESI_lENKUlvE_clEvENKUlvE1_clEvEUlS7_S7_E_S7_EEDaPvRmT3_T4_T5_mT6_P12ihipStream_tbENKUlT_T0_E_clISt17integral_constantIbLb0EESZ_EEDaSU_SV_EUlSU_E_NS1_11comp_targetILNS1_3genE3ELNS1_11target_archE908ELNS1_3gpuE7ELNS1_3repE0EEENS1_30default_config_static_selectorELNS0_4arch9wavefront6targetE1EEEvT1_.kd
    .uniform_work_group_size: 1
    .uses_dynamic_stack: false
    .vgpr_count:     0
    .vgpr_spill_count: 0
    .wavefront_size: 64
  - .agpr_count:     0
    .args:
      - .offset:         0
        .size:           128
        .value_kind:     by_value
    .group_segment_fixed_size: 0
    .kernarg_segment_align: 16
    .kernarg_segment_size: 128
    .language:       OpenCL C
    .language_version:
      - 2
      - 0
    .max_flat_workgroup_size: 64
    .name:           _ZN7rocprim17ROCPRIM_400000_NS6detail17trampoline_kernelINS0_14default_configENS1_20scan_config_selectorIN3c107complexIdEEEEZZNS1_9scan_implILNS1_25lookback_scan_determinismE0ELb0ELb0ES3_PKS7_PS7_S7_ZZZN2at6native31launch_logcumsumexp_cuda_kernelERKNSE_10TensorBaseESI_lENKUlvE_clEvENKUlvE1_clEvEUlS7_S7_E_S7_EEDaPvRmT3_T4_T5_mT6_P12ihipStream_tbENKUlT_T0_E_clISt17integral_constantIbLb0EESZ_EEDaSU_SV_EUlSU_E_NS1_11comp_targetILNS1_3genE2ELNS1_11target_archE906ELNS1_3gpuE6ELNS1_3repE0EEENS1_30default_config_static_selectorELNS0_4arch9wavefront6targetE1EEEvT1_
    .private_segment_fixed_size: 0
    .sgpr_count:     6
    .sgpr_spill_count: 0
    .symbol:         _ZN7rocprim17ROCPRIM_400000_NS6detail17trampoline_kernelINS0_14default_configENS1_20scan_config_selectorIN3c107complexIdEEEEZZNS1_9scan_implILNS1_25lookback_scan_determinismE0ELb0ELb0ES3_PKS7_PS7_S7_ZZZN2at6native31launch_logcumsumexp_cuda_kernelERKNSE_10TensorBaseESI_lENKUlvE_clEvENKUlvE1_clEvEUlS7_S7_E_S7_EEDaPvRmT3_T4_T5_mT6_P12ihipStream_tbENKUlT_T0_E_clISt17integral_constantIbLb0EESZ_EEDaSU_SV_EUlSU_E_NS1_11comp_targetILNS1_3genE2ELNS1_11target_archE906ELNS1_3gpuE6ELNS1_3repE0EEENS1_30default_config_static_selectorELNS0_4arch9wavefront6targetE1EEEvT1_.kd
    .uniform_work_group_size: 1
    .uses_dynamic_stack: false
    .vgpr_count:     0
    .vgpr_spill_count: 0
    .wavefront_size: 64
  - .agpr_count:     0
    .args:
      - .offset:         0
        .size:           128
        .value_kind:     by_value
    .group_segment_fixed_size: 0
    .kernarg_segment_align: 16
    .kernarg_segment_size: 128
    .language:       OpenCL C
    .language_version:
      - 2
      - 0
    .max_flat_workgroup_size: 256
    .name:           _ZN7rocprim17ROCPRIM_400000_NS6detail17trampoline_kernelINS0_14default_configENS1_20scan_config_selectorIN3c107complexIdEEEEZZNS1_9scan_implILNS1_25lookback_scan_determinismE0ELb0ELb0ES3_PKS7_PS7_S7_ZZZN2at6native31launch_logcumsumexp_cuda_kernelERKNSE_10TensorBaseESI_lENKUlvE_clEvENKUlvE1_clEvEUlS7_S7_E_S7_EEDaPvRmT3_T4_T5_mT6_P12ihipStream_tbENKUlT_T0_E_clISt17integral_constantIbLb0EESZ_EEDaSU_SV_EUlSU_E_NS1_11comp_targetILNS1_3genE10ELNS1_11target_archE1201ELNS1_3gpuE5ELNS1_3repE0EEENS1_30default_config_static_selectorELNS0_4arch9wavefront6targetE1EEEvT1_
    .private_segment_fixed_size: 0
    .sgpr_count:     6
    .sgpr_spill_count: 0
    .symbol:         _ZN7rocprim17ROCPRIM_400000_NS6detail17trampoline_kernelINS0_14default_configENS1_20scan_config_selectorIN3c107complexIdEEEEZZNS1_9scan_implILNS1_25lookback_scan_determinismE0ELb0ELb0ES3_PKS7_PS7_S7_ZZZN2at6native31launch_logcumsumexp_cuda_kernelERKNSE_10TensorBaseESI_lENKUlvE_clEvENKUlvE1_clEvEUlS7_S7_E_S7_EEDaPvRmT3_T4_T5_mT6_P12ihipStream_tbENKUlT_T0_E_clISt17integral_constantIbLb0EESZ_EEDaSU_SV_EUlSU_E_NS1_11comp_targetILNS1_3genE10ELNS1_11target_archE1201ELNS1_3gpuE5ELNS1_3repE0EEENS1_30default_config_static_selectorELNS0_4arch9wavefront6targetE1EEEvT1_.kd
    .uniform_work_group_size: 1
    .uses_dynamic_stack: false
    .vgpr_count:     0
    .vgpr_spill_count: 0
    .wavefront_size: 64
  - .agpr_count:     0
    .args:
      - .offset:         0
        .size:           128
        .value_kind:     by_value
    .group_segment_fixed_size: 0
    .kernarg_segment_align: 16
    .kernarg_segment_size: 128
    .language:       OpenCL C
    .language_version:
      - 2
      - 0
    .max_flat_workgroup_size: 256
    .name:           _ZN7rocprim17ROCPRIM_400000_NS6detail17trampoline_kernelINS0_14default_configENS1_20scan_config_selectorIN3c107complexIdEEEEZZNS1_9scan_implILNS1_25lookback_scan_determinismE0ELb0ELb0ES3_PKS7_PS7_S7_ZZZN2at6native31launch_logcumsumexp_cuda_kernelERKNSE_10TensorBaseESI_lENKUlvE_clEvENKUlvE1_clEvEUlS7_S7_E_S7_EEDaPvRmT3_T4_T5_mT6_P12ihipStream_tbENKUlT_T0_E_clISt17integral_constantIbLb0EESZ_EEDaSU_SV_EUlSU_E_NS1_11comp_targetILNS1_3genE10ELNS1_11target_archE1200ELNS1_3gpuE4ELNS1_3repE0EEENS1_30default_config_static_selectorELNS0_4arch9wavefront6targetE1EEEvT1_
    .private_segment_fixed_size: 0
    .sgpr_count:     6
    .sgpr_spill_count: 0
    .symbol:         _ZN7rocprim17ROCPRIM_400000_NS6detail17trampoline_kernelINS0_14default_configENS1_20scan_config_selectorIN3c107complexIdEEEEZZNS1_9scan_implILNS1_25lookback_scan_determinismE0ELb0ELb0ES3_PKS7_PS7_S7_ZZZN2at6native31launch_logcumsumexp_cuda_kernelERKNSE_10TensorBaseESI_lENKUlvE_clEvENKUlvE1_clEvEUlS7_S7_E_S7_EEDaPvRmT3_T4_T5_mT6_P12ihipStream_tbENKUlT_T0_E_clISt17integral_constantIbLb0EESZ_EEDaSU_SV_EUlSU_E_NS1_11comp_targetILNS1_3genE10ELNS1_11target_archE1200ELNS1_3gpuE4ELNS1_3repE0EEENS1_30default_config_static_selectorELNS0_4arch9wavefront6targetE1EEEvT1_.kd
    .uniform_work_group_size: 1
    .uses_dynamic_stack: false
    .vgpr_count:     0
    .vgpr_spill_count: 0
    .wavefront_size: 64
  - .agpr_count:     0
    .args:
      - .offset:         0
        .size:           128
        .value_kind:     by_value
    .group_segment_fixed_size: 0
    .kernarg_segment_align: 16
    .kernarg_segment_size: 128
    .language:       OpenCL C
    .language_version:
      - 2
      - 0
    .max_flat_workgroup_size: 256
    .name:           _ZN7rocprim17ROCPRIM_400000_NS6detail17trampoline_kernelINS0_14default_configENS1_20scan_config_selectorIN3c107complexIdEEEEZZNS1_9scan_implILNS1_25lookback_scan_determinismE0ELb0ELb0ES3_PKS7_PS7_S7_ZZZN2at6native31launch_logcumsumexp_cuda_kernelERKNSE_10TensorBaseESI_lENKUlvE_clEvENKUlvE1_clEvEUlS7_S7_E_S7_EEDaPvRmT3_T4_T5_mT6_P12ihipStream_tbENKUlT_T0_E_clISt17integral_constantIbLb0EESZ_EEDaSU_SV_EUlSU_E_NS1_11comp_targetILNS1_3genE9ELNS1_11target_archE1100ELNS1_3gpuE3ELNS1_3repE0EEENS1_30default_config_static_selectorELNS0_4arch9wavefront6targetE1EEEvT1_
    .private_segment_fixed_size: 0
    .sgpr_count:     6
    .sgpr_spill_count: 0
    .symbol:         _ZN7rocprim17ROCPRIM_400000_NS6detail17trampoline_kernelINS0_14default_configENS1_20scan_config_selectorIN3c107complexIdEEEEZZNS1_9scan_implILNS1_25lookback_scan_determinismE0ELb0ELb0ES3_PKS7_PS7_S7_ZZZN2at6native31launch_logcumsumexp_cuda_kernelERKNSE_10TensorBaseESI_lENKUlvE_clEvENKUlvE1_clEvEUlS7_S7_E_S7_EEDaPvRmT3_T4_T5_mT6_P12ihipStream_tbENKUlT_T0_E_clISt17integral_constantIbLb0EESZ_EEDaSU_SV_EUlSU_E_NS1_11comp_targetILNS1_3genE9ELNS1_11target_archE1100ELNS1_3gpuE3ELNS1_3repE0EEENS1_30default_config_static_selectorELNS0_4arch9wavefront6targetE1EEEvT1_.kd
    .uniform_work_group_size: 1
    .uses_dynamic_stack: false
    .vgpr_count:     0
    .vgpr_spill_count: 0
    .wavefront_size: 64
  - .agpr_count:     0
    .args:
      - .offset:         0
        .size:           128
        .value_kind:     by_value
    .group_segment_fixed_size: 0
    .kernarg_segment_align: 16
    .kernarg_segment_size: 128
    .language:       OpenCL C
    .language_version:
      - 2
      - 0
    .max_flat_workgroup_size: 256
    .name:           _ZN7rocprim17ROCPRIM_400000_NS6detail17trampoline_kernelINS0_14default_configENS1_20scan_config_selectorIN3c107complexIdEEEEZZNS1_9scan_implILNS1_25lookback_scan_determinismE0ELb0ELb0ES3_PKS7_PS7_S7_ZZZN2at6native31launch_logcumsumexp_cuda_kernelERKNSE_10TensorBaseESI_lENKUlvE_clEvENKUlvE1_clEvEUlS7_S7_E_S7_EEDaPvRmT3_T4_T5_mT6_P12ihipStream_tbENKUlT_T0_E_clISt17integral_constantIbLb0EESZ_EEDaSU_SV_EUlSU_E_NS1_11comp_targetILNS1_3genE8ELNS1_11target_archE1030ELNS1_3gpuE2ELNS1_3repE0EEENS1_30default_config_static_selectorELNS0_4arch9wavefront6targetE1EEEvT1_
    .private_segment_fixed_size: 0
    .sgpr_count:     6
    .sgpr_spill_count: 0
    .symbol:         _ZN7rocprim17ROCPRIM_400000_NS6detail17trampoline_kernelINS0_14default_configENS1_20scan_config_selectorIN3c107complexIdEEEEZZNS1_9scan_implILNS1_25lookback_scan_determinismE0ELb0ELb0ES3_PKS7_PS7_S7_ZZZN2at6native31launch_logcumsumexp_cuda_kernelERKNSE_10TensorBaseESI_lENKUlvE_clEvENKUlvE1_clEvEUlS7_S7_E_S7_EEDaPvRmT3_T4_T5_mT6_P12ihipStream_tbENKUlT_T0_E_clISt17integral_constantIbLb0EESZ_EEDaSU_SV_EUlSU_E_NS1_11comp_targetILNS1_3genE8ELNS1_11target_archE1030ELNS1_3gpuE2ELNS1_3repE0EEENS1_30default_config_static_selectorELNS0_4arch9wavefront6targetE1EEEvT1_.kd
    .uniform_work_group_size: 1
    .uses_dynamic_stack: false
    .vgpr_count:     0
    .vgpr_spill_count: 0
    .wavefront_size: 64
  - .agpr_count:     0
    .args:
      - .offset:         0
        .size:           40
        .value_kind:     by_value
      - .offset:         40
        .size:           4
        .value_kind:     hidden_block_count_x
      - .offset:         44
        .size:           4
        .value_kind:     hidden_block_count_y
      - .offset:         48
        .size:           4
        .value_kind:     hidden_block_count_z
      - .offset:         52
        .size:           2
        .value_kind:     hidden_group_size_x
      - .offset:         54
        .size:           2
        .value_kind:     hidden_group_size_y
      - .offset:         56
        .size:           2
        .value_kind:     hidden_group_size_z
      - .offset:         58
        .size:           2
        .value_kind:     hidden_remainder_x
      - .offset:         60
        .size:           2
        .value_kind:     hidden_remainder_y
      - .offset:         62
        .size:           2
        .value_kind:     hidden_remainder_z
      - .offset:         80
        .size:           8
        .value_kind:     hidden_global_offset_x
      - .offset:         88
        .size:           8
        .value_kind:     hidden_global_offset_y
      - .offset:         96
        .size:           8
        .value_kind:     hidden_global_offset_z
      - .offset:         104
        .size:           2
        .value_kind:     hidden_grid_dims
    .group_segment_fixed_size: 0
    .kernarg_segment_align: 8
    .kernarg_segment_size: 296
    .language:       OpenCL C
    .language_version:
      - 2
      - 0
    .max_flat_workgroup_size: 128
    .name:           _ZN7rocprim17ROCPRIM_400000_NS6detail17trampoline_kernelINS0_14default_configENS1_25transform_config_selectorIN3c107complexIdEELb1EEEZNS1_14transform_implILb1ES3_S8_PS7_SA_NS0_8identityIS7_EEEE10hipError_tT2_T3_mT4_P12ihipStream_tbEUlT_E_NS1_11comp_targetILNS1_3genE0ELNS1_11target_archE4294967295ELNS1_3gpuE0ELNS1_3repE0EEENS1_30default_config_static_selectorELNS0_4arch9wavefront6targetE1EEEvT1_
    .private_segment_fixed_size: 0
    .sgpr_count:     18
    .sgpr_spill_count: 0
    .symbol:         _ZN7rocprim17ROCPRIM_400000_NS6detail17trampoline_kernelINS0_14default_configENS1_25transform_config_selectorIN3c107complexIdEELb1EEEZNS1_14transform_implILb1ES3_S8_PS7_SA_NS0_8identityIS7_EEEE10hipError_tT2_T3_mT4_P12ihipStream_tbEUlT_E_NS1_11comp_targetILNS1_3genE0ELNS1_11target_archE4294967295ELNS1_3gpuE0ELNS1_3repE0EEENS1_30default_config_static_selectorELNS0_4arch9wavefront6targetE1EEEvT1_.kd
    .uniform_work_group_size: 1
    .uses_dynamic_stack: false
    .vgpr_count:     5
    .vgpr_spill_count: 0
    .wavefront_size: 64
  - .agpr_count:     0
    .args:
      - .offset:         0
        .size:           40
        .value_kind:     by_value
    .group_segment_fixed_size: 0
    .kernarg_segment_align: 8
    .kernarg_segment_size: 40
    .language:       OpenCL C
    .language_version:
      - 2
      - 0
    .max_flat_workgroup_size: 64
    .name:           _ZN7rocprim17ROCPRIM_400000_NS6detail17trampoline_kernelINS0_14default_configENS1_25transform_config_selectorIN3c107complexIdEELb1EEEZNS1_14transform_implILb1ES3_S8_PS7_SA_NS0_8identityIS7_EEEE10hipError_tT2_T3_mT4_P12ihipStream_tbEUlT_E_NS1_11comp_targetILNS1_3genE10ELNS1_11target_archE1201ELNS1_3gpuE5ELNS1_3repE0EEENS1_30default_config_static_selectorELNS0_4arch9wavefront6targetE1EEEvT1_
    .private_segment_fixed_size: 0
    .sgpr_count:     6
    .sgpr_spill_count: 0
    .symbol:         _ZN7rocprim17ROCPRIM_400000_NS6detail17trampoline_kernelINS0_14default_configENS1_25transform_config_selectorIN3c107complexIdEELb1EEEZNS1_14transform_implILb1ES3_S8_PS7_SA_NS0_8identityIS7_EEEE10hipError_tT2_T3_mT4_P12ihipStream_tbEUlT_E_NS1_11comp_targetILNS1_3genE10ELNS1_11target_archE1201ELNS1_3gpuE5ELNS1_3repE0EEENS1_30default_config_static_selectorELNS0_4arch9wavefront6targetE1EEEvT1_.kd
    .uniform_work_group_size: 1
    .uses_dynamic_stack: false
    .vgpr_count:     0
    .vgpr_spill_count: 0
    .wavefront_size: 64
  - .agpr_count:     0
    .args:
      - .offset:         0
        .size:           40
        .value_kind:     by_value
    .group_segment_fixed_size: 0
    .kernarg_segment_align: 8
    .kernarg_segment_size: 40
    .language:       OpenCL C
    .language_version:
      - 2
      - 0
    .max_flat_workgroup_size: 256
    .name:           _ZN7rocprim17ROCPRIM_400000_NS6detail17trampoline_kernelINS0_14default_configENS1_25transform_config_selectorIN3c107complexIdEELb1EEEZNS1_14transform_implILb1ES3_S8_PS7_SA_NS0_8identityIS7_EEEE10hipError_tT2_T3_mT4_P12ihipStream_tbEUlT_E_NS1_11comp_targetILNS1_3genE5ELNS1_11target_archE942ELNS1_3gpuE9ELNS1_3repE0EEENS1_30default_config_static_selectorELNS0_4arch9wavefront6targetE1EEEvT1_
    .private_segment_fixed_size: 0
    .sgpr_count:     6
    .sgpr_spill_count: 0
    .symbol:         _ZN7rocprim17ROCPRIM_400000_NS6detail17trampoline_kernelINS0_14default_configENS1_25transform_config_selectorIN3c107complexIdEELb1EEEZNS1_14transform_implILb1ES3_S8_PS7_SA_NS0_8identityIS7_EEEE10hipError_tT2_T3_mT4_P12ihipStream_tbEUlT_E_NS1_11comp_targetILNS1_3genE5ELNS1_11target_archE942ELNS1_3gpuE9ELNS1_3repE0EEENS1_30default_config_static_selectorELNS0_4arch9wavefront6targetE1EEEvT1_.kd
    .uniform_work_group_size: 1
    .uses_dynamic_stack: false
    .vgpr_count:     0
    .vgpr_spill_count: 0
    .wavefront_size: 64
  - .agpr_count:     0
    .args:
      - .offset:         0
        .size:           40
        .value_kind:     by_value
    .group_segment_fixed_size: 0
    .kernarg_segment_align: 8
    .kernarg_segment_size: 40
    .language:       OpenCL C
    .language_version:
      - 2
      - 0
    .max_flat_workgroup_size: 1024
    .name:           _ZN7rocprim17ROCPRIM_400000_NS6detail17trampoline_kernelINS0_14default_configENS1_25transform_config_selectorIN3c107complexIdEELb1EEEZNS1_14transform_implILb1ES3_S8_PS7_SA_NS0_8identityIS7_EEEE10hipError_tT2_T3_mT4_P12ihipStream_tbEUlT_E_NS1_11comp_targetILNS1_3genE4ELNS1_11target_archE910ELNS1_3gpuE8ELNS1_3repE0EEENS1_30default_config_static_selectorELNS0_4arch9wavefront6targetE1EEEvT1_
    .private_segment_fixed_size: 0
    .sgpr_count:     6
    .sgpr_spill_count: 0
    .symbol:         _ZN7rocprim17ROCPRIM_400000_NS6detail17trampoline_kernelINS0_14default_configENS1_25transform_config_selectorIN3c107complexIdEELb1EEEZNS1_14transform_implILb1ES3_S8_PS7_SA_NS0_8identityIS7_EEEE10hipError_tT2_T3_mT4_P12ihipStream_tbEUlT_E_NS1_11comp_targetILNS1_3genE4ELNS1_11target_archE910ELNS1_3gpuE8ELNS1_3repE0EEENS1_30default_config_static_selectorELNS0_4arch9wavefront6targetE1EEEvT1_.kd
    .uniform_work_group_size: 1
    .uses_dynamic_stack: false
    .vgpr_count:     0
    .vgpr_spill_count: 0
    .wavefront_size: 64
  - .agpr_count:     0
    .args:
      - .offset:         0
        .size:           40
        .value_kind:     by_value
    .group_segment_fixed_size: 0
    .kernarg_segment_align: 8
    .kernarg_segment_size: 40
    .language:       OpenCL C
    .language_version:
      - 2
      - 0
    .max_flat_workgroup_size: 128
    .name:           _ZN7rocprim17ROCPRIM_400000_NS6detail17trampoline_kernelINS0_14default_configENS1_25transform_config_selectorIN3c107complexIdEELb1EEEZNS1_14transform_implILb1ES3_S8_PS7_SA_NS0_8identityIS7_EEEE10hipError_tT2_T3_mT4_P12ihipStream_tbEUlT_E_NS1_11comp_targetILNS1_3genE3ELNS1_11target_archE908ELNS1_3gpuE7ELNS1_3repE0EEENS1_30default_config_static_selectorELNS0_4arch9wavefront6targetE1EEEvT1_
    .private_segment_fixed_size: 0
    .sgpr_count:     6
    .sgpr_spill_count: 0
    .symbol:         _ZN7rocprim17ROCPRIM_400000_NS6detail17trampoline_kernelINS0_14default_configENS1_25transform_config_selectorIN3c107complexIdEELb1EEEZNS1_14transform_implILb1ES3_S8_PS7_SA_NS0_8identityIS7_EEEE10hipError_tT2_T3_mT4_P12ihipStream_tbEUlT_E_NS1_11comp_targetILNS1_3genE3ELNS1_11target_archE908ELNS1_3gpuE7ELNS1_3repE0EEENS1_30default_config_static_selectorELNS0_4arch9wavefront6targetE1EEEvT1_.kd
    .uniform_work_group_size: 1
    .uses_dynamic_stack: false
    .vgpr_count:     0
    .vgpr_spill_count: 0
    .wavefront_size: 64
  - .agpr_count:     0
    .args:
      - .offset:         0
        .size:           40
        .value_kind:     by_value
    .group_segment_fixed_size: 0
    .kernarg_segment_align: 8
    .kernarg_segment_size: 40
    .language:       OpenCL C
    .language_version:
      - 2
      - 0
    .max_flat_workgroup_size: 1024
    .name:           _ZN7rocprim17ROCPRIM_400000_NS6detail17trampoline_kernelINS0_14default_configENS1_25transform_config_selectorIN3c107complexIdEELb1EEEZNS1_14transform_implILb1ES3_S8_PS7_SA_NS0_8identityIS7_EEEE10hipError_tT2_T3_mT4_P12ihipStream_tbEUlT_E_NS1_11comp_targetILNS1_3genE2ELNS1_11target_archE906ELNS1_3gpuE6ELNS1_3repE0EEENS1_30default_config_static_selectorELNS0_4arch9wavefront6targetE1EEEvT1_
    .private_segment_fixed_size: 0
    .sgpr_count:     6
    .sgpr_spill_count: 0
    .symbol:         _ZN7rocprim17ROCPRIM_400000_NS6detail17trampoline_kernelINS0_14default_configENS1_25transform_config_selectorIN3c107complexIdEELb1EEEZNS1_14transform_implILb1ES3_S8_PS7_SA_NS0_8identityIS7_EEEE10hipError_tT2_T3_mT4_P12ihipStream_tbEUlT_E_NS1_11comp_targetILNS1_3genE2ELNS1_11target_archE906ELNS1_3gpuE6ELNS1_3repE0EEENS1_30default_config_static_selectorELNS0_4arch9wavefront6targetE1EEEvT1_.kd
    .uniform_work_group_size: 1
    .uses_dynamic_stack: false
    .vgpr_count:     0
    .vgpr_spill_count: 0
    .wavefront_size: 64
  - .agpr_count:     0
    .args:
      - .offset:         0
        .size:           40
        .value_kind:     by_value
    .group_segment_fixed_size: 0
    .kernarg_segment_align: 8
    .kernarg_segment_size: 40
    .language:       OpenCL C
    .language_version:
      - 2
      - 0
    .max_flat_workgroup_size: 1024
    .name:           _ZN7rocprim17ROCPRIM_400000_NS6detail17trampoline_kernelINS0_14default_configENS1_25transform_config_selectorIN3c107complexIdEELb1EEEZNS1_14transform_implILb1ES3_S8_PS7_SA_NS0_8identityIS7_EEEE10hipError_tT2_T3_mT4_P12ihipStream_tbEUlT_E_NS1_11comp_targetILNS1_3genE9ELNS1_11target_archE1100ELNS1_3gpuE3ELNS1_3repE0EEENS1_30default_config_static_selectorELNS0_4arch9wavefront6targetE1EEEvT1_
    .private_segment_fixed_size: 0
    .sgpr_count:     6
    .sgpr_spill_count: 0
    .symbol:         _ZN7rocprim17ROCPRIM_400000_NS6detail17trampoline_kernelINS0_14default_configENS1_25transform_config_selectorIN3c107complexIdEELb1EEEZNS1_14transform_implILb1ES3_S8_PS7_SA_NS0_8identityIS7_EEEE10hipError_tT2_T3_mT4_P12ihipStream_tbEUlT_E_NS1_11comp_targetILNS1_3genE9ELNS1_11target_archE1100ELNS1_3gpuE3ELNS1_3repE0EEENS1_30default_config_static_selectorELNS0_4arch9wavefront6targetE1EEEvT1_.kd
    .uniform_work_group_size: 1
    .uses_dynamic_stack: false
    .vgpr_count:     0
    .vgpr_spill_count: 0
    .wavefront_size: 64
  - .agpr_count:     0
    .args:
      - .offset:         0
        .size:           40
        .value_kind:     by_value
    .group_segment_fixed_size: 0
    .kernarg_segment_align: 8
    .kernarg_segment_size: 40
    .language:       OpenCL C
    .language_version:
      - 2
      - 0
    .max_flat_workgroup_size: 1024
    .name:           _ZN7rocprim17ROCPRIM_400000_NS6detail17trampoline_kernelINS0_14default_configENS1_25transform_config_selectorIN3c107complexIdEELb1EEEZNS1_14transform_implILb1ES3_S8_PS7_SA_NS0_8identityIS7_EEEE10hipError_tT2_T3_mT4_P12ihipStream_tbEUlT_E_NS1_11comp_targetILNS1_3genE8ELNS1_11target_archE1030ELNS1_3gpuE2ELNS1_3repE0EEENS1_30default_config_static_selectorELNS0_4arch9wavefront6targetE1EEEvT1_
    .private_segment_fixed_size: 0
    .sgpr_count:     6
    .sgpr_spill_count: 0
    .symbol:         _ZN7rocprim17ROCPRIM_400000_NS6detail17trampoline_kernelINS0_14default_configENS1_25transform_config_selectorIN3c107complexIdEELb1EEEZNS1_14transform_implILb1ES3_S8_PS7_SA_NS0_8identityIS7_EEEE10hipError_tT2_T3_mT4_P12ihipStream_tbEUlT_E_NS1_11comp_targetILNS1_3genE8ELNS1_11target_archE1030ELNS1_3gpuE2ELNS1_3repE0EEENS1_30default_config_static_selectorELNS0_4arch9wavefront6targetE1EEEvT1_.kd
    .uniform_work_group_size: 1
    .uses_dynamic_stack: false
    .vgpr_count:     0
    .vgpr_spill_count: 0
    .wavefront_size: 64
  - .agpr_count:     0
    .args:
      - .offset:         0
        .size:           48
        .value_kind:     by_value
    .group_segment_fixed_size: 20480
    .kernarg_segment_align: 16
    .kernarg_segment_size: 48
    .language:       OpenCL C
    .language_version:
      - 2
      - 0
    .max_flat_workgroup_size: 128
    .name:           _ZN7rocprim17ROCPRIM_400000_NS6detail17trampoline_kernelINS0_14default_configENS1_20scan_config_selectorIN3c107complexIdEEEEZZNS1_9scan_implILNS1_25lookback_scan_determinismE0ELb0ELb0ES3_PKS7_PS7_S7_ZZZN2at6native31launch_logcumsumexp_cuda_kernelERKNSE_10TensorBaseESI_lENKUlvE_clEvENKUlvE1_clEvEUlS7_S7_E_S7_EEDaPvRmT3_T4_T5_mT6_P12ihipStream_tbENKUlT_T0_E_clISt17integral_constantIbLb0EESZ_EEDaSU_SV_EUlSU_E0_NS1_11comp_targetILNS1_3genE0ELNS1_11target_archE4294967295ELNS1_3gpuE0ELNS1_3repE0EEENS1_30default_config_static_selectorELNS0_4arch9wavefront6targetE1EEEvT1_
    .private_segment_fixed_size: 0
    .sgpr_count:     68
    .sgpr_spill_count: 0
    .symbol:         _ZN7rocprim17ROCPRIM_400000_NS6detail17trampoline_kernelINS0_14default_configENS1_20scan_config_selectorIN3c107complexIdEEEEZZNS1_9scan_implILNS1_25lookback_scan_determinismE0ELb0ELb0ES3_PKS7_PS7_S7_ZZZN2at6native31launch_logcumsumexp_cuda_kernelERKNSE_10TensorBaseESI_lENKUlvE_clEvENKUlvE1_clEvEUlS7_S7_E_S7_EEDaPvRmT3_T4_T5_mT6_P12ihipStream_tbENKUlT_T0_E_clISt17integral_constantIbLb0EESZ_EEDaSU_SV_EUlSU_E0_NS1_11comp_targetILNS1_3genE0ELNS1_11target_archE4294967295ELNS1_3gpuE0ELNS1_3repE0EEENS1_30default_config_static_selectorELNS0_4arch9wavefront6targetE1EEEvT1_.kd
    .uniform_work_group_size: 1
    .uses_dynamic_stack: false
    .vgpr_count:     133
    .vgpr_spill_count: 0
    .wavefront_size: 64
  - .agpr_count:     0
    .args:
      - .offset:         0
        .size:           48
        .value_kind:     by_value
    .group_segment_fixed_size: 0
    .kernarg_segment_align: 16
    .kernarg_segment_size: 48
    .language:       OpenCL C
    .language_version:
      - 2
      - 0
    .max_flat_workgroup_size: 256
    .name:           _ZN7rocprim17ROCPRIM_400000_NS6detail17trampoline_kernelINS0_14default_configENS1_20scan_config_selectorIN3c107complexIdEEEEZZNS1_9scan_implILNS1_25lookback_scan_determinismE0ELb0ELb0ES3_PKS7_PS7_S7_ZZZN2at6native31launch_logcumsumexp_cuda_kernelERKNSE_10TensorBaseESI_lENKUlvE_clEvENKUlvE1_clEvEUlS7_S7_E_S7_EEDaPvRmT3_T4_T5_mT6_P12ihipStream_tbENKUlT_T0_E_clISt17integral_constantIbLb0EESZ_EEDaSU_SV_EUlSU_E0_NS1_11comp_targetILNS1_3genE5ELNS1_11target_archE942ELNS1_3gpuE9ELNS1_3repE0EEENS1_30default_config_static_selectorELNS0_4arch9wavefront6targetE1EEEvT1_
    .private_segment_fixed_size: 0
    .sgpr_count:     6
    .sgpr_spill_count: 0
    .symbol:         _ZN7rocprim17ROCPRIM_400000_NS6detail17trampoline_kernelINS0_14default_configENS1_20scan_config_selectorIN3c107complexIdEEEEZZNS1_9scan_implILNS1_25lookback_scan_determinismE0ELb0ELb0ES3_PKS7_PS7_S7_ZZZN2at6native31launch_logcumsumexp_cuda_kernelERKNSE_10TensorBaseESI_lENKUlvE_clEvENKUlvE1_clEvEUlS7_S7_E_S7_EEDaPvRmT3_T4_T5_mT6_P12ihipStream_tbENKUlT_T0_E_clISt17integral_constantIbLb0EESZ_EEDaSU_SV_EUlSU_E0_NS1_11comp_targetILNS1_3genE5ELNS1_11target_archE942ELNS1_3gpuE9ELNS1_3repE0EEENS1_30default_config_static_selectorELNS0_4arch9wavefront6targetE1EEEvT1_.kd
    .uniform_work_group_size: 1
    .uses_dynamic_stack: false
    .vgpr_count:     0
    .vgpr_spill_count: 0
    .wavefront_size: 64
  - .agpr_count:     0
    .args:
      - .offset:         0
        .size:           48
        .value_kind:     by_value
    .group_segment_fixed_size: 0
    .kernarg_segment_align: 16
    .kernarg_segment_size: 48
    .language:       OpenCL C
    .language_version:
      - 2
      - 0
    .max_flat_workgroup_size: 64
    .name:           _ZN7rocprim17ROCPRIM_400000_NS6detail17trampoline_kernelINS0_14default_configENS1_20scan_config_selectorIN3c107complexIdEEEEZZNS1_9scan_implILNS1_25lookback_scan_determinismE0ELb0ELb0ES3_PKS7_PS7_S7_ZZZN2at6native31launch_logcumsumexp_cuda_kernelERKNSE_10TensorBaseESI_lENKUlvE_clEvENKUlvE1_clEvEUlS7_S7_E_S7_EEDaPvRmT3_T4_T5_mT6_P12ihipStream_tbENKUlT_T0_E_clISt17integral_constantIbLb0EESZ_EEDaSU_SV_EUlSU_E0_NS1_11comp_targetILNS1_3genE4ELNS1_11target_archE910ELNS1_3gpuE8ELNS1_3repE0EEENS1_30default_config_static_selectorELNS0_4arch9wavefront6targetE1EEEvT1_
    .private_segment_fixed_size: 0
    .sgpr_count:     6
    .sgpr_spill_count: 0
    .symbol:         _ZN7rocprim17ROCPRIM_400000_NS6detail17trampoline_kernelINS0_14default_configENS1_20scan_config_selectorIN3c107complexIdEEEEZZNS1_9scan_implILNS1_25lookback_scan_determinismE0ELb0ELb0ES3_PKS7_PS7_S7_ZZZN2at6native31launch_logcumsumexp_cuda_kernelERKNSE_10TensorBaseESI_lENKUlvE_clEvENKUlvE1_clEvEUlS7_S7_E_S7_EEDaPvRmT3_T4_T5_mT6_P12ihipStream_tbENKUlT_T0_E_clISt17integral_constantIbLb0EESZ_EEDaSU_SV_EUlSU_E0_NS1_11comp_targetILNS1_3genE4ELNS1_11target_archE910ELNS1_3gpuE8ELNS1_3repE0EEENS1_30default_config_static_selectorELNS0_4arch9wavefront6targetE1EEEvT1_.kd
    .uniform_work_group_size: 1
    .uses_dynamic_stack: false
    .vgpr_count:     0
    .vgpr_spill_count: 0
    .wavefront_size: 64
  - .agpr_count:     0
    .args:
      - .offset:         0
        .size:           48
        .value_kind:     by_value
    .group_segment_fixed_size: 0
    .kernarg_segment_align: 16
    .kernarg_segment_size: 48
    .language:       OpenCL C
    .language_version:
      - 2
      - 0
    .max_flat_workgroup_size: 128
    .name:           _ZN7rocprim17ROCPRIM_400000_NS6detail17trampoline_kernelINS0_14default_configENS1_20scan_config_selectorIN3c107complexIdEEEEZZNS1_9scan_implILNS1_25lookback_scan_determinismE0ELb0ELb0ES3_PKS7_PS7_S7_ZZZN2at6native31launch_logcumsumexp_cuda_kernelERKNSE_10TensorBaseESI_lENKUlvE_clEvENKUlvE1_clEvEUlS7_S7_E_S7_EEDaPvRmT3_T4_T5_mT6_P12ihipStream_tbENKUlT_T0_E_clISt17integral_constantIbLb0EESZ_EEDaSU_SV_EUlSU_E0_NS1_11comp_targetILNS1_3genE3ELNS1_11target_archE908ELNS1_3gpuE7ELNS1_3repE0EEENS1_30default_config_static_selectorELNS0_4arch9wavefront6targetE1EEEvT1_
    .private_segment_fixed_size: 0
    .sgpr_count:     6
    .sgpr_spill_count: 0
    .symbol:         _ZN7rocprim17ROCPRIM_400000_NS6detail17trampoline_kernelINS0_14default_configENS1_20scan_config_selectorIN3c107complexIdEEEEZZNS1_9scan_implILNS1_25lookback_scan_determinismE0ELb0ELb0ES3_PKS7_PS7_S7_ZZZN2at6native31launch_logcumsumexp_cuda_kernelERKNSE_10TensorBaseESI_lENKUlvE_clEvENKUlvE1_clEvEUlS7_S7_E_S7_EEDaPvRmT3_T4_T5_mT6_P12ihipStream_tbENKUlT_T0_E_clISt17integral_constantIbLb0EESZ_EEDaSU_SV_EUlSU_E0_NS1_11comp_targetILNS1_3genE3ELNS1_11target_archE908ELNS1_3gpuE7ELNS1_3repE0EEENS1_30default_config_static_selectorELNS0_4arch9wavefront6targetE1EEEvT1_.kd
    .uniform_work_group_size: 1
    .uses_dynamic_stack: false
    .vgpr_count:     0
    .vgpr_spill_count: 0
    .wavefront_size: 64
  - .agpr_count:     0
    .args:
      - .offset:         0
        .size:           48
        .value_kind:     by_value
    .group_segment_fixed_size: 0
    .kernarg_segment_align: 16
    .kernarg_segment_size: 48
    .language:       OpenCL C
    .language_version:
      - 2
      - 0
    .max_flat_workgroup_size: 64
    .name:           _ZN7rocprim17ROCPRIM_400000_NS6detail17trampoline_kernelINS0_14default_configENS1_20scan_config_selectorIN3c107complexIdEEEEZZNS1_9scan_implILNS1_25lookback_scan_determinismE0ELb0ELb0ES3_PKS7_PS7_S7_ZZZN2at6native31launch_logcumsumexp_cuda_kernelERKNSE_10TensorBaseESI_lENKUlvE_clEvENKUlvE1_clEvEUlS7_S7_E_S7_EEDaPvRmT3_T4_T5_mT6_P12ihipStream_tbENKUlT_T0_E_clISt17integral_constantIbLb0EESZ_EEDaSU_SV_EUlSU_E0_NS1_11comp_targetILNS1_3genE2ELNS1_11target_archE906ELNS1_3gpuE6ELNS1_3repE0EEENS1_30default_config_static_selectorELNS0_4arch9wavefront6targetE1EEEvT1_
    .private_segment_fixed_size: 0
    .sgpr_count:     6
    .sgpr_spill_count: 0
    .symbol:         _ZN7rocprim17ROCPRIM_400000_NS6detail17trampoline_kernelINS0_14default_configENS1_20scan_config_selectorIN3c107complexIdEEEEZZNS1_9scan_implILNS1_25lookback_scan_determinismE0ELb0ELb0ES3_PKS7_PS7_S7_ZZZN2at6native31launch_logcumsumexp_cuda_kernelERKNSE_10TensorBaseESI_lENKUlvE_clEvENKUlvE1_clEvEUlS7_S7_E_S7_EEDaPvRmT3_T4_T5_mT6_P12ihipStream_tbENKUlT_T0_E_clISt17integral_constantIbLb0EESZ_EEDaSU_SV_EUlSU_E0_NS1_11comp_targetILNS1_3genE2ELNS1_11target_archE906ELNS1_3gpuE6ELNS1_3repE0EEENS1_30default_config_static_selectorELNS0_4arch9wavefront6targetE1EEEvT1_.kd
    .uniform_work_group_size: 1
    .uses_dynamic_stack: false
    .vgpr_count:     0
    .vgpr_spill_count: 0
    .wavefront_size: 64
  - .agpr_count:     0
    .args:
      - .offset:         0
        .size:           48
        .value_kind:     by_value
    .group_segment_fixed_size: 0
    .kernarg_segment_align: 16
    .kernarg_segment_size: 48
    .language:       OpenCL C
    .language_version:
      - 2
      - 0
    .max_flat_workgroup_size: 256
    .name:           _ZN7rocprim17ROCPRIM_400000_NS6detail17trampoline_kernelINS0_14default_configENS1_20scan_config_selectorIN3c107complexIdEEEEZZNS1_9scan_implILNS1_25lookback_scan_determinismE0ELb0ELb0ES3_PKS7_PS7_S7_ZZZN2at6native31launch_logcumsumexp_cuda_kernelERKNSE_10TensorBaseESI_lENKUlvE_clEvENKUlvE1_clEvEUlS7_S7_E_S7_EEDaPvRmT3_T4_T5_mT6_P12ihipStream_tbENKUlT_T0_E_clISt17integral_constantIbLb0EESZ_EEDaSU_SV_EUlSU_E0_NS1_11comp_targetILNS1_3genE10ELNS1_11target_archE1201ELNS1_3gpuE5ELNS1_3repE0EEENS1_30default_config_static_selectorELNS0_4arch9wavefront6targetE1EEEvT1_
    .private_segment_fixed_size: 0
    .sgpr_count:     6
    .sgpr_spill_count: 0
    .symbol:         _ZN7rocprim17ROCPRIM_400000_NS6detail17trampoline_kernelINS0_14default_configENS1_20scan_config_selectorIN3c107complexIdEEEEZZNS1_9scan_implILNS1_25lookback_scan_determinismE0ELb0ELb0ES3_PKS7_PS7_S7_ZZZN2at6native31launch_logcumsumexp_cuda_kernelERKNSE_10TensorBaseESI_lENKUlvE_clEvENKUlvE1_clEvEUlS7_S7_E_S7_EEDaPvRmT3_T4_T5_mT6_P12ihipStream_tbENKUlT_T0_E_clISt17integral_constantIbLb0EESZ_EEDaSU_SV_EUlSU_E0_NS1_11comp_targetILNS1_3genE10ELNS1_11target_archE1201ELNS1_3gpuE5ELNS1_3repE0EEENS1_30default_config_static_selectorELNS0_4arch9wavefront6targetE1EEEvT1_.kd
    .uniform_work_group_size: 1
    .uses_dynamic_stack: false
    .vgpr_count:     0
    .vgpr_spill_count: 0
    .wavefront_size: 64
  - .agpr_count:     0
    .args:
      - .offset:         0
        .size:           48
        .value_kind:     by_value
    .group_segment_fixed_size: 0
    .kernarg_segment_align: 16
    .kernarg_segment_size: 48
    .language:       OpenCL C
    .language_version:
      - 2
      - 0
    .max_flat_workgroup_size: 256
    .name:           _ZN7rocprim17ROCPRIM_400000_NS6detail17trampoline_kernelINS0_14default_configENS1_20scan_config_selectorIN3c107complexIdEEEEZZNS1_9scan_implILNS1_25lookback_scan_determinismE0ELb0ELb0ES3_PKS7_PS7_S7_ZZZN2at6native31launch_logcumsumexp_cuda_kernelERKNSE_10TensorBaseESI_lENKUlvE_clEvENKUlvE1_clEvEUlS7_S7_E_S7_EEDaPvRmT3_T4_T5_mT6_P12ihipStream_tbENKUlT_T0_E_clISt17integral_constantIbLb0EESZ_EEDaSU_SV_EUlSU_E0_NS1_11comp_targetILNS1_3genE10ELNS1_11target_archE1200ELNS1_3gpuE4ELNS1_3repE0EEENS1_30default_config_static_selectorELNS0_4arch9wavefront6targetE1EEEvT1_
    .private_segment_fixed_size: 0
    .sgpr_count:     6
    .sgpr_spill_count: 0
    .symbol:         _ZN7rocprim17ROCPRIM_400000_NS6detail17trampoline_kernelINS0_14default_configENS1_20scan_config_selectorIN3c107complexIdEEEEZZNS1_9scan_implILNS1_25lookback_scan_determinismE0ELb0ELb0ES3_PKS7_PS7_S7_ZZZN2at6native31launch_logcumsumexp_cuda_kernelERKNSE_10TensorBaseESI_lENKUlvE_clEvENKUlvE1_clEvEUlS7_S7_E_S7_EEDaPvRmT3_T4_T5_mT6_P12ihipStream_tbENKUlT_T0_E_clISt17integral_constantIbLb0EESZ_EEDaSU_SV_EUlSU_E0_NS1_11comp_targetILNS1_3genE10ELNS1_11target_archE1200ELNS1_3gpuE4ELNS1_3repE0EEENS1_30default_config_static_selectorELNS0_4arch9wavefront6targetE1EEEvT1_.kd
    .uniform_work_group_size: 1
    .uses_dynamic_stack: false
    .vgpr_count:     0
    .vgpr_spill_count: 0
    .wavefront_size: 64
  - .agpr_count:     0
    .args:
      - .offset:         0
        .size:           48
        .value_kind:     by_value
    .group_segment_fixed_size: 0
    .kernarg_segment_align: 16
    .kernarg_segment_size: 48
    .language:       OpenCL C
    .language_version:
      - 2
      - 0
    .max_flat_workgroup_size: 256
    .name:           _ZN7rocprim17ROCPRIM_400000_NS6detail17trampoline_kernelINS0_14default_configENS1_20scan_config_selectorIN3c107complexIdEEEEZZNS1_9scan_implILNS1_25lookback_scan_determinismE0ELb0ELb0ES3_PKS7_PS7_S7_ZZZN2at6native31launch_logcumsumexp_cuda_kernelERKNSE_10TensorBaseESI_lENKUlvE_clEvENKUlvE1_clEvEUlS7_S7_E_S7_EEDaPvRmT3_T4_T5_mT6_P12ihipStream_tbENKUlT_T0_E_clISt17integral_constantIbLb0EESZ_EEDaSU_SV_EUlSU_E0_NS1_11comp_targetILNS1_3genE9ELNS1_11target_archE1100ELNS1_3gpuE3ELNS1_3repE0EEENS1_30default_config_static_selectorELNS0_4arch9wavefront6targetE1EEEvT1_
    .private_segment_fixed_size: 0
    .sgpr_count:     6
    .sgpr_spill_count: 0
    .symbol:         _ZN7rocprim17ROCPRIM_400000_NS6detail17trampoline_kernelINS0_14default_configENS1_20scan_config_selectorIN3c107complexIdEEEEZZNS1_9scan_implILNS1_25lookback_scan_determinismE0ELb0ELb0ES3_PKS7_PS7_S7_ZZZN2at6native31launch_logcumsumexp_cuda_kernelERKNSE_10TensorBaseESI_lENKUlvE_clEvENKUlvE1_clEvEUlS7_S7_E_S7_EEDaPvRmT3_T4_T5_mT6_P12ihipStream_tbENKUlT_T0_E_clISt17integral_constantIbLb0EESZ_EEDaSU_SV_EUlSU_E0_NS1_11comp_targetILNS1_3genE9ELNS1_11target_archE1100ELNS1_3gpuE3ELNS1_3repE0EEENS1_30default_config_static_selectorELNS0_4arch9wavefront6targetE1EEEvT1_.kd
    .uniform_work_group_size: 1
    .uses_dynamic_stack: false
    .vgpr_count:     0
    .vgpr_spill_count: 0
    .wavefront_size: 64
  - .agpr_count:     0
    .args:
      - .offset:         0
        .size:           48
        .value_kind:     by_value
    .group_segment_fixed_size: 0
    .kernarg_segment_align: 16
    .kernarg_segment_size: 48
    .language:       OpenCL C
    .language_version:
      - 2
      - 0
    .max_flat_workgroup_size: 256
    .name:           _ZN7rocprim17ROCPRIM_400000_NS6detail17trampoline_kernelINS0_14default_configENS1_20scan_config_selectorIN3c107complexIdEEEEZZNS1_9scan_implILNS1_25lookback_scan_determinismE0ELb0ELb0ES3_PKS7_PS7_S7_ZZZN2at6native31launch_logcumsumexp_cuda_kernelERKNSE_10TensorBaseESI_lENKUlvE_clEvENKUlvE1_clEvEUlS7_S7_E_S7_EEDaPvRmT3_T4_T5_mT6_P12ihipStream_tbENKUlT_T0_E_clISt17integral_constantIbLb0EESZ_EEDaSU_SV_EUlSU_E0_NS1_11comp_targetILNS1_3genE8ELNS1_11target_archE1030ELNS1_3gpuE2ELNS1_3repE0EEENS1_30default_config_static_selectorELNS0_4arch9wavefront6targetE1EEEvT1_
    .private_segment_fixed_size: 0
    .sgpr_count:     6
    .sgpr_spill_count: 0
    .symbol:         _ZN7rocprim17ROCPRIM_400000_NS6detail17trampoline_kernelINS0_14default_configENS1_20scan_config_selectorIN3c107complexIdEEEEZZNS1_9scan_implILNS1_25lookback_scan_determinismE0ELb0ELb0ES3_PKS7_PS7_S7_ZZZN2at6native31launch_logcumsumexp_cuda_kernelERKNSE_10TensorBaseESI_lENKUlvE_clEvENKUlvE1_clEvEUlS7_S7_E_S7_EEDaPvRmT3_T4_T5_mT6_P12ihipStream_tbENKUlT_T0_E_clISt17integral_constantIbLb0EESZ_EEDaSU_SV_EUlSU_E0_NS1_11comp_targetILNS1_3genE8ELNS1_11target_archE1030ELNS1_3gpuE2ELNS1_3repE0EEENS1_30default_config_static_selectorELNS0_4arch9wavefront6targetE1EEEvT1_.kd
    .uniform_work_group_size: 1
    .uses_dynamic_stack: false
    .vgpr_count:     0
    .vgpr_spill_count: 0
    .wavefront_size: 64
  - .agpr_count:     0
    .args:
      - .offset:         0
        .size:           24
        .value_kind:     by_value
      - .offset:         24
        .size:           4
        .value_kind:     by_value
      - .address_space:  global
        .offset:         32
        .size:           8
        .value_kind:     global_buffer
      - .offset:         40
        .size:           4
        .value_kind:     by_value
      - .address_space:  global
        .offset:         48
        .size:           8
        .value_kind:     global_buffer
      - .offset:         56
        .size:           4
        .value_kind:     hidden_block_count_x
      - .offset:         60
        .size:           4
        .value_kind:     hidden_block_count_y
      - .offset:         64
        .size:           4
        .value_kind:     hidden_block_count_z
      - .offset:         68
        .size:           2
        .value_kind:     hidden_group_size_x
      - .offset:         70
        .size:           2
        .value_kind:     hidden_group_size_y
      - .offset:         72
        .size:           2
        .value_kind:     hidden_group_size_z
      - .offset:         74
        .size:           2
        .value_kind:     hidden_remainder_x
      - .offset:         76
        .size:           2
        .value_kind:     hidden_remainder_y
      - .offset:         78
        .size:           2
        .value_kind:     hidden_remainder_z
      - .offset:         96
        .size:           8
        .value_kind:     hidden_global_offset_x
      - .offset:         104
        .size:           8
        .value_kind:     hidden_global_offset_y
      - .offset:         112
        .size:           8
        .value_kind:     hidden_global_offset_z
      - .offset:         120
        .size:           2
        .value_kind:     hidden_grid_dims
    .group_segment_fixed_size: 0
    .kernarg_segment_align: 8
    .kernarg_segment_size: 312
    .language:       OpenCL C
    .language_version:
      - 2
      - 0
    .max_flat_workgroup_size: 256
    .name:           _ZN7rocprim17ROCPRIM_400000_NS6detail31init_lookback_scan_state_kernelINS1_19lookback_scan_stateIN3c107complexIdEELb1ELb0EEENS1_16block_id_wrapperIjLb1EEEEEvT_jT0_jPNSA_10value_typeE
    .private_segment_fixed_size: 0
    .sgpr_count:     26
    .sgpr_spill_count: 0
    .symbol:         _ZN7rocprim17ROCPRIM_400000_NS6detail31init_lookback_scan_state_kernelINS1_19lookback_scan_stateIN3c107complexIdEELb1ELb0EEENS1_16block_id_wrapperIjLb1EEEEEvT_jT0_jPNSA_10value_typeE.kd
    .uniform_work_group_size: 1
    .uses_dynamic_stack: false
    .vgpr_count:     6
    .vgpr_spill_count: 0
    .wavefront_size: 64
  - .agpr_count:     0
    .args:
      - .offset:         0
        .size:           128
        .value_kind:     by_value
    .group_segment_fixed_size: 0
    .kernarg_segment_align: 16
    .kernarg_segment_size: 128
    .language:       OpenCL C
    .language_version:
      - 2
      - 0
    .max_flat_workgroup_size: 128
    .name:           _ZN7rocprim17ROCPRIM_400000_NS6detail17trampoline_kernelINS0_14default_configENS1_20scan_config_selectorIN3c107complexIdEEEEZZNS1_9scan_implILNS1_25lookback_scan_determinismE0ELb0ELb0ES3_PKS7_PS7_S7_ZZZN2at6native31launch_logcumsumexp_cuda_kernelERKNSE_10TensorBaseESI_lENKUlvE_clEvENKUlvE1_clEvEUlS7_S7_E_S7_EEDaPvRmT3_T4_T5_mT6_P12ihipStream_tbENKUlT_T0_E_clISt17integral_constantIbLb1EESZ_EEDaSU_SV_EUlSU_E_NS1_11comp_targetILNS1_3genE0ELNS1_11target_archE4294967295ELNS1_3gpuE0ELNS1_3repE0EEENS1_30default_config_static_selectorELNS0_4arch9wavefront6targetE1EEEvT1_
    .private_segment_fixed_size: 0
    .sgpr_count:     6
    .sgpr_spill_count: 0
    .symbol:         _ZN7rocprim17ROCPRIM_400000_NS6detail17trampoline_kernelINS0_14default_configENS1_20scan_config_selectorIN3c107complexIdEEEEZZNS1_9scan_implILNS1_25lookback_scan_determinismE0ELb0ELb0ES3_PKS7_PS7_S7_ZZZN2at6native31launch_logcumsumexp_cuda_kernelERKNSE_10TensorBaseESI_lENKUlvE_clEvENKUlvE1_clEvEUlS7_S7_E_S7_EEDaPvRmT3_T4_T5_mT6_P12ihipStream_tbENKUlT_T0_E_clISt17integral_constantIbLb1EESZ_EEDaSU_SV_EUlSU_E_NS1_11comp_targetILNS1_3genE0ELNS1_11target_archE4294967295ELNS1_3gpuE0ELNS1_3repE0EEENS1_30default_config_static_selectorELNS0_4arch9wavefront6targetE1EEEvT1_.kd
    .uniform_work_group_size: 1
    .uses_dynamic_stack: false
    .vgpr_count:     0
    .vgpr_spill_count: 0
    .wavefront_size: 64
  - .agpr_count:     0
    .args:
      - .offset:         0
        .size:           128
        .value_kind:     by_value
    .group_segment_fixed_size: 0
    .kernarg_segment_align: 16
    .kernarg_segment_size: 128
    .language:       OpenCL C
    .language_version:
      - 2
      - 0
    .max_flat_workgroup_size: 256
    .name:           _ZN7rocprim17ROCPRIM_400000_NS6detail17trampoline_kernelINS0_14default_configENS1_20scan_config_selectorIN3c107complexIdEEEEZZNS1_9scan_implILNS1_25lookback_scan_determinismE0ELb0ELb0ES3_PKS7_PS7_S7_ZZZN2at6native31launch_logcumsumexp_cuda_kernelERKNSE_10TensorBaseESI_lENKUlvE_clEvENKUlvE1_clEvEUlS7_S7_E_S7_EEDaPvRmT3_T4_T5_mT6_P12ihipStream_tbENKUlT_T0_E_clISt17integral_constantIbLb1EESZ_EEDaSU_SV_EUlSU_E_NS1_11comp_targetILNS1_3genE5ELNS1_11target_archE942ELNS1_3gpuE9ELNS1_3repE0EEENS1_30default_config_static_selectorELNS0_4arch9wavefront6targetE1EEEvT1_
    .private_segment_fixed_size: 0
    .sgpr_count:     6
    .sgpr_spill_count: 0
    .symbol:         _ZN7rocprim17ROCPRIM_400000_NS6detail17trampoline_kernelINS0_14default_configENS1_20scan_config_selectorIN3c107complexIdEEEEZZNS1_9scan_implILNS1_25lookback_scan_determinismE0ELb0ELb0ES3_PKS7_PS7_S7_ZZZN2at6native31launch_logcumsumexp_cuda_kernelERKNSE_10TensorBaseESI_lENKUlvE_clEvENKUlvE1_clEvEUlS7_S7_E_S7_EEDaPvRmT3_T4_T5_mT6_P12ihipStream_tbENKUlT_T0_E_clISt17integral_constantIbLb1EESZ_EEDaSU_SV_EUlSU_E_NS1_11comp_targetILNS1_3genE5ELNS1_11target_archE942ELNS1_3gpuE9ELNS1_3repE0EEENS1_30default_config_static_selectorELNS0_4arch9wavefront6targetE1EEEvT1_.kd
    .uniform_work_group_size: 1
    .uses_dynamic_stack: false
    .vgpr_count:     0
    .vgpr_spill_count: 0
    .wavefront_size: 64
  - .agpr_count:     0
    .args:
      - .offset:         0
        .size:           128
        .value_kind:     by_value
    .group_segment_fixed_size: 0
    .kernarg_segment_align: 16
    .kernarg_segment_size: 128
    .language:       OpenCL C
    .language_version:
      - 2
      - 0
    .max_flat_workgroup_size: 64
    .name:           _ZN7rocprim17ROCPRIM_400000_NS6detail17trampoline_kernelINS0_14default_configENS1_20scan_config_selectorIN3c107complexIdEEEEZZNS1_9scan_implILNS1_25lookback_scan_determinismE0ELb0ELb0ES3_PKS7_PS7_S7_ZZZN2at6native31launch_logcumsumexp_cuda_kernelERKNSE_10TensorBaseESI_lENKUlvE_clEvENKUlvE1_clEvEUlS7_S7_E_S7_EEDaPvRmT3_T4_T5_mT6_P12ihipStream_tbENKUlT_T0_E_clISt17integral_constantIbLb1EESZ_EEDaSU_SV_EUlSU_E_NS1_11comp_targetILNS1_3genE4ELNS1_11target_archE910ELNS1_3gpuE8ELNS1_3repE0EEENS1_30default_config_static_selectorELNS0_4arch9wavefront6targetE1EEEvT1_
    .private_segment_fixed_size: 0
    .sgpr_count:     6
    .sgpr_spill_count: 0
    .symbol:         _ZN7rocprim17ROCPRIM_400000_NS6detail17trampoline_kernelINS0_14default_configENS1_20scan_config_selectorIN3c107complexIdEEEEZZNS1_9scan_implILNS1_25lookback_scan_determinismE0ELb0ELb0ES3_PKS7_PS7_S7_ZZZN2at6native31launch_logcumsumexp_cuda_kernelERKNSE_10TensorBaseESI_lENKUlvE_clEvENKUlvE1_clEvEUlS7_S7_E_S7_EEDaPvRmT3_T4_T5_mT6_P12ihipStream_tbENKUlT_T0_E_clISt17integral_constantIbLb1EESZ_EEDaSU_SV_EUlSU_E_NS1_11comp_targetILNS1_3genE4ELNS1_11target_archE910ELNS1_3gpuE8ELNS1_3repE0EEENS1_30default_config_static_selectorELNS0_4arch9wavefront6targetE1EEEvT1_.kd
    .uniform_work_group_size: 1
    .uses_dynamic_stack: false
    .vgpr_count:     0
    .vgpr_spill_count: 0
    .wavefront_size: 64
  - .agpr_count:     0
    .args:
      - .offset:         0
        .size:           128
        .value_kind:     by_value
    .group_segment_fixed_size: 0
    .kernarg_segment_align: 16
    .kernarg_segment_size: 128
    .language:       OpenCL C
    .language_version:
      - 2
      - 0
    .max_flat_workgroup_size: 128
    .name:           _ZN7rocprim17ROCPRIM_400000_NS6detail17trampoline_kernelINS0_14default_configENS1_20scan_config_selectorIN3c107complexIdEEEEZZNS1_9scan_implILNS1_25lookback_scan_determinismE0ELb0ELb0ES3_PKS7_PS7_S7_ZZZN2at6native31launch_logcumsumexp_cuda_kernelERKNSE_10TensorBaseESI_lENKUlvE_clEvENKUlvE1_clEvEUlS7_S7_E_S7_EEDaPvRmT3_T4_T5_mT6_P12ihipStream_tbENKUlT_T0_E_clISt17integral_constantIbLb1EESZ_EEDaSU_SV_EUlSU_E_NS1_11comp_targetILNS1_3genE3ELNS1_11target_archE908ELNS1_3gpuE7ELNS1_3repE0EEENS1_30default_config_static_selectorELNS0_4arch9wavefront6targetE1EEEvT1_
    .private_segment_fixed_size: 0
    .sgpr_count:     6
    .sgpr_spill_count: 0
    .symbol:         _ZN7rocprim17ROCPRIM_400000_NS6detail17trampoline_kernelINS0_14default_configENS1_20scan_config_selectorIN3c107complexIdEEEEZZNS1_9scan_implILNS1_25lookback_scan_determinismE0ELb0ELb0ES3_PKS7_PS7_S7_ZZZN2at6native31launch_logcumsumexp_cuda_kernelERKNSE_10TensorBaseESI_lENKUlvE_clEvENKUlvE1_clEvEUlS7_S7_E_S7_EEDaPvRmT3_T4_T5_mT6_P12ihipStream_tbENKUlT_T0_E_clISt17integral_constantIbLb1EESZ_EEDaSU_SV_EUlSU_E_NS1_11comp_targetILNS1_3genE3ELNS1_11target_archE908ELNS1_3gpuE7ELNS1_3repE0EEENS1_30default_config_static_selectorELNS0_4arch9wavefront6targetE1EEEvT1_.kd
    .uniform_work_group_size: 1
    .uses_dynamic_stack: false
    .vgpr_count:     0
    .vgpr_spill_count: 0
    .wavefront_size: 64
  - .agpr_count:     0
    .args:
      - .offset:         0
        .size:           128
        .value_kind:     by_value
    .group_segment_fixed_size: 0
    .kernarg_segment_align: 16
    .kernarg_segment_size: 128
    .language:       OpenCL C
    .language_version:
      - 2
      - 0
    .max_flat_workgroup_size: 64
    .name:           _ZN7rocprim17ROCPRIM_400000_NS6detail17trampoline_kernelINS0_14default_configENS1_20scan_config_selectorIN3c107complexIdEEEEZZNS1_9scan_implILNS1_25lookback_scan_determinismE0ELb0ELb0ES3_PKS7_PS7_S7_ZZZN2at6native31launch_logcumsumexp_cuda_kernelERKNSE_10TensorBaseESI_lENKUlvE_clEvENKUlvE1_clEvEUlS7_S7_E_S7_EEDaPvRmT3_T4_T5_mT6_P12ihipStream_tbENKUlT_T0_E_clISt17integral_constantIbLb1EESZ_EEDaSU_SV_EUlSU_E_NS1_11comp_targetILNS1_3genE2ELNS1_11target_archE906ELNS1_3gpuE6ELNS1_3repE0EEENS1_30default_config_static_selectorELNS0_4arch9wavefront6targetE1EEEvT1_
    .private_segment_fixed_size: 0
    .sgpr_count:     6
    .sgpr_spill_count: 0
    .symbol:         _ZN7rocprim17ROCPRIM_400000_NS6detail17trampoline_kernelINS0_14default_configENS1_20scan_config_selectorIN3c107complexIdEEEEZZNS1_9scan_implILNS1_25lookback_scan_determinismE0ELb0ELb0ES3_PKS7_PS7_S7_ZZZN2at6native31launch_logcumsumexp_cuda_kernelERKNSE_10TensorBaseESI_lENKUlvE_clEvENKUlvE1_clEvEUlS7_S7_E_S7_EEDaPvRmT3_T4_T5_mT6_P12ihipStream_tbENKUlT_T0_E_clISt17integral_constantIbLb1EESZ_EEDaSU_SV_EUlSU_E_NS1_11comp_targetILNS1_3genE2ELNS1_11target_archE906ELNS1_3gpuE6ELNS1_3repE0EEENS1_30default_config_static_selectorELNS0_4arch9wavefront6targetE1EEEvT1_.kd
    .uniform_work_group_size: 1
    .uses_dynamic_stack: false
    .vgpr_count:     0
    .vgpr_spill_count: 0
    .wavefront_size: 64
  - .agpr_count:     0
    .args:
      - .offset:         0
        .size:           128
        .value_kind:     by_value
    .group_segment_fixed_size: 0
    .kernarg_segment_align: 16
    .kernarg_segment_size: 128
    .language:       OpenCL C
    .language_version:
      - 2
      - 0
    .max_flat_workgroup_size: 256
    .name:           _ZN7rocprim17ROCPRIM_400000_NS6detail17trampoline_kernelINS0_14default_configENS1_20scan_config_selectorIN3c107complexIdEEEEZZNS1_9scan_implILNS1_25lookback_scan_determinismE0ELb0ELb0ES3_PKS7_PS7_S7_ZZZN2at6native31launch_logcumsumexp_cuda_kernelERKNSE_10TensorBaseESI_lENKUlvE_clEvENKUlvE1_clEvEUlS7_S7_E_S7_EEDaPvRmT3_T4_T5_mT6_P12ihipStream_tbENKUlT_T0_E_clISt17integral_constantIbLb1EESZ_EEDaSU_SV_EUlSU_E_NS1_11comp_targetILNS1_3genE10ELNS1_11target_archE1201ELNS1_3gpuE5ELNS1_3repE0EEENS1_30default_config_static_selectorELNS0_4arch9wavefront6targetE1EEEvT1_
    .private_segment_fixed_size: 0
    .sgpr_count:     6
    .sgpr_spill_count: 0
    .symbol:         _ZN7rocprim17ROCPRIM_400000_NS6detail17trampoline_kernelINS0_14default_configENS1_20scan_config_selectorIN3c107complexIdEEEEZZNS1_9scan_implILNS1_25lookback_scan_determinismE0ELb0ELb0ES3_PKS7_PS7_S7_ZZZN2at6native31launch_logcumsumexp_cuda_kernelERKNSE_10TensorBaseESI_lENKUlvE_clEvENKUlvE1_clEvEUlS7_S7_E_S7_EEDaPvRmT3_T4_T5_mT6_P12ihipStream_tbENKUlT_T0_E_clISt17integral_constantIbLb1EESZ_EEDaSU_SV_EUlSU_E_NS1_11comp_targetILNS1_3genE10ELNS1_11target_archE1201ELNS1_3gpuE5ELNS1_3repE0EEENS1_30default_config_static_selectorELNS0_4arch9wavefront6targetE1EEEvT1_.kd
    .uniform_work_group_size: 1
    .uses_dynamic_stack: false
    .vgpr_count:     0
    .vgpr_spill_count: 0
    .wavefront_size: 64
  - .agpr_count:     0
    .args:
      - .offset:         0
        .size:           128
        .value_kind:     by_value
    .group_segment_fixed_size: 0
    .kernarg_segment_align: 16
    .kernarg_segment_size: 128
    .language:       OpenCL C
    .language_version:
      - 2
      - 0
    .max_flat_workgroup_size: 256
    .name:           _ZN7rocprim17ROCPRIM_400000_NS6detail17trampoline_kernelINS0_14default_configENS1_20scan_config_selectorIN3c107complexIdEEEEZZNS1_9scan_implILNS1_25lookback_scan_determinismE0ELb0ELb0ES3_PKS7_PS7_S7_ZZZN2at6native31launch_logcumsumexp_cuda_kernelERKNSE_10TensorBaseESI_lENKUlvE_clEvENKUlvE1_clEvEUlS7_S7_E_S7_EEDaPvRmT3_T4_T5_mT6_P12ihipStream_tbENKUlT_T0_E_clISt17integral_constantIbLb1EESZ_EEDaSU_SV_EUlSU_E_NS1_11comp_targetILNS1_3genE10ELNS1_11target_archE1200ELNS1_3gpuE4ELNS1_3repE0EEENS1_30default_config_static_selectorELNS0_4arch9wavefront6targetE1EEEvT1_
    .private_segment_fixed_size: 0
    .sgpr_count:     6
    .sgpr_spill_count: 0
    .symbol:         _ZN7rocprim17ROCPRIM_400000_NS6detail17trampoline_kernelINS0_14default_configENS1_20scan_config_selectorIN3c107complexIdEEEEZZNS1_9scan_implILNS1_25lookback_scan_determinismE0ELb0ELb0ES3_PKS7_PS7_S7_ZZZN2at6native31launch_logcumsumexp_cuda_kernelERKNSE_10TensorBaseESI_lENKUlvE_clEvENKUlvE1_clEvEUlS7_S7_E_S7_EEDaPvRmT3_T4_T5_mT6_P12ihipStream_tbENKUlT_T0_E_clISt17integral_constantIbLb1EESZ_EEDaSU_SV_EUlSU_E_NS1_11comp_targetILNS1_3genE10ELNS1_11target_archE1200ELNS1_3gpuE4ELNS1_3repE0EEENS1_30default_config_static_selectorELNS0_4arch9wavefront6targetE1EEEvT1_.kd
    .uniform_work_group_size: 1
    .uses_dynamic_stack: false
    .vgpr_count:     0
    .vgpr_spill_count: 0
    .wavefront_size: 64
  - .agpr_count:     0
    .args:
      - .offset:         0
        .size:           128
        .value_kind:     by_value
    .group_segment_fixed_size: 0
    .kernarg_segment_align: 16
    .kernarg_segment_size: 128
    .language:       OpenCL C
    .language_version:
      - 2
      - 0
    .max_flat_workgroup_size: 256
    .name:           _ZN7rocprim17ROCPRIM_400000_NS6detail17trampoline_kernelINS0_14default_configENS1_20scan_config_selectorIN3c107complexIdEEEEZZNS1_9scan_implILNS1_25lookback_scan_determinismE0ELb0ELb0ES3_PKS7_PS7_S7_ZZZN2at6native31launch_logcumsumexp_cuda_kernelERKNSE_10TensorBaseESI_lENKUlvE_clEvENKUlvE1_clEvEUlS7_S7_E_S7_EEDaPvRmT3_T4_T5_mT6_P12ihipStream_tbENKUlT_T0_E_clISt17integral_constantIbLb1EESZ_EEDaSU_SV_EUlSU_E_NS1_11comp_targetILNS1_3genE9ELNS1_11target_archE1100ELNS1_3gpuE3ELNS1_3repE0EEENS1_30default_config_static_selectorELNS0_4arch9wavefront6targetE1EEEvT1_
    .private_segment_fixed_size: 0
    .sgpr_count:     6
    .sgpr_spill_count: 0
    .symbol:         _ZN7rocprim17ROCPRIM_400000_NS6detail17trampoline_kernelINS0_14default_configENS1_20scan_config_selectorIN3c107complexIdEEEEZZNS1_9scan_implILNS1_25lookback_scan_determinismE0ELb0ELb0ES3_PKS7_PS7_S7_ZZZN2at6native31launch_logcumsumexp_cuda_kernelERKNSE_10TensorBaseESI_lENKUlvE_clEvENKUlvE1_clEvEUlS7_S7_E_S7_EEDaPvRmT3_T4_T5_mT6_P12ihipStream_tbENKUlT_T0_E_clISt17integral_constantIbLb1EESZ_EEDaSU_SV_EUlSU_E_NS1_11comp_targetILNS1_3genE9ELNS1_11target_archE1100ELNS1_3gpuE3ELNS1_3repE0EEENS1_30default_config_static_selectorELNS0_4arch9wavefront6targetE1EEEvT1_.kd
    .uniform_work_group_size: 1
    .uses_dynamic_stack: false
    .vgpr_count:     0
    .vgpr_spill_count: 0
    .wavefront_size: 64
  - .agpr_count:     0
    .args:
      - .offset:         0
        .size:           128
        .value_kind:     by_value
    .group_segment_fixed_size: 0
    .kernarg_segment_align: 16
    .kernarg_segment_size: 128
    .language:       OpenCL C
    .language_version:
      - 2
      - 0
    .max_flat_workgroup_size: 256
    .name:           _ZN7rocprim17ROCPRIM_400000_NS6detail17trampoline_kernelINS0_14default_configENS1_20scan_config_selectorIN3c107complexIdEEEEZZNS1_9scan_implILNS1_25lookback_scan_determinismE0ELb0ELb0ES3_PKS7_PS7_S7_ZZZN2at6native31launch_logcumsumexp_cuda_kernelERKNSE_10TensorBaseESI_lENKUlvE_clEvENKUlvE1_clEvEUlS7_S7_E_S7_EEDaPvRmT3_T4_T5_mT6_P12ihipStream_tbENKUlT_T0_E_clISt17integral_constantIbLb1EESZ_EEDaSU_SV_EUlSU_E_NS1_11comp_targetILNS1_3genE8ELNS1_11target_archE1030ELNS1_3gpuE2ELNS1_3repE0EEENS1_30default_config_static_selectorELNS0_4arch9wavefront6targetE1EEEvT1_
    .private_segment_fixed_size: 0
    .sgpr_count:     6
    .sgpr_spill_count: 0
    .symbol:         _ZN7rocprim17ROCPRIM_400000_NS6detail17trampoline_kernelINS0_14default_configENS1_20scan_config_selectorIN3c107complexIdEEEEZZNS1_9scan_implILNS1_25lookback_scan_determinismE0ELb0ELb0ES3_PKS7_PS7_S7_ZZZN2at6native31launch_logcumsumexp_cuda_kernelERKNSE_10TensorBaseESI_lENKUlvE_clEvENKUlvE1_clEvEUlS7_S7_E_S7_EEDaPvRmT3_T4_T5_mT6_P12ihipStream_tbENKUlT_T0_E_clISt17integral_constantIbLb1EESZ_EEDaSU_SV_EUlSU_E_NS1_11comp_targetILNS1_3genE8ELNS1_11target_archE1030ELNS1_3gpuE2ELNS1_3repE0EEENS1_30default_config_static_selectorELNS0_4arch9wavefront6targetE1EEEvT1_.kd
    .uniform_work_group_size: 1
    .uses_dynamic_stack: false
    .vgpr_count:     0
    .vgpr_spill_count: 0
    .wavefront_size: 64
  - .agpr_count:     0
    .args:
      - .offset:         0
        .size:           48
        .value_kind:     by_value
    .group_segment_fixed_size: 20480
    .kernarg_segment_align: 16
    .kernarg_segment_size: 48
    .language:       OpenCL C
    .language_version:
      - 2
      - 0
    .max_flat_workgroup_size: 128
    .name:           _ZN7rocprim17ROCPRIM_400000_NS6detail17trampoline_kernelINS0_14default_configENS1_20scan_config_selectorIN3c107complexIdEEEEZZNS1_9scan_implILNS1_25lookback_scan_determinismE0ELb0ELb0ES3_PKS7_PS7_S7_ZZZN2at6native31launch_logcumsumexp_cuda_kernelERKNSE_10TensorBaseESI_lENKUlvE_clEvENKUlvE1_clEvEUlS7_S7_E_S7_EEDaPvRmT3_T4_T5_mT6_P12ihipStream_tbENKUlT_T0_E_clISt17integral_constantIbLb1EESZ_EEDaSU_SV_EUlSU_E0_NS1_11comp_targetILNS1_3genE0ELNS1_11target_archE4294967295ELNS1_3gpuE0ELNS1_3repE0EEENS1_30default_config_static_selectorELNS0_4arch9wavefront6targetE1EEEvT1_
    .private_segment_fixed_size: 0
    .sgpr_count:     68
    .sgpr_spill_count: 0
    .symbol:         _ZN7rocprim17ROCPRIM_400000_NS6detail17trampoline_kernelINS0_14default_configENS1_20scan_config_selectorIN3c107complexIdEEEEZZNS1_9scan_implILNS1_25lookback_scan_determinismE0ELb0ELb0ES3_PKS7_PS7_S7_ZZZN2at6native31launch_logcumsumexp_cuda_kernelERKNSE_10TensorBaseESI_lENKUlvE_clEvENKUlvE1_clEvEUlS7_S7_E_S7_EEDaPvRmT3_T4_T5_mT6_P12ihipStream_tbENKUlT_T0_E_clISt17integral_constantIbLb1EESZ_EEDaSU_SV_EUlSU_E0_NS1_11comp_targetILNS1_3genE0ELNS1_11target_archE4294967295ELNS1_3gpuE0ELNS1_3repE0EEENS1_30default_config_static_selectorELNS0_4arch9wavefront6targetE1EEEvT1_.kd
    .uniform_work_group_size: 1
    .uses_dynamic_stack: false
    .vgpr_count:     133
    .vgpr_spill_count: 0
    .wavefront_size: 64
  - .agpr_count:     0
    .args:
      - .offset:         0
        .size:           48
        .value_kind:     by_value
    .group_segment_fixed_size: 0
    .kernarg_segment_align: 16
    .kernarg_segment_size: 48
    .language:       OpenCL C
    .language_version:
      - 2
      - 0
    .max_flat_workgroup_size: 256
    .name:           _ZN7rocprim17ROCPRIM_400000_NS6detail17trampoline_kernelINS0_14default_configENS1_20scan_config_selectorIN3c107complexIdEEEEZZNS1_9scan_implILNS1_25lookback_scan_determinismE0ELb0ELb0ES3_PKS7_PS7_S7_ZZZN2at6native31launch_logcumsumexp_cuda_kernelERKNSE_10TensorBaseESI_lENKUlvE_clEvENKUlvE1_clEvEUlS7_S7_E_S7_EEDaPvRmT3_T4_T5_mT6_P12ihipStream_tbENKUlT_T0_E_clISt17integral_constantIbLb1EESZ_EEDaSU_SV_EUlSU_E0_NS1_11comp_targetILNS1_3genE5ELNS1_11target_archE942ELNS1_3gpuE9ELNS1_3repE0EEENS1_30default_config_static_selectorELNS0_4arch9wavefront6targetE1EEEvT1_
    .private_segment_fixed_size: 0
    .sgpr_count:     6
    .sgpr_spill_count: 0
    .symbol:         _ZN7rocprim17ROCPRIM_400000_NS6detail17trampoline_kernelINS0_14default_configENS1_20scan_config_selectorIN3c107complexIdEEEEZZNS1_9scan_implILNS1_25lookback_scan_determinismE0ELb0ELb0ES3_PKS7_PS7_S7_ZZZN2at6native31launch_logcumsumexp_cuda_kernelERKNSE_10TensorBaseESI_lENKUlvE_clEvENKUlvE1_clEvEUlS7_S7_E_S7_EEDaPvRmT3_T4_T5_mT6_P12ihipStream_tbENKUlT_T0_E_clISt17integral_constantIbLb1EESZ_EEDaSU_SV_EUlSU_E0_NS1_11comp_targetILNS1_3genE5ELNS1_11target_archE942ELNS1_3gpuE9ELNS1_3repE0EEENS1_30default_config_static_selectorELNS0_4arch9wavefront6targetE1EEEvT1_.kd
    .uniform_work_group_size: 1
    .uses_dynamic_stack: false
    .vgpr_count:     0
    .vgpr_spill_count: 0
    .wavefront_size: 64
  - .agpr_count:     0
    .args:
      - .offset:         0
        .size:           48
        .value_kind:     by_value
    .group_segment_fixed_size: 0
    .kernarg_segment_align: 16
    .kernarg_segment_size: 48
    .language:       OpenCL C
    .language_version:
      - 2
      - 0
    .max_flat_workgroup_size: 64
    .name:           _ZN7rocprim17ROCPRIM_400000_NS6detail17trampoline_kernelINS0_14default_configENS1_20scan_config_selectorIN3c107complexIdEEEEZZNS1_9scan_implILNS1_25lookback_scan_determinismE0ELb0ELb0ES3_PKS7_PS7_S7_ZZZN2at6native31launch_logcumsumexp_cuda_kernelERKNSE_10TensorBaseESI_lENKUlvE_clEvENKUlvE1_clEvEUlS7_S7_E_S7_EEDaPvRmT3_T4_T5_mT6_P12ihipStream_tbENKUlT_T0_E_clISt17integral_constantIbLb1EESZ_EEDaSU_SV_EUlSU_E0_NS1_11comp_targetILNS1_3genE4ELNS1_11target_archE910ELNS1_3gpuE8ELNS1_3repE0EEENS1_30default_config_static_selectorELNS0_4arch9wavefront6targetE1EEEvT1_
    .private_segment_fixed_size: 0
    .sgpr_count:     6
    .sgpr_spill_count: 0
    .symbol:         _ZN7rocprim17ROCPRIM_400000_NS6detail17trampoline_kernelINS0_14default_configENS1_20scan_config_selectorIN3c107complexIdEEEEZZNS1_9scan_implILNS1_25lookback_scan_determinismE0ELb0ELb0ES3_PKS7_PS7_S7_ZZZN2at6native31launch_logcumsumexp_cuda_kernelERKNSE_10TensorBaseESI_lENKUlvE_clEvENKUlvE1_clEvEUlS7_S7_E_S7_EEDaPvRmT3_T4_T5_mT6_P12ihipStream_tbENKUlT_T0_E_clISt17integral_constantIbLb1EESZ_EEDaSU_SV_EUlSU_E0_NS1_11comp_targetILNS1_3genE4ELNS1_11target_archE910ELNS1_3gpuE8ELNS1_3repE0EEENS1_30default_config_static_selectorELNS0_4arch9wavefront6targetE1EEEvT1_.kd
    .uniform_work_group_size: 1
    .uses_dynamic_stack: false
    .vgpr_count:     0
    .vgpr_spill_count: 0
    .wavefront_size: 64
  - .agpr_count:     0
    .args:
      - .offset:         0
        .size:           48
        .value_kind:     by_value
    .group_segment_fixed_size: 0
    .kernarg_segment_align: 16
    .kernarg_segment_size: 48
    .language:       OpenCL C
    .language_version:
      - 2
      - 0
    .max_flat_workgroup_size: 128
    .name:           _ZN7rocprim17ROCPRIM_400000_NS6detail17trampoline_kernelINS0_14default_configENS1_20scan_config_selectorIN3c107complexIdEEEEZZNS1_9scan_implILNS1_25lookback_scan_determinismE0ELb0ELb0ES3_PKS7_PS7_S7_ZZZN2at6native31launch_logcumsumexp_cuda_kernelERKNSE_10TensorBaseESI_lENKUlvE_clEvENKUlvE1_clEvEUlS7_S7_E_S7_EEDaPvRmT3_T4_T5_mT6_P12ihipStream_tbENKUlT_T0_E_clISt17integral_constantIbLb1EESZ_EEDaSU_SV_EUlSU_E0_NS1_11comp_targetILNS1_3genE3ELNS1_11target_archE908ELNS1_3gpuE7ELNS1_3repE0EEENS1_30default_config_static_selectorELNS0_4arch9wavefront6targetE1EEEvT1_
    .private_segment_fixed_size: 0
    .sgpr_count:     6
    .sgpr_spill_count: 0
    .symbol:         _ZN7rocprim17ROCPRIM_400000_NS6detail17trampoline_kernelINS0_14default_configENS1_20scan_config_selectorIN3c107complexIdEEEEZZNS1_9scan_implILNS1_25lookback_scan_determinismE0ELb0ELb0ES3_PKS7_PS7_S7_ZZZN2at6native31launch_logcumsumexp_cuda_kernelERKNSE_10TensorBaseESI_lENKUlvE_clEvENKUlvE1_clEvEUlS7_S7_E_S7_EEDaPvRmT3_T4_T5_mT6_P12ihipStream_tbENKUlT_T0_E_clISt17integral_constantIbLb1EESZ_EEDaSU_SV_EUlSU_E0_NS1_11comp_targetILNS1_3genE3ELNS1_11target_archE908ELNS1_3gpuE7ELNS1_3repE0EEENS1_30default_config_static_selectorELNS0_4arch9wavefront6targetE1EEEvT1_.kd
    .uniform_work_group_size: 1
    .uses_dynamic_stack: false
    .vgpr_count:     0
    .vgpr_spill_count: 0
    .wavefront_size: 64
  - .agpr_count:     0
    .args:
      - .offset:         0
        .size:           48
        .value_kind:     by_value
    .group_segment_fixed_size: 0
    .kernarg_segment_align: 16
    .kernarg_segment_size: 48
    .language:       OpenCL C
    .language_version:
      - 2
      - 0
    .max_flat_workgroup_size: 64
    .name:           _ZN7rocprim17ROCPRIM_400000_NS6detail17trampoline_kernelINS0_14default_configENS1_20scan_config_selectorIN3c107complexIdEEEEZZNS1_9scan_implILNS1_25lookback_scan_determinismE0ELb0ELb0ES3_PKS7_PS7_S7_ZZZN2at6native31launch_logcumsumexp_cuda_kernelERKNSE_10TensorBaseESI_lENKUlvE_clEvENKUlvE1_clEvEUlS7_S7_E_S7_EEDaPvRmT3_T4_T5_mT6_P12ihipStream_tbENKUlT_T0_E_clISt17integral_constantIbLb1EESZ_EEDaSU_SV_EUlSU_E0_NS1_11comp_targetILNS1_3genE2ELNS1_11target_archE906ELNS1_3gpuE6ELNS1_3repE0EEENS1_30default_config_static_selectorELNS0_4arch9wavefront6targetE1EEEvT1_
    .private_segment_fixed_size: 0
    .sgpr_count:     6
    .sgpr_spill_count: 0
    .symbol:         _ZN7rocprim17ROCPRIM_400000_NS6detail17trampoline_kernelINS0_14default_configENS1_20scan_config_selectorIN3c107complexIdEEEEZZNS1_9scan_implILNS1_25lookback_scan_determinismE0ELb0ELb0ES3_PKS7_PS7_S7_ZZZN2at6native31launch_logcumsumexp_cuda_kernelERKNSE_10TensorBaseESI_lENKUlvE_clEvENKUlvE1_clEvEUlS7_S7_E_S7_EEDaPvRmT3_T4_T5_mT6_P12ihipStream_tbENKUlT_T0_E_clISt17integral_constantIbLb1EESZ_EEDaSU_SV_EUlSU_E0_NS1_11comp_targetILNS1_3genE2ELNS1_11target_archE906ELNS1_3gpuE6ELNS1_3repE0EEENS1_30default_config_static_selectorELNS0_4arch9wavefront6targetE1EEEvT1_.kd
    .uniform_work_group_size: 1
    .uses_dynamic_stack: false
    .vgpr_count:     0
    .vgpr_spill_count: 0
    .wavefront_size: 64
  - .agpr_count:     0
    .args:
      - .offset:         0
        .size:           48
        .value_kind:     by_value
    .group_segment_fixed_size: 0
    .kernarg_segment_align: 16
    .kernarg_segment_size: 48
    .language:       OpenCL C
    .language_version:
      - 2
      - 0
    .max_flat_workgroup_size: 256
    .name:           _ZN7rocprim17ROCPRIM_400000_NS6detail17trampoline_kernelINS0_14default_configENS1_20scan_config_selectorIN3c107complexIdEEEEZZNS1_9scan_implILNS1_25lookback_scan_determinismE0ELb0ELb0ES3_PKS7_PS7_S7_ZZZN2at6native31launch_logcumsumexp_cuda_kernelERKNSE_10TensorBaseESI_lENKUlvE_clEvENKUlvE1_clEvEUlS7_S7_E_S7_EEDaPvRmT3_T4_T5_mT6_P12ihipStream_tbENKUlT_T0_E_clISt17integral_constantIbLb1EESZ_EEDaSU_SV_EUlSU_E0_NS1_11comp_targetILNS1_3genE10ELNS1_11target_archE1201ELNS1_3gpuE5ELNS1_3repE0EEENS1_30default_config_static_selectorELNS0_4arch9wavefront6targetE1EEEvT1_
    .private_segment_fixed_size: 0
    .sgpr_count:     6
    .sgpr_spill_count: 0
    .symbol:         _ZN7rocprim17ROCPRIM_400000_NS6detail17trampoline_kernelINS0_14default_configENS1_20scan_config_selectorIN3c107complexIdEEEEZZNS1_9scan_implILNS1_25lookback_scan_determinismE0ELb0ELb0ES3_PKS7_PS7_S7_ZZZN2at6native31launch_logcumsumexp_cuda_kernelERKNSE_10TensorBaseESI_lENKUlvE_clEvENKUlvE1_clEvEUlS7_S7_E_S7_EEDaPvRmT3_T4_T5_mT6_P12ihipStream_tbENKUlT_T0_E_clISt17integral_constantIbLb1EESZ_EEDaSU_SV_EUlSU_E0_NS1_11comp_targetILNS1_3genE10ELNS1_11target_archE1201ELNS1_3gpuE5ELNS1_3repE0EEENS1_30default_config_static_selectorELNS0_4arch9wavefront6targetE1EEEvT1_.kd
    .uniform_work_group_size: 1
    .uses_dynamic_stack: false
    .vgpr_count:     0
    .vgpr_spill_count: 0
    .wavefront_size: 64
  - .agpr_count:     0
    .args:
      - .offset:         0
        .size:           48
        .value_kind:     by_value
    .group_segment_fixed_size: 0
    .kernarg_segment_align: 16
    .kernarg_segment_size: 48
    .language:       OpenCL C
    .language_version:
      - 2
      - 0
    .max_flat_workgroup_size: 256
    .name:           _ZN7rocprim17ROCPRIM_400000_NS6detail17trampoline_kernelINS0_14default_configENS1_20scan_config_selectorIN3c107complexIdEEEEZZNS1_9scan_implILNS1_25lookback_scan_determinismE0ELb0ELb0ES3_PKS7_PS7_S7_ZZZN2at6native31launch_logcumsumexp_cuda_kernelERKNSE_10TensorBaseESI_lENKUlvE_clEvENKUlvE1_clEvEUlS7_S7_E_S7_EEDaPvRmT3_T4_T5_mT6_P12ihipStream_tbENKUlT_T0_E_clISt17integral_constantIbLb1EESZ_EEDaSU_SV_EUlSU_E0_NS1_11comp_targetILNS1_3genE10ELNS1_11target_archE1200ELNS1_3gpuE4ELNS1_3repE0EEENS1_30default_config_static_selectorELNS0_4arch9wavefront6targetE1EEEvT1_
    .private_segment_fixed_size: 0
    .sgpr_count:     6
    .sgpr_spill_count: 0
    .symbol:         _ZN7rocprim17ROCPRIM_400000_NS6detail17trampoline_kernelINS0_14default_configENS1_20scan_config_selectorIN3c107complexIdEEEEZZNS1_9scan_implILNS1_25lookback_scan_determinismE0ELb0ELb0ES3_PKS7_PS7_S7_ZZZN2at6native31launch_logcumsumexp_cuda_kernelERKNSE_10TensorBaseESI_lENKUlvE_clEvENKUlvE1_clEvEUlS7_S7_E_S7_EEDaPvRmT3_T4_T5_mT6_P12ihipStream_tbENKUlT_T0_E_clISt17integral_constantIbLb1EESZ_EEDaSU_SV_EUlSU_E0_NS1_11comp_targetILNS1_3genE10ELNS1_11target_archE1200ELNS1_3gpuE4ELNS1_3repE0EEENS1_30default_config_static_selectorELNS0_4arch9wavefront6targetE1EEEvT1_.kd
    .uniform_work_group_size: 1
    .uses_dynamic_stack: false
    .vgpr_count:     0
    .vgpr_spill_count: 0
    .wavefront_size: 64
  - .agpr_count:     0
    .args:
      - .offset:         0
        .size:           48
        .value_kind:     by_value
    .group_segment_fixed_size: 0
    .kernarg_segment_align: 16
    .kernarg_segment_size: 48
    .language:       OpenCL C
    .language_version:
      - 2
      - 0
    .max_flat_workgroup_size: 256
    .name:           _ZN7rocprim17ROCPRIM_400000_NS6detail17trampoline_kernelINS0_14default_configENS1_20scan_config_selectorIN3c107complexIdEEEEZZNS1_9scan_implILNS1_25lookback_scan_determinismE0ELb0ELb0ES3_PKS7_PS7_S7_ZZZN2at6native31launch_logcumsumexp_cuda_kernelERKNSE_10TensorBaseESI_lENKUlvE_clEvENKUlvE1_clEvEUlS7_S7_E_S7_EEDaPvRmT3_T4_T5_mT6_P12ihipStream_tbENKUlT_T0_E_clISt17integral_constantIbLb1EESZ_EEDaSU_SV_EUlSU_E0_NS1_11comp_targetILNS1_3genE9ELNS1_11target_archE1100ELNS1_3gpuE3ELNS1_3repE0EEENS1_30default_config_static_selectorELNS0_4arch9wavefront6targetE1EEEvT1_
    .private_segment_fixed_size: 0
    .sgpr_count:     6
    .sgpr_spill_count: 0
    .symbol:         _ZN7rocprim17ROCPRIM_400000_NS6detail17trampoline_kernelINS0_14default_configENS1_20scan_config_selectorIN3c107complexIdEEEEZZNS1_9scan_implILNS1_25lookback_scan_determinismE0ELb0ELb0ES3_PKS7_PS7_S7_ZZZN2at6native31launch_logcumsumexp_cuda_kernelERKNSE_10TensorBaseESI_lENKUlvE_clEvENKUlvE1_clEvEUlS7_S7_E_S7_EEDaPvRmT3_T4_T5_mT6_P12ihipStream_tbENKUlT_T0_E_clISt17integral_constantIbLb1EESZ_EEDaSU_SV_EUlSU_E0_NS1_11comp_targetILNS1_3genE9ELNS1_11target_archE1100ELNS1_3gpuE3ELNS1_3repE0EEENS1_30default_config_static_selectorELNS0_4arch9wavefront6targetE1EEEvT1_.kd
    .uniform_work_group_size: 1
    .uses_dynamic_stack: false
    .vgpr_count:     0
    .vgpr_spill_count: 0
    .wavefront_size: 64
  - .agpr_count:     0
    .args:
      - .offset:         0
        .size:           48
        .value_kind:     by_value
    .group_segment_fixed_size: 0
    .kernarg_segment_align: 16
    .kernarg_segment_size: 48
    .language:       OpenCL C
    .language_version:
      - 2
      - 0
    .max_flat_workgroup_size: 256
    .name:           _ZN7rocprim17ROCPRIM_400000_NS6detail17trampoline_kernelINS0_14default_configENS1_20scan_config_selectorIN3c107complexIdEEEEZZNS1_9scan_implILNS1_25lookback_scan_determinismE0ELb0ELb0ES3_PKS7_PS7_S7_ZZZN2at6native31launch_logcumsumexp_cuda_kernelERKNSE_10TensorBaseESI_lENKUlvE_clEvENKUlvE1_clEvEUlS7_S7_E_S7_EEDaPvRmT3_T4_T5_mT6_P12ihipStream_tbENKUlT_T0_E_clISt17integral_constantIbLb1EESZ_EEDaSU_SV_EUlSU_E0_NS1_11comp_targetILNS1_3genE8ELNS1_11target_archE1030ELNS1_3gpuE2ELNS1_3repE0EEENS1_30default_config_static_selectorELNS0_4arch9wavefront6targetE1EEEvT1_
    .private_segment_fixed_size: 0
    .sgpr_count:     6
    .sgpr_spill_count: 0
    .symbol:         _ZN7rocprim17ROCPRIM_400000_NS6detail17trampoline_kernelINS0_14default_configENS1_20scan_config_selectorIN3c107complexIdEEEEZZNS1_9scan_implILNS1_25lookback_scan_determinismE0ELb0ELb0ES3_PKS7_PS7_S7_ZZZN2at6native31launch_logcumsumexp_cuda_kernelERKNSE_10TensorBaseESI_lENKUlvE_clEvENKUlvE1_clEvEUlS7_S7_E_S7_EEDaPvRmT3_T4_T5_mT6_P12ihipStream_tbENKUlT_T0_E_clISt17integral_constantIbLb1EESZ_EEDaSU_SV_EUlSU_E0_NS1_11comp_targetILNS1_3genE8ELNS1_11target_archE1030ELNS1_3gpuE2ELNS1_3repE0EEENS1_30default_config_static_selectorELNS0_4arch9wavefront6targetE1EEEvT1_.kd
    .uniform_work_group_size: 1
    .uses_dynamic_stack: false
    .vgpr_count:     0
    .vgpr_spill_count: 0
    .wavefront_size: 64
  - .agpr_count:     0
    .args:
      - .offset:         0
        .size:           24
        .value_kind:     by_value
      - .offset:         24
        .size:           4
        .value_kind:     by_value
      - .offset:         28
        .size:           1
        .value_kind:     by_value
      - .offset:         32
        .size:           4
        .value_kind:     by_value
      - .address_space:  global
        .offset:         40
        .size:           8
        .value_kind:     global_buffer
      - .offset:         48
        .size:           4
        .value_kind:     hidden_block_count_x
      - .offset:         52
        .size:           4
        .value_kind:     hidden_block_count_y
      - .offset:         56
        .size:           4
        .value_kind:     hidden_block_count_z
      - .offset:         60
        .size:           2
        .value_kind:     hidden_group_size_x
      - .offset:         62
        .size:           2
        .value_kind:     hidden_group_size_y
      - .offset:         64
        .size:           2
        .value_kind:     hidden_group_size_z
      - .offset:         66
        .size:           2
        .value_kind:     hidden_remainder_x
      - .offset:         68
        .size:           2
        .value_kind:     hidden_remainder_y
      - .offset:         70
        .size:           2
        .value_kind:     hidden_remainder_z
      - .offset:         88
        .size:           8
        .value_kind:     hidden_global_offset_x
      - .offset:         96
        .size:           8
        .value_kind:     hidden_global_offset_y
      - .offset:         104
        .size:           8
        .value_kind:     hidden_global_offset_z
      - .offset:         112
        .size:           2
        .value_kind:     hidden_grid_dims
    .group_segment_fixed_size: 0
    .kernarg_segment_align: 8
    .kernarg_segment_size: 304
    .language:       OpenCL C
    .language_version:
      - 2
      - 0
    .max_flat_workgroup_size: 256
    .name:           _ZN7rocprim17ROCPRIM_400000_NS6detail31init_lookback_scan_state_kernelINS1_19lookback_scan_stateIN3c107complexIdEELb1ELb0EEENS1_16block_id_wrapperIjLb0EEEEEvT_jT0_jPNSA_10value_typeE
    .private_segment_fixed_size: 0
    .sgpr_count:     24
    .sgpr_spill_count: 0
    .symbol:         _ZN7rocprim17ROCPRIM_400000_NS6detail31init_lookback_scan_state_kernelINS1_19lookback_scan_stateIN3c107complexIdEELb1ELb0EEENS1_16block_id_wrapperIjLb0EEEEEvT_jT0_jPNSA_10value_typeE.kd
    .uniform_work_group_size: 1
    .uses_dynamic_stack: false
    .vgpr_count:     6
    .vgpr_spill_count: 0
    .wavefront_size: 64
  - .agpr_count:     0
    .args:
      - .offset:         0
        .size:           128
        .value_kind:     by_value
    .group_segment_fixed_size: 0
    .kernarg_segment_align: 16
    .kernarg_segment_size: 128
    .language:       OpenCL C
    .language_version:
      - 2
      - 0
    .max_flat_workgroup_size: 128
    .name:           _ZN7rocprim17ROCPRIM_400000_NS6detail17trampoline_kernelINS0_14default_configENS1_20scan_config_selectorIN3c107complexIdEEEEZZNS1_9scan_implILNS1_25lookback_scan_determinismE0ELb0ELb0ES3_PKS7_PS7_S7_ZZZN2at6native31launch_logcumsumexp_cuda_kernelERKNSE_10TensorBaseESI_lENKUlvE_clEvENKUlvE1_clEvEUlS7_S7_E_S7_EEDaPvRmT3_T4_T5_mT6_P12ihipStream_tbENKUlT_T0_E_clISt17integral_constantIbLb1EESY_IbLb0EEEEDaSU_SV_EUlSU_E_NS1_11comp_targetILNS1_3genE0ELNS1_11target_archE4294967295ELNS1_3gpuE0ELNS1_3repE0EEENS1_30default_config_static_selectorELNS0_4arch9wavefront6targetE1EEEvT1_
    .private_segment_fixed_size: 0
    .sgpr_count:     6
    .sgpr_spill_count: 0
    .symbol:         _ZN7rocprim17ROCPRIM_400000_NS6detail17trampoline_kernelINS0_14default_configENS1_20scan_config_selectorIN3c107complexIdEEEEZZNS1_9scan_implILNS1_25lookback_scan_determinismE0ELb0ELb0ES3_PKS7_PS7_S7_ZZZN2at6native31launch_logcumsumexp_cuda_kernelERKNSE_10TensorBaseESI_lENKUlvE_clEvENKUlvE1_clEvEUlS7_S7_E_S7_EEDaPvRmT3_T4_T5_mT6_P12ihipStream_tbENKUlT_T0_E_clISt17integral_constantIbLb1EESY_IbLb0EEEEDaSU_SV_EUlSU_E_NS1_11comp_targetILNS1_3genE0ELNS1_11target_archE4294967295ELNS1_3gpuE0ELNS1_3repE0EEENS1_30default_config_static_selectorELNS0_4arch9wavefront6targetE1EEEvT1_.kd
    .uniform_work_group_size: 1
    .uses_dynamic_stack: false
    .vgpr_count:     0
    .vgpr_spill_count: 0
    .wavefront_size: 64
  - .agpr_count:     0
    .args:
      - .offset:         0
        .size:           128
        .value_kind:     by_value
    .group_segment_fixed_size: 0
    .kernarg_segment_align: 16
    .kernarg_segment_size: 128
    .language:       OpenCL C
    .language_version:
      - 2
      - 0
    .max_flat_workgroup_size: 256
    .name:           _ZN7rocprim17ROCPRIM_400000_NS6detail17trampoline_kernelINS0_14default_configENS1_20scan_config_selectorIN3c107complexIdEEEEZZNS1_9scan_implILNS1_25lookback_scan_determinismE0ELb0ELb0ES3_PKS7_PS7_S7_ZZZN2at6native31launch_logcumsumexp_cuda_kernelERKNSE_10TensorBaseESI_lENKUlvE_clEvENKUlvE1_clEvEUlS7_S7_E_S7_EEDaPvRmT3_T4_T5_mT6_P12ihipStream_tbENKUlT_T0_E_clISt17integral_constantIbLb1EESY_IbLb0EEEEDaSU_SV_EUlSU_E_NS1_11comp_targetILNS1_3genE5ELNS1_11target_archE942ELNS1_3gpuE9ELNS1_3repE0EEENS1_30default_config_static_selectorELNS0_4arch9wavefront6targetE1EEEvT1_
    .private_segment_fixed_size: 0
    .sgpr_count:     6
    .sgpr_spill_count: 0
    .symbol:         _ZN7rocprim17ROCPRIM_400000_NS6detail17trampoline_kernelINS0_14default_configENS1_20scan_config_selectorIN3c107complexIdEEEEZZNS1_9scan_implILNS1_25lookback_scan_determinismE0ELb0ELb0ES3_PKS7_PS7_S7_ZZZN2at6native31launch_logcumsumexp_cuda_kernelERKNSE_10TensorBaseESI_lENKUlvE_clEvENKUlvE1_clEvEUlS7_S7_E_S7_EEDaPvRmT3_T4_T5_mT6_P12ihipStream_tbENKUlT_T0_E_clISt17integral_constantIbLb1EESY_IbLb0EEEEDaSU_SV_EUlSU_E_NS1_11comp_targetILNS1_3genE5ELNS1_11target_archE942ELNS1_3gpuE9ELNS1_3repE0EEENS1_30default_config_static_selectorELNS0_4arch9wavefront6targetE1EEEvT1_.kd
    .uniform_work_group_size: 1
    .uses_dynamic_stack: false
    .vgpr_count:     0
    .vgpr_spill_count: 0
    .wavefront_size: 64
  - .agpr_count:     0
    .args:
      - .offset:         0
        .size:           128
        .value_kind:     by_value
    .group_segment_fixed_size: 0
    .kernarg_segment_align: 16
    .kernarg_segment_size: 128
    .language:       OpenCL C
    .language_version:
      - 2
      - 0
    .max_flat_workgroup_size: 64
    .name:           _ZN7rocprim17ROCPRIM_400000_NS6detail17trampoline_kernelINS0_14default_configENS1_20scan_config_selectorIN3c107complexIdEEEEZZNS1_9scan_implILNS1_25lookback_scan_determinismE0ELb0ELb0ES3_PKS7_PS7_S7_ZZZN2at6native31launch_logcumsumexp_cuda_kernelERKNSE_10TensorBaseESI_lENKUlvE_clEvENKUlvE1_clEvEUlS7_S7_E_S7_EEDaPvRmT3_T4_T5_mT6_P12ihipStream_tbENKUlT_T0_E_clISt17integral_constantIbLb1EESY_IbLb0EEEEDaSU_SV_EUlSU_E_NS1_11comp_targetILNS1_3genE4ELNS1_11target_archE910ELNS1_3gpuE8ELNS1_3repE0EEENS1_30default_config_static_selectorELNS0_4arch9wavefront6targetE1EEEvT1_
    .private_segment_fixed_size: 0
    .sgpr_count:     6
    .sgpr_spill_count: 0
    .symbol:         _ZN7rocprim17ROCPRIM_400000_NS6detail17trampoline_kernelINS0_14default_configENS1_20scan_config_selectorIN3c107complexIdEEEEZZNS1_9scan_implILNS1_25lookback_scan_determinismE0ELb0ELb0ES3_PKS7_PS7_S7_ZZZN2at6native31launch_logcumsumexp_cuda_kernelERKNSE_10TensorBaseESI_lENKUlvE_clEvENKUlvE1_clEvEUlS7_S7_E_S7_EEDaPvRmT3_T4_T5_mT6_P12ihipStream_tbENKUlT_T0_E_clISt17integral_constantIbLb1EESY_IbLb0EEEEDaSU_SV_EUlSU_E_NS1_11comp_targetILNS1_3genE4ELNS1_11target_archE910ELNS1_3gpuE8ELNS1_3repE0EEENS1_30default_config_static_selectorELNS0_4arch9wavefront6targetE1EEEvT1_.kd
    .uniform_work_group_size: 1
    .uses_dynamic_stack: false
    .vgpr_count:     0
    .vgpr_spill_count: 0
    .wavefront_size: 64
  - .agpr_count:     0
    .args:
      - .offset:         0
        .size:           128
        .value_kind:     by_value
    .group_segment_fixed_size: 0
    .kernarg_segment_align: 16
    .kernarg_segment_size: 128
    .language:       OpenCL C
    .language_version:
      - 2
      - 0
    .max_flat_workgroup_size: 128
    .name:           _ZN7rocprim17ROCPRIM_400000_NS6detail17trampoline_kernelINS0_14default_configENS1_20scan_config_selectorIN3c107complexIdEEEEZZNS1_9scan_implILNS1_25lookback_scan_determinismE0ELb0ELb0ES3_PKS7_PS7_S7_ZZZN2at6native31launch_logcumsumexp_cuda_kernelERKNSE_10TensorBaseESI_lENKUlvE_clEvENKUlvE1_clEvEUlS7_S7_E_S7_EEDaPvRmT3_T4_T5_mT6_P12ihipStream_tbENKUlT_T0_E_clISt17integral_constantIbLb1EESY_IbLb0EEEEDaSU_SV_EUlSU_E_NS1_11comp_targetILNS1_3genE3ELNS1_11target_archE908ELNS1_3gpuE7ELNS1_3repE0EEENS1_30default_config_static_selectorELNS0_4arch9wavefront6targetE1EEEvT1_
    .private_segment_fixed_size: 0
    .sgpr_count:     6
    .sgpr_spill_count: 0
    .symbol:         _ZN7rocprim17ROCPRIM_400000_NS6detail17trampoline_kernelINS0_14default_configENS1_20scan_config_selectorIN3c107complexIdEEEEZZNS1_9scan_implILNS1_25lookback_scan_determinismE0ELb0ELb0ES3_PKS7_PS7_S7_ZZZN2at6native31launch_logcumsumexp_cuda_kernelERKNSE_10TensorBaseESI_lENKUlvE_clEvENKUlvE1_clEvEUlS7_S7_E_S7_EEDaPvRmT3_T4_T5_mT6_P12ihipStream_tbENKUlT_T0_E_clISt17integral_constantIbLb1EESY_IbLb0EEEEDaSU_SV_EUlSU_E_NS1_11comp_targetILNS1_3genE3ELNS1_11target_archE908ELNS1_3gpuE7ELNS1_3repE0EEENS1_30default_config_static_selectorELNS0_4arch9wavefront6targetE1EEEvT1_.kd
    .uniform_work_group_size: 1
    .uses_dynamic_stack: false
    .vgpr_count:     0
    .vgpr_spill_count: 0
    .wavefront_size: 64
  - .agpr_count:     0
    .args:
      - .offset:         0
        .size:           128
        .value_kind:     by_value
    .group_segment_fixed_size: 0
    .kernarg_segment_align: 16
    .kernarg_segment_size: 128
    .language:       OpenCL C
    .language_version:
      - 2
      - 0
    .max_flat_workgroup_size: 64
    .name:           _ZN7rocprim17ROCPRIM_400000_NS6detail17trampoline_kernelINS0_14default_configENS1_20scan_config_selectorIN3c107complexIdEEEEZZNS1_9scan_implILNS1_25lookback_scan_determinismE0ELb0ELb0ES3_PKS7_PS7_S7_ZZZN2at6native31launch_logcumsumexp_cuda_kernelERKNSE_10TensorBaseESI_lENKUlvE_clEvENKUlvE1_clEvEUlS7_S7_E_S7_EEDaPvRmT3_T4_T5_mT6_P12ihipStream_tbENKUlT_T0_E_clISt17integral_constantIbLb1EESY_IbLb0EEEEDaSU_SV_EUlSU_E_NS1_11comp_targetILNS1_3genE2ELNS1_11target_archE906ELNS1_3gpuE6ELNS1_3repE0EEENS1_30default_config_static_selectorELNS0_4arch9wavefront6targetE1EEEvT1_
    .private_segment_fixed_size: 0
    .sgpr_count:     6
    .sgpr_spill_count: 0
    .symbol:         _ZN7rocprim17ROCPRIM_400000_NS6detail17trampoline_kernelINS0_14default_configENS1_20scan_config_selectorIN3c107complexIdEEEEZZNS1_9scan_implILNS1_25lookback_scan_determinismE0ELb0ELb0ES3_PKS7_PS7_S7_ZZZN2at6native31launch_logcumsumexp_cuda_kernelERKNSE_10TensorBaseESI_lENKUlvE_clEvENKUlvE1_clEvEUlS7_S7_E_S7_EEDaPvRmT3_T4_T5_mT6_P12ihipStream_tbENKUlT_T0_E_clISt17integral_constantIbLb1EESY_IbLb0EEEEDaSU_SV_EUlSU_E_NS1_11comp_targetILNS1_3genE2ELNS1_11target_archE906ELNS1_3gpuE6ELNS1_3repE0EEENS1_30default_config_static_selectorELNS0_4arch9wavefront6targetE1EEEvT1_.kd
    .uniform_work_group_size: 1
    .uses_dynamic_stack: false
    .vgpr_count:     0
    .vgpr_spill_count: 0
    .wavefront_size: 64
  - .agpr_count:     0
    .args:
      - .offset:         0
        .size:           128
        .value_kind:     by_value
    .group_segment_fixed_size: 0
    .kernarg_segment_align: 16
    .kernarg_segment_size: 128
    .language:       OpenCL C
    .language_version:
      - 2
      - 0
    .max_flat_workgroup_size: 256
    .name:           _ZN7rocprim17ROCPRIM_400000_NS6detail17trampoline_kernelINS0_14default_configENS1_20scan_config_selectorIN3c107complexIdEEEEZZNS1_9scan_implILNS1_25lookback_scan_determinismE0ELb0ELb0ES3_PKS7_PS7_S7_ZZZN2at6native31launch_logcumsumexp_cuda_kernelERKNSE_10TensorBaseESI_lENKUlvE_clEvENKUlvE1_clEvEUlS7_S7_E_S7_EEDaPvRmT3_T4_T5_mT6_P12ihipStream_tbENKUlT_T0_E_clISt17integral_constantIbLb1EESY_IbLb0EEEEDaSU_SV_EUlSU_E_NS1_11comp_targetILNS1_3genE10ELNS1_11target_archE1201ELNS1_3gpuE5ELNS1_3repE0EEENS1_30default_config_static_selectorELNS0_4arch9wavefront6targetE1EEEvT1_
    .private_segment_fixed_size: 0
    .sgpr_count:     6
    .sgpr_spill_count: 0
    .symbol:         _ZN7rocprim17ROCPRIM_400000_NS6detail17trampoline_kernelINS0_14default_configENS1_20scan_config_selectorIN3c107complexIdEEEEZZNS1_9scan_implILNS1_25lookback_scan_determinismE0ELb0ELb0ES3_PKS7_PS7_S7_ZZZN2at6native31launch_logcumsumexp_cuda_kernelERKNSE_10TensorBaseESI_lENKUlvE_clEvENKUlvE1_clEvEUlS7_S7_E_S7_EEDaPvRmT3_T4_T5_mT6_P12ihipStream_tbENKUlT_T0_E_clISt17integral_constantIbLb1EESY_IbLb0EEEEDaSU_SV_EUlSU_E_NS1_11comp_targetILNS1_3genE10ELNS1_11target_archE1201ELNS1_3gpuE5ELNS1_3repE0EEENS1_30default_config_static_selectorELNS0_4arch9wavefront6targetE1EEEvT1_.kd
    .uniform_work_group_size: 1
    .uses_dynamic_stack: false
    .vgpr_count:     0
    .vgpr_spill_count: 0
    .wavefront_size: 64
  - .agpr_count:     0
    .args:
      - .offset:         0
        .size:           128
        .value_kind:     by_value
    .group_segment_fixed_size: 0
    .kernarg_segment_align: 16
    .kernarg_segment_size: 128
    .language:       OpenCL C
    .language_version:
      - 2
      - 0
    .max_flat_workgroup_size: 256
    .name:           _ZN7rocprim17ROCPRIM_400000_NS6detail17trampoline_kernelINS0_14default_configENS1_20scan_config_selectorIN3c107complexIdEEEEZZNS1_9scan_implILNS1_25lookback_scan_determinismE0ELb0ELb0ES3_PKS7_PS7_S7_ZZZN2at6native31launch_logcumsumexp_cuda_kernelERKNSE_10TensorBaseESI_lENKUlvE_clEvENKUlvE1_clEvEUlS7_S7_E_S7_EEDaPvRmT3_T4_T5_mT6_P12ihipStream_tbENKUlT_T0_E_clISt17integral_constantIbLb1EESY_IbLb0EEEEDaSU_SV_EUlSU_E_NS1_11comp_targetILNS1_3genE10ELNS1_11target_archE1200ELNS1_3gpuE4ELNS1_3repE0EEENS1_30default_config_static_selectorELNS0_4arch9wavefront6targetE1EEEvT1_
    .private_segment_fixed_size: 0
    .sgpr_count:     6
    .sgpr_spill_count: 0
    .symbol:         _ZN7rocprim17ROCPRIM_400000_NS6detail17trampoline_kernelINS0_14default_configENS1_20scan_config_selectorIN3c107complexIdEEEEZZNS1_9scan_implILNS1_25lookback_scan_determinismE0ELb0ELb0ES3_PKS7_PS7_S7_ZZZN2at6native31launch_logcumsumexp_cuda_kernelERKNSE_10TensorBaseESI_lENKUlvE_clEvENKUlvE1_clEvEUlS7_S7_E_S7_EEDaPvRmT3_T4_T5_mT6_P12ihipStream_tbENKUlT_T0_E_clISt17integral_constantIbLb1EESY_IbLb0EEEEDaSU_SV_EUlSU_E_NS1_11comp_targetILNS1_3genE10ELNS1_11target_archE1200ELNS1_3gpuE4ELNS1_3repE0EEENS1_30default_config_static_selectorELNS0_4arch9wavefront6targetE1EEEvT1_.kd
    .uniform_work_group_size: 1
    .uses_dynamic_stack: false
    .vgpr_count:     0
    .vgpr_spill_count: 0
    .wavefront_size: 64
  - .agpr_count:     0
    .args:
      - .offset:         0
        .size:           128
        .value_kind:     by_value
    .group_segment_fixed_size: 0
    .kernarg_segment_align: 16
    .kernarg_segment_size: 128
    .language:       OpenCL C
    .language_version:
      - 2
      - 0
    .max_flat_workgroup_size: 256
    .name:           _ZN7rocprim17ROCPRIM_400000_NS6detail17trampoline_kernelINS0_14default_configENS1_20scan_config_selectorIN3c107complexIdEEEEZZNS1_9scan_implILNS1_25lookback_scan_determinismE0ELb0ELb0ES3_PKS7_PS7_S7_ZZZN2at6native31launch_logcumsumexp_cuda_kernelERKNSE_10TensorBaseESI_lENKUlvE_clEvENKUlvE1_clEvEUlS7_S7_E_S7_EEDaPvRmT3_T4_T5_mT6_P12ihipStream_tbENKUlT_T0_E_clISt17integral_constantIbLb1EESY_IbLb0EEEEDaSU_SV_EUlSU_E_NS1_11comp_targetILNS1_3genE9ELNS1_11target_archE1100ELNS1_3gpuE3ELNS1_3repE0EEENS1_30default_config_static_selectorELNS0_4arch9wavefront6targetE1EEEvT1_
    .private_segment_fixed_size: 0
    .sgpr_count:     6
    .sgpr_spill_count: 0
    .symbol:         _ZN7rocprim17ROCPRIM_400000_NS6detail17trampoline_kernelINS0_14default_configENS1_20scan_config_selectorIN3c107complexIdEEEEZZNS1_9scan_implILNS1_25lookback_scan_determinismE0ELb0ELb0ES3_PKS7_PS7_S7_ZZZN2at6native31launch_logcumsumexp_cuda_kernelERKNSE_10TensorBaseESI_lENKUlvE_clEvENKUlvE1_clEvEUlS7_S7_E_S7_EEDaPvRmT3_T4_T5_mT6_P12ihipStream_tbENKUlT_T0_E_clISt17integral_constantIbLb1EESY_IbLb0EEEEDaSU_SV_EUlSU_E_NS1_11comp_targetILNS1_3genE9ELNS1_11target_archE1100ELNS1_3gpuE3ELNS1_3repE0EEENS1_30default_config_static_selectorELNS0_4arch9wavefront6targetE1EEEvT1_.kd
    .uniform_work_group_size: 1
    .uses_dynamic_stack: false
    .vgpr_count:     0
    .vgpr_spill_count: 0
    .wavefront_size: 64
  - .agpr_count:     0
    .args:
      - .offset:         0
        .size:           128
        .value_kind:     by_value
    .group_segment_fixed_size: 0
    .kernarg_segment_align: 16
    .kernarg_segment_size: 128
    .language:       OpenCL C
    .language_version:
      - 2
      - 0
    .max_flat_workgroup_size: 256
    .name:           _ZN7rocprim17ROCPRIM_400000_NS6detail17trampoline_kernelINS0_14default_configENS1_20scan_config_selectorIN3c107complexIdEEEEZZNS1_9scan_implILNS1_25lookback_scan_determinismE0ELb0ELb0ES3_PKS7_PS7_S7_ZZZN2at6native31launch_logcumsumexp_cuda_kernelERKNSE_10TensorBaseESI_lENKUlvE_clEvENKUlvE1_clEvEUlS7_S7_E_S7_EEDaPvRmT3_T4_T5_mT6_P12ihipStream_tbENKUlT_T0_E_clISt17integral_constantIbLb1EESY_IbLb0EEEEDaSU_SV_EUlSU_E_NS1_11comp_targetILNS1_3genE8ELNS1_11target_archE1030ELNS1_3gpuE2ELNS1_3repE0EEENS1_30default_config_static_selectorELNS0_4arch9wavefront6targetE1EEEvT1_
    .private_segment_fixed_size: 0
    .sgpr_count:     6
    .sgpr_spill_count: 0
    .symbol:         _ZN7rocprim17ROCPRIM_400000_NS6detail17trampoline_kernelINS0_14default_configENS1_20scan_config_selectorIN3c107complexIdEEEEZZNS1_9scan_implILNS1_25lookback_scan_determinismE0ELb0ELb0ES3_PKS7_PS7_S7_ZZZN2at6native31launch_logcumsumexp_cuda_kernelERKNSE_10TensorBaseESI_lENKUlvE_clEvENKUlvE1_clEvEUlS7_S7_E_S7_EEDaPvRmT3_T4_T5_mT6_P12ihipStream_tbENKUlT_T0_E_clISt17integral_constantIbLb1EESY_IbLb0EEEEDaSU_SV_EUlSU_E_NS1_11comp_targetILNS1_3genE8ELNS1_11target_archE1030ELNS1_3gpuE2ELNS1_3repE0EEENS1_30default_config_static_selectorELNS0_4arch9wavefront6targetE1EEEvT1_.kd
    .uniform_work_group_size: 1
    .uses_dynamic_stack: false
    .vgpr_count:     0
    .vgpr_spill_count: 0
    .wavefront_size: 64
  - .agpr_count:     0
    .args:
      - .offset:         0
        .size:           48
        .value_kind:     by_value
    .group_segment_fixed_size: 20480
    .kernarg_segment_align: 16
    .kernarg_segment_size: 48
    .language:       OpenCL C
    .language_version:
      - 2
      - 0
    .max_flat_workgroup_size: 128
    .name:           _ZN7rocprim17ROCPRIM_400000_NS6detail17trampoline_kernelINS0_14default_configENS1_20scan_config_selectorIN3c107complexIdEEEEZZNS1_9scan_implILNS1_25lookback_scan_determinismE0ELb0ELb0ES3_PKS7_PS7_S7_ZZZN2at6native31launch_logcumsumexp_cuda_kernelERKNSE_10TensorBaseESI_lENKUlvE_clEvENKUlvE1_clEvEUlS7_S7_E_S7_EEDaPvRmT3_T4_T5_mT6_P12ihipStream_tbENKUlT_T0_E_clISt17integral_constantIbLb1EESY_IbLb0EEEEDaSU_SV_EUlSU_E0_NS1_11comp_targetILNS1_3genE0ELNS1_11target_archE4294967295ELNS1_3gpuE0ELNS1_3repE0EEENS1_30default_config_static_selectorELNS0_4arch9wavefront6targetE1EEEvT1_
    .private_segment_fixed_size: 0
    .sgpr_count:     68
    .sgpr_spill_count: 0
    .symbol:         _ZN7rocprim17ROCPRIM_400000_NS6detail17trampoline_kernelINS0_14default_configENS1_20scan_config_selectorIN3c107complexIdEEEEZZNS1_9scan_implILNS1_25lookback_scan_determinismE0ELb0ELb0ES3_PKS7_PS7_S7_ZZZN2at6native31launch_logcumsumexp_cuda_kernelERKNSE_10TensorBaseESI_lENKUlvE_clEvENKUlvE1_clEvEUlS7_S7_E_S7_EEDaPvRmT3_T4_T5_mT6_P12ihipStream_tbENKUlT_T0_E_clISt17integral_constantIbLb1EESY_IbLb0EEEEDaSU_SV_EUlSU_E0_NS1_11comp_targetILNS1_3genE0ELNS1_11target_archE4294967295ELNS1_3gpuE0ELNS1_3repE0EEENS1_30default_config_static_selectorELNS0_4arch9wavefront6targetE1EEEvT1_.kd
    .uniform_work_group_size: 1
    .uses_dynamic_stack: false
    .vgpr_count:     133
    .vgpr_spill_count: 0
    .wavefront_size: 64
  - .agpr_count:     0
    .args:
      - .offset:         0
        .size:           48
        .value_kind:     by_value
    .group_segment_fixed_size: 0
    .kernarg_segment_align: 16
    .kernarg_segment_size: 48
    .language:       OpenCL C
    .language_version:
      - 2
      - 0
    .max_flat_workgroup_size: 256
    .name:           _ZN7rocprim17ROCPRIM_400000_NS6detail17trampoline_kernelINS0_14default_configENS1_20scan_config_selectorIN3c107complexIdEEEEZZNS1_9scan_implILNS1_25lookback_scan_determinismE0ELb0ELb0ES3_PKS7_PS7_S7_ZZZN2at6native31launch_logcumsumexp_cuda_kernelERKNSE_10TensorBaseESI_lENKUlvE_clEvENKUlvE1_clEvEUlS7_S7_E_S7_EEDaPvRmT3_T4_T5_mT6_P12ihipStream_tbENKUlT_T0_E_clISt17integral_constantIbLb1EESY_IbLb0EEEEDaSU_SV_EUlSU_E0_NS1_11comp_targetILNS1_3genE5ELNS1_11target_archE942ELNS1_3gpuE9ELNS1_3repE0EEENS1_30default_config_static_selectorELNS0_4arch9wavefront6targetE1EEEvT1_
    .private_segment_fixed_size: 0
    .sgpr_count:     6
    .sgpr_spill_count: 0
    .symbol:         _ZN7rocprim17ROCPRIM_400000_NS6detail17trampoline_kernelINS0_14default_configENS1_20scan_config_selectorIN3c107complexIdEEEEZZNS1_9scan_implILNS1_25lookback_scan_determinismE0ELb0ELb0ES3_PKS7_PS7_S7_ZZZN2at6native31launch_logcumsumexp_cuda_kernelERKNSE_10TensorBaseESI_lENKUlvE_clEvENKUlvE1_clEvEUlS7_S7_E_S7_EEDaPvRmT3_T4_T5_mT6_P12ihipStream_tbENKUlT_T0_E_clISt17integral_constantIbLb1EESY_IbLb0EEEEDaSU_SV_EUlSU_E0_NS1_11comp_targetILNS1_3genE5ELNS1_11target_archE942ELNS1_3gpuE9ELNS1_3repE0EEENS1_30default_config_static_selectorELNS0_4arch9wavefront6targetE1EEEvT1_.kd
    .uniform_work_group_size: 1
    .uses_dynamic_stack: false
    .vgpr_count:     0
    .vgpr_spill_count: 0
    .wavefront_size: 64
  - .agpr_count:     0
    .args:
      - .offset:         0
        .size:           48
        .value_kind:     by_value
    .group_segment_fixed_size: 0
    .kernarg_segment_align: 16
    .kernarg_segment_size: 48
    .language:       OpenCL C
    .language_version:
      - 2
      - 0
    .max_flat_workgroup_size: 64
    .name:           _ZN7rocprim17ROCPRIM_400000_NS6detail17trampoline_kernelINS0_14default_configENS1_20scan_config_selectorIN3c107complexIdEEEEZZNS1_9scan_implILNS1_25lookback_scan_determinismE0ELb0ELb0ES3_PKS7_PS7_S7_ZZZN2at6native31launch_logcumsumexp_cuda_kernelERKNSE_10TensorBaseESI_lENKUlvE_clEvENKUlvE1_clEvEUlS7_S7_E_S7_EEDaPvRmT3_T4_T5_mT6_P12ihipStream_tbENKUlT_T0_E_clISt17integral_constantIbLb1EESY_IbLb0EEEEDaSU_SV_EUlSU_E0_NS1_11comp_targetILNS1_3genE4ELNS1_11target_archE910ELNS1_3gpuE8ELNS1_3repE0EEENS1_30default_config_static_selectorELNS0_4arch9wavefront6targetE1EEEvT1_
    .private_segment_fixed_size: 0
    .sgpr_count:     6
    .sgpr_spill_count: 0
    .symbol:         _ZN7rocprim17ROCPRIM_400000_NS6detail17trampoline_kernelINS0_14default_configENS1_20scan_config_selectorIN3c107complexIdEEEEZZNS1_9scan_implILNS1_25lookback_scan_determinismE0ELb0ELb0ES3_PKS7_PS7_S7_ZZZN2at6native31launch_logcumsumexp_cuda_kernelERKNSE_10TensorBaseESI_lENKUlvE_clEvENKUlvE1_clEvEUlS7_S7_E_S7_EEDaPvRmT3_T4_T5_mT6_P12ihipStream_tbENKUlT_T0_E_clISt17integral_constantIbLb1EESY_IbLb0EEEEDaSU_SV_EUlSU_E0_NS1_11comp_targetILNS1_3genE4ELNS1_11target_archE910ELNS1_3gpuE8ELNS1_3repE0EEENS1_30default_config_static_selectorELNS0_4arch9wavefront6targetE1EEEvT1_.kd
    .uniform_work_group_size: 1
    .uses_dynamic_stack: false
    .vgpr_count:     0
    .vgpr_spill_count: 0
    .wavefront_size: 64
  - .agpr_count:     0
    .args:
      - .offset:         0
        .size:           48
        .value_kind:     by_value
    .group_segment_fixed_size: 0
    .kernarg_segment_align: 16
    .kernarg_segment_size: 48
    .language:       OpenCL C
    .language_version:
      - 2
      - 0
    .max_flat_workgroup_size: 128
    .name:           _ZN7rocprim17ROCPRIM_400000_NS6detail17trampoline_kernelINS0_14default_configENS1_20scan_config_selectorIN3c107complexIdEEEEZZNS1_9scan_implILNS1_25lookback_scan_determinismE0ELb0ELb0ES3_PKS7_PS7_S7_ZZZN2at6native31launch_logcumsumexp_cuda_kernelERKNSE_10TensorBaseESI_lENKUlvE_clEvENKUlvE1_clEvEUlS7_S7_E_S7_EEDaPvRmT3_T4_T5_mT6_P12ihipStream_tbENKUlT_T0_E_clISt17integral_constantIbLb1EESY_IbLb0EEEEDaSU_SV_EUlSU_E0_NS1_11comp_targetILNS1_3genE3ELNS1_11target_archE908ELNS1_3gpuE7ELNS1_3repE0EEENS1_30default_config_static_selectorELNS0_4arch9wavefront6targetE1EEEvT1_
    .private_segment_fixed_size: 0
    .sgpr_count:     6
    .sgpr_spill_count: 0
    .symbol:         _ZN7rocprim17ROCPRIM_400000_NS6detail17trampoline_kernelINS0_14default_configENS1_20scan_config_selectorIN3c107complexIdEEEEZZNS1_9scan_implILNS1_25lookback_scan_determinismE0ELb0ELb0ES3_PKS7_PS7_S7_ZZZN2at6native31launch_logcumsumexp_cuda_kernelERKNSE_10TensorBaseESI_lENKUlvE_clEvENKUlvE1_clEvEUlS7_S7_E_S7_EEDaPvRmT3_T4_T5_mT6_P12ihipStream_tbENKUlT_T0_E_clISt17integral_constantIbLb1EESY_IbLb0EEEEDaSU_SV_EUlSU_E0_NS1_11comp_targetILNS1_3genE3ELNS1_11target_archE908ELNS1_3gpuE7ELNS1_3repE0EEENS1_30default_config_static_selectorELNS0_4arch9wavefront6targetE1EEEvT1_.kd
    .uniform_work_group_size: 1
    .uses_dynamic_stack: false
    .vgpr_count:     0
    .vgpr_spill_count: 0
    .wavefront_size: 64
  - .agpr_count:     0
    .args:
      - .offset:         0
        .size:           48
        .value_kind:     by_value
    .group_segment_fixed_size: 0
    .kernarg_segment_align: 16
    .kernarg_segment_size: 48
    .language:       OpenCL C
    .language_version:
      - 2
      - 0
    .max_flat_workgroup_size: 64
    .name:           _ZN7rocprim17ROCPRIM_400000_NS6detail17trampoline_kernelINS0_14default_configENS1_20scan_config_selectorIN3c107complexIdEEEEZZNS1_9scan_implILNS1_25lookback_scan_determinismE0ELb0ELb0ES3_PKS7_PS7_S7_ZZZN2at6native31launch_logcumsumexp_cuda_kernelERKNSE_10TensorBaseESI_lENKUlvE_clEvENKUlvE1_clEvEUlS7_S7_E_S7_EEDaPvRmT3_T4_T5_mT6_P12ihipStream_tbENKUlT_T0_E_clISt17integral_constantIbLb1EESY_IbLb0EEEEDaSU_SV_EUlSU_E0_NS1_11comp_targetILNS1_3genE2ELNS1_11target_archE906ELNS1_3gpuE6ELNS1_3repE0EEENS1_30default_config_static_selectorELNS0_4arch9wavefront6targetE1EEEvT1_
    .private_segment_fixed_size: 0
    .sgpr_count:     6
    .sgpr_spill_count: 0
    .symbol:         _ZN7rocprim17ROCPRIM_400000_NS6detail17trampoline_kernelINS0_14default_configENS1_20scan_config_selectorIN3c107complexIdEEEEZZNS1_9scan_implILNS1_25lookback_scan_determinismE0ELb0ELb0ES3_PKS7_PS7_S7_ZZZN2at6native31launch_logcumsumexp_cuda_kernelERKNSE_10TensorBaseESI_lENKUlvE_clEvENKUlvE1_clEvEUlS7_S7_E_S7_EEDaPvRmT3_T4_T5_mT6_P12ihipStream_tbENKUlT_T0_E_clISt17integral_constantIbLb1EESY_IbLb0EEEEDaSU_SV_EUlSU_E0_NS1_11comp_targetILNS1_3genE2ELNS1_11target_archE906ELNS1_3gpuE6ELNS1_3repE0EEENS1_30default_config_static_selectorELNS0_4arch9wavefront6targetE1EEEvT1_.kd
    .uniform_work_group_size: 1
    .uses_dynamic_stack: false
    .vgpr_count:     0
    .vgpr_spill_count: 0
    .wavefront_size: 64
  - .agpr_count:     0
    .args:
      - .offset:         0
        .size:           48
        .value_kind:     by_value
    .group_segment_fixed_size: 0
    .kernarg_segment_align: 16
    .kernarg_segment_size: 48
    .language:       OpenCL C
    .language_version:
      - 2
      - 0
    .max_flat_workgroup_size: 256
    .name:           _ZN7rocprim17ROCPRIM_400000_NS6detail17trampoline_kernelINS0_14default_configENS1_20scan_config_selectorIN3c107complexIdEEEEZZNS1_9scan_implILNS1_25lookback_scan_determinismE0ELb0ELb0ES3_PKS7_PS7_S7_ZZZN2at6native31launch_logcumsumexp_cuda_kernelERKNSE_10TensorBaseESI_lENKUlvE_clEvENKUlvE1_clEvEUlS7_S7_E_S7_EEDaPvRmT3_T4_T5_mT6_P12ihipStream_tbENKUlT_T0_E_clISt17integral_constantIbLb1EESY_IbLb0EEEEDaSU_SV_EUlSU_E0_NS1_11comp_targetILNS1_3genE10ELNS1_11target_archE1201ELNS1_3gpuE5ELNS1_3repE0EEENS1_30default_config_static_selectorELNS0_4arch9wavefront6targetE1EEEvT1_
    .private_segment_fixed_size: 0
    .sgpr_count:     6
    .sgpr_spill_count: 0
    .symbol:         _ZN7rocprim17ROCPRIM_400000_NS6detail17trampoline_kernelINS0_14default_configENS1_20scan_config_selectorIN3c107complexIdEEEEZZNS1_9scan_implILNS1_25lookback_scan_determinismE0ELb0ELb0ES3_PKS7_PS7_S7_ZZZN2at6native31launch_logcumsumexp_cuda_kernelERKNSE_10TensorBaseESI_lENKUlvE_clEvENKUlvE1_clEvEUlS7_S7_E_S7_EEDaPvRmT3_T4_T5_mT6_P12ihipStream_tbENKUlT_T0_E_clISt17integral_constantIbLb1EESY_IbLb0EEEEDaSU_SV_EUlSU_E0_NS1_11comp_targetILNS1_3genE10ELNS1_11target_archE1201ELNS1_3gpuE5ELNS1_3repE0EEENS1_30default_config_static_selectorELNS0_4arch9wavefront6targetE1EEEvT1_.kd
    .uniform_work_group_size: 1
    .uses_dynamic_stack: false
    .vgpr_count:     0
    .vgpr_spill_count: 0
    .wavefront_size: 64
  - .agpr_count:     0
    .args:
      - .offset:         0
        .size:           48
        .value_kind:     by_value
    .group_segment_fixed_size: 0
    .kernarg_segment_align: 16
    .kernarg_segment_size: 48
    .language:       OpenCL C
    .language_version:
      - 2
      - 0
    .max_flat_workgroup_size: 256
    .name:           _ZN7rocprim17ROCPRIM_400000_NS6detail17trampoline_kernelINS0_14default_configENS1_20scan_config_selectorIN3c107complexIdEEEEZZNS1_9scan_implILNS1_25lookback_scan_determinismE0ELb0ELb0ES3_PKS7_PS7_S7_ZZZN2at6native31launch_logcumsumexp_cuda_kernelERKNSE_10TensorBaseESI_lENKUlvE_clEvENKUlvE1_clEvEUlS7_S7_E_S7_EEDaPvRmT3_T4_T5_mT6_P12ihipStream_tbENKUlT_T0_E_clISt17integral_constantIbLb1EESY_IbLb0EEEEDaSU_SV_EUlSU_E0_NS1_11comp_targetILNS1_3genE10ELNS1_11target_archE1200ELNS1_3gpuE4ELNS1_3repE0EEENS1_30default_config_static_selectorELNS0_4arch9wavefront6targetE1EEEvT1_
    .private_segment_fixed_size: 0
    .sgpr_count:     6
    .sgpr_spill_count: 0
    .symbol:         _ZN7rocprim17ROCPRIM_400000_NS6detail17trampoline_kernelINS0_14default_configENS1_20scan_config_selectorIN3c107complexIdEEEEZZNS1_9scan_implILNS1_25lookback_scan_determinismE0ELb0ELb0ES3_PKS7_PS7_S7_ZZZN2at6native31launch_logcumsumexp_cuda_kernelERKNSE_10TensorBaseESI_lENKUlvE_clEvENKUlvE1_clEvEUlS7_S7_E_S7_EEDaPvRmT3_T4_T5_mT6_P12ihipStream_tbENKUlT_T0_E_clISt17integral_constantIbLb1EESY_IbLb0EEEEDaSU_SV_EUlSU_E0_NS1_11comp_targetILNS1_3genE10ELNS1_11target_archE1200ELNS1_3gpuE4ELNS1_3repE0EEENS1_30default_config_static_selectorELNS0_4arch9wavefront6targetE1EEEvT1_.kd
    .uniform_work_group_size: 1
    .uses_dynamic_stack: false
    .vgpr_count:     0
    .vgpr_spill_count: 0
    .wavefront_size: 64
  - .agpr_count:     0
    .args:
      - .offset:         0
        .size:           48
        .value_kind:     by_value
    .group_segment_fixed_size: 0
    .kernarg_segment_align: 16
    .kernarg_segment_size: 48
    .language:       OpenCL C
    .language_version:
      - 2
      - 0
    .max_flat_workgroup_size: 256
    .name:           _ZN7rocprim17ROCPRIM_400000_NS6detail17trampoline_kernelINS0_14default_configENS1_20scan_config_selectorIN3c107complexIdEEEEZZNS1_9scan_implILNS1_25lookback_scan_determinismE0ELb0ELb0ES3_PKS7_PS7_S7_ZZZN2at6native31launch_logcumsumexp_cuda_kernelERKNSE_10TensorBaseESI_lENKUlvE_clEvENKUlvE1_clEvEUlS7_S7_E_S7_EEDaPvRmT3_T4_T5_mT6_P12ihipStream_tbENKUlT_T0_E_clISt17integral_constantIbLb1EESY_IbLb0EEEEDaSU_SV_EUlSU_E0_NS1_11comp_targetILNS1_3genE9ELNS1_11target_archE1100ELNS1_3gpuE3ELNS1_3repE0EEENS1_30default_config_static_selectorELNS0_4arch9wavefront6targetE1EEEvT1_
    .private_segment_fixed_size: 0
    .sgpr_count:     6
    .sgpr_spill_count: 0
    .symbol:         _ZN7rocprim17ROCPRIM_400000_NS6detail17trampoline_kernelINS0_14default_configENS1_20scan_config_selectorIN3c107complexIdEEEEZZNS1_9scan_implILNS1_25lookback_scan_determinismE0ELb0ELb0ES3_PKS7_PS7_S7_ZZZN2at6native31launch_logcumsumexp_cuda_kernelERKNSE_10TensorBaseESI_lENKUlvE_clEvENKUlvE1_clEvEUlS7_S7_E_S7_EEDaPvRmT3_T4_T5_mT6_P12ihipStream_tbENKUlT_T0_E_clISt17integral_constantIbLb1EESY_IbLb0EEEEDaSU_SV_EUlSU_E0_NS1_11comp_targetILNS1_3genE9ELNS1_11target_archE1100ELNS1_3gpuE3ELNS1_3repE0EEENS1_30default_config_static_selectorELNS0_4arch9wavefront6targetE1EEEvT1_.kd
    .uniform_work_group_size: 1
    .uses_dynamic_stack: false
    .vgpr_count:     0
    .vgpr_spill_count: 0
    .wavefront_size: 64
  - .agpr_count:     0
    .args:
      - .offset:         0
        .size:           48
        .value_kind:     by_value
    .group_segment_fixed_size: 0
    .kernarg_segment_align: 16
    .kernarg_segment_size: 48
    .language:       OpenCL C
    .language_version:
      - 2
      - 0
    .max_flat_workgroup_size: 256
    .name:           _ZN7rocprim17ROCPRIM_400000_NS6detail17trampoline_kernelINS0_14default_configENS1_20scan_config_selectorIN3c107complexIdEEEEZZNS1_9scan_implILNS1_25lookback_scan_determinismE0ELb0ELb0ES3_PKS7_PS7_S7_ZZZN2at6native31launch_logcumsumexp_cuda_kernelERKNSE_10TensorBaseESI_lENKUlvE_clEvENKUlvE1_clEvEUlS7_S7_E_S7_EEDaPvRmT3_T4_T5_mT6_P12ihipStream_tbENKUlT_T0_E_clISt17integral_constantIbLb1EESY_IbLb0EEEEDaSU_SV_EUlSU_E0_NS1_11comp_targetILNS1_3genE8ELNS1_11target_archE1030ELNS1_3gpuE2ELNS1_3repE0EEENS1_30default_config_static_selectorELNS0_4arch9wavefront6targetE1EEEvT1_
    .private_segment_fixed_size: 0
    .sgpr_count:     6
    .sgpr_spill_count: 0
    .symbol:         _ZN7rocprim17ROCPRIM_400000_NS6detail17trampoline_kernelINS0_14default_configENS1_20scan_config_selectorIN3c107complexIdEEEEZZNS1_9scan_implILNS1_25lookback_scan_determinismE0ELb0ELb0ES3_PKS7_PS7_S7_ZZZN2at6native31launch_logcumsumexp_cuda_kernelERKNSE_10TensorBaseESI_lENKUlvE_clEvENKUlvE1_clEvEUlS7_S7_E_S7_EEDaPvRmT3_T4_T5_mT6_P12ihipStream_tbENKUlT_T0_E_clISt17integral_constantIbLb1EESY_IbLb0EEEEDaSU_SV_EUlSU_E0_NS1_11comp_targetILNS1_3genE8ELNS1_11target_archE1030ELNS1_3gpuE2ELNS1_3repE0EEENS1_30default_config_static_selectorELNS0_4arch9wavefront6targetE1EEEvT1_.kd
    .uniform_work_group_size: 1
    .uses_dynamic_stack: false
    .vgpr_count:     0
    .vgpr_spill_count: 0
    .wavefront_size: 64
  - .agpr_count:     0
    .args:
      - .offset:         0
        .size:           24
        .value_kind:     by_value
      - .offset:         24
        .size:           4
        .value_kind:     by_value
      - .address_space:  global
        .offset:         32
        .size:           8
        .value_kind:     global_buffer
      - .offset:         40
        .size:           4
        .value_kind:     by_value
      - .address_space:  global
        .offset:         48
        .size:           8
        .value_kind:     global_buffer
      - .offset:         56
        .size:           4
        .value_kind:     hidden_block_count_x
      - .offset:         60
        .size:           4
        .value_kind:     hidden_block_count_y
      - .offset:         64
        .size:           4
        .value_kind:     hidden_block_count_z
      - .offset:         68
        .size:           2
        .value_kind:     hidden_group_size_x
      - .offset:         70
        .size:           2
        .value_kind:     hidden_group_size_y
      - .offset:         72
        .size:           2
        .value_kind:     hidden_group_size_z
      - .offset:         74
        .size:           2
        .value_kind:     hidden_remainder_x
      - .offset:         76
        .size:           2
        .value_kind:     hidden_remainder_y
      - .offset:         78
        .size:           2
        .value_kind:     hidden_remainder_z
      - .offset:         96
        .size:           8
        .value_kind:     hidden_global_offset_x
      - .offset:         104
        .size:           8
        .value_kind:     hidden_global_offset_y
      - .offset:         112
        .size:           8
        .value_kind:     hidden_global_offset_z
      - .offset:         120
        .size:           2
        .value_kind:     hidden_grid_dims
    .group_segment_fixed_size: 0
    .kernarg_segment_align: 8
    .kernarg_segment_size: 312
    .language:       OpenCL C
    .language_version:
      - 2
      - 0
    .max_flat_workgroup_size: 256
    .name:           _ZN7rocprim17ROCPRIM_400000_NS6detail31init_lookback_scan_state_kernelINS1_19lookback_scan_stateIN3c107complexIdEELb0ELb0EEENS1_16block_id_wrapperIjLb1EEEEEvT_jT0_jPNSA_10value_typeE
    .private_segment_fixed_size: 0
    .sgpr_count:     26
    .sgpr_spill_count: 0
    .symbol:         _ZN7rocprim17ROCPRIM_400000_NS6detail31init_lookback_scan_state_kernelINS1_19lookback_scan_stateIN3c107complexIdEELb0ELb0EEENS1_16block_id_wrapperIjLb1EEEEEvT_jT0_jPNSA_10value_typeE.kd
    .uniform_work_group_size: 1
    .uses_dynamic_stack: false
    .vgpr_count:     6
    .vgpr_spill_count: 0
    .wavefront_size: 64
  - .agpr_count:     0
    .args:
      - .offset:         0
        .size:           128
        .value_kind:     by_value
    .group_segment_fixed_size: 20480
    .kernarg_segment_align: 16
    .kernarg_segment_size: 128
    .language:       OpenCL C
    .language_version:
      - 2
      - 0
    .max_flat_workgroup_size: 128
    .name:           _ZN7rocprim17ROCPRIM_400000_NS6detail17trampoline_kernelINS0_14default_configENS1_20scan_config_selectorIN3c107complexIdEEEEZZNS1_9scan_implILNS1_25lookback_scan_determinismE0ELb0ELb0ES3_PKS7_PS7_S7_ZZZN2at6native31launch_logcumsumexp_cuda_kernelERKNSE_10TensorBaseESI_lENKUlvE_clEvENKUlvE1_clEvEUlS7_S7_E_S7_EEDaPvRmT3_T4_T5_mT6_P12ihipStream_tbENKUlT_T0_E_clISt17integral_constantIbLb0EESY_IbLb1EEEEDaSU_SV_EUlSU_E_NS1_11comp_targetILNS1_3genE0ELNS1_11target_archE4294967295ELNS1_3gpuE0ELNS1_3repE0EEENS1_30default_config_static_selectorELNS0_4arch9wavefront6targetE1EEEvT1_
    .private_segment_fixed_size: 0
    .sgpr_count:     76
    .sgpr_spill_count: 0
    .symbol:         _ZN7rocprim17ROCPRIM_400000_NS6detail17trampoline_kernelINS0_14default_configENS1_20scan_config_selectorIN3c107complexIdEEEEZZNS1_9scan_implILNS1_25lookback_scan_determinismE0ELb0ELb0ES3_PKS7_PS7_S7_ZZZN2at6native31launch_logcumsumexp_cuda_kernelERKNSE_10TensorBaseESI_lENKUlvE_clEvENKUlvE1_clEvEUlS7_S7_E_S7_EEDaPvRmT3_T4_T5_mT6_P12ihipStream_tbENKUlT_T0_E_clISt17integral_constantIbLb0EESY_IbLb1EEEEDaSU_SV_EUlSU_E_NS1_11comp_targetILNS1_3genE0ELNS1_11target_archE4294967295ELNS1_3gpuE0ELNS1_3repE0EEENS1_30default_config_static_selectorELNS0_4arch9wavefront6targetE1EEEvT1_.kd
    .uniform_work_group_size: 1
    .uses_dynamic_stack: false
    .vgpr_count:     133
    .vgpr_spill_count: 0
    .wavefront_size: 64
  - .agpr_count:     0
    .args:
      - .offset:         0
        .size:           128
        .value_kind:     by_value
    .group_segment_fixed_size: 0
    .kernarg_segment_align: 16
    .kernarg_segment_size: 128
    .language:       OpenCL C
    .language_version:
      - 2
      - 0
    .max_flat_workgroup_size: 256
    .name:           _ZN7rocprim17ROCPRIM_400000_NS6detail17trampoline_kernelINS0_14default_configENS1_20scan_config_selectorIN3c107complexIdEEEEZZNS1_9scan_implILNS1_25lookback_scan_determinismE0ELb0ELb0ES3_PKS7_PS7_S7_ZZZN2at6native31launch_logcumsumexp_cuda_kernelERKNSE_10TensorBaseESI_lENKUlvE_clEvENKUlvE1_clEvEUlS7_S7_E_S7_EEDaPvRmT3_T4_T5_mT6_P12ihipStream_tbENKUlT_T0_E_clISt17integral_constantIbLb0EESY_IbLb1EEEEDaSU_SV_EUlSU_E_NS1_11comp_targetILNS1_3genE5ELNS1_11target_archE942ELNS1_3gpuE9ELNS1_3repE0EEENS1_30default_config_static_selectorELNS0_4arch9wavefront6targetE1EEEvT1_
    .private_segment_fixed_size: 0
    .sgpr_count:     6
    .sgpr_spill_count: 0
    .symbol:         _ZN7rocprim17ROCPRIM_400000_NS6detail17trampoline_kernelINS0_14default_configENS1_20scan_config_selectorIN3c107complexIdEEEEZZNS1_9scan_implILNS1_25lookback_scan_determinismE0ELb0ELb0ES3_PKS7_PS7_S7_ZZZN2at6native31launch_logcumsumexp_cuda_kernelERKNSE_10TensorBaseESI_lENKUlvE_clEvENKUlvE1_clEvEUlS7_S7_E_S7_EEDaPvRmT3_T4_T5_mT6_P12ihipStream_tbENKUlT_T0_E_clISt17integral_constantIbLb0EESY_IbLb1EEEEDaSU_SV_EUlSU_E_NS1_11comp_targetILNS1_3genE5ELNS1_11target_archE942ELNS1_3gpuE9ELNS1_3repE0EEENS1_30default_config_static_selectorELNS0_4arch9wavefront6targetE1EEEvT1_.kd
    .uniform_work_group_size: 1
    .uses_dynamic_stack: false
    .vgpr_count:     0
    .vgpr_spill_count: 0
    .wavefront_size: 64
  - .agpr_count:     0
    .args:
      - .offset:         0
        .size:           128
        .value_kind:     by_value
    .group_segment_fixed_size: 0
    .kernarg_segment_align: 16
    .kernarg_segment_size: 128
    .language:       OpenCL C
    .language_version:
      - 2
      - 0
    .max_flat_workgroup_size: 64
    .name:           _ZN7rocprim17ROCPRIM_400000_NS6detail17trampoline_kernelINS0_14default_configENS1_20scan_config_selectorIN3c107complexIdEEEEZZNS1_9scan_implILNS1_25lookback_scan_determinismE0ELb0ELb0ES3_PKS7_PS7_S7_ZZZN2at6native31launch_logcumsumexp_cuda_kernelERKNSE_10TensorBaseESI_lENKUlvE_clEvENKUlvE1_clEvEUlS7_S7_E_S7_EEDaPvRmT3_T4_T5_mT6_P12ihipStream_tbENKUlT_T0_E_clISt17integral_constantIbLb0EESY_IbLb1EEEEDaSU_SV_EUlSU_E_NS1_11comp_targetILNS1_3genE4ELNS1_11target_archE910ELNS1_3gpuE8ELNS1_3repE0EEENS1_30default_config_static_selectorELNS0_4arch9wavefront6targetE1EEEvT1_
    .private_segment_fixed_size: 0
    .sgpr_count:     6
    .sgpr_spill_count: 0
    .symbol:         _ZN7rocprim17ROCPRIM_400000_NS6detail17trampoline_kernelINS0_14default_configENS1_20scan_config_selectorIN3c107complexIdEEEEZZNS1_9scan_implILNS1_25lookback_scan_determinismE0ELb0ELb0ES3_PKS7_PS7_S7_ZZZN2at6native31launch_logcumsumexp_cuda_kernelERKNSE_10TensorBaseESI_lENKUlvE_clEvENKUlvE1_clEvEUlS7_S7_E_S7_EEDaPvRmT3_T4_T5_mT6_P12ihipStream_tbENKUlT_T0_E_clISt17integral_constantIbLb0EESY_IbLb1EEEEDaSU_SV_EUlSU_E_NS1_11comp_targetILNS1_3genE4ELNS1_11target_archE910ELNS1_3gpuE8ELNS1_3repE0EEENS1_30default_config_static_selectorELNS0_4arch9wavefront6targetE1EEEvT1_.kd
    .uniform_work_group_size: 1
    .uses_dynamic_stack: false
    .vgpr_count:     0
    .vgpr_spill_count: 0
    .wavefront_size: 64
  - .agpr_count:     0
    .args:
      - .offset:         0
        .size:           128
        .value_kind:     by_value
    .group_segment_fixed_size: 0
    .kernarg_segment_align: 16
    .kernarg_segment_size: 128
    .language:       OpenCL C
    .language_version:
      - 2
      - 0
    .max_flat_workgroup_size: 128
    .name:           _ZN7rocprim17ROCPRIM_400000_NS6detail17trampoline_kernelINS0_14default_configENS1_20scan_config_selectorIN3c107complexIdEEEEZZNS1_9scan_implILNS1_25lookback_scan_determinismE0ELb0ELb0ES3_PKS7_PS7_S7_ZZZN2at6native31launch_logcumsumexp_cuda_kernelERKNSE_10TensorBaseESI_lENKUlvE_clEvENKUlvE1_clEvEUlS7_S7_E_S7_EEDaPvRmT3_T4_T5_mT6_P12ihipStream_tbENKUlT_T0_E_clISt17integral_constantIbLb0EESY_IbLb1EEEEDaSU_SV_EUlSU_E_NS1_11comp_targetILNS1_3genE3ELNS1_11target_archE908ELNS1_3gpuE7ELNS1_3repE0EEENS1_30default_config_static_selectorELNS0_4arch9wavefront6targetE1EEEvT1_
    .private_segment_fixed_size: 0
    .sgpr_count:     6
    .sgpr_spill_count: 0
    .symbol:         _ZN7rocprim17ROCPRIM_400000_NS6detail17trampoline_kernelINS0_14default_configENS1_20scan_config_selectorIN3c107complexIdEEEEZZNS1_9scan_implILNS1_25lookback_scan_determinismE0ELb0ELb0ES3_PKS7_PS7_S7_ZZZN2at6native31launch_logcumsumexp_cuda_kernelERKNSE_10TensorBaseESI_lENKUlvE_clEvENKUlvE1_clEvEUlS7_S7_E_S7_EEDaPvRmT3_T4_T5_mT6_P12ihipStream_tbENKUlT_T0_E_clISt17integral_constantIbLb0EESY_IbLb1EEEEDaSU_SV_EUlSU_E_NS1_11comp_targetILNS1_3genE3ELNS1_11target_archE908ELNS1_3gpuE7ELNS1_3repE0EEENS1_30default_config_static_selectorELNS0_4arch9wavefront6targetE1EEEvT1_.kd
    .uniform_work_group_size: 1
    .uses_dynamic_stack: false
    .vgpr_count:     0
    .vgpr_spill_count: 0
    .wavefront_size: 64
  - .agpr_count:     0
    .args:
      - .offset:         0
        .size:           128
        .value_kind:     by_value
    .group_segment_fixed_size: 0
    .kernarg_segment_align: 16
    .kernarg_segment_size: 128
    .language:       OpenCL C
    .language_version:
      - 2
      - 0
    .max_flat_workgroup_size: 64
    .name:           _ZN7rocprim17ROCPRIM_400000_NS6detail17trampoline_kernelINS0_14default_configENS1_20scan_config_selectorIN3c107complexIdEEEEZZNS1_9scan_implILNS1_25lookback_scan_determinismE0ELb0ELb0ES3_PKS7_PS7_S7_ZZZN2at6native31launch_logcumsumexp_cuda_kernelERKNSE_10TensorBaseESI_lENKUlvE_clEvENKUlvE1_clEvEUlS7_S7_E_S7_EEDaPvRmT3_T4_T5_mT6_P12ihipStream_tbENKUlT_T0_E_clISt17integral_constantIbLb0EESY_IbLb1EEEEDaSU_SV_EUlSU_E_NS1_11comp_targetILNS1_3genE2ELNS1_11target_archE906ELNS1_3gpuE6ELNS1_3repE0EEENS1_30default_config_static_selectorELNS0_4arch9wavefront6targetE1EEEvT1_
    .private_segment_fixed_size: 0
    .sgpr_count:     6
    .sgpr_spill_count: 0
    .symbol:         _ZN7rocprim17ROCPRIM_400000_NS6detail17trampoline_kernelINS0_14default_configENS1_20scan_config_selectorIN3c107complexIdEEEEZZNS1_9scan_implILNS1_25lookback_scan_determinismE0ELb0ELb0ES3_PKS7_PS7_S7_ZZZN2at6native31launch_logcumsumexp_cuda_kernelERKNSE_10TensorBaseESI_lENKUlvE_clEvENKUlvE1_clEvEUlS7_S7_E_S7_EEDaPvRmT3_T4_T5_mT6_P12ihipStream_tbENKUlT_T0_E_clISt17integral_constantIbLb0EESY_IbLb1EEEEDaSU_SV_EUlSU_E_NS1_11comp_targetILNS1_3genE2ELNS1_11target_archE906ELNS1_3gpuE6ELNS1_3repE0EEENS1_30default_config_static_selectorELNS0_4arch9wavefront6targetE1EEEvT1_.kd
    .uniform_work_group_size: 1
    .uses_dynamic_stack: false
    .vgpr_count:     0
    .vgpr_spill_count: 0
    .wavefront_size: 64
  - .agpr_count:     0
    .args:
      - .offset:         0
        .size:           128
        .value_kind:     by_value
    .group_segment_fixed_size: 0
    .kernarg_segment_align: 16
    .kernarg_segment_size: 128
    .language:       OpenCL C
    .language_version:
      - 2
      - 0
    .max_flat_workgroup_size: 256
    .name:           _ZN7rocprim17ROCPRIM_400000_NS6detail17trampoline_kernelINS0_14default_configENS1_20scan_config_selectorIN3c107complexIdEEEEZZNS1_9scan_implILNS1_25lookback_scan_determinismE0ELb0ELb0ES3_PKS7_PS7_S7_ZZZN2at6native31launch_logcumsumexp_cuda_kernelERKNSE_10TensorBaseESI_lENKUlvE_clEvENKUlvE1_clEvEUlS7_S7_E_S7_EEDaPvRmT3_T4_T5_mT6_P12ihipStream_tbENKUlT_T0_E_clISt17integral_constantIbLb0EESY_IbLb1EEEEDaSU_SV_EUlSU_E_NS1_11comp_targetILNS1_3genE10ELNS1_11target_archE1201ELNS1_3gpuE5ELNS1_3repE0EEENS1_30default_config_static_selectorELNS0_4arch9wavefront6targetE1EEEvT1_
    .private_segment_fixed_size: 0
    .sgpr_count:     6
    .sgpr_spill_count: 0
    .symbol:         _ZN7rocprim17ROCPRIM_400000_NS6detail17trampoline_kernelINS0_14default_configENS1_20scan_config_selectorIN3c107complexIdEEEEZZNS1_9scan_implILNS1_25lookback_scan_determinismE0ELb0ELb0ES3_PKS7_PS7_S7_ZZZN2at6native31launch_logcumsumexp_cuda_kernelERKNSE_10TensorBaseESI_lENKUlvE_clEvENKUlvE1_clEvEUlS7_S7_E_S7_EEDaPvRmT3_T4_T5_mT6_P12ihipStream_tbENKUlT_T0_E_clISt17integral_constantIbLb0EESY_IbLb1EEEEDaSU_SV_EUlSU_E_NS1_11comp_targetILNS1_3genE10ELNS1_11target_archE1201ELNS1_3gpuE5ELNS1_3repE0EEENS1_30default_config_static_selectorELNS0_4arch9wavefront6targetE1EEEvT1_.kd
    .uniform_work_group_size: 1
    .uses_dynamic_stack: false
    .vgpr_count:     0
    .vgpr_spill_count: 0
    .wavefront_size: 64
  - .agpr_count:     0
    .args:
      - .offset:         0
        .size:           128
        .value_kind:     by_value
    .group_segment_fixed_size: 0
    .kernarg_segment_align: 16
    .kernarg_segment_size: 128
    .language:       OpenCL C
    .language_version:
      - 2
      - 0
    .max_flat_workgroup_size: 256
    .name:           _ZN7rocprim17ROCPRIM_400000_NS6detail17trampoline_kernelINS0_14default_configENS1_20scan_config_selectorIN3c107complexIdEEEEZZNS1_9scan_implILNS1_25lookback_scan_determinismE0ELb0ELb0ES3_PKS7_PS7_S7_ZZZN2at6native31launch_logcumsumexp_cuda_kernelERKNSE_10TensorBaseESI_lENKUlvE_clEvENKUlvE1_clEvEUlS7_S7_E_S7_EEDaPvRmT3_T4_T5_mT6_P12ihipStream_tbENKUlT_T0_E_clISt17integral_constantIbLb0EESY_IbLb1EEEEDaSU_SV_EUlSU_E_NS1_11comp_targetILNS1_3genE10ELNS1_11target_archE1200ELNS1_3gpuE4ELNS1_3repE0EEENS1_30default_config_static_selectorELNS0_4arch9wavefront6targetE1EEEvT1_
    .private_segment_fixed_size: 0
    .sgpr_count:     6
    .sgpr_spill_count: 0
    .symbol:         _ZN7rocprim17ROCPRIM_400000_NS6detail17trampoline_kernelINS0_14default_configENS1_20scan_config_selectorIN3c107complexIdEEEEZZNS1_9scan_implILNS1_25lookback_scan_determinismE0ELb0ELb0ES3_PKS7_PS7_S7_ZZZN2at6native31launch_logcumsumexp_cuda_kernelERKNSE_10TensorBaseESI_lENKUlvE_clEvENKUlvE1_clEvEUlS7_S7_E_S7_EEDaPvRmT3_T4_T5_mT6_P12ihipStream_tbENKUlT_T0_E_clISt17integral_constantIbLb0EESY_IbLb1EEEEDaSU_SV_EUlSU_E_NS1_11comp_targetILNS1_3genE10ELNS1_11target_archE1200ELNS1_3gpuE4ELNS1_3repE0EEENS1_30default_config_static_selectorELNS0_4arch9wavefront6targetE1EEEvT1_.kd
    .uniform_work_group_size: 1
    .uses_dynamic_stack: false
    .vgpr_count:     0
    .vgpr_spill_count: 0
    .wavefront_size: 64
  - .agpr_count:     0
    .args:
      - .offset:         0
        .size:           128
        .value_kind:     by_value
    .group_segment_fixed_size: 0
    .kernarg_segment_align: 16
    .kernarg_segment_size: 128
    .language:       OpenCL C
    .language_version:
      - 2
      - 0
    .max_flat_workgroup_size: 256
    .name:           _ZN7rocprim17ROCPRIM_400000_NS6detail17trampoline_kernelINS0_14default_configENS1_20scan_config_selectorIN3c107complexIdEEEEZZNS1_9scan_implILNS1_25lookback_scan_determinismE0ELb0ELb0ES3_PKS7_PS7_S7_ZZZN2at6native31launch_logcumsumexp_cuda_kernelERKNSE_10TensorBaseESI_lENKUlvE_clEvENKUlvE1_clEvEUlS7_S7_E_S7_EEDaPvRmT3_T4_T5_mT6_P12ihipStream_tbENKUlT_T0_E_clISt17integral_constantIbLb0EESY_IbLb1EEEEDaSU_SV_EUlSU_E_NS1_11comp_targetILNS1_3genE9ELNS1_11target_archE1100ELNS1_3gpuE3ELNS1_3repE0EEENS1_30default_config_static_selectorELNS0_4arch9wavefront6targetE1EEEvT1_
    .private_segment_fixed_size: 0
    .sgpr_count:     6
    .sgpr_spill_count: 0
    .symbol:         _ZN7rocprim17ROCPRIM_400000_NS6detail17trampoline_kernelINS0_14default_configENS1_20scan_config_selectorIN3c107complexIdEEEEZZNS1_9scan_implILNS1_25lookback_scan_determinismE0ELb0ELb0ES3_PKS7_PS7_S7_ZZZN2at6native31launch_logcumsumexp_cuda_kernelERKNSE_10TensorBaseESI_lENKUlvE_clEvENKUlvE1_clEvEUlS7_S7_E_S7_EEDaPvRmT3_T4_T5_mT6_P12ihipStream_tbENKUlT_T0_E_clISt17integral_constantIbLb0EESY_IbLb1EEEEDaSU_SV_EUlSU_E_NS1_11comp_targetILNS1_3genE9ELNS1_11target_archE1100ELNS1_3gpuE3ELNS1_3repE0EEENS1_30default_config_static_selectorELNS0_4arch9wavefront6targetE1EEEvT1_.kd
    .uniform_work_group_size: 1
    .uses_dynamic_stack: false
    .vgpr_count:     0
    .vgpr_spill_count: 0
    .wavefront_size: 64
  - .agpr_count:     0
    .args:
      - .offset:         0
        .size:           128
        .value_kind:     by_value
    .group_segment_fixed_size: 0
    .kernarg_segment_align: 16
    .kernarg_segment_size: 128
    .language:       OpenCL C
    .language_version:
      - 2
      - 0
    .max_flat_workgroup_size: 256
    .name:           _ZN7rocprim17ROCPRIM_400000_NS6detail17trampoline_kernelINS0_14default_configENS1_20scan_config_selectorIN3c107complexIdEEEEZZNS1_9scan_implILNS1_25lookback_scan_determinismE0ELb0ELb0ES3_PKS7_PS7_S7_ZZZN2at6native31launch_logcumsumexp_cuda_kernelERKNSE_10TensorBaseESI_lENKUlvE_clEvENKUlvE1_clEvEUlS7_S7_E_S7_EEDaPvRmT3_T4_T5_mT6_P12ihipStream_tbENKUlT_T0_E_clISt17integral_constantIbLb0EESY_IbLb1EEEEDaSU_SV_EUlSU_E_NS1_11comp_targetILNS1_3genE8ELNS1_11target_archE1030ELNS1_3gpuE2ELNS1_3repE0EEENS1_30default_config_static_selectorELNS0_4arch9wavefront6targetE1EEEvT1_
    .private_segment_fixed_size: 0
    .sgpr_count:     6
    .sgpr_spill_count: 0
    .symbol:         _ZN7rocprim17ROCPRIM_400000_NS6detail17trampoline_kernelINS0_14default_configENS1_20scan_config_selectorIN3c107complexIdEEEEZZNS1_9scan_implILNS1_25lookback_scan_determinismE0ELb0ELb0ES3_PKS7_PS7_S7_ZZZN2at6native31launch_logcumsumexp_cuda_kernelERKNSE_10TensorBaseESI_lENKUlvE_clEvENKUlvE1_clEvEUlS7_S7_E_S7_EEDaPvRmT3_T4_T5_mT6_P12ihipStream_tbENKUlT_T0_E_clISt17integral_constantIbLb0EESY_IbLb1EEEEDaSU_SV_EUlSU_E_NS1_11comp_targetILNS1_3genE8ELNS1_11target_archE1030ELNS1_3gpuE2ELNS1_3repE0EEENS1_30default_config_static_selectorELNS0_4arch9wavefront6targetE1EEEvT1_.kd
    .uniform_work_group_size: 1
    .uses_dynamic_stack: false
    .vgpr_count:     0
    .vgpr_spill_count: 0
    .wavefront_size: 64
  - .agpr_count:     0
    .args:
      - .offset:         0
        .size:           48
        .value_kind:     by_value
    .group_segment_fixed_size: 20480
    .kernarg_segment_align: 16
    .kernarg_segment_size: 48
    .language:       OpenCL C
    .language_version:
      - 2
      - 0
    .max_flat_workgroup_size: 128
    .name:           _ZN7rocprim17ROCPRIM_400000_NS6detail17trampoline_kernelINS0_14default_configENS1_20scan_config_selectorIN3c107complexIdEEEEZZNS1_9scan_implILNS1_25lookback_scan_determinismE0ELb0ELb0ES3_PKS7_PS7_S7_ZZZN2at6native31launch_logcumsumexp_cuda_kernelERKNSE_10TensorBaseESI_lENKUlvE_clEvENKUlvE1_clEvEUlS7_S7_E_S7_EEDaPvRmT3_T4_T5_mT6_P12ihipStream_tbENKUlT_T0_E_clISt17integral_constantIbLb0EESY_IbLb1EEEEDaSU_SV_EUlSU_E0_NS1_11comp_targetILNS1_3genE0ELNS1_11target_archE4294967295ELNS1_3gpuE0ELNS1_3repE0EEENS1_30default_config_static_selectorELNS0_4arch9wavefront6targetE1EEEvT1_
    .private_segment_fixed_size: 0
    .sgpr_count:     68
    .sgpr_spill_count: 0
    .symbol:         _ZN7rocprim17ROCPRIM_400000_NS6detail17trampoline_kernelINS0_14default_configENS1_20scan_config_selectorIN3c107complexIdEEEEZZNS1_9scan_implILNS1_25lookback_scan_determinismE0ELb0ELb0ES3_PKS7_PS7_S7_ZZZN2at6native31launch_logcumsumexp_cuda_kernelERKNSE_10TensorBaseESI_lENKUlvE_clEvENKUlvE1_clEvEUlS7_S7_E_S7_EEDaPvRmT3_T4_T5_mT6_P12ihipStream_tbENKUlT_T0_E_clISt17integral_constantIbLb0EESY_IbLb1EEEEDaSU_SV_EUlSU_E0_NS1_11comp_targetILNS1_3genE0ELNS1_11target_archE4294967295ELNS1_3gpuE0ELNS1_3repE0EEENS1_30default_config_static_selectorELNS0_4arch9wavefront6targetE1EEEvT1_.kd
    .uniform_work_group_size: 1
    .uses_dynamic_stack: false
    .vgpr_count:     133
    .vgpr_spill_count: 0
    .wavefront_size: 64
  - .agpr_count:     0
    .args:
      - .offset:         0
        .size:           48
        .value_kind:     by_value
    .group_segment_fixed_size: 0
    .kernarg_segment_align: 16
    .kernarg_segment_size: 48
    .language:       OpenCL C
    .language_version:
      - 2
      - 0
    .max_flat_workgroup_size: 256
    .name:           _ZN7rocprim17ROCPRIM_400000_NS6detail17trampoline_kernelINS0_14default_configENS1_20scan_config_selectorIN3c107complexIdEEEEZZNS1_9scan_implILNS1_25lookback_scan_determinismE0ELb0ELb0ES3_PKS7_PS7_S7_ZZZN2at6native31launch_logcumsumexp_cuda_kernelERKNSE_10TensorBaseESI_lENKUlvE_clEvENKUlvE1_clEvEUlS7_S7_E_S7_EEDaPvRmT3_T4_T5_mT6_P12ihipStream_tbENKUlT_T0_E_clISt17integral_constantIbLb0EESY_IbLb1EEEEDaSU_SV_EUlSU_E0_NS1_11comp_targetILNS1_3genE5ELNS1_11target_archE942ELNS1_3gpuE9ELNS1_3repE0EEENS1_30default_config_static_selectorELNS0_4arch9wavefront6targetE1EEEvT1_
    .private_segment_fixed_size: 0
    .sgpr_count:     6
    .sgpr_spill_count: 0
    .symbol:         _ZN7rocprim17ROCPRIM_400000_NS6detail17trampoline_kernelINS0_14default_configENS1_20scan_config_selectorIN3c107complexIdEEEEZZNS1_9scan_implILNS1_25lookback_scan_determinismE0ELb0ELb0ES3_PKS7_PS7_S7_ZZZN2at6native31launch_logcumsumexp_cuda_kernelERKNSE_10TensorBaseESI_lENKUlvE_clEvENKUlvE1_clEvEUlS7_S7_E_S7_EEDaPvRmT3_T4_T5_mT6_P12ihipStream_tbENKUlT_T0_E_clISt17integral_constantIbLb0EESY_IbLb1EEEEDaSU_SV_EUlSU_E0_NS1_11comp_targetILNS1_3genE5ELNS1_11target_archE942ELNS1_3gpuE9ELNS1_3repE0EEENS1_30default_config_static_selectorELNS0_4arch9wavefront6targetE1EEEvT1_.kd
    .uniform_work_group_size: 1
    .uses_dynamic_stack: false
    .vgpr_count:     0
    .vgpr_spill_count: 0
    .wavefront_size: 64
  - .agpr_count:     0
    .args:
      - .offset:         0
        .size:           48
        .value_kind:     by_value
    .group_segment_fixed_size: 0
    .kernarg_segment_align: 16
    .kernarg_segment_size: 48
    .language:       OpenCL C
    .language_version:
      - 2
      - 0
    .max_flat_workgroup_size: 64
    .name:           _ZN7rocprim17ROCPRIM_400000_NS6detail17trampoline_kernelINS0_14default_configENS1_20scan_config_selectorIN3c107complexIdEEEEZZNS1_9scan_implILNS1_25lookback_scan_determinismE0ELb0ELb0ES3_PKS7_PS7_S7_ZZZN2at6native31launch_logcumsumexp_cuda_kernelERKNSE_10TensorBaseESI_lENKUlvE_clEvENKUlvE1_clEvEUlS7_S7_E_S7_EEDaPvRmT3_T4_T5_mT6_P12ihipStream_tbENKUlT_T0_E_clISt17integral_constantIbLb0EESY_IbLb1EEEEDaSU_SV_EUlSU_E0_NS1_11comp_targetILNS1_3genE4ELNS1_11target_archE910ELNS1_3gpuE8ELNS1_3repE0EEENS1_30default_config_static_selectorELNS0_4arch9wavefront6targetE1EEEvT1_
    .private_segment_fixed_size: 0
    .sgpr_count:     6
    .sgpr_spill_count: 0
    .symbol:         _ZN7rocprim17ROCPRIM_400000_NS6detail17trampoline_kernelINS0_14default_configENS1_20scan_config_selectorIN3c107complexIdEEEEZZNS1_9scan_implILNS1_25lookback_scan_determinismE0ELb0ELb0ES3_PKS7_PS7_S7_ZZZN2at6native31launch_logcumsumexp_cuda_kernelERKNSE_10TensorBaseESI_lENKUlvE_clEvENKUlvE1_clEvEUlS7_S7_E_S7_EEDaPvRmT3_T4_T5_mT6_P12ihipStream_tbENKUlT_T0_E_clISt17integral_constantIbLb0EESY_IbLb1EEEEDaSU_SV_EUlSU_E0_NS1_11comp_targetILNS1_3genE4ELNS1_11target_archE910ELNS1_3gpuE8ELNS1_3repE0EEENS1_30default_config_static_selectorELNS0_4arch9wavefront6targetE1EEEvT1_.kd
    .uniform_work_group_size: 1
    .uses_dynamic_stack: false
    .vgpr_count:     0
    .vgpr_spill_count: 0
    .wavefront_size: 64
  - .agpr_count:     0
    .args:
      - .offset:         0
        .size:           48
        .value_kind:     by_value
    .group_segment_fixed_size: 0
    .kernarg_segment_align: 16
    .kernarg_segment_size: 48
    .language:       OpenCL C
    .language_version:
      - 2
      - 0
    .max_flat_workgroup_size: 128
    .name:           _ZN7rocprim17ROCPRIM_400000_NS6detail17trampoline_kernelINS0_14default_configENS1_20scan_config_selectorIN3c107complexIdEEEEZZNS1_9scan_implILNS1_25lookback_scan_determinismE0ELb0ELb0ES3_PKS7_PS7_S7_ZZZN2at6native31launch_logcumsumexp_cuda_kernelERKNSE_10TensorBaseESI_lENKUlvE_clEvENKUlvE1_clEvEUlS7_S7_E_S7_EEDaPvRmT3_T4_T5_mT6_P12ihipStream_tbENKUlT_T0_E_clISt17integral_constantIbLb0EESY_IbLb1EEEEDaSU_SV_EUlSU_E0_NS1_11comp_targetILNS1_3genE3ELNS1_11target_archE908ELNS1_3gpuE7ELNS1_3repE0EEENS1_30default_config_static_selectorELNS0_4arch9wavefront6targetE1EEEvT1_
    .private_segment_fixed_size: 0
    .sgpr_count:     6
    .sgpr_spill_count: 0
    .symbol:         _ZN7rocprim17ROCPRIM_400000_NS6detail17trampoline_kernelINS0_14default_configENS1_20scan_config_selectorIN3c107complexIdEEEEZZNS1_9scan_implILNS1_25lookback_scan_determinismE0ELb0ELb0ES3_PKS7_PS7_S7_ZZZN2at6native31launch_logcumsumexp_cuda_kernelERKNSE_10TensorBaseESI_lENKUlvE_clEvENKUlvE1_clEvEUlS7_S7_E_S7_EEDaPvRmT3_T4_T5_mT6_P12ihipStream_tbENKUlT_T0_E_clISt17integral_constantIbLb0EESY_IbLb1EEEEDaSU_SV_EUlSU_E0_NS1_11comp_targetILNS1_3genE3ELNS1_11target_archE908ELNS1_3gpuE7ELNS1_3repE0EEENS1_30default_config_static_selectorELNS0_4arch9wavefront6targetE1EEEvT1_.kd
    .uniform_work_group_size: 1
    .uses_dynamic_stack: false
    .vgpr_count:     0
    .vgpr_spill_count: 0
    .wavefront_size: 64
  - .agpr_count:     0
    .args:
      - .offset:         0
        .size:           48
        .value_kind:     by_value
    .group_segment_fixed_size: 0
    .kernarg_segment_align: 16
    .kernarg_segment_size: 48
    .language:       OpenCL C
    .language_version:
      - 2
      - 0
    .max_flat_workgroup_size: 64
    .name:           _ZN7rocprim17ROCPRIM_400000_NS6detail17trampoline_kernelINS0_14default_configENS1_20scan_config_selectorIN3c107complexIdEEEEZZNS1_9scan_implILNS1_25lookback_scan_determinismE0ELb0ELb0ES3_PKS7_PS7_S7_ZZZN2at6native31launch_logcumsumexp_cuda_kernelERKNSE_10TensorBaseESI_lENKUlvE_clEvENKUlvE1_clEvEUlS7_S7_E_S7_EEDaPvRmT3_T4_T5_mT6_P12ihipStream_tbENKUlT_T0_E_clISt17integral_constantIbLb0EESY_IbLb1EEEEDaSU_SV_EUlSU_E0_NS1_11comp_targetILNS1_3genE2ELNS1_11target_archE906ELNS1_3gpuE6ELNS1_3repE0EEENS1_30default_config_static_selectorELNS0_4arch9wavefront6targetE1EEEvT1_
    .private_segment_fixed_size: 0
    .sgpr_count:     6
    .sgpr_spill_count: 0
    .symbol:         _ZN7rocprim17ROCPRIM_400000_NS6detail17trampoline_kernelINS0_14default_configENS1_20scan_config_selectorIN3c107complexIdEEEEZZNS1_9scan_implILNS1_25lookback_scan_determinismE0ELb0ELb0ES3_PKS7_PS7_S7_ZZZN2at6native31launch_logcumsumexp_cuda_kernelERKNSE_10TensorBaseESI_lENKUlvE_clEvENKUlvE1_clEvEUlS7_S7_E_S7_EEDaPvRmT3_T4_T5_mT6_P12ihipStream_tbENKUlT_T0_E_clISt17integral_constantIbLb0EESY_IbLb1EEEEDaSU_SV_EUlSU_E0_NS1_11comp_targetILNS1_3genE2ELNS1_11target_archE906ELNS1_3gpuE6ELNS1_3repE0EEENS1_30default_config_static_selectorELNS0_4arch9wavefront6targetE1EEEvT1_.kd
    .uniform_work_group_size: 1
    .uses_dynamic_stack: false
    .vgpr_count:     0
    .vgpr_spill_count: 0
    .wavefront_size: 64
  - .agpr_count:     0
    .args:
      - .offset:         0
        .size:           48
        .value_kind:     by_value
    .group_segment_fixed_size: 0
    .kernarg_segment_align: 16
    .kernarg_segment_size: 48
    .language:       OpenCL C
    .language_version:
      - 2
      - 0
    .max_flat_workgroup_size: 256
    .name:           _ZN7rocprim17ROCPRIM_400000_NS6detail17trampoline_kernelINS0_14default_configENS1_20scan_config_selectorIN3c107complexIdEEEEZZNS1_9scan_implILNS1_25lookback_scan_determinismE0ELb0ELb0ES3_PKS7_PS7_S7_ZZZN2at6native31launch_logcumsumexp_cuda_kernelERKNSE_10TensorBaseESI_lENKUlvE_clEvENKUlvE1_clEvEUlS7_S7_E_S7_EEDaPvRmT3_T4_T5_mT6_P12ihipStream_tbENKUlT_T0_E_clISt17integral_constantIbLb0EESY_IbLb1EEEEDaSU_SV_EUlSU_E0_NS1_11comp_targetILNS1_3genE10ELNS1_11target_archE1201ELNS1_3gpuE5ELNS1_3repE0EEENS1_30default_config_static_selectorELNS0_4arch9wavefront6targetE1EEEvT1_
    .private_segment_fixed_size: 0
    .sgpr_count:     6
    .sgpr_spill_count: 0
    .symbol:         _ZN7rocprim17ROCPRIM_400000_NS6detail17trampoline_kernelINS0_14default_configENS1_20scan_config_selectorIN3c107complexIdEEEEZZNS1_9scan_implILNS1_25lookback_scan_determinismE0ELb0ELb0ES3_PKS7_PS7_S7_ZZZN2at6native31launch_logcumsumexp_cuda_kernelERKNSE_10TensorBaseESI_lENKUlvE_clEvENKUlvE1_clEvEUlS7_S7_E_S7_EEDaPvRmT3_T4_T5_mT6_P12ihipStream_tbENKUlT_T0_E_clISt17integral_constantIbLb0EESY_IbLb1EEEEDaSU_SV_EUlSU_E0_NS1_11comp_targetILNS1_3genE10ELNS1_11target_archE1201ELNS1_3gpuE5ELNS1_3repE0EEENS1_30default_config_static_selectorELNS0_4arch9wavefront6targetE1EEEvT1_.kd
    .uniform_work_group_size: 1
    .uses_dynamic_stack: false
    .vgpr_count:     0
    .vgpr_spill_count: 0
    .wavefront_size: 64
  - .agpr_count:     0
    .args:
      - .offset:         0
        .size:           48
        .value_kind:     by_value
    .group_segment_fixed_size: 0
    .kernarg_segment_align: 16
    .kernarg_segment_size: 48
    .language:       OpenCL C
    .language_version:
      - 2
      - 0
    .max_flat_workgroup_size: 256
    .name:           _ZN7rocprim17ROCPRIM_400000_NS6detail17trampoline_kernelINS0_14default_configENS1_20scan_config_selectorIN3c107complexIdEEEEZZNS1_9scan_implILNS1_25lookback_scan_determinismE0ELb0ELb0ES3_PKS7_PS7_S7_ZZZN2at6native31launch_logcumsumexp_cuda_kernelERKNSE_10TensorBaseESI_lENKUlvE_clEvENKUlvE1_clEvEUlS7_S7_E_S7_EEDaPvRmT3_T4_T5_mT6_P12ihipStream_tbENKUlT_T0_E_clISt17integral_constantIbLb0EESY_IbLb1EEEEDaSU_SV_EUlSU_E0_NS1_11comp_targetILNS1_3genE10ELNS1_11target_archE1200ELNS1_3gpuE4ELNS1_3repE0EEENS1_30default_config_static_selectorELNS0_4arch9wavefront6targetE1EEEvT1_
    .private_segment_fixed_size: 0
    .sgpr_count:     6
    .sgpr_spill_count: 0
    .symbol:         _ZN7rocprim17ROCPRIM_400000_NS6detail17trampoline_kernelINS0_14default_configENS1_20scan_config_selectorIN3c107complexIdEEEEZZNS1_9scan_implILNS1_25lookback_scan_determinismE0ELb0ELb0ES3_PKS7_PS7_S7_ZZZN2at6native31launch_logcumsumexp_cuda_kernelERKNSE_10TensorBaseESI_lENKUlvE_clEvENKUlvE1_clEvEUlS7_S7_E_S7_EEDaPvRmT3_T4_T5_mT6_P12ihipStream_tbENKUlT_T0_E_clISt17integral_constantIbLb0EESY_IbLb1EEEEDaSU_SV_EUlSU_E0_NS1_11comp_targetILNS1_3genE10ELNS1_11target_archE1200ELNS1_3gpuE4ELNS1_3repE0EEENS1_30default_config_static_selectorELNS0_4arch9wavefront6targetE1EEEvT1_.kd
    .uniform_work_group_size: 1
    .uses_dynamic_stack: false
    .vgpr_count:     0
    .vgpr_spill_count: 0
    .wavefront_size: 64
  - .agpr_count:     0
    .args:
      - .offset:         0
        .size:           48
        .value_kind:     by_value
    .group_segment_fixed_size: 0
    .kernarg_segment_align: 16
    .kernarg_segment_size: 48
    .language:       OpenCL C
    .language_version:
      - 2
      - 0
    .max_flat_workgroup_size: 256
    .name:           _ZN7rocprim17ROCPRIM_400000_NS6detail17trampoline_kernelINS0_14default_configENS1_20scan_config_selectorIN3c107complexIdEEEEZZNS1_9scan_implILNS1_25lookback_scan_determinismE0ELb0ELb0ES3_PKS7_PS7_S7_ZZZN2at6native31launch_logcumsumexp_cuda_kernelERKNSE_10TensorBaseESI_lENKUlvE_clEvENKUlvE1_clEvEUlS7_S7_E_S7_EEDaPvRmT3_T4_T5_mT6_P12ihipStream_tbENKUlT_T0_E_clISt17integral_constantIbLb0EESY_IbLb1EEEEDaSU_SV_EUlSU_E0_NS1_11comp_targetILNS1_3genE9ELNS1_11target_archE1100ELNS1_3gpuE3ELNS1_3repE0EEENS1_30default_config_static_selectorELNS0_4arch9wavefront6targetE1EEEvT1_
    .private_segment_fixed_size: 0
    .sgpr_count:     6
    .sgpr_spill_count: 0
    .symbol:         _ZN7rocprim17ROCPRIM_400000_NS6detail17trampoline_kernelINS0_14default_configENS1_20scan_config_selectorIN3c107complexIdEEEEZZNS1_9scan_implILNS1_25lookback_scan_determinismE0ELb0ELb0ES3_PKS7_PS7_S7_ZZZN2at6native31launch_logcumsumexp_cuda_kernelERKNSE_10TensorBaseESI_lENKUlvE_clEvENKUlvE1_clEvEUlS7_S7_E_S7_EEDaPvRmT3_T4_T5_mT6_P12ihipStream_tbENKUlT_T0_E_clISt17integral_constantIbLb0EESY_IbLb1EEEEDaSU_SV_EUlSU_E0_NS1_11comp_targetILNS1_3genE9ELNS1_11target_archE1100ELNS1_3gpuE3ELNS1_3repE0EEENS1_30default_config_static_selectorELNS0_4arch9wavefront6targetE1EEEvT1_.kd
    .uniform_work_group_size: 1
    .uses_dynamic_stack: false
    .vgpr_count:     0
    .vgpr_spill_count: 0
    .wavefront_size: 64
  - .agpr_count:     0
    .args:
      - .offset:         0
        .size:           48
        .value_kind:     by_value
    .group_segment_fixed_size: 0
    .kernarg_segment_align: 16
    .kernarg_segment_size: 48
    .language:       OpenCL C
    .language_version:
      - 2
      - 0
    .max_flat_workgroup_size: 256
    .name:           _ZN7rocprim17ROCPRIM_400000_NS6detail17trampoline_kernelINS0_14default_configENS1_20scan_config_selectorIN3c107complexIdEEEEZZNS1_9scan_implILNS1_25lookback_scan_determinismE0ELb0ELb0ES3_PKS7_PS7_S7_ZZZN2at6native31launch_logcumsumexp_cuda_kernelERKNSE_10TensorBaseESI_lENKUlvE_clEvENKUlvE1_clEvEUlS7_S7_E_S7_EEDaPvRmT3_T4_T5_mT6_P12ihipStream_tbENKUlT_T0_E_clISt17integral_constantIbLb0EESY_IbLb1EEEEDaSU_SV_EUlSU_E0_NS1_11comp_targetILNS1_3genE8ELNS1_11target_archE1030ELNS1_3gpuE2ELNS1_3repE0EEENS1_30default_config_static_selectorELNS0_4arch9wavefront6targetE1EEEvT1_
    .private_segment_fixed_size: 0
    .sgpr_count:     6
    .sgpr_spill_count: 0
    .symbol:         _ZN7rocprim17ROCPRIM_400000_NS6detail17trampoline_kernelINS0_14default_configENS1_20scan_config_selectorIN3c107complexIdEEEEZZNS1_9scan_implILNS1_25lookback_scan_determinismE0ELb0ELb0ES3_PKS7_PS7_S7_ZZZN2at6native31launch_logcumsumexp_cuda_kernelERKNSE_10TensorBaseESI_lENKUlvE_clEvENKUlvE1_clEvEUlS7_S7_E_S7_EEDaPvRmT3_T4_T5_mT6_P12ihipStream_tbENKUlT_T0_E_clISt17integral_constantIbLb0EESY_IbLb1EEEEDaSU_SV_EUlSU_E0_NS1_11comp_targetILNS1_3genE8ELNS1_11target_archE1030ELNS1_3gpuE2ELNS1_3repE0EEENS1_30default_config_static_selectorELNS0_4arch9wavefront6targetE1EEEvT1_.kd
    .uniform_work_group_size: 1
    .uses_dynamic_stack: false
    .vgpr_count:     0
    .vgpr_spill_count: 0
    .wavefront_size: 64
  - .agpr_count:     0
    .args:
      - .address_space:  global
        .offset:         0
        .size:           8
        .value_kind:     global_buffer
      - .address_space:  global
        .offset:         8
        .size:           8
        .value_kind:     global_buffer
      - .offset:         16
        .size:           4
        .value_kind:     by_value
      - .offset:         20
        .size:           4
        .value_kind:     by_value
      - .offset:         24
        .size:           4
        .value_kind:     by_value
      - .offset:         32
        .size:           16
        .value_kind:     by_value
      - .offset:         48
        .size:           1
        .value_kind:     by_value
      - .offset:         56
        .size:           4
        .value_kind:     hidden_block_count_x
      - .offset:         60
        .size:           4
        .value_kind:     hidden_block_count_y
      - .offset:         64
        .size:           4
        .value_kind:     hidden_block_count_z
      - .offset:         68
        .size:           2
        .value_kind:     hidden_group_size_x
      - .offset:         70
        .size:           2
        .value_kind:     hidden_group_size_y
      - .offset:         72
        .size:           2
        .value_kind:     hidden_group_size_z
      - .offset:         74
        .size:           2
        .value_kind:     hidden_remainder_x
      - .offset:         76
        .size:           2
        .value_kind:     hidden_remainder_y
      - .offset:         78
        .size:           2
        .value_kind:     hidden_remainder_z
      - .offset:         96
        .size:           8
        .value_kind:     hidden_global_offset_x
      - .offset:         104
        .size:           8
        .value_kind:     hidden_global_offset_y
      - .offset:         112
        .size:           8
        .value_kind:     hidden_global_offset_z
      - .offset:         120
        .size:           2
        .value_kind:     hidden_grid_dims
      - .offset:         176
        .size:           4
        .value_kind:     hidden_dynamic_lds_size
    .group_segment_fixed_size: 0
    .kernarg_segment_align: 16
    .kernarg_segment_size: 312
    .language:       OpenCL C
    .language_version:
      - 2
      - 0
    .max_flat_workgroup_size: 1024
    .name:           _ZN2at6native32tensor_kernel_scan_innermost_dimIN3c107complexIdEEZZZNS0_31launch_logcumsumexp_cuda_kernelERKNS_10TensorBaseES7_lENKUlvE_clEvENKUlvE1_clEvEUlS4_S4_E_EEvPT_PKSB_jjjSB_T0_
    .private_segment_fixed_size: 0
    .sgpr_count:     75
    .sgpr_spill_count: 0
    .symbol:         _ZN2at6native32tensor_kernel_scan_innermost_dimIN3c107complexIdEEZZZNS0_31launch_logcumsumexp_cuda_kernelERKNS_10TensorBaseES7_lENKUlvE_clEvENKUlvE1_clEvEUlS4_S4_E_EEvPT_PKSB_jjjSB_T0_.kd
    .uniform_work_group_size: 1
    .uses_dynamic_stack: false
    .vgpr_count:     62
    .vgpr_spill_count: 0
    .wavefront_size: 64
  - .agpr_count:     0
    .args:
      - .address_space:  global
        .offset:         0
        .size:           8
        .value_kind:     global_buffer
      - .address_space:  global
        .offset:         8
        .size:           8
        .value_kind:     global_buffer
      - .offset:         16
        .size:           4
        .value_kind:     by_value
      - .offset:         20
        .size:           4
        .value_kind:     by_value
      - .offset:         24
        .size:           4
        .value_kind:     by_value
      - .offset:         32
        .size:           16
        .value_kind:     by_value
      - .offset:         48
        .size:           1
        .value_kind:     by_value
      - .offset:         56
        .size:           4
        .value_kind:     hidden_block_count_x
      - .offset:         60
        .size:           4
        .value_kind:     hidden_block_count_y
      - .offset:         64
        .size:           4
        .value_kind:     hidden_block_count_z
      - .offset:         68
        .size:           2
        .value_kind:     hidden_group_size_x
      - .offset:         70
        .size:           2
        .value_kind:     hidden_group_size_y
      - .offset:         72
        .size:           2
        .value_kind:     hidden_group_size_z
      - .offset:         74
        .size:           2
        .value_kind:     hidden_remainder_x
      - .offset:         76
        .size:           2
        .value_kind:     hidden_remainder_y
      - .offset:         78
        .size:           2
        .value_kind:     hidden_remainder_z
      - .offset:         96
        .size:           8
        .value_kind:     hidden_global_offset_x
      - .offset:         104
        .size:           8
        .value_kind:     hidden_global_offset_y
      - .offset:         112
        .size:           8
        .value_kind:     hidden_global_offset_z
      - .offset:         120
        .size:           2
        .value_kind:     hidden_grid_dims
    .group_segment_fixed_size: 0
    .kernarg_segment_align: 16
    .kernarg_segment_size: 312
    .language:       OpenCL C
    .language_version:
      - 2
      - 0
    .max_flat_workgroup_size: 1024
    .name:           _ZN2at6native28tensor_kernel_scan_outer_dimIN3c107complexIdEEjZZZNS0_31launch_logcumsumexp_cuda_kernelERKNS_10TensorBaseES7_lENKUlvE_clEvENKUlvE1_clEvEUlS4_S4_E_EEvPT_PKSB_jjjSB_T1_
    .private_segment_fixed_size: 0
    .sgpr_count:     74
    .sgpr_spill_count: 0
    .symbol:         _ZN2at6native28tensor_kernel_scan_outer_dimIN3c107complexIdEEjZZZNS0_31launch_logcumsumexp_cuda_kernelERKNS_10TensorBaseES7_lENKUlvE_clEvENKUlvE1_clEvEUlS4_S4_E_EEvPT_PKSB_jjjSB_T1_.kd
    .uniform_work_group_size: 1
    .uses_dynamic_stack: false
    .vgpr_count:     52
    .vgpr_spill_count: 0
    .wavefront_size: 64
  - .agpr_count:     0
    .args:
      - .address_space:  global
        .offset:         0
        .size:           8
        .value_kind:     global_buffer
      - .address_space:  global
        .offset:         8
        .size:           8
        .value_kind:     global_buffer
      - .offset:         16
        .size:           4
        .value_kind:     by_value
      - .offset:         20
        .size:           4
        .value_kind:     by_value
      - .offset:         24
        .size:           4
        .value_kind:     by_value
      - .offset:         32
        .size:           16
        .value_kind:     by_value
      - .offset:         48
        .size:           1
        .value_kind:     by_value
      - .offset:         56
        .size:           4
        .value_kind:     hidden_block_count_x
      - .offset:         60
        .size:           4
        .value_kind:     hidden_block_count_y
      - .offset:         64
        .size:           4
        .value_kind:     hidden_block_count_z
      - .offset:         68
        .size:           2
        .value_kind:     hidden_group_size_x
      - .offset:         70
        .size:           2
        .value_kind:     hidden_group_size_y
      - .offset:         72
        .size:           2
        .value_kind:     hidden_group_size_z
      - .offset:         74
        .size:           2
        .value_kind:     hidden_remainder_x
      - .offset:         76
        .size:           2
        .value_kind:     hidden_remainder_y
      - .offset:         78
        .size:           2
        .value_kind:     hidden_remainder_z
      - .offset:         96
        .size:           8
        .value_kind:     hidden_global_offset_x
      - .offset:         104
        .size:           8
        .value_kind:     hidden_global_offset_y
      - .offset:         112
        .size:           8
        .value_kind:     hidden_global_offset_z
      - .offset:         120
        .size:           2
        .value_kind:     hidden_grid_dims
    .group_segment_fixed_size: 0
    .kernarg_segment_align: 16
    .kernarg_segment_size: 312
    .language:       OpenCL C
    .language_version:
      - 2
      - 0
    .max_flat_workgroup_size: 1024
    .name:           _ZN2at6native28tensor_kernel_scan_outer_dimIN3c107complexIdEEmZZZNS0_31launch_logcumsumexp_cuda_kernelERKNS_10TensorBaseES7_lENKUlvE_clEvENKUlvE1_clEvEUlS4_S4_E_EEvPT_PKSB_jjjSB_T1_
    .private_segment_fixed_size: 0
    .sgpr_count:     73
    .sgpr_spill_count: 0
    .symbol:         _ZN2at6native28tensor_kernel_scan_outer_dimIN3c107complexIdEEmZZZNS0_31launch_logcumsumexp_cuda_kernelERKNS_10TensorBaseES7_lENKUlvE_clEvENKUlvE1_clEvEUlS4_S4_E_EEvPT_PKSB_jjjSB_T1_.kd
    .uniform_work_group_size: 1
    .uses_dynamic_stack: false
    .vgpr_count:     52
    .vgpr_spill_count: 0
    .wavefront_size: 64
  - .agpr_count:     0
    .args:
      - .address_space:  global
        .offset:         0
        .size:           8
        .value_kind:     global_buffer
      - .offset:         8
        .size:           4
        .value_kind:     by_value
      - .offset:         12
        .size:           1
        .value_kind:     by_value
      - .offset:         16
        .size:           4
        .value_kind:     by_value
      - .address_space:  global
        .offset:         24
        .size:           8
        .value_kind:     global_buffer
      - .offset:         32
        .size:           4
        .value_kind:     hidden_block_count_x
      - .offset:         36
        .size:           4
        .value_kind:     hidden_block_count_y
      - .offset:         40
        .size:           4
        .value_kind:     hidden_block_count_z
      - .offset:         44
        .size:           2
        .value_kind:     hidden_group_size_x
      - .offset:         46
        .size:           2
        .value_kind:     hidden_group_size_y
      - .offset:         48
        .size:           2
        .value_kind:     hidden_group_size_z
      - .offset:         50
        .size:           2
        .value_kind:     hidden_remainder_x
      - .offset:         52
        .size:           2
        .value_kind:     hidden_remainder_y
      - .offset:         54
        .size:           2
        .value_kind:     hidden_remainder_z
      - .offset:         72
        .size:           8
        .value_kind:     hidden_global_offset_x
      - .offset:         80
        .size:           8
        .value_kind:     hidden_global_offset_y
      - .offset:         88
        .size:           8
        .value_kind:     hidden_global_offset_z
      - .offset:         96
        .size:           2
        .value_kind:     hidden_grid_dims
    .group_segment_fixed_size: 0
    .kernarg_segment_align: 8
    .kernarg_segment_size: 288
    .language:       OpenCL C
    .language_version:
      - 2
      - 0
    .max_flat_workgroup_size: 256
    .name:           _ZN7rocprim17ROCPRIM_400000_NS6detail31init_lookback_scan_state_kernelINS1_19lookback_scan_stateIN3c107complexIfEELb0ELb1EEENS1_16block_id_wrapperIjLb0EEEEEvT_jT0_jPNSA_10value_typeE
    .private_segment_fixed_size: 0
    .sgpr_count:     19
    .sgpr_spill_count: 0
    .symbol:         _ZN7rocprim17ROCPRIM_400000_NS6detail31init_lookback_scan_state_kernelINS1_19lookback_scan_stateIN3c107complexIfEELb0ELb1EEENS1_16block_id_wrapperIjLb0EEEEEvT_jT0_jPNSA_10value_typeE.kd
    .uniform_work_group_size: 1
    .uses_dynamic_stack: false
    .vgpr_count:     10
    .vgpr_spill_count: 0
    .wavefront_size: 64
  - .agpr_count:     0
    .args:
      - .offset:         0
        .size:           104
        .value_kind:     by_value
    .group_segment_fixed_size: 12288
    .kernarg_segment_align: 8
    .kernarg_segment_size: 104
    .language:       OpenCL C
    .language_version:
      - 2
      - 0
    .max_flat_workgroup_size: 256
    .name:           _ZN7rocprim17ROCPRIM_400000_NS6detail17trampoline_kernelINS0_14default_configENS1_20scan_config_selectorIN3c107complexIfEEEEZZNS1_9scan_implILNS1_25lookback_scan_determinismE0ELb0ELb0ES3_PKS7_PS7_S7_ZZZN2at6native31launch_logcumsumexp_cuda_kernelERKNSE_10TensorBaseESI_lENKUlvE_clEvENKUlvE2_clEvEUlS7_S7_E_S7_EEDaPvRmT3_T4_T5_mT6_P12ihipStream_tbENKUlT_T0_E_clISt17integral_constantIbLb0EESZ_EEDaSU_SV_EUlSU_E_NS1_11comp_targetILNS1_3genE0ELNS1_11target_archE4294967295ELNS1_3gpuE0ELNS1_3repE0EEENS1_30default_config_static_selectorELNS0_4arch9wavefront6targetE1EEEvT1_
    .private_segment_fixed_size: 0
    .sgpr_count:     49
    .sgpr_spill_count: 0
    .symbol:         _ZN7rocprim17ROCPRIM_400000_NS6detail17trampoline_kernelINS0_14default_configENS1_20scan_config_selectorIN3c107complexIfEEEEZZNS1_9scan_implILNS1_25lookback_scan_determinismE0ELb0ELb0ES3_PKS7_PS7_S7_ZZZN2at6native31launch_logcumsumexp_cuda_kernelERKNSE_10TensorBaseESI_lENKUlvE_clEvENKUlvE2_clEvEUlS7_S7_E_S7_EEDaPvRmT3_T4_T5_mT6_P12ihipStream_tbENKUlT_T0_E_clISt17integral_constantIbLb0EESZ_EEDaSU_SV_EUlSU_E_NS1_11comp_targetILNS1_3genE0ELNS1_11target_archE4294967295ELNS1_3gpuE0ELNS1_3repE0EEENS1_30default_config_static_selectorELNS0_4arch9wavefront6targetE1EEEvT1_.kd
    .uniform_work_group_size: 1
    .uses_dynamic_stack: false
    .vgpr_count:     75
    .vgpr_spill_count: 0
    .wavefront_size: 64
  - .agpr_count:     0
    .args:
      - .offset:         0
        .size:           104
        .value_kind:     by_value
    .group_segment_fixed_size: 0
    .kernarg_segment_align: 8
    .kernarg_segment_size: 104
    .language:       OpenCL C
    .language_version:
      - 2
      - 0
    .max_flat_workgroup_size: 256
    .name:           _ZN7rocprim17ROCPRIM_400000_NS6detail17trampoline_kernelINS0_14default_configENS1_20scan_config_selectorIN3c107complexIfEEEEZZNS1_9scan_implILNS1_25lookback_scan_determinismE0ELb0ELb0ES3_PKS7_PS7_S7_ZZZN2at6native31launch_logcumsumexp_cuda_kernelERKNSE_10TensorBaseESI_lENKUlvE_clEvENKUlvE2_clEvEUlS7_S7_E_S7_EEDaPvRmT3_T4_T5_mT6_P12ihipStream_tbENKUlT_T0_E_clISt17integral_constantIbLb0EESZ_EEDaSU_SV_EUlSU_E_NS1_11comp_targetILNS1_3genE5ELNS1_11target_archE942ELNS1_3gpuE9ELNS1_3repE0EEENS1_30default_config_static_selectorELNS0_4arch9wavefront6targetE1EEEvT1_
    .private_segment_fixed_size: 0
    .sgpr_count:     6
    .sgpr_spill_count: 0
    .symbol:         _ZN7rocprim17ROCPRIM_400000_NS6detail17trampoline_kernelINS0_14default_configENS1_20scan_config_selectorIN3c107complexIfEEEEZZNS1_9scan_implILNS1_25lookback_scan_determinismE0ELb0ELb0ES3_PKS7_PS7_S7_ZZZN2at6native31launch_logcumsumexp_cuda_kernelERKNSE_10TensorBaseESI_lENKUlvE_clEvENKUlvE2_clEvEUlS7_S7_E_S7_EEDaPvRmT3_T4_T5_mT6_P12ihipStream_tbENKUlT_T0_E_clISt17integral_constantIbLb0EESZ_EEDaSU_SV_EUlSU_E_NS1_11comp_targetILNS1_3genE5ELNS1_11target_archE942ELNS1_3gpuE9ELNS1_3repE0EEENS1_30default_config_static_selectorELNS0_4arch9wavefront6targetE1EEEvT1_.kd
    .uniform_work_group_size: 1
    .uses_dynamic_stack: false
    .vgpr_count:     0
    .vgpr_spill_count: 0
    .wavefront_size: 64
  - .agpr_count:     0
    .args:
      - .offset:         0
        .size:           104
        .value_kind:     by_value
    .group_segment_fixed_size: 0
    .kernarg_segment_align: 8
    .kernarg_segment_size: 104
    .language:       OpenCL C
    .language_version:
      - 2
      - 0
    .max_flat_workgroup_size: 128
    .name:           _ZN7rocprim17ROCPRIM_400000_NS6detail17trampoline_kernelINS0_14default_configENS1_20scan_config_selectorIN3c107complexIfEEEEZZNS1_9scan_implILNS1_25lookback_scan_determinismE0ELb0ELb0ES3_PKS7_PS7_S7_ZZZN2at6native31launch_logcumsumexp_cuda_kernelERKNSE_10TensorBaseESI_lENKUlvE_clEvENKUlvE2_clEvEUlS7_S7_E_S7_EEDaPvRmT3_T4_T5_mT6_P12ihipStream_tbENKUlT_T0_E_clISt17integral_constantIbLb0EESZ_EEDaSU_SV_EUlSU_E_NS1_11comp_targetILNS1_3genE4ELNS1_11target_archE910ELNS1_3gpuE8ELNS1_3repE0EEENS1_30default_config_static_selectorELNS0_4arch9wavefront6targetE1EEEvT1_
    .private_segment_fixed_size: 0
    .sgpr_count:     6
    .sgpr_spill_count: 0
    .symbol:         _ZN7rocprim17ROCPRIM_400000_NS6detail17trampoline_kernelINS0_14default_configENS1_20scan_config_selectorIN3c107complexIfEEEEZZNS1_9scan_implILNS1_25lookback_scan_determinismE0ELb0ELb0ES3_PKS7_PS7_S7_ZZZN2at6native31launch_logcumsumexp_cuda_kernelERKNSE_10TensorBaseESI_lENKUlvE_clEvENKUlvE2_clEvEUlS7_S7_E_S7_EEDaPvRmT3_T4_T5_mT6_P12ihipStream_tbENKUlT_T0_E_clISt17integral_constantIbLb0EESZ_EEDaSU_SV_EUlSU_E_NS1_11comp_targetILNS1_3genE4ELNS1_11target_archE910ELNS1_3gpuE8ELNS1_3repE0EEENS1_30default_config_static_selectorELNS0_4arch9wavefront6targetE1EEEvT1_.kd
    .uniform_work_group_size: 1
    .uses_dynamic_stack: false
    .vgpr_count:     0
    .vgpr_spill_count: 0
    .wavefront_size: 64
  - .agpr_count:     0
    .args:
      - .offset:         0
        .size:           104
        .value_kind:     by_value
    .group_segment_fixed_size: 0
    .kernarg_segment_align: 8
    .kernarg_segment_size: 104
    .language:       OpenCL C
    .language_version:
      - 2
      - 0
    .max_flat_workgroup_size: 256
    .name:           _ZN7rocprim17ROCPRIM_400000_NS6detail17trampoline_kernelINS0_14default_configENS1_20scan_config_selectorIN3c107complexIfEEEEZZNS1_9scan_implILNS1_25lookback_scan_determinismE0ELb0ELb0ES3_PKS7_PS7_S7_ZZZN2at6native31launch_logcumsumexp_cuda_kernelERKNSE_10TensorBaseESI_lENKUlvE_clEvENKUlvE2_clEvEUlS7_S7_E_S7_EEDaPvRmT3_T4_T5_mT6_P12ihipStream_tbENKUlT_T0_E_clISt17integral_constantIbLb0EESZ_EEDaSU_SV_EUlSU_E_NS1_11comp_targetILNS1_3genE3ELNS1_11target_archE908ELNS1_3gpuE7ELNS1_3repE0EEENS1_30default_config_static_selectorELNS0_4arch9wavefront6targetE1EEEvT1_
    .private_segment_fixed_size: 0
    .sgpr_count:     6
    .sgpr_spill_count: 0
    .symbol:         _ZN7rocprim17ROCPRIM_400000_NS6detail17trampoline_kernelINS0_14default_configENS1_20scan_config_selectorIN3c107complexIfEEEEZZNS1_9scan_implILNS1_25lookback_scan_determinismE0ELb0ELb0ES3_PKS7_PS7_S7_ZZZN2at6native31launch_logcumsumexp_cuda_kernelERKNSE_10TensorBaseESI_lENKUlvE_clEvENKUlvE2_clEvEUlS7_S7_E_S7_EEDaPvRmT3_T4_T5_mT6_P12ihipStream_tbENKUlT_T0_E_clISt17integral_constantIbLb0EESZ_EEDaSU_SV_EUlSU_E_NS1_11comp_targetILNS1_3genE3ELNS1_11target_archE908ELNS1_3gpuE7ELNS1_3repE0EEENS1_30default_config_static_selectorELNS0_4arch9wavefront6targetE1EEEvT1_.kd
    .uniform_work_group_size: 1
    .uses_dynamic_stack: false
    .vgpr_count:     0
    .vgpr_spill_count: 0
    .wavefront_size: 64
  - .agpr_count:     0
    .args:
      - .offset:         0
        .size:           104
        .value_kind:     by_value
    .group_segment_fixed_size: 0
    .kernarg_segment_align: 8
    .kernarg_segment_size: 104
    .language:       OpenCL C
    .language_version:
      - 2
      - 0
    .max_flat_workgroup_size: 64
    .name:           _ZN7rocprim17ROCPRIM_400000_NS6detail17trampoline_kernelINS0_14default_configENS1_20scan_config_selectorIN3c107complexIfEEEEZZNS1_9scan_implILNS1_25lookback_scan_determinismE0ELb0ELb0ES3_PKS7_PS7_S7_ZZZN2at6native31launch_logcumsumexp_cuda_kernelERKNSE_10TensorBaseESI_lENKUlvE_clEvENKUlvE2_clEvEUlS7_S7_E_S7_EEDaPvRmT3_T4_T5_mT6_P12ihipStream_tbENKUlT_T0_E_clISt17integral_constantIbLb0EESZ_EEDaSU_SV_EUlSU_E_NS1_11comp_targetILNS1_3genE2ELNS1_11target_archE906ELNS1_3gpuE6ELNS1_3repE0EEENS1_30default_config_static_selectorELNS0_4arch9wavefront6targetE1EEEvT1_
    .private_segment_fixed_size: 0
    .sgpr_count:     6
    .sgpr_spill_count: 0
    .symbol:         _ZN7rocprim17ROCPRIM_400000_NS6detail17trampoline_kernelINS0_14default_configENS1_20scan_config_selectorIN3c107complexIfEEEEZZNS1_9scan_implILNS1_25lookback_scan_determinismE0ELb0ELb0ES3_PKS7_PS7_S7_ZZZN2at6native31launch_logcumsumexp_cuda_kernelERKNSE_10TensorBaseESI_lENKUlvE_clEvENKUlvE2_clEvEUlS7_S7_E_S7_EEDaPvRmT3_T4_T5_mT6_P12ihipStream_tbENKUlT_T0_E_clISt17integral_constantIbLb0EESZ_EEDaSU_SV_EUlSU_E_NS1_11comp_targetILNS1_3genE2ELNS1_11target_archE906ELNS1_3gpuE6ELNS1_3repE0EEENS1_30default_config_static_selectorELNS0_4arch9wavefront6targetE1EEEvT1_.kd
    .uniform_work_group_size: 1
    .uses_dynamic_stack: false
    .vgpr_count:     0
    .vgpr_spill_count: 0
    .wavefront_size: 64
  - .agpr_count:     0
    .args:
      - .offset:         0
        .size:           104
        .value_kind:     by_value
    .group_segment_fixed_size: 0
    .kernarg_segment_align: 8
    .kernarg_segment_size: 104
    .language:       OpenCL C
    .language_version:
      - 2
      - 0
    .max_flat_workgroup_size: 256
    .name:           _ZN7rocprim17ROCPRIM_400000_NS6detail17trampoline_kernelINS0_14default_configENS1_20scan_config_selectorIN3c107complexIfEEEEZZNS1_9scan_implILNS1_25lookback_scan_determinismE0ELb0ELb0ES3_PKS7_PS7_S7_ZZZN2at6native31launch_logcumsumexp_cuda_kernelERKNSE_10TensorBaseESI_lENKUlvE_clEvENKUlvE2_clEvEUlS7_S7_E_S7_EEDaPvRmT3_T4_T5_mT6_P12ihipStream_tbENKUlT_T0_E_clISt17integral_constantIbLb0EESZ_EEDaSU_SV_EUlSU_E_NS1_11comp_targetILNS1_3genE10ELNS1_11target_archE1201ELNS1_3gpuE5ELNS1_3repE0EEENS1_30default_config_static_selectorELNS0_4arch9wavefront6targetE1EEEvT1_
    .private_segment_fixed_size: 0
    .sgpr_count:     6
    .sgpr_spill_count: 0
    .symbol:         _ZN7rocprim17ROCPRIM_400000_NS6detail17trampoline_kernelINS0_14default_configENS1_20scan_config_selectorIN3c107complexIfEEEEZZNS1_9scan_implILNS1_25lookback_scan_determinismE0ELb0ELb0ES3_PKS7_PS7_S7_ZZZN2at6native31launch_logcumsumexp_cuda_kernelERKNSE_10TensorBaseESI_lENKUlvE_clEvENKUlvE2_clEvEUlS7_S7_E_S7_EEDaPvRmT3_T4_T5_mT6_P12ihipStream_tbENKUlT_T0_E_clISt17integral_constantIbLb0EESZ_EEDaSU_SV_EUlSU_E_NS1_11comp_targetILNS1_3genE10ELNS1_11target_archE1201ELNS1_3gpuE5ELNS1_3repE0EEENS1_30default_config_static_selectorELNS0_4arch9wavefront6targetE1EEEvT1_.kd
    .uniform_work_group_size: 1
    .uses_dynamic_stack: false
    .vgpr_count:     0
    .vgpr_spill_count: 0
    .wavefront_size: 64
  - .agpr_count:     0
    .args:
      - .offset:         0
        .size:           104
        .value_kind:     by_value
    .group_segment_fixed_size: 0
    .kernarg_segment_align: 8
    .kernarg_segment_size: 104
    .language:       OpenCL C
    .language_version:
      - 2
      - 0
    .max_flat_workgroup_size: 256
    .name:           _ZN7rocprim17ROCPRIM_400000_NS6detail17trampoline_kernelINS0_14default_configENS1_20scan_config_selectorIN3c107complexIfEEEEZZNS1_9scan_implILNS1_25lookback_scan_determinismE0ELb0ELb0ES3_PKS7_PS7_S7_ZZZN2at6native31launch_logcumsumexp_cuda_kernelERKNSE_10TensorBaseESI_lENKUlvE_clEvENKUlvE2_clEvEUlS7_S7_E_S7_EEDaPvRmT3_T4_T5_mT6_P12ihipStream_tbENKUlT_T0_E_clISt17integral_constantIbLb0EESZ_EEDaSU_SV_EUlSU_E_NS1_11comp_targetILNS1_3genE10ELNS1_11target_archE1200ELNS1_3gpuE4ELNS1_3repE0EEENS1_30default_config_static_selectorELNS0_4arch9wavefront6targetE1EEEvT1_
    .private_segment_fixed_size: 0
    .sgpr_count:     6
    .sgpr_spill_count: 0
    .symbol:         _ZN7rocprim17ROCPRIM_400000_NS6detail17trampoline_kernelINS0_14default_configENS1_20scan_config_selectorIN3c107complexIfEEEEZZNS1_9scan_implILNS1_25lookback_scan_determinismE0ELb0ELb0ES3_PKS7_PS7_S7_ZZZN2at6native31launch_logcumsumexp_cuda_kernelERKNSE_10TensorBaseESI_lENKUlvE_clEvENKUlvE2_clEvEUlS7_S7_E_S7_EEDaPvRmT3_T4_T5_mT6_P12ihipStream_tbENKUlT_T0_E_clISt17integral_constantIbLb0EESZ_EEDaSU_SV_EUlSU_E_NS1_11comp_targetILNS1_3genE10ELNS1_11target_archE1200ELNS1_3gpuE4ELNS1_3repE0EEENS1_30default_config_static_selectorELNS0_4arch9wavefront6targetE1EEEvT1_.kd
    .uniform_work_group_size: 1
    .uses_dynamic_stack: false
    .vgpr_count:     0
    .vgpr_spill_count: 0
    .wavefront_size: 64
  - .agpr_count:     0
    .args:
      - .offset:         0
        .size:           104
        .value_kind:     by_value
    .group_segment_fixed_size: 0
    .kernarg_segment_align: 8
    .kernarg_segment_size: 104
    .language:       OpenCL C
    .language_version:
      - 2
      - 0
    .max_flat_workgroup_size: 256
    .name:           _ZN7rocprim17ROCPRIM_400000_NS6detail17trampoline_kernelINS0_14default_configENS1_20scan_config_selectorIN3c107complexIfEEEEZZNS1_9scan_implILNS1_25lookback_scan_determinismE0ELb0ELb0ES3_PKS7_PS7_S7_ZZZN2at6native31launch_logcumsumexp_cuda_kernelERKNSE_10TensorBaseESI_lENKUlvE_clEvENKUlvE2_clEvEUlS7_S7_E_S7_EEDaPvRmT3_T4_T5_mT6_P12ihipStream_tbENKUlT_T0_E_clISt17integral_constantIbLb0EESZ_EEDaSU_SV_EUlSU_E_NS1_11comp_targetILNS1_3genE9ELNS1_11target_archE1100ELNS1_3gpuE3ELNS1_3repE0EEENS1_30default_config_static_selectorELNS0_4arch9wavefront6targetE1EEEvT1_
    .private_segment_fixed_size: 0
    .sgpr_count:     6
    .sgpr_spill_count: 0
    .symbol:         _ZN7rocprim17ROCPRIM_400000_NS6detail17trampoline_kernelINS0_14default_configENS1_20scan_config_selectorIN3c107complexIfEEEEZZNS1_9scan_implILNS1_25lookback_scan_determinismE0ELb0ELb0ES3_PKS7_PS7_S7_ZZZN2at6native31launch_logcumsumexp_cuda_kernelERKNSE_10TensorBaseESI_lENKUlvE_clEvENKUlvE2_clEvEUlS7_S7_E_S7_EEDaPvRmT3_T4_T5_mT6_P12ihipStream_tbENKUlT_T0_E_clISt17integral_constantIbLb0EESZ_EEDaSU_SV_EUlSU_E_NS1_11comp_targetILNS1_3genE9ELNS1_11target_archE1100ELNS1_3gpuE3ELNS1_3repE0EEENS1_30default_config_static_selectorELNS0_4arch9wavefront6targetE1EEEvT1_.kd
    .uniform_work_group_size: 1
    .uses_dynamic_stack: false
    .vgpr_count:     0
    .vgpr_spill_count: 0
    .wavefront_size: 64
  - .agpr_count:     0
    .args:
      - .offset:         0
        .size:           104
        .value_kind:     by_value
    .group_segment_fixed_size: 0
    .kernarg_segment_align: 8
    .kernarg_segment_size: 104
    .language:       OpenCL C
    .language_version:
      - 2
      - 0
    .max_flat_workgroup_size: 256
    .name:           _ZN7rocprim17ROCPRIM_400000_NS6detail17trampoline_kernelINS0_14default_configENS1_20scan_config_selectorIN3c107complexIfEEEEZZNS1_9scan_implILNS1_25lookback_scan_determinismE0ELb0ELb0ES3_PKS7_PS7_S7_ZZZN2at6native31launch_logcumsumexp_cuda_kernelERKNSE_10TensorBaseESI_lENKUlvE_clEvENKUlvE2_clEvEUlS7_S7_E_S7_EEDaPvRmT3_T4_T5_mT6_P12ihipStream_tbENKUlT_T0_E_clISt17integral_constantIbLb0EESZ_EEDaSU_SV_EUlSU_E_NS1_11comp_targetILNS1_3genE8ELNS1_11target_archE1030ELNS1_3gpuE2ELNS1_3repE0EEENS1_30default_config_static_selectorELNS0_4arch9wavefront6targetE1EEEvT1_
    .private_segment_fixed_size: 0
    .sgpr_count:     6
    .sgpr_spill_count: 0
    .symbol:         _ZN7rocprim17ROCPRIM_400000_NS6detail17trampoline_kernelINS0_14default_configENS1_20scan_config_selectorIN3c107complexIfEEEEZZNS1_9scan_implILNS1_25lookback_scan_determinismE0ELb0ELb0ES3_PKS7_PS7_S7_ZZZN2at6native31launch_logcumsumexp_cuda_kernelERKNSE_10TensorBaseESI_lENKUlvE_clEvENKUlvE2_clEvEUlS7_S7_E_S7_EEDaPvRmT3_T4_T5_mT6_P12ihipStream_tbENKUlT_T0_E_clISt17integral_constantIbLb0EESZ_EEDaSU_SV_EUlSU_E_NS1_11comp_targetILNS1_3genE8ELNS1_11target_archE1030ELNS1_3gpuE2ELNS1_3repE0EEENS1_30default_config_static_selectorELNS0_4arch9wavefront6targetE1EEEvT1_.kd
    .uniform_work_group_size: 1
    .uses_dynamic_stack: false
    .vgpr_count:     0
    .vgpr_spill_count: 0
    .wavefront_size: 64
  - .agpr_count:     0
    .args:
      - .offset:         0
        .size:           40
        .value_kind:     by_value
      - .offset:         40
        .size:           4
        .value_kind:     hidden_block_count_x
      - .offset:         44
        .size:           4
        .value_kind:     hidden_block_count_y
      - .offset:         48
        .size:           4
        .value_kind:     hidden_block_count_z
      - .offset:         52
        .size:           2
        .value_kind:     hidden_group_size_x
      - .offset:         54
        .size:           2
        .value_kind:     hidden_group_size_y
      - .offset:         56
        .size:           2
        .value_kind:     hidden_group_size_z
      - .offset:         58
        .size:           2
        .value_kind:     hidden_remainder_x
      - .offset:         60
        .size:           2
        .value_kind:     hidden_remainder_y
      - .offset:         62
        .size:           2
        .value_kind:     hidden_remainder_z
      - .offset:         80
        .size:           8
        .value_kind:     hidden_global_offset_x
      - .offset:         88
        .size:           8
        .value_kind:     hidden_global_offset_y
      - .offset:         96
        .size:           8
        .value_kind:     hidden_global_offset_z
      - .offset:         104
        .size:           2
        .value_kind:     hidden_grid_dims
    .group_segment_fixed_size: 0
    .kernarg_segment_align: 8
    .kernarg_segment_size: 296
    .language:       OpenCL C
    .language_version:
      - 2
      - 0
    .max_flat_workgroup_size: 128
    .name:           _ZN7rocprim17ROCPRIM_400000_NS6detail17trampoline_kernelINS0_14default_configENS1_25transform_config_selectorIN3c107complexIfEELb1EEEZNS1_14transform_implILb1ES3_S8_PS7_SA_NS0_8identityIS7_EEEE10hipError_tT2_T3_mT4_P12ihipStream_tbEUlT_E_NS1_11comp_targetILNS1_3genE0ELNS1_11target_archE4294967295ELNS1_3gpuE0ELNS1_3repE0EEENS1_30default_config_static_selectorELNS0_4arch9wavefront6targetE1EEEvT1_
    .private_segment_fixed_size: 0
    .sgpr_count:     18
    .sgpr_spill_count: 0
    .symbol:         _ZN7rocprim17ROCPRIM_400000_NS6detail17trampoline_kernelINS0_14default_configENS1_25transform_config_selectorIN3c107complexIfEELb1EEEZNS1_14transform_implILb1ES3_S8_PS7_SA_NS0_8identityIS7_EEEE10hipError_tT2_T3_mT4_P12ihipStream_tbEUlT_E_NS1_11comp_targetILNS1_3genE0ELNS1_11target_archE4294967295ELNS1_3gpuE0ELNS1_3repE0EEENS1_30default_config_static_selectorELNS0_4arch9wavefront6targetE1EEEvT1_.kd
    .uniform_work_group_size: 1
    .uses_dynamic_stack: false
    .vgpr_count:     3
    .vgpr_spill_count: 0
    .wavefront_size: 64
  - .agpr_count:     0
    .args:
      - .offset:         0
        .size:           40
        .value_kind:     by_value
    .group_segment_fixed_size: 0
    .kernarg_segment_align: 8
    .kernarg_segment_size: 40
    .language:       OpenCL C
    .language_version:
      - 2
      - 0
    .max_flat_workgroup_size: 1024
    .name:           _ZN7rocprim17ROCPRIM_400000_NS6detail17trampoline_kernelINS0_14default_configENS1_25transform_config_selectorIN3c107complexIfEELb1EEEZNS1_14transform_implILb1ES3_S8_PS7_SA_NS0_8identityIS7_EEEE10hipError_tT2_T3_mT4_P12ihipStream_tbEUlT_E_NS1_11comp_targetILNS1_3genE10ELNS1_11target_archE1201ELNS1_3gpuE5ELNS1_3repE0EEENS1_30default_config_static_selectorELNS0_4arch9wavefront6targetE1EEEvT1_
    .private_segment_fixed_size: 0
    .sgpr_count:     6
    .sgpr_spill_count: 0
    .symbol:         _ZN7rocprim17ROCPRIM_400000_NS6detail17trampoline_kernelINS0_14default_configENS1_25transform_config_selectorIN3c107complexIfEELb1EEEZNS1_14transform_implILb1ES3_S8_PS7_SA_NS0_8identityIS7_EEEE10hipError_tT2_T3_mT4_P12ihipStream_tbEUlT_E_NS1_11comp_targetILNS1_3genE10ELNS1_11target_archE1201ELNS1_3gpuE5ELNS1_3repE0EEENS1_30default_config_static_selectorELNS0_4arch9wavefront6targetE1EEEvT1_.kd
    .uniform_work_group_size: 1
    .uses_dynamic_stack: false
    .vgpr_count:     0
    .vgpr_spill_count: 0
    .wavefront_size: 64
  - .agpr_count:     0
    .args:
      - .offset:         0
        .size:           40
        .value_kind:     by_value
    .group_segment_fixed_size: 0
    .kernarg_segment_align: 8
    .kernarg_segment_size: 40
    .language:       OpenCL C
    .language_version:
      - 2
      - 0
    .max_flat_workgroup_size: 512
    .name:           _ZN7rocprim17ROCPRIM_400000_NS6detail17trampoline_kernelINS0_14default_configENS1_25transform_config_selectorIN3c107complexIfEELb1EEEZNS1_14transform_implILb1ES3_S8_PS7_SA_NS0_8identityIS7_EEEE10hipError_tT2_T3_mT4_P12ihipStream_tbEUlT_E_NS1_11comp_targetILNS1_3genE5ELNS1_11target_archE942ELNS1_3gpuE9ELNS1_3repE0EEENS1_30default_config_static_selectorELNS0_4arch9wavefront6targetE1EEEvT1_
    .private_segment_fixed_size: 0
    .sgpr_count:     6
    .sgpr_spill_count: 0
    .symbol:         _ZN7rocprim17ROCPRIM_400000_NS6detail17trampoline_kernelINS0_14default_configENS1_25transform_config_selectorIN3c107complexIfEELb1EEEZNS1_14transform_implILb1ES3_S8_PS7_SA_NS0_8identityIS7_EEEE10hipError_tT2_T3_mT4_P12ihipStream_tbEUlT_E_NS1_11comp_targetILNS1_3genE5ELNS1_11target_archE942ELNS1_3gpuE9ELNS1_3repE0EEENS1_30default_config_static_selectorELNS0_4arch9wavefront6targetE1EEEvT1_.kd
    .uniform_work_group_size: 1
    .uses_dynamic_stack: false
    .vgpr_count:     0
    .vgpr_spill_count: 0
    .wavefront_size: 64
  - .agpr_count:     0
    .args:
      - .offset:         0
        .size:           40
        .value_kind:     by_value
    .group_segment_fixed_size: 0
    .kernarg_segment_align: 8
    .kernarg_segment_size: 40
    .language:       OpenCL C
    .language_version:
      - 2
      - 0
    .max_flat_workgroup_size: 1024
    .name:           _ZN7rocprim17ROCPRIM_400000_NS6detail17trampoline_kernelINS0_14default_configENS1_25transform_config_selectorIN3c107complexIfEELb1EEEZNS1_14transform_implILb1ES3_S8_PS7_SA_NS0_8identityIS7_EEEE10hipError_tT2_T3_mT4_P12ihipStream_tbEUlT_E_NS1_11comp_targetILNS1_3genE4ELNS1_11target_archE910ELNS1_3gpuE8ELNS1_3repE0EEENS1_30default_config_static_selectorELNS0_4arch9wavefront6targetE1EEEvT1_
    .private_segment_fixed_size: 0
    .sgpr_count:     6
    .sgpr_spill_count: 0
    .symbol:         _ZN7rocprim17ROCPRIM_400000_NS6detail17trampoline_kernelINS0_14default_configENS1_25transform_config_selectorIN3c107complexIfEELb1EEEZNS1_14transform_implILb1ES3_S8_PS7_SA_NS0_8identityIS7_EEEE10hipError_tT2_T3_mT4_P12ihipStream_tbEUlT_E_NS1_11comp_targetILNS1_3genE4ELNS1_11target_archE910ELNS1_3gpuE8ELNS1_3repE0EEENS1_30default_config_static_selectorELNS0_4arch9wavefront6targetE1EEEvT1_.kd
    .uniform_work_group_size: 1
    .uses_dynamic_stack: false
    .vgpr_count:     0
    .vgpr_spill_count: 0
    .wavefront_size: 64
  - .agpr_count:     0
    .args:
      - .offset:         0
        .size:           40
        .value_kind:     by_value
    .group_segment_fixed_size: 0
    .kernarg_segment_align: 8
    .kernarg_segment_size: 40
    .language:       OpenCL C
    .language_version:
      - 2
      - 0
    .max_flat_workgroup_size: 128
    .name:           _ZN7rocprim17ROCPRIM_400000_NS6detail17trampoline_kernelINS0_14default_configENS1_25transform_config_selectorIN3c107complexIfEELb1EEEZNS1_14transform_implILb1ES3_S8_PS7_SA_NS0_8identityIS7_EEEE10hipError_tT2_T3_mT4_P12ihipStream_tbEUlT_E_NS1_11comp_targetILNS1_3genE3ELNS1_11target_archE908ELNS1_3gpuE7ELNS1_3repE0EEENS1_30default_config_static_selectorELNS0_4arch9wavefront6targetE1EEEvT1_
    .private_segment_fixed_size: 0
    .sgpr_count:     6
    .sgpr_spill_count: 0
    .symbol:         _ZN7rocprim17ROCPRIM_400000_NS6detail17trampoline_kernelINS0_14default_configENS1_25transform_config_selectorIN3c107complexIfEELb1EEEZNS1_14transform_implILb1ES3_S8_PS7_SA_NS0_8identityIS7_EEEE10hipError_tT2_T3_mT4_P12ihipStream_tbEUlT_E_NS1_11comp_targetILNS1_3genE3ELNS1_11target_archE908ELNS1_3gpuE7ELNS1_3repE0EEENS1_30default_config_static_selectorELNS0_4arch9wavefront6targetE1EEEvT1_.kd
    .uniform_work_group_size: 1
    .uses_dynamic_stack: false
    .vgpr_count:     0
    .vgpr_spill_count: 0
    .wavefront_size: 64
  - .agpr_count:     0
    .args:
      - .offset:         0
        .size:           40
        .value_kind:     by_value
    .group_segment_fixed_size: 0
    .kernarg_segment_align: 8
    .kernarg_segment_size: 40
    .language:       OpenCL C
    .language_version:
      - 2
      - 0
    .max_flat_workgroup_size: 512
    .name:           _ZN7rocprim17ROCPRIM_400000_NS6detail17trampoline_kernelINS0_14default_configENS1_25transform_config_selectorIN3c107complexIfEELb1EEEZNS1_14transform_implILb1ES3_S8_PS7_SA_NS0_8identityIS7_EEEE10hipError_tT2_T3_mT4_P12ihipStream_tbEUlT_E_NS1_11comp_targetILNS1_3genE2ELNS1_11target_archE906ELNS1_3gpuE6ELNS1_3repE0EEENS1_30default_config_static_selectorELNS0_4arch9wavefront6targetE1EEEvT1_
    .private_segment_fixed_size: 0
    .sgpr_count:     6
    .sgpr_spill_count: 0
    .symbol:         _ZN7rocprim17ROCPRIM_400000_NS6detail17trampoline_kernelINS0_14default_configENS1_25transform_config_selectorIN3c107complexIfEELb1EEEZNS1_14transform_implILb1ES3_S8_PS7_SA_NS0_8identityIS7_EEEE10hipError_tT2_T3_mT4_P12ihipStream_tbEUlT_E_NS1_11comp_targetILNS1_3genE2ELNS1_11target_archE906ELNS1_3gpuE6ELNS1_3repE0EEENS1_30default_config_static_selectorELNS0_4arch9wavefront6targetE1EEEvT1_.kd
    .uniform_work_group_size: 1
    .uses_dynamic_stack: false
    .vgpr_count:     0
    .vgpr_spill_count: 0
    .wavefront_size: 64
  - .agpr_count:     0
    .args:
      - .offset:         0
        .size:           40
        .value_kind:     by_value
    .group_segment_fixed_size: 0
    .kernarg_segment_align: 8
    .kernarg_segment_size: 40
    .language:       OpenCL C
    .language_version:
      - 2
      - 0
    .max_flat_workgroup_size: 1024
    .name:           _ZN7rocprim17ROCPRIM_400000_NS6detail17trampoline_kernelINS0_14default_configENS1_25transform_config_selectorIN3c107complexIfEELb1EEEZNS1_14transform_implILb1ES3_S8_PS7_SA_NS0_8identityIS7_EEEE10hipError_tT2_T3_mT4_P12ihipStream_tbEUlT_E_NS1_11comp_targetILNS1_3genE9ELNS1_11target_archE1100ELNS1_3gpuE3ELNS1_3repE0EEENS1_30default_config_static_selectorELNS0_4arch9wavefront6targetE1EEEvT1_
    .private_segment_fixed_size: 0
    .sgpr_count:     6
    .sgpr_spill_count: 0
    .symbol:         _ZN7rocprim17ROCPRIM_400000_NS6detail17trampoline_kernelINS0_14default_configENS1_25transform_config_selectorIN3c107complexIfEELb1EEEZNS1_14transform_implILb1ES3_S8_PS7_SA_NS0_8identityIS7_EEEE10hipError_tT2_T3_mT4_P12ihipStream_tbEUlT_E_NS1_11comp_targetILNS1_3genE9ELNS1_11target_archE1100ELNS1_3gpuE3ELNS1_3repE0EEENS1_30default_config_static_selectorELNS0_4arch9wavefront6targetE1EEEvT1_.kd
    .uniform_work_group_size: 1
    .uses_dynamic_stack: false
    .vgpr_count:     0
    .vgpr_spill_count: 0
    .wavefront_size: 64
  - .agpr_count:     0
    .args:
      - .offset:         0
        .size:           40
        .value_kind:     by_value
    .group_segment_fixed_size: 0
    .kernarg_segment_align: 8
    .kernarg_segment_size: 40
    .language:       OpenCL C
    .language_version:
      - 2
      - 0
    .max_flat_workgroup_size: 1024
    .name:           _ZN7rocprim17ROCPRIM_400000_NS6detail17trampoline_kernelINS0_14default_configENS1_25transform_config_selectorIN3c107complexIfEELb1EEEZNS1_14transform_implILb1ES3_S8_PS7_SA_NS0_8identityIS7_EEEE10hipError_tT2_T3_mT4_P12ihipStream_tbEUlT_E_NS1_11comp_targetILNS1_3genE8ELNS1_11target_archE1030ELNS1_3gpuE2ELNS1_3repE0EEENS1_30default_config_static_selectorELNS0_4arch9wavefront6targetE1EEEvT1_
    .private_segment_fixed_size: 0
    .sgpr_count:     6
    .sgpr_spill_count: 0
    .symbol:         _ZN7rocprim17ROCPRIM_400000_NS6detail17trampoline_kernelINS0_14default_configENS1_25transform_config_selectorIN3c107complexIfEELb1EEEZNS1_14transform_implILb1ES3_S8_PS7_SA_NS0_8identityIS7_EEEE10hipError_tT2_T3_mT4_P12ihipStream_tbEUlT_E_NS1_11comp_targetILNS1_3genE8ELNS1_11target_archE1030ELNS1_3gpuE2ELNS1_3repE0EEENS1_30default_config_static_selectorELNS0_4arch9wavefront6targetE1EEEvT1_.kd
    .uniform_work_group_size: 1
    .uses_dynamic_stack: false
    .vgpr_count:     0
    .vgpr_spill_count: 0
    .wavefront_size: 64
  - .agpr_count:     0
    .args:
      - .offset:         0
        .size:           40
        .value_kind:     by_value
    .group_segment_fixed_size: 12288
    .kernarg_segment_align: 8
    .kernarg_segment_size: 40
    .language:       OpenCL C
    .language_version:
      - 2
      - 0
    .max_flat_workgroup_size: 256
    .name:           _ZN7rocprim17ROCPRIM_400000_NS6detail17trampoline_kernelINS0_14default_configENS1_20scan_config_selectorIN3c107complexIfEEEEZZNS1_9scan_implILNS1_25lookback_scan_determinismE0ELb0ELb0ES3_PKS7_PS7_S7_ZZZN2at6native31launch_logcumsumexp_cuda_kernelERKNSE_10TensorBaseESI_lENKUlvE_clEvENKUlvE2_clEvEUlS7_S7_E_S7_EEDaPvRmT3_T4_T5_mT6_P12ihipStream_tbENKUlT_T0_E_clISt17integral_constantIbLb0EESZ_EEDaSU_SV_EUlSU_E0_NS1_11comp_targetILNS1_3genE0ELNS1_11target_archE4294967295ELNS1_3gpuE0ELNS1_3repE0EEENS1_30default_config_static_selectorELNS0_4arch9wavefront6targetE1EEEvT1_
    .private_segment_fixed_size: 0
    .sgpr_count:     44
    .sgpr_spill_count: 0
    .symbol:         _ZN7rocprim17ROCPRIM_400000_NS6detail17trampoline_kernelINS0_14default_configENS1_20scan_config_selectorIN3c107complexIfEEEEZZNS1_9scan_implILNS1_25lookback_scan_determinismE0ELb0ELb0ES3_PKS7_PS7_S7_ZZZN2at6native31launch_logcumsumexp_cuda_kernelERKNSE_10TensorBaseESI_lENKUlvE_clEvENKUlvE2_clEvEUlS7_S7_E_S7_EEDaPvRmT3_T4_T5_mT6_P12ihipStream_tbENKUlT_T0_E_clISt17integral_constantIbLb0EESZ_EEDaSU_SV_EUlSU_E0_NS1_11comp_targetILNS1_3genE0ELNS1_11target_archE4294967295ELNS1_3gpuE0ELNS1_3repE0EEENS1_30default_config_static_selectorELNS0_4arch9wavefront6targetE1EEEvT1_.kd
    .uniform_work_group_size: 1
    .uses_dynamic_stack: false
    .vgpr_count:     58
    .vgpr_spill_count: 0
    .wavefront_size: 64
  - .agpr_count:     0
    .args:
      - .offset:         0
        .size:           40
        .value_kind:     by_value
    .group_segment_fixed_size: 0
    .kernarg_segment_align: 8
    .kernarg_segment_size: 40
    .language:       OpenCL C
    .language_version:
      - 2
      - 0
    .max_flat_workgroup_size: 256
    .name:           _ZN7rocprim17ROCPRIM_400000_NS6detail17trampoline_kernelINS0_14default_configENS1_20scan_config_selectorIN3c107complexIfEEEEZZNS1_9scan_implILNS1_25lookback_scan_determinismE0ELb0ELb0ES3_PKS7_PS7_S7_ZZZN2at6native31launch_logcumsumexp_cuda_kernelERKNSE_10TensorBaseESI_lENKUlvE_clEvENKUlvE2_clEvEUlS7_S7_E_S7_EEDaPvRmT3_T4_T5_mT6_P12ihipStream_tbENKUlT_T0_E_clISt17integral_constantIbLb0EESZ_EEDaSU_SV_EUlSU_E0_NS1_11comp_targetILNS1_3genE5ELNS1_11target_archE942ELNS1_3gpuE9ELNS1_3repE0EEENS1_30default_config_static_selectorELNS0_4arch9wavefront6targetE1EEEvT1_
    .private_segment_fixed_size: 0
    .sgpr_count:     6
    .sgpr_spill_count: 0
    .symbol:         _ZN7rocprim17ROCPRIM_400000_NS6detail17trampoline_kernelINS0_14default_configENS1_20scan_config_selectorIN3c107complexIfEEEEZZNS1_9scan_implILNS1_25lookback_scan_determinismE0ELb0ELb0ES3_PKS7_PS7_S7_ZZZN2at6native31launch_logcumsumexp_cuda_kernelERKNSE_10TensorBaseESI_lENKUlvE_clEvENKUlvE2_clEvEUlS7_S7_E_S7_EEDaPvRmT3_T4_T5_mT6_P12ihipStream_tbENKUlT_T0_E_clISt17integral_constantIbLb0EESZ_EEDaSU_SV_EUlSU_E0_NS1_11comp_targetILNS1_3genE5ELNS1_11target_archE942ELNS1_3gpuE9ELNS1_3repE0EEENS1_30default_config_static_selectorELNS0_4arch9wavefront6targetE1EEEvT1_.kd
    .uniform_work_group_size: 1
    .uses_dynamic_stack: false
    .vgpr_count:     0
    .vgpr_spill_count: 0
    .wavefront_size: 64
  - .agpr_count:     0
    .args:
      - .offset:         0
        .size:           40
        .value_kind:     by_value
    .group_segment_fixed_size: 0
    .kernarg_segment_align: 8
    .kernarg_segment_size: 40
    .language:       OpenCL C
    .language_version:
      - 2
      - 0
    .max_flat_workgroup_size: 128
    .name:           _ZN7rocprim17ROCPRIM_400000_NS6detail17trampoline_kernelINS0_14default_configENS1_20scan_config_selectorIN3c107complexIfEEEEZZNS1_9scan_implILNS1_25lookback_scan_determinismE0ELb0ELb0ES3_PKS7_PS7_S7_ZZZN2at6native31launch_logcumsumexp_cuda_kernelERKNSE_10TensorBaseESI_lENKUlvE_clEvENKUlvE2_clEvEUlS7_S7_E_S7_EEDaPvRmT3_T4_T5_mT6_P12ihipStream_tbENKUlT_T0_E_clISt17integral_constantIbLb0EESZ_EEDaSU_SV_EUlSU_E0_NS1_11comp_targetILNS1_3genE4ELNS1_11target_archE910ELNS1_3gpuE8ELNS1_3repE0EEENS1_30default_config_static_selectorELNS0_4arch9wavefront6targetE1EEEvT1_
    .private_segment_fixed_size: 0
    .sgpr_count:     6
    .sgpr_spill_count: 0
    .symbol:         _ZN7rocprim17ROCPRIM_400000_NS6detail17trampoline_kernelINS0_14default_configENS1_20scan_config_selectorIN3c107complexIfEEEEZZNS1_9scan_implILNS1_25lookback_scan_determinismE0ELb0ELb0ES3_PKS7_PS7_S7_ZZZN2at6native31launch_logcumsumexp_cuda_kernelERKNSE_10TensorBaseESI_lENKUlvE_clEvENKUlvE2_clEvEUlS7_S7_E_S7_EEDaPvRmT3_T4_T5_mT6_P12ihipStream_tbENKUlT_T0_E_clISt17integral_constantIbLb0EESZ_EEDaSU_SV_EUlSU_E0_NS1_11comp_targetILNS1_3genE4ELNS1_11target_archE910ELNS1_3gpuE8ELNS1_3repE0EEENS1_30default_config_static_selectorELNS0_4arch9wavefront6targetE1EEEvT1_.kd
    .uniform_work_group_size: 1
    .uses_dynamic_stack: false
    .vgpr_count:     0
    .vgpr_spill_count: 0
    .wavefront_size: 64
  - .agpr_count:     0
    .args:
      - .offset:         0
        .size:           40
        .value_kind:     by_value
    .group_segment_fixed_size: 0
    .kernarg_segment_align: 8
    .kernarg_segment_size: 40
    .language:       OpenCL C
    .language_version:
      - 2
      - 0
    .max_flat_workgroup_size: 256
    .name:           _ZN7rocprim17ROCPRIM_400000_NS6detail17trampoline_kernelINS0_14default_configENS1_20scan_config_selectorIN3c107complexIfEEEEZZNS1_9scan_implILNS1_25lookback_scan_determinismE0ELb0ELb0ES3_PKS7_PS7_S7_ZZZN2at6native31launch_logcumsumexp_cuda_kernelERKNSE_10TensorBaseESI_lENKUlvE_clEvENKUlvE2_clEvEUlS7_S7_E_S7_EEDaPvRmT3_T4_T5_mT6_P12ihipStream_tbENKUlT_T0_E_clISt17integral_constantIbLb0EESZ_EEDaSU_SV_EUlSU_E0_NS1_11comp_targetILNS1_3genE3ELNS1_11target_archE908ELNS1_3gpuE7ELNS1_3repE0EEENS1_30default_config_static_selectorELNS0_4arch9wavefront6targetE1EEEvT1_
    .private_segment_fixed_size: 0
    .sgpr_count:     6
    .sgpr_spill_count: 0
    .symbol:         _ZN7rocprim17ROCPRIM_400000_NS6detail17trampoline_kernelINS0_14default_configENS1_20scan_config_selectorIN3c107complexIfEEEEZZNS1_9scan_implILNS1_25lookback_scan_determinismE0ELb0ELb0ES3_PKS7_PS7_S7_ZZZN2at6native31launch_logcumsumexp_cuda_kernelERKNSE_10TensorBaseESI_lENKUlvE_clEvENKUlvE2_clEvEUlS7_S7_E_S7_EEDaPvRmT3_T4_T5_mT6_P12ihipStream_tbENKUlT_T0_E_clISt17integral_constantIbLb0EESZ_EEDaSU_SV_EUlSU_E0_NS1_11comp_targetILNS1_3genE3ELNS1_11target_archE908ELNS1_3gpuE7ELNS1_3repE0EEENS1_30default_config_static_selectorELNS0_4arch9wavefront6targetE1EEEvT1_.kd
    .uniform_work_group_size: 1
    .uses_dynamic_stack: false
    .vgpr_count:     0
    .vgpr_spill_count: 0
    .wavefront_size: 64
  - .agpr_count:     0
    .args:
      - .offset:         0
        .size:           40
        .value_kind:     by_value
    .group_segment_fixed_size: 0
    .kernarg_segment_align: 8
    .kernarg_segment_size: 40
    .language:       OpenCL C
    .language_version:
      - 2
      - 0
    .max_flat_workgroup_size: 64
    .name:           _ZN7rocprim17ROCPRIM_400000_NS6detail17trampoline_kernelINS0_14default_configENS1_20scan_config_selectorIN3c107complexIfEEEEZZNS1_9scan_implILNS1_25lookback_scan_determinismE0ELb0ELb0ES3_PKS7_PS7_S7_ZZZN2at6native31launch_logcumsumexp_cuda_kernelERKNSE_10TensorBaseESI_lENKUlvE_clEvENKUlvE2_clEvEUlS7_S7_E_S7_EEDaPvRmT3_T4_T5_mT6_P12ihipStream_tbENKUlT_T0_E_clISt17integral_constantIbLb0EESZ_EEDaSU_SV_EUlSU_E0_NS1_11comp_targetILNS1_3genE2ELNS1_11target_archE906ELNS1_3gpuE6ELNS1_3repE0EEENS1_30default_config_static_selectorELNS0_4arch9wavefront6targetE1EEEvT1_
    .private_segment_fixed_size: 0
    .sgpr_count:     6
    .sgpr_spill_count: 0
    .symbol:         _ZN7rocprim17ROCPRIM_400000_NS6detail17trampoline_kernelINS0_14default_configENS1_20scan_config_selectorIN3c107complexIfEEEEZZNS1_9scan_implILNS1_25lookback_scan_determinismE0ELb0ELb0ES3_PKS7_PS7_S7_ZZZN2at6native31launch_logcumsumexp_cuda_kernelERKNSE_10TensorBaseESI_lENKUlvE_clEvENKUlvE2_clEvEUlS7_S7_E_S7_EEDaPvRmT3_T4_T5_mT6_P12ihipStream_tbENKUlT_T0_E_clISt17integral_constantIbLb0EESZ_EEDaSU_SV_EUlSU_E0_NS1_11comp_targetILNS1_3genE2ELNS1_11target_archE906ELNS1_3gpuE6ELNS1_3repE0EEENS1_30default_config_static_selectorELNS0_4arch9wavefront6targetE1EEEvT1_.kd
    .uniform_work_group_size: 1
    .uses_dynamic_stack: false
    .vgpr_count:     0
    .vgpr_spill_count: 0
    .wavefront_size: 64
  - .agpr_count:     0
    .args:
      - .offset:         0
        .size:           40
        .value_kind:     by_value
    .group_segment_fixed_size: 0
    .kernarg_segment_align: 8
    .kernarg_segment_size: 40
    .language:       OpenCL C
    .language_version:
      - 2
      - 0
    .max_flat_workgroup_size: 256
    .name:           _ZN7rocprim17ROCPRIM_400000_NS6detail17trampoline_kernelINS0_14default_configENS1_20scan_config_selectorIN3c107complexIfEEEEZZNS1_9scan_implILNS1_25lookback_scan_determinismE0ELb0ELb0ES3_PKS7_PS7_S7_ZZZN2at6native31launch_logcumsumexp_cuda_kernelERKNSE_10TensorBaseESI_lENKUlvE_clEvENKUlvE2_clEvEUlS7_S7_E_S7_EEDaPvRmT3_T4_T5_mT6_P12ihipStream_tbENKUlT_T0_E_clISt17integral_constantIbLb0EESZ_EEDaSU_SV_EUlSU_E0_NS1_11comp_targetILNS1_3genE10ELNS1_11target_archE1201ELNS1_3gpuE5ELNS1_3repE0EEENS1_30default_config_static_selectorELNS0_4arch9wavefront6targetE1EEEvT1_
    .private_segment_fixed_size: 0
    .sgpr_count:     6
    .sgpr_spill_count: 0
    .symbol:         _ZN7rocprim17ROCPRIM_400000_NS6detail17trampoline_kernelINS0_14default_configENS1_20scan_config_selectorIN3c107complexIfEEEEZZNS1_9scan_implILNS1_25lookback_scan_determinismE0ELb0ELb0ES3_PKS7_PS7_S7_ZZZN2at6native31launch_logcumsumexp_cuda_kernelERKNSE_10TensorBaseESI_lENKUlvE_clEvENKUlvE2_clEvEUlS7_S7_E_S7_EEDaPvRmT3_T4_T5_mT6_P12ihipStream_tbENKUlT_T0_E_clISt17integral_constantIbLb0EESZ_EEDaSU_SV_EUlSU_E0_NS1_11comp_targetILNS1_3genE10ELNS1_11target_archE1201ELNS1_3gpuE5ELNS1_3repE0EEENS1_30default_config_static_selectorELNS0_4arch9wavefront6targetE1EEEvT1_.kd
    .uniform_work_group_size: 1
    .uses_dynamic_stack: false
    .vgpr_count:     0
    .vgpr_spill_count: 0
    .wavefront_size: 64
  - .agpr_count:     0
    .args:
      - .offset:         0
        .size:           40
        .value_kind:     by_value
    .group_segment_fixed_size: 0
    .kernarg_segment_align: 8
    .kernarg_segment_size: 40
    .language:       OpenCL C
    .language_version:
      - 2
      - 0
    .max_flat_workgroup_size: 256
    .name:           _ZN7rocprim17ROCPRIM_400000_NS6detail17trampoline_kernelINS0_14default_configENS1_20scan_config_selectorIN3c107complexIfEEEEZZNS1_9scan_implILNS1_25lookback_scan_determinismE0ELb0ELb0ES3_PKS7_PS7_S7_ZZZN2at6native31launch_logcumsumexp_cuda_kernelERKNSE_10TensorBaseESI_lENKUlvE_clEvENKUlvE2_clEvEUlS7_S7_E_S7_EEDaPvRmT3_T4_T5_mT6_P12ihipStream_tbENKUlT_T0_E_clISt17integral_constantIbLb0EESZ_EEDaSU_SV_EUlSU_E0_NS1_11comp_targetILNS1_3genE10ELNS1_11target_archE1200ELNS1_3gpuE4ELNS1_3repE0EEENS1_30default_config_static_selectorELNS0_4arch9wavefront6targetE1EEEvT1_
    .private_segment_fixed_size: 0
    .sgpr_count:     6
    .sgpr_spill_count: 0
    .symbol:         _ZN7rocprim17ROCPRIM_400000_NS6detail17trampoline_kernelINS0_14default_configENS1_20scan_config_selectorIN3c107complexIfEEEEZZNS1_9scan_implILNS1_25lookback_scan_determinismE0ELb0ELb0ES3_PKS7_PS7_S7_ZZZN2at6native31launch_logcumsumexp_cuda_kernelERKNSE_10TensorBaseESI_lENKUlvE_clEvENKUlvE2_clEvEUlS7_S7_E_S7_EEDaPvRmT3_T4_T5_mT6_P12ihipStream_tbENKUlT_T0_E_clISt17integral_constantIbLb0EESZ_EEDaSU_SV_EUlSU_E0_NS1_11comp_targetILNS1_3genE10ELNS1_11target_archE1200ELNS1_3gpuE4ELNS1_3repE0EEENS1_30default_config_static_selectorELNS0_4arch9wavefront6targetE1EEEvT1_.kd
    .uniform_work_group_size: 1
    .uses_dynamic_stack: false
    .vgpr_count:     0
    .vgpr_spill_count: 0
    .wavefront_size: 64
  - .agpr_count:     0
    .args:
      - .offset:         0
        .size:           40
        .value_kind:     by_value
    .group_segment_fixed_size: 0
    .kernarg_segment_align: 8
    .kernarg_segment_size: 40
    .language:       OpenCL C
    .language_version:
      - 2
      - 0
    .max_flat_workgroup_size: 256
    .name:           _ZN7rocprim17ROCPRIM_400000_NS6detail17trampoline_kernelINS0_14default_configENS1_20scan_config_selectorIN3c107complexIfEEEEZZNS1_9scan_implILNS1_25lookback_scan_determinismE0ELb0ELb0ES3_PKS7_PS7_S7_ZZZN2at6native31launch_logcumsumexp_cuda_kernelERKNSE_10TensorBaseESI_lENKUlvE_clEvENKUlvE2_clEvEUlS7_S7_E_S7_EEDaPvRmT3_T4_T5_mT6_P12ihipStream_tbENKUlT_T0_E_clISt17integral_constantIbLb0EESZ_EEDaSU_SV_EUlSU_E0_NS1_11comp_targetILNS1_3genE9ELNS1_11target_archE1100ELNS1_3gpuE3ELNS1_3repE0EEENS1_30default_config_static_selectorELNS0_4arch9wavefront6targetE1EEEvT1_
    .private_segment_fixed_size: 0
    .sgpr_count:     6
    .sgpr_spill_count: 0
    .symbol:         _ZN7rocprim17ROCPRIM_400000_NS6detail17trampoline_kernelINS0_14default_configENS1_20scan_config_selectorIN3c107complexIfEEEEZZNS1_9scan_implILNS1_25lookback_scan_determinismE0ELb0ELb0ES3_PKS7_PS7_S7_ZZZN2at6native31launch_logcumsumexp_cuda_kernelERKNSE_10TensorBaseESI_lENKUlvE_clEvENKUlvE2_clEvEUlS7_S7_E_S7_EEDaPvRmT3_T4_T5_mT6_P12ihipStream_tbENKUlT_T0_E_clISt17integral_constantIbLb0EESZ_EEDaSU_SV_EUlSU_E0_NS1_11comp_targetILNS1_3genE9ELNS1_11target_archE1100ELNS1_3gpuE3ELNS1_3repE0EEENS1_30default_config_static_selectorELNS0_4arch9wavefront6targetE1EEEvT1_.kd
    .uniform_work_group_size: 1
    .uses_dynamic_stack: false
    .vgpr_count:     0
    .vgpr_spill_count: 0
    .wavefront_size: 64
  - .agpr_count:     0
    .args:
      - .offset:         0
        .size:           40
        .value_kind:     by_value
    .group_segment_fixed_size: 0
    .kernarg_segment_align: 8
    .kernarg_segment_size: 40
    .language:       OpenCL C
    .language_version:
      - 2
      - 0
    .max_flat_workgroup_size: 256
    .name:           _ZN7rocprim17ROCPRIM_400000_NS6detail17trampoline_kernelINS0_14default_configENS1_20scan_config_selectorIN3c107complexIfEEEEZZNS1_9scan_implILNS1_25lookback_scan_determinismE0ELb0ELb0ES3_PKS7_PS7_S7_ZZZN2at6native31launch_logcumsumexp_cuda_kernelERKNSE_10TensorBaseESI_lENKUlvE_clEvENKUlvE2_clEvEUlS7_S7_E_S7_EEDaPvRmT3_T4_T5_mT6_P12ihipStream_tbENKUlT_T0_E_clISt17integral_constantIbLb0EESZ_EEDaSU_SV_EUlSU_E0_NS1_11comp_targetILNS1_3genE8ELNS1_11target_archE1030ELNS1_3gpuE2ELNS1_3repE0EEENS1_30default_config_static_selectorELNS0_4arch9wavefront6targetE1EEEvT1_
    .private_segment_fixed_size: 0
    .sgpr_count:     6
    .sgpr_spill_count: 0
    .symbol:         _ZN7rocprim17ROCPRIM_400000_NS6detail17trampoline_kernelINS0_14default_configENS1_20scan_config_selectorIN3c107complexIfEEEEZZNS1_9scan_implILNS1_25lookback_scan_determinismE0ELb0ELb0ES3_PKS7_PS7_S7_ZZZN2at6native31launch_logcumsumexp_cuda_kernelERKNSE_10TensorBaseESI_lENKUlvE_clEvENKUlvE2_clEvEUlS7_S7_E_S7_EEDaPvRmT3_T4_T5_mT6_P12ihipStream_tbENKUlT_T0_E_clISt17integral_constantIbLb0EESZ_EEDaSU_SV_EUlSU_E0_NS1_11comp_targetILNS1_3genE8ELNS1_11target_archE1030ELNS1_3gpuE2ELNS1_3repE0EEENS1_30default_config_static_selectorELNS0_4arch9wavefront6targetE1EEEvT1_.kd
    .uniform_work_group_size: 1
    .uses_dynamic_stack: false
    .vgpr_count:     0
    .vgpr_spill_count: 0
    .wavefront_size: 64
  - .agpr_count:     0
    .args:
      - .address_space:  global
        .offset:         0
        .size:           8
        .value_kind:     global_buffer
      - .offset:         8
        .size:           4
        .value_kind:     by_value
      - .address_space:  global
        .offset:         16
        .size:           8
        .value_kind:     global_buffer
      - .offset:         24
        .size:           4
        .value_kind:     by_value
      - .address_space:  global
        .offset:         32
        .size:           8
        .value_kind:     global_buffer
      - .offset:         40
        .size:           4
        .value_kind:     hidden_block_count_x
      - .offset:         44
        .size:           4
        .value_kind:     hidden_block_count_y
      - .offset:         48
        .size:           4
        .value_kind:     hidden_block_count_z
      - .offset:         52
        .size:           2
        .value_kind:     hidden_group_size_x
      - .offset:         54
        .size:           2
        .value_kind:     hidden_group_size_y
      - .offset:         56
        .size:           2
        .value_kind:     hidden_group_size_z
      - .offset:         58
        .size:           2
        .value_kind:     hidden_remainder_x
      - .offset:         60
        .size:           2
        .value_kind:     hidden_remainder_y
      - .offset:         62
        .size:           2
        .value_kind:     hidden_remainder_z
      - .offset:         80
        .size:           8
        .value_kind:     hidden_global_offset_x
      - .offset:         88
        .size:           8
        .value_kind:     hidden_global_offset_y
      - .offset:         96
        .size:           8
        .value_kind:     hidden_global_offset_z
      - .offset:         104
        .size:           2
        .value_kind:     hidden_grid_dims
    .group_segment_fixed_size: 0
    .kernarg_segment_align: 8
    .kernarg_segment_size: 296
    .language:       OpenCL C
    .language_version:
      - 2
      - 0
    .max_flat_workgroup_size: 256
    .name:           _ZN7rocprim17ROCPRIM_400000_NS6detail31init_lookback_scan_state_kernelINS1_19lookback_scan_stateIN3c107complexIfEELb1ELb1EEENS1_16block_id_wrapperIjLb1EEEEEvT_jT0_jPNSA_10value_typeE
    .private_segment_fixed_size: 0
    .sgpr_count:     22
    .sgpr_spill_count: 0
    .symbol:         _ZN7rocprim17ROCPRIM_400000_NS6detail31init_lookback_scan_state_kernelINS1_19lookback_scan_stateIN3c107complexIfEELb1ELb1EEENS1_16block_id_wrapperIjLb1EEEEEvT_jT0_jPNSA_10value_typeE.kd
    .uniform_work_group_size: 1
    .uses_dynamic_stack: false
    .vgpr_count:     10
    .vgpr_spill_count: 0
    .wavefront_size: 64
  - .agpr_count:     0
    .args:
      - .offset:         0
        .size:           104
        .value_kind:     by_value
    .group_segment_fixed_size: 0
    .kernarg_segment_align: 8
    .kernarg_segment_size: 104
    .language:       OpenCL C
    .language_version:
      - 2
      - 0
    .max_flat_workgroup_size: 256
    .name:           _ZN7rocprim17ROCPRIM_400000_NS6detail17trampoline_kernelINS0_14default_configENS1_20scan_config_selectorIN3c107complexIfEEEEZZNS1_9scan_implILNS1_25lookback_scan_determinismE0ELb0ELb0ES3_PKS7_PS7_S7_ZZZN2at6native31launch_logcumsumexp_cuda_kernelERKNSE_10TensorBaseESI_lENKUlvE_clEvENKUlvE2_clEvEUlS7_S7_E_S7_EEDaPvRmT3_T4_T5_mT6_P12ihipStream_tbENKUlT_T0_E_clISt17integral_constantIbLb1EESZ_EEDaSU_SV_EUlSU_E_NS1_11comp_targetILNS1_3genE0ELNS1_11target_archE4294967295ELNS1_3gpuE0ELNS1_3repE0EEENS1_30default_config_static_selectorELNS0_4arch9wavefront6targetE1EEEvT1_
    .private_segment_fixed_size: 0
    .sgpr_count:     6
    .sgpr_spill_count: 0
    .symbol:         _ZN7rocprim17ROCPRIM_400000_NS6detail17trampoline_kernelINS0_14default_configENS1_20scan_config_selectorIN3c107complexIfEEEEZZNS1_9scan_implILNS1_25lookback_scan_determinismE0ELb0ELb0ES3_PKS7_PS7_S7_ZZZN2at6native31launch_logcumsumexp_cuda_kernelERKNSE_10TensorBaseESI_lENKUlvE_clEvENKUlvE2_clEvEUlS7_S7_E_S7_EEDaPvRmT3_T4_T5_mT6_P12ihipStream_tbENKUlT_T0_E_clISt17integral_constantIbLb1EESZ_EEDaSU_SV_EUlSU_E_NS1_11comp_targetILNS1_3genE0ELNS1_11target_archE4294967295ELNS1_3gpuE0ELNS1_3repE0EEENS1_30default_config_static_selectorELNS0_4arch9wavefront6targetE1EEEvT1_.kd
    .uniform_work_group_size: 1
    .uses_dynamic_stack: false
    .vgpr_count:     0
    .vgpr_spill_count: 0
    .wavefront_size: 64
  - .agpr_count:     0
    .args:
      - .offset:         0
        .size:           104
        .value_kind:     by_value
    .group_segment_fixed_size: 0
    .kernarg_segment_align: 8
    .kernarg_segment_size: 104
    .language:       OpenCL C
    .language_version:
      - 2
      - 0
    .max_flat_workgroup_size: 256
    .name:           _ZN7rocprim17ROCPRIM_400000_NS6detail17trampoline_kernelINS0_14default_configENS1_20scan_config_selectorIN3c107complexIfEEEEZZNS1_9scan_implILNS1_25lookback_scan_determinismE0ELb0ELb0ES3_PKS7_PS7_S7_ZZZN2at6native31launch_logcumsumexp_cuda_kernelERKNSE_10TensorBaseESI_lENKUlvE_clEvENKUlvE2_clEvEUlS7_S7_E_S7_EEDaPvRmT3_T4_T5_mT6_P12ihipStream_tbENKUlT_T0_E_clISt17integral_constantIbLb1EESZ_EEDaSU_SV_EUlSU_E_NS1_11comp_targetILNS1_3genE5ELNS1_11target_archE942ELNS1_3gpuE9ELNS1_3repE0EEENS1_30default_config_static_selectorELNS0_4arch9wavefront6targetE1EEEvT1_
    .private_segment_fixed_size: 0
    .sgpr_count:     6
    .sgpr_spill_count: 0
    .symbol:         _ZN7rocprim17ROCPRIM_400000_NS6detail17trampoline_kernelINS0_14default_configENS1_20scan_config_selectorIN3c107complexIfEEEEZZNS1_9scan_implILNS1_25lookback_scan_determinismE0ELb0ELb0ES3_PKS7_PS7_S7_ZZZN2at6native31launch_logcumsumexp_cuda_kernelERKNSE_10TensorBaseESI_lENKUlvE_clEvENKUlvE2_clEvEUlS7_S7_E_S7_EEDaPvRmT3_T4_T5_mT6_P12ihipStream_tbENKUlT_T0_E_clISt17integral_constantIbLb1EESZ_EEDaSU_SV_EUlSU_E_NS1_11comp_targetILNS1_3genE5ELNS1_11target_archE942ELNS1_3gpuE9ELNS1_3repE0EEENS1_30default_config_static_selectorELNS0_4arch9wavefront6targetE1EEEvT1_.kd
    .uniform_work_group_size: 1
    .uses_dynamic_stack: false
    .vgpr_count:     0
    .vgpr_spill_count: 0
    .wavefront_size: 64
  - .agpr_count:     0
    .args:
      - .offset:         0
        .size:           104
        .value_kind:     by_value
    .group_segment_fixed_size: 0
    .kernarg_segment_align: 8
    .kernarg_segment_size: 104
    .language:       OpenCL C
    .language_version:
      - 2
      - 0
    .max_flat_workgroup_size: 128
    .name:           _ZN7rocprim17ROCPRIM_400000_NS6detail17trampoline_kernelINS0_14default_configENS1_20scan_config_selectorIN3c107complexIfEEEEZZNS1_9scan_implILNS1_25lookback_scan_determinismE0ELb0ELb0ES3_PKS7_PS7_S7_ZZZN2at6native31launch_logcumsumexp_cuda_kernelERKNSE_10TensorBaseESI_lENKUlvE_clEvENKUlvE2_clEvEUlS7_S7_E_S7_EEDaPvRmT3_T4_T5_mT6_P12ihipStream_tbENKUlT_T0_E_clISt17integral_constantIbLb1EESZ_EEDaSU_SV_EUlSU_E_NS1_11comp_targetILNS1_3genE4ELNS1_11target_archE910ELNS1_3gpuE8ELNS1_3repE0EEENS1_30default_config_static_selectorELNS0_4arch9wavefront6targetE1EEEvT1_
    .private_segment_fixed_size: 0
    .sgpr_count:     6
    .sgpr_spill_count: 0
    .symbol:         _ZN7rocprim17ROCPRIM_400000_NS6detail17trampoline_kernelINS0_14default_configENS1_20scan_config_selectorIN3c107complexIfEEEEZZNS1_9scan_implILNS1_25lookback_scan_determinismE0ELb0ELb0ES3_PKS7_PS7_S7_ZZZN2at6native31launch_logcumsumexp_cuda_kernelERKNSE_10TensorBaseESI_lENKUlvE_clEvENKUlvE2_clEvEUlS7_S7_E_S7_EEDaPvRmT3_T4_T5_mT6_P12ihipStream_tbENKUlT_T0_E_clISt17integral_constantIbLb1EESZ_EEDaSU_SV_EUlSU_E_NS1_11comp_targetILNS1_3genE4ELNS1_11target_archE910ELNS1_3gpuE8ELNS1_3repE0EEENS1_30default_config_static_selectorELNS0_4arch9wavefront6targetE1EEEvT1_.kd
    .uniform_work_group_size: 1
    .uses_dynamic_stack: false
    .vgpr_count:     0
    .vgpr_spill_count: 0
    .wavefront_size: 64
  - .agpr_count:     0
    .args:
      - .offset:         0
        .size:           104
        .value_kind:     by_value
    .group_segment_fixed_size: 0
    .kernarg_segment_align: 8
    .kernarg_segment_size: 104
    .language:       OpenCL C
    .language_version:
      - 2
      - 0
    .max_flat_workgroup_size: 256
    .name:           _ZN7rocprim17ROCPRIM_400000_NS6detail17trampoline_kernelINS0_14default_configENS1_20scan_config_selectorIN3c107complexIfEEEEZZNS1_9scan_implILNS1_25lookback_scan_determinismE0ELb0ELb0ES3_PKS7_PS7_S7_ZZZN2at6native31launch_logcumsumexp_cuda_kernelERKNSE_10TensorBaseESI_lENKUlvE_clEvENKUlvE2_clEvEUlS7_S7_E_S7_EEDaPvRmT3_T4_T5_mT6_P12ihipStream_tbENKUlT_T0_E_clISt17integral_constantIbLb1EESZ_EEDaSU_SV_EUlSU_E_NS1_11comp_targetILNS1_3genE3ELNS1_11target_archE908ELNS1_3gpuE7ELNS1_3repE0EEENS1_30default_config_static_selectorELNS0_4arch9wavefront6targetE1EEEvT1_
    .private_segment_fixed_size: 0
    .sgpr_count:     6
    .sgpr_spill_count: 0
    .symbol:         _ZN7rocprim17ROCPRIM_400000_NS6detail17trampoline_kernelINS0_14default_configENS1_20scan_config_selectorIN3c107complexIfEEEEZZNS1_9scan_implILNS1_25lookback_scan_determinismE0ELb0ELb0ES3_PKS7_PS7_S7_ZZZN2at6native31launch_logcumsumexp_cuda_kernelERKNSE_10TensorBaseESI_lENKUlvE_clEvENKUlvE2_clEvEUlS7_S7_E_S7_EEDaPvRmT3_T4_T5_mT6_P12ihipStream_tbENKUlT_T0_E_clISt17integral_constantIbLb1EESZ_EEDaSU_SV_EUlSU_E_NS1_11comp_targetILNS1_3genE3ELNS1_11target_archE908ELNS1_3gpuE7ELNS1_3repE0EEENS1_30default_config_static_selectorELNS0_4arch9wavefront6targetE1EEEvT1_.kd
    .uniform_work_group_size: 1
    .uses_dynamic_stack: false
    .vgpr_count:     0
    .vgpr_spill_count: 0
    .wavefront_size: 64
  - .agpr_count:     0
    .args:
      - .offset:         0
        .size:           104
        .value_kind:     by_value
    .group_segment_fixed_size: 0
    .kernarg_segment_align: 8
    .kernarg_segment_size: 104
    .language:       OpenCL C
    .language_version:
      - 2
      - 0
    .max_flat_workgroup_size: 64
    .name:           _ZN7rocprim17ROCPRIM_400000_NS6detail17trampoline_kernelINS0_14default_configENS1_20scan_config_selectorIN3c107complexIfEEEEZZNS1_9scan_implILNS1_25lookback_scan_determinismE0ELb0ELb0ES3_PKS7_PS7_S7_ZZZN2at6native31launch_logcumsumexp_cuda_kernelERKNSE_10TensorBaseESI_lENKUlvE_clEvENKUlvE2_clEvEUlS7_S7_E_S7_EEDaPvRmT3_T4_T5_mT6_P12ihipStream_tbENKUlT_T0_E_clISt17integral_constantIbLb1EESZ_EEDaSU_SV_EUlSU_E_NS1_11comp_targetILNS1_3genE2ELNS1_11target_archE906ELNS1_3gpuE6ELNS1_3repE0EEENS1_30default_config_static_selectorELNS0_4arch9wavefront6targetE1EEEvT1_
    .private_segment_fixed_size: 0
    .sgpr_count:     6
    .sgpr_spill_count: 0
    .symbol:         _ZN7rocprim17ROCPRIM_400000_NS6detail17trampoline_kernelINS0_14default_configENS1_20scan_config_selectorIN3c107complexIfEEEEZZNS1_9scan_implILNS1_25lookback_scan_determinismE0ELb0ELb0ES3_PKS7_PS7_S7_ZZZN2at6native31launch_logcumsumexp_cuda_kernelERKNSE_10TensorBaseESI_lENKUlvE_clEvENKUlvE2_clEvEUlS7_S7_E_S7_EEDaPvRmT3_T4_T5_mT6_P12ihipStream_tbENKUlT_T0_E_clISt17integral_constantIbLb1EESZ_EEDaSU_SV_EUlSU_E_NS1_11comp_targetILNS1_3genE2ELNS1_11target_archE906ELNS1_3gpuE6ELNS1_3repE0EEENS1_30default_config_static_selectorELNS0_4arch9wavefront6targetE1EEEvT1_.kd
    .uniform_work_group_size: 1
    .uses_dynamic_stack: false
    .vgpr_count:     0
    .vgpr_spill_count: 0
    .wavefront_size: 64
  - .agpr_count:     0
    .args:
      - .offset:         0
        .size:           104
        .value_kind:     by_value
    .group_segment_fixed_size: 0
    .kernarg_segment_align: 8
    .kernarg_segment_size: 104
    .language:       OpenCL C
    .language_version:
      - 2
      - 0
    .max_flat_workgroup_size: 256
    .name:           _ZN7rocprim17ROCPRIM_400000_NS6detail17trampoline_kernelINS0_14default_configENS1_20scan_config_selectorIN3c107complexIfEEEEZZNS1_9scan_implILNS1_25lookback_scan_determinismE0ELb0ELb0ES3_PKS7_PS7_S7_ZZZN2at6native31launch_logcumsumexp_cuda_kernelERKNSE_10TensorBaseESI_lENKUlvE_clEvENKUlvE2_clEvEUlS7_S7_E_S7_EEDaPvRmT3_T4_T5_mT6_P12ihipStream_tbENKUlT_T0_E_clISt17integral_constantIbLb1EESZ_EEDaSU_SV_EUlSU_E_NS1_11comp_targetILNS1_3genE10ELNS1_11target_archE1201ELNS1_3gpuE5ELNS1_3repE0EEENS1_30default_config_static_selectorELNS0_4arch9wavefront6targetE1EEEvT1_
    .private_segment_fixed_size: 0
    .sgpr_count:     6
    .sgpr_spill_count: 0
    .symbol:         _ZN7rocprim17ROCPRIM_400000_NS6detail17trampoline_kernelINS0_14default_configENS1_20scan_config_selectorIN3c107complexIfEEEEZZNS1_9scan_implILNS1_25lookback_scan_determinismE0ELb0ELb0ES3_PKS7_PS7_S7_ZZZN2at6native31launch_logcumsumexp_cuda_kernelERKNSE_10TensorBaseESI_lENKUlvE_clEvENKUlvE2_clEvEUlS7_S7_E_S7_EEDaPvRmT3_T4_T5_mT6_P12ihipStream_tbENKUlT_T0_E_clISt17integral_constantIbLb1EESZ_EEDaSU_SV_EUlSU_E_NS1_11comp_targetILNS1_3genE10ELNS1_11target_archE1201ELNS1_3gpuE5ELNS1_3repE0EEENS1_30default_config_static_selectorELNS0_4arch9wavefront6targetE1EEEvT1_.kd
    .uniform_work_group_size: 1
    .uses_dynamic_stack: false
    .vgpr_count:     0
    .vgpr_spill_count: 0
    .wavefront_size: 64
  - .agpr_count:     0
    .args:
      - .offset:         0
        .size:           104
        .value_kind:     by_value
    .group_segment_fixed_size: 0
    .kernarg_segment_align: 8
    .kernarg_segment_size: 104
    .language:       OpenCL C
    .language_version:
      - 2
      - 0
    .max_flat_workgroup_size: 256
    .name:           _ZN7rocprim17ROCPRIM_400000_NS6detail17trampoline_kernelINS0_14default_configENS1_20scan_config_selectorIN3c107complexIfEEEEZZNS1_9scan_implILNS1_25lookback_scan_determinismE0ELb0ELb0ES3_PKS7_PS7_S7_ZZZN2at6native31launch_logcumsumexp_cuda_kernelERKNSE_10TensorBaseESI_lENKUlvE_clEvENKUlvE2_clEvEUlS7_S7_E_S7_EEDaPvRmT3_T4_T5_mT6_P12ihipStream_tbENKUlT_T0_E_clISt17integral_constantIbLb1EESZ_EEDaSU_SV_EUlSU_E_NS1_11comp_targetILNS1_3genE10ELNS1_11target_archE1200ELNS1_3gpuE4ELNS1_3repE0EEENS1_30default_config_static_selectorELNS0_4arch9wavefront6targetE1EEEvT1_
    .private_segment_fixed_size: 0
    .sgpr_count:     6
    .sgpr_spill_count: 0
    .symbol:         _ZN7rocprim17ROCPRIM_400000_NS6detail17trampoline_kernelINS0_14default_configENS1_20scan_config_selectorIN3c107complexIfEEEEZZNS1_9scan_implILNS1_25lookback_scan_determinismE0ELb0ELb0ES3_PKS7_PS7_S7_ZZZN2at6native31launch_logcumsumexp_cuda_kernelERKNSE_10TensorBaseESI_lENKUlvE_clEvENKUlvE2_clEvEUlS7_S7_E_S7_EEDaPvRmT3_T4_T5_mT6_P12ihipStream_tbENKUlT_T0_E_clISt17integral_constantIbLb1EESZ_EEDaSU_SV_EUlSU_E_NS1_11comp_targetILNS1_3genE10ELNS1_11target_archE1200ELNS1_3gpuE4ELNS1_3repE0EEENS1_30default_config_static_selectorELNS0_4arch9wavefront6targetE1EEEvT1_.kd
    .uniform_work_group_size: 1
    .uses_dynamic_stack: false
    .vgpr_count:     0
    .vgpr_spill_count: 0
    .wavefront_size: 64
  - .agpr_count:     0
    .args:
      - .offset:         0
        .size:           104
        .value_kind:     by_value
    .group_segment_fixed_size: 0
    .kernarg_segment_align: 8
    .kernarg_segment_size: 104
    .language:       OpenCL C
    .language_version:
      - 2
      - 0
    .max_flat_workgroup_size: 256
    .name:           _ZN7rocprim17ROCPRIM_400000_NS6detail17trampoline_kernelINS0_14default_configENS1_20scan_config_selectorIN3c107complexIfEEEEZZNS1_9scan_implILNS1_25lookback_scan_determinismE0ELb0ELb0ES3_PKS7_PS7_S7_ZZZN2at6native31launch_logcumsumexp_cuda_kernelERKNSE_10TensorBaseESI_lENKUlvE_clEvENKUlvE2_clEvEUlS7_S7_E_S7_EEDaPvRmT3_T4_T5_mT6_P12ihipStream_tbENKUlT_T0_E_clISt17integral_constantIbLb1EESZ_EEDaSU_SV_EUlSU_E_NS1_11comp_targetILNS1_3genE9ELNS1_11target_archE1100ELNS1_3gpuE3ELNS1_3repE0EEENS1_30default_config_static_selectorELNS0_4arch9wavefront6targetE1EEEvT1_
    .private_segment_fixed_size: 0
    .sgpr_count:     6
    .sgpr_spill_count: 0
    .symbol:         _ZN7rocprim17ROCPRIM_400000_NS6detail17trampoline_kernelINS0_14default_configENS1_20scan_config_selectorIN3c107complexIfEEEEZZNS1_9scan_implILNS1_25lookback_scan_determinismE0ELb0ELb0ES3_PKS7_PS7_S7_ZZZN2at6native31launch_logcumsumexp_cuda_kernelERKNSE_10TensorBaseESI_lENKUlvE_clEvENKUlvE2_clEvEUlS7_S7_E_S7_EEDaPvRmT3_T4_T5_mT6_P12ihipStream_tbENKUlT_T0_E_clISt17integral_constantIbLb1EESZ_EEDaSU_SV_EUlSU_E_NS1_11comp_targetILNS1_3genE9ELNS1_11target_archE1100ELNS1_3gpuE3ELNS1_3repE0EEENS1_30default_config_static_selectorELNS0_4arch9wavefront6targetE1EEEvT1_.kd
    .uniform_work_group_size: 1
    .uses_dynamic_stack: false
    .vgpr_count:     0
    .vgpr_spill_count: 0
    .wavefront_size: 64
  - .agpr_count:     0
    .args:
      - .offset:         0
        .size:           104
        .value_kind:     by_value
    .group_segment_fixed_size: 0
    .kernarg_segment_align: 8
    .kernarg_segment_size: 104
    .language:       OpenCL C
    .language_version:
      - 2
      - 0
    .max_flat_workgroup_size: 256
    .name:           _ZN7rocprim17ROCPRIM_400000_NS6detail17trampoline_kernelINS0_14default_configENS1_20scan_config_selectorIN3c107complexIfEEEEZZNS1_9scan_implILNS1_25lookback_scan_determinismE0ELb0ELb0ES3_PKS7_PS7_S7_ZZZN2at6native31launch_logcumsumexp_cuda_kernelERKNSE_10TensorBaseESI_lENKUlvE_clEvENKUlvE2_clEvEUlS7_S7_E_S7_EEDaPvRmT3_T4_T5_mT6_P12ihipStream_tbENKUlT_T0_E_clISt17integral_constantIbLb1EESZ_EEDaSU_SV_EUlSU_E_NS1_11comp_targetILNS1_3genE8ELNS1_11target_archE1030ELNS1_3gpuE2ELNS1_3repE0EEENS1_30default_config_static_selectorELNS0_4arch9wavefront6targetE1EEEvT1_
    .private_segment_fixed_size: 0
    .sgpr_count:     6
    .sgpr_spill_count: 0
    .symbol:         _ZN7rocprim17ROCPRIM_400000_NS6detail17trampoline_kernelINS0_14default_configENS1_20scan_config_selectorIN3c107complexIfEEEEZZNS1_9scan_implILNS1_25lookback_scan_determinismE0ELb0ELb0ES3_PKS7_PS7_S7_ZZZN2at6native31launch_logcumsumexp_cuda_kernelERKNSE_10TensorBaseESI_lENKUlvE_clEvENKUlvE2_clEvEUlS7_S7_E_S7_EEDaPvRmT3_T4_T5_mT6_P12ihipStream_tbENKUlT_T0_E_clISt17integral_constantIbLb1EESZ_EEDaSU_SV_EUlSU_E_NS1_11comp_targetILNS1_3genE8ELNS1_11target_archE1030ELNS1_3gpuE2ELNS1_3repE0EEENS1_30default_config_static_selectorELNS0_4arch9wavefront6targetE1EEEvT1_.kd
    .uniform_work_group_size: 1
    .uses_dynamic_stack: false
    .vgpr_count:     0
    .vgpr_spill_count: 0
    .wavefront_size: 64
  - .agpr_count:     0
    .args:
      - .offset:         0
        .size:           40
        .value_kind:     by_value
    .group_segment_fixed_size: 12288
    .kernarg_segment_align: 8
    .kernarg_segment_size: 40
    .language:       OpenCL C
    .language_version:
      - 2
      - 0
    .max_flat_workgroup_size: 256
    .name:           _ZN7rocprim17ROCPRIM_400000_NS6detail17trampoline_kernelINS0_14default_configENS1_20scan_config_selectorIN3c107complexIfEEEEZZNS1_9scan_implILNS1_25lookback_scan_determinismE0ELb0ELb0ES3_PKS7_PS7_S7_ZZZN2at6native31launch_logcumsumexp_cuda_kernelERKNSE_10TensorBaseESI_lENKUlvE_clEvENKUlvE2_clEvEUlS7_S7_E_S7_EEDaPvRmT3_T4_T5_mT6_P12ihipStream_tbENKUlT_T0_E_clISt17integral_constantIbLb1EESZ_EEDaSU_SV_EUlSU_E0_NS1_11comp_targetILNS1_3genE0ELNS1_11target_archE4294967295ELNS1_3gpuE0ELNS1_3repE0EEENS1_30default_config_static_selectorELNS0_4arch9wavefront6targetE1EEEvT1_
    .private_segment_fixed_size: 0
    .sgpr_count:     44
    .sgpr_spill_count: 0
    .symbol:         _ZN7rocprim17ROCPRIM_400000_NS6detail17trampoline_kernelINS0_14default_configENS1_20scan_config_selectorIN3c107complexIfEEEEZZNS1_9scan_implILNS1_25lookback_scan_determinismE0ELb0ELb0ES3_PKS7_PS7_S7_ZZZN2at6native31launch_logcumsumexp_cuda_kernelERKNSE_10TensorBaseESI_lENKUlvE_clEvENKUlvE2_clEvEUlS7_S7_E_S7_EEDaPvRmT3_T4_T5_mT6_P12ihipStream_tbENKUlT_T0_E_clISt17integral_constantIbLb1EESZ_EEDaSU_SV_EUlSU_E0_NS1_11comp_targetILNS1_3genE0ELNS1_11target_archE4294967295ELNS1_3gpuE0ELNS1_3repE0EEENS1_30default_config_static_selectorELNS0_4arch9wavefront6targetE1EEEvT1_.kd
    .uniform_work_group_size: 1
    .uses_dynamic_stack: false
    .vgpr_count:     58
    .vgpr_spill_count: 0
    .wavefront_size: 64
  - .agpr_count:     0
    .args:
      - .offset:         0
        .size:           40
        .value_kind:     by_value
    .group_segment_fixed_size: 0
    .kernarg_segment_align: 8
    .kernarg_segment_size: 40
    .language:       OpenCL C
    .language_version:
      - 2
      - 0
    .max_flat_workgroup_size: 256
    .name:           _ZN7rocprim17ROCPRIM_400000_NS6detail17trampoline_kernelINS0_14default_configENS1_20scan_config_selectorIN3c107complexIfEEEEZZNS1_9scan_implILNS1_25lookback_scan_determinismE0ELb0ELb0ES3_PKS7_PS7_S7_ZZZN2at6native31launch_logcumsumexp_cuda_kernelERKNSE_10TensorBaseESI_lENKUlvE_clEvENKUlvE2_clEvEUlS7_S7_E_S7_EEDaPvRmT3_T4_T5_mT6_P12ihipStream_tbENKUlT_T0_E_clISt17integral_constantIbLb1EESZ_EEDaSU_SV_EUlSU_E0_NS1_11comp_targetILNS1_3genE5ELNS1_11target_archE942ELNS1_3gpuE9ELNS1_3repE0EEENS1_30default_config_static_selectorELNS0_4arch9wavefront6targetE1EEEvT1_
    .private_segment_fixed_size: 0
    .sgpr_count:     6
    .sgpr_spill_count: 0
    .symbol:         _ZN7rocprim17ROCPRIM_400000_NS6detail17trampoline_kernelINS0_14default_configENS1_20scan_config_selectorIN3c107complexIfEEEEZZNS1_9scan_implILNS1_25lookback_scan_determinismE0ELb0ELb0ES3_PKS7_PS7_S7_ZZZN2at6native31launch_logcumsumexp_cuda_kernelERKNSE_10TensorBaseESI_lENKUlvE_clEvENKUlvE2_clEvEUlS7_S7_E_S7_EEDaPvRmT3_T4_T5_mT6_P12ihipStream_tbENKUlT_T0_E_clISt17integral_constantIbLb1EESZ_EEDaSU_SV_EUlSU_E0_NS1_11comp_targetILNS1_3genE5ELNS1_11target_archE942ELNS1_3gpuE9ELNS1_3repE0EEENS1_30default_config_static_selectorELNS0_4arch9wavefront6targetE1EEEvT1_.kd
    .uniform_work_group_size: 1
    .uses_dynamic_stack: false
    .vgpr_count:     0
    .vgpr_spill_count: 0
    .wavefront_size: 64
  - .agpr_count:     0
    .args:
      - .offset:         0
        .size:           40
        .value_kind:     by_value
    .group_segment_fixed_size: 0
    .kernarg_segment_align: 8
    .kernarg_segment_size: 40
    .language:       OpenCL C
    .language_version:
      - 2
      - 0
    .max_flat_workgroup_size: 128
    .name:           _ZN7rocprim17ROCPRIM_400000_NS6detail17trampoline_kernelINS0_14default_configENS1_20scan_config_selectorIN3c107complexIfEEEEZZNS1_9scan_implILNS1_25lookback_scan_determinismE0ELb0ELb0ES3_PKS7_PS7_S7_ZZZN2at6native31launch_logcumsumexp_cuda_kernelERKNSE_10TensorBaseESI_lENKUlvE_clEvENKUlvE2_clEvEUlS7_S7_E_S7_EEDaPvRmT3_T4_T5_mT6_P12ihipStream_tbENKUlT_T0_E_clISt17integral_constantIbLb1EESZ_EEDaSU_SV_EUlSU_E0_NS1_11comp_targetILNS1_3genE4ELNS1_11target_archE910ELNS1_3gpuE8ELNS1_3repE0EEENS1_30default_config_static_selectorELNS0_4arch9wavefront6targetE1EEEvT1_
    .private_segment_fixed_size: 0
    .sgpr_count:     6
    .sgpr_spill_count: 0
    .symbol:         _ZN7rocprim17ROCPRIM_400000_NS6detail17trampoline_kernelINS0_14default_configENS1_20scan_config_selectorIN3c107complexIfEEEEZZNS1_9scan_implILNS1_25lookback_scan_determinismE0ELb0ELb0ES3_PKS7_PS7_S7_ZZZN2at6native31launch_logcumsumexp_cuda_kernelERKNSE_10TensorBaseESI_lENKUlvE_clEvENKUlvE2_clEvEUlS7_S7_E_S7_EEDaPvRmT3_T4_T5_mT6_P12ihipStream_tbENKUlT_T0_E_clISt17integral_constantIbLb1EESZ_EEDaSU_SV_EUlSU_E0_NS1_11comp_targetILNS1_3genE4ELNS1_11target_archE910ELNS1_3gpuE8ELNS1_3repE0EEENS1_30default_config_static_selectorELNS0_4arch9wavefront6targetE1EEEvT1_.kd
    .uniform_work_group_size: 1
    .uses_dynamic_stack: false
    .vgpr_count:     0
    .vgpr_spill_count: 0
    .wavefront_size: 64
  - .agpr_count:     0
    .args:
      - .offset:         0
        .size:           40
        .value_kind:     by_value
    .group_segment_fixed_size: 0
    .kernarg_segment_align: 8
    .kernarg_segment_size: 40
    .language:       OpenCL C
    .language_version:
      - 2
      - 0
    .max_flat_workgroup_size: 256
    .name:           _ZN7rocprim17ROCPRIM_400000_NS6detail17trampoline_kernelINS0_14default_configENS1_20scan_config_selectorIN3c107complexIfEEEEZZNS1_9scan_implILNS1_25lookback_scan_determinismE0ELb0ELb0ES3_PKS7_PS7_S7_ZZZN2at6native31launch_logcumsumexp_cuda_kernelERKNSE_10TensorBaseESI_lENKUlvE_clEvENKUlvE2_clEvEUlS7_S7_E_S7_EEDaPvRmT3_T4_T5_mT6_P12ihipStream_tbENKUlT_T0_E_clISt17integral_constantIbLb1EESZ_EEDaSU_SV_EUlSU_E0_NS1_11comp_targetILNS1_3genE3ELNS1_11target_archE908ELNS1_3gpuE7ELNS1_3repE0EEENS1_30default_config_static_selectorELNS0_4arch9wavefront6targetE1EEEvT1_
    .private_segment_fixed_size: 0
    .sgpr_count:     6
    .sgpr_spill_count: 0
    .symbol:         _ZN7rocprim17ROCPRIM_400000_NS6detail17trampoline_kernelINS0_14default_configENS1_20scan_config_selectorIN3c107complexIfEEEEZZNS1_9scan_implILNS1_25lookback_scan_determinismE0ELb0ELb0ES3_PKS7_PS7_S7_ZZZN2at6native31launch_logcumsumexp_cuda_kernelERKNSE_10TensorBaseESI_lENKUlvE_clEvENKUlvE2_clEvEUlS7_S7_E_S7_EEDaPvRmT3_T4_T5_mT6_P12ihipStream_tbENKUlT_T0_E_clISt17integral_constantIbLb1EESZ_EEDaSU_SV_EUlSU_E0_NS1_11comp_targetILNS1_3genE3ELNS1_11target_archE908ELNS1_3gpuE7ELNS1_3repE0EEENS1_30default_config_static_selectorELNS0_4arch9wavefront6targetE1EEEvT1_.kd
    .uniform_work_group_size: 1
    .uses_dynamic_stack: false
    .vgpr_count:     0
    .vgpr_spill_count: 0
    .wavefront_size: 64
  - .agpr_count:     0
    .args:
      - .offset:         0
        .size:           40
        .value_kind:     by_value
    .group_segment_fixed_size: 0
    .kernarg_segment_align: 8
    .kernarg_segment_size: 40
    .language:       OpenCL C
    .language_version:
      - 2
      - 0
    .max_flat_workgroup_size: 64
    .name:           _ZN7rocprim17ROCPRIM_400000_NS6detail17trampoline_kernelINS0_14default_configENS1_20scan_config_selectorIN3c107complexIfEEEEZZNS1_9scan_implILNS1_25lookback_scan_determinismE0ELb0ELb0ES3_PKS7_PS7_S7_ZZZN2at6native31launch_logcumsumexp_cuda_kernelERKNSE_10TensorBaseESI_lENKUlvE_clEvENKUlvE2_clEvEUlS7_S7_E_S7_EEDaPvRmT3_T4_T5_mT6_P12ihipStream_tbENKUlT_T0_E_clISt17integral_constantIbLb1EESZ_EEDaSU_SV_EUlSU_E0_NS1_11comp_targetILNS1_3genE2ELNS1_11target_archE906ELNS1_3gpuE6ELNS1_3repE0EEENS1_30default_config_static_selectorELNS0_4arch9wavefront6targetE1EEEvT1_
    .private_segment_fixed_size: 0
    .sgpr_count:     6
    .sgpr_spill_count: 0
    .symbol:         _ZN7rocprim17ROCPRIM_400000_NS6detail17trampoline_kernelINS0_14default_configENS1_20scan_config_selectorIN3c107complexIfEEEEZZNS1_9scan_implILNS1_25lookback_scan_determinismE0ELb0ELb0ES3_PKS7_PS7_S7_ZZZN2at6native31launch_logcumsumexp_cuda_kernelERKNSE_10TensorBaseESI_lENKUlvE_clEvENKUlvE2_clEvEUlS7_S7_E_S7_EEDaPvRmT3_T4_T5_mT6_P12ihipStream_tbENKUlT_T0_E_clISt17integral_constantIbLb1EESZ_EEDaSU_SV_EUlSU_E0_NS1_11comp_targetILNS1_3genE2ELNS1_11target_archE906ELNS1_3gpuE6ELNS1_3repE0EEENS1_30default_config_static_selectorELNS0_4arch9wavefront6targetE1EEEvT1_.kd
    .uniform_work_group_size: 1
    .uses_dynamic_stack: false
    .vgpr_count:     0
    .vgpr_spill_count: 0
    .wavefront_size: 64
  - .agpr_count:     0
    .args:
      - .offset:         0
        .size:           40
        .value_kind:     by_value
    .group_segment_fixed_size: 0
    .kernarg_segment_align: 8
    .kernarg_segment_size: 40
    .language:       OpenCL C
    .language_version:
      - 2
      - 0
    .max_flat_workgroup_size: 256
    .name:           _ZN7rocprim17ROCPRIM_400000_NS6detail17trampoline_kernelINS0_14default_configENS1_20scan_config_selectorIN3c107complexIfEEEEZZNS1_9scan_implILNS1_25lookback_scan_determinismE0ELb0ELb0ES3_PKS7_PS7_S7_ZZZN2at6native31launch_logcumsumexp_cuda_kernelERKNSE_10TensorBaseESI_lENKUlvE_clEvENKUlvE2_clEvEUlS7_S7_E_S7_EEDaPvRmT3_T4_T5_mT6_P12ihipStream_tbENKUlT_T0_E_clISt17integral_constantIbLb1EESZ_EEDaSU_SV_EUlSU_E0_NS1_11comp_targetILNS1_3genE10ELNS1_11target_archE1201ELNS1_3gpuE5ELNS1_3repE0EEENS1_30default_config_static_selectorELNS0_4arch9wavefront6targetE1EEEvT1_
    .private_segment_fixed_size: 0
    .sgpr_count:     6
    .sgpr_spill_count: 0
    .symbol:         _ZN7rocprim17ROCPRIM_400000_NS6detail17trampoline_kernelINS0_14default_configENS1_20scan_config_selectorIN3c107complexIfEEEEZZNS1_9scan_implILNS1_25lookback_scan_determinismE0ELb0ELb0ES3_PKS7_PS7_S7_ZZZN2at6native31launch_logcumsumexp_cuda_kernelERKNSE_10TensorBaseESI_lENKUlvE_clEvENKUlvE2_clEvEUlS7_S7_E_S7_EEDaPvRmT3_T4_T5_mT6_P12ihipStream_tbENKUlT_T0_E_clISt17integral_constantIbLb1EESZ_EEDaSU_SV_EUlSU_E0_NS1_11comp_targetILNS1_3genE10ELNS1_11target_archE1201ELNS1_3gpuE5ELNS1_3repE0EEENS1_30default_config_static_selectorELNS0_4arch9wavefront6targetE1EEEvT1_.kd
    .uniform_work_group_size: 1
    .uses_dynamic_stack: false
    .vgpr_count:     0
    .vgpr_spill_count: 0
    .wavefront_size: 64
  - .agpr_count:     0
    .args:
      - .offset:         0
        .size:           40
        .value_kind:     by_value
    .group_segment_fixed_size: 0
    .kernarg_segment_align: 8
    .kernarg_segment_size: 40
    .language:       OpenCL C
    .language_version:
      - 2
      - 0
    .max_flat_workgroup_size: 256
    .name:           _ZN7rocprim17ROCPRIM_400000_NS6detail17trampoline_kernelINS0_14default_configENS1_20scan_config_selectorIN3c107complexIfEEEEZZNS1_9scan_implILNS1_25lookback_scan_determinismE0ELb0ELb0ES3_PKS7_PS7_S7_ZZZN2at6native31launch_logcumsumexp_cuda_kernelERKNSE_10TensorBaseESI_lENKUlvE_clEvENKUlvE2_clEvEUlS7_S7_E_S7_EEDaPvRmT3_T4_T5_mT6_P12ihipStream_tbENKUlT_T0_E_clISt17integral_constantIbLb1EESZ_EEDaSU_SV_EUlSU_E0_NS1_11comp_targetILNS1_3genE10ELNS1_11target_archE1200ELNS1_3gpuE4ELNS1_3repE0EEENS1_30default_config_static_selectorELNS0_4arch9wavefront6targetE1EEEvT1_
    .private_segment_fixed_size: 0
    .sgpr_count:     6
    .sgpr_spill_count: 0
    .symbol:         _ZN7rocprim17ROCPRIM_400000_NS6detail17trampoline_kernelINS0_14default_configENS1_20scan_config_selectorIN3c107complexIfEEEEZZNS1_9scan_implILNS1_25lookback_scan_determinismE0ELb0ELb0ES3_PKS7_PS7_S7_ZZZN2at6native31launch_logcumsumexp_cuda_kernelERKNSE_10TensorBaseESI_lENKUlvE_clEvENKUlvE2_clEvEUlS7_S7_E_S7_EEDaPvRmT3_T4_T5_mT6_P12ihipStream_tbENKUlT_T0_E_clISt17integral_constantIbLb1EESZ_EEDaSU_SV_EUlSU_E0_NS1_11comp_targetILNS1_3genE10ELNS1_11target_archE1200ELNS1_3gpuE4ELNS1_3repE0EEENS1_30default_config_static_selectorELNS0_4arch9wavefront6targetE1EEEvT1_.kd
    .uniform_work_group_size: 1
    .uses_dynamic_stack: false
    .vgpr_count:     0
    .vgpr_spill_count: 0
    .wavefront_size: 64
  - .agpr_count:     0
    .args:
      - .offset:         0
        .size:           40
        .value_kind:     by_value
    .group_segment_fixed_size: 0
    .kernarg_segment_align: 8
    .kernarg_segment_size: 40
    .language:       OpenCL C
    .language_version:
      - 2
      - 0
    .max_flat_workgroup_size: 256
    .name:           _ZN7rocprim17ROCPRIM_400000_NS6detail17trampoline_kernelINS0_14default_configENS1_20scan_config_selectorIN3c107complexIfEEEEZZNS1_9scan_implILNS1_25lookback_scan_determinismE0ELb0ELb0ES3_PKS7_PS7_S7_ZZZN2at6native31launch_logcumsumexp_cuda_kernelERKNSE_10TensorBaseESI_lENKUlvE_clEvENKUlvE2_clEvEUlS7_S7_E_S7_EEDaPvRmT3_T4_T5_mT6_P12ihipStream_tbENKUlT_T0_E_clISt17integral_constantIbLb1EESZ_EEDaSU_SV_EUlSU_E0_NS1_11comp_targetILNS1_3genE9ELNS1_11target_archE1100ELNS1_3gpuE3ELNS1_3repE0EEENS1_30default_config_static_selectorELNS0_4arch9wavefront6targetE1EEEvT1_
    .private_segment_fixed_size: 0
    .sgpr_count:     6
    .sgpr_spill_count: 0
    .symbol:         _ZN7rocprim17ROCPRIM_400000_NS6detail17trampoline_kernelINS0_14default_configENS1_20scan_config_selectorIN3c107complexIfEEEEZZNS1_9scan_implILNS1_25lookback_scan_determinismE0ELb0ELb0ES3_PKS7_PS7_S7_ZZZN2at6native31launch_logcumsumexp_cuda_kernelERKNSE_10TensorBaseESI_lENKUlvE_clEvENKUlvE2_clEvEUlS7_S7_E_S7_EEDaPvRmT3_T4_T5_mT6_P12ihipStream_tbENKUlT_T0_E_clISt17integral_constantIbLb1EESZ_EEDaSU_SV_EUlSU_E0_NS1_11comp_targetILNS1_3genE9ELNS1_11target_archE1100ELNS1_3gpuE3ELNS1_3repE0EEENS1_30default_config_static_selectorELNS0_4arch9wavefront6targetE1EEEvT1_.kd
    .uniform_work_group_size: 1
    .uses_dynamic_stack: false
    .vgpr_count:     0
    .vgpr_spill_count: 0
    .wavefront_size: 64
  - .agpr_count:     0
    .args:
      - .offset:         0
        .size:           40
        .value_kind:     by_value
    .group_segment_fixed_size: 0
    .kernarg_segment_align: 8
    .kernarg_segment_size: 40
    .language:       OpenCL C
    .language_version:
      - 2
      - 0
    .max_flat_workgroup_size: 256
    .name:           _ZN7rocprim17ROCPRIM_400000_NS6detail17trampoline_kernelINS0_14default_configENS1_20scan_config_selectorIN3c107complexIfEEEEZZNS1_9scan_implILNS1_25lookback_scan_determinismE0ELb0ELb0ES3_PKS7_PS7_S7_ZZZN2at6native31launch_logcumsumexp_cuda_kernelERKNSE_10TensorBaseESI_lENKUlvE_clEvENKUlvE2_clEvEUlS7_S7_E_S7_EEDaPvRmT3_T4_T5_mT6_P12ihipStream_tbENKUlT_T0_E_clISt17integral_constantIbLb1EESZ_EEDaSU_SV_EUlSU_E0_NS1_11comp_targetILNS1_3genE8ELNS1_11target_archE1030ELNS1_3gpuE2ELNS1_3repE0EEENS1_30default_config_static_selectorELNS0_4arch9wavefront6targetE1EEEvT1_
    .private_segment_fixed_size: 0
    .sgpr_count:     6
    .sgpr_spill_count: 0
    .symbol:         _ZN7rocprim17ROCPRIM_400000_NS6detail17trampoline_kernelINS0_14default_configENS1_20scan_config_selectorIN3c107complexIfEEEEZZNS1_9scan_implILNS1_25lookback_scan_determinismE0ELb0ELb0ES3_PKS7_PS7_S7_ZZZN2at6native31launch_logcumsumexp_cuda_kernelERKNSE_10TensorBaseESI_lENKUlvE_clEvENKUlvE2_clEvEUlS7_S7_E_S7_EEDaPvRmT3_T4_T5_mT6_P12ihipStream_tbENKUlT_T0_E_clISt17integral_constantIbLb1EESZ_EEDaSU_SV_EUlSU_E0_NS1_11comp_targetILNS1_3genE8ELNS1_11target_archE1030ELNS1_3gpuE2ELNS1_3repE0EEENS1_30default_config_static_selectorELNS0_4arch9wavefront6targetE1EEEvT1_.kd
    .uniform_work_group_size: 1
    .uses_dynamic_stack: false
    .vgpr_count:     0
    .vgpr_spill_count: 0
    .wavefront_size: 64
  - .agpr_count:     0
    .args:
      - .address_space:  global
        .offset:         0
        .size:           8
        .value_kind:     global_buffer
      - .offset:         8
        .size:           4
        .value_kind:     by_value
      - .offset:         12
        .size:           1
        .value_kind:     by_value
      - .offset:         16
        .size:           4
        .value_kind:     by_value
      - .address_space:  global
        .offset:         24
        .size:           8
        .value_kind:     global_buffer
      - .offset:         32
        .size:           4
        .value_kind:     hidden_block_count_x
      - .offset:         36
        .size:           4
        .value_kind:     hidden_block_count_y
      - .offset:         40
        .size:           4
        .value_kind:     hidden_block_count_z
      - .offset:         44
        .size:           2
        .value_kind:     hidden_group_size_x
      - .offset:         46
        .size:           2
        .value_kind:     hidden_group_size_y
      - .offset:         48
        .size:           2
        .value_kind:     hidden_group_size_z
      - .offset:         50
        .size:           2
        .value_kind:     hidden_remainder_x
      - .offset:         52
        .size:           2
        .value_kind:     hidden_remainder_y
      - .offset:         54
        .size:           2
        .value_kind:     hidden_remainder_z
      - .offset:         72
        .size:           8
        .value_kind:     hidden_global_offset_x
      - .offset:         80
        .size:           8
        .value_kind:     hidden_global_offset_y
      - .offset:         88
        .size:           8
        .value_kind:     hidden_global_offset_z
      - .offset:         96
        .size:           2
        .value_kind:     hidden_grid_dims
    .group_segment_fixed_size: 0
    .kernarg_segment_align: 8
    .kernarg_segment_size: 288
    .language:       OpenCL C
    .language_version:
      - 2
      - 0
    .max_flat_workgroup_size: 256
    .name:           _ZN7rocprim17ROCPRIM_400000_NS6detail31init_lookback_scan_state_kernelINS1_19lookback_scan_stateIN3c107complexIfEELb1ELb1EEENS1_16block_id_wrapperIjLb0EEEEEvT_jT0_jPNSA_10value_typeE
    .private_segment_fixed_size: 0
    .sgpr_count:     20
    .sgpr_spill_count: 0
    .symbol:         _ZN7rocprim17ROCPRIM_400000_NS6detail31init_lookback_scan_state_kernelINS1_19lookback_scan_stateIN3c107complexIfEELb1ELb1EEENS1_16block_id_wrapperIjLb0EEEEEvT_jT0_jPNSA_10value_typeE.kd
    .uniform_work_group_size: 1
    .uses_dynamic_stack: false
    .vgpr_count:     10
    .vgpr_spill_count: 0
    .wavefront_size: 64
  - .agpr_count:     0
    .args:
      - .offset:         0
        .size:           104
        .value_kind:     by_value
    .group_segment_fixed_size: 0
    .kernarg_segment_align: 8
    .kernarg_segment_size: 104
    .language:       OpenCL C
    .language_version:
      - 2
      - 0
    .max_flat_workgroup_size: 256
    .name:           _ZN7rocprim17ROCPRIM_400000_NS6detail17trampoline_kernelINS0_14default_configENS1_20scan_config_selectorIN3c107complexIfEEEEZZNS1_9scan_implILNS1_25lookback_scan_determinismE0ELb0ELb0ES3_PKS7_PS7_S7_ZZZN2at6native31launch_logcumsumexp_cuda_kernelERKNSE_10TensorBaseESI_lENKUlvE_clEvENKUlvE2_clEvEUlS7_S7_E_S7_EEDaPvRmT3_T4_T5_mT6_P12ihipStream_tbENKUlT_T0_E_clISt17integral_constantIbLb1EESY_IbLb0EEEEDaSU_SV_EUlSU_E_NS1_11comp_targetILNS1_3genE0ELNS1_11target_archE4294967295ELNS1_3gpuE0ELNS1_3repE0EEENS1_30default_config_static_selectorELNS0_4arch9wavefront6targetE1EEEvT1_
    .private_segment_fixed_size: 0
    .sgpr_count:     6
    .sgpr_spill_count: 0
    .symbol:         _ZN7rocprim17ROCPRIM_400000_NS6detail17trampoline_kernelINS0_14default_configENS1_20scan_config_selectorIN3c107complexIfEEEEZZNS1_9scan_implILNS1_25lookback_scan_determinismE0ELb0ELb0ES3_PKS7_PS7_S7_ZZZN2at6native31launch_logcumsumexp_cuda_kernelERKNSE_10TensorBaseESI_lENKUlvE_clEvENKUlvE2_clEvEUlS7_S7_E_S7_EEDaPvRmT3_T4_T5_mT6_P12ihipStream_tbENKUlT_T0_E_clISt17integral_constantIbLb1EESY_IbLb0EEEEDaSU_SV_EUlSU_E_NS1_11comp_targetILNS1_3genE0ELNS1_11target_archE4294967295ELNS1_3gpuE0ELNS1_3repE0EEENS1_30default_config_static_selectorELNS0_4arch9wavefront6targetE1EEEvT1_.kd
    .uniform_work_group_size: 1
    .uses_dynamic_stack: false
    .vgpr_count:     0
    .vgpr_spill_count: 0
    .wavefront_size: 64
  - .agpr_count:     0
    .args:
      - .offset:         0
        .size:           104
        .value_kind:     by_value
    .group_segment_fixed_size: 0
    .kernarg_segment_align: 8
    .kernarg_segment_size: 104
    .language:       OpenCL C
    .language_version:
      - 2
      - 0
    .max_flat_workgroup_size: 256
    .name:           _ZN7rocprim17ROCPRIM_400000_NS6detail17trampoline_kernelINS0_14default_configENS1_20scan_config_selectorIN3c107complexIfEEEEZZNS1_9scan_implILNS1_25lookback_scan_determinismE0ELb0ELb0ES3_PKS7_PS7_S7_ZZZN2at6native31launch_logcumsumexp_cuda_kernelERKNSE_10TensorBaseESI_lENKUlvE_clEvENKUlvE2_clEvEUlS7_S7_E_S7_EEDaPvRmT3_T4_T5_mT6_P12ihipStream_tbENKUlT_T0_E_clISt17integral_constantIbLb1EESY_IbLb0EEEEDaSU_SV_EUlSU_E_NS1_11comp_targetILNS1_3genE5ELNS1_11target_archE942ELNS1_3gpuE9ELNS1_3repE0EEENS1_30default_config_static_selectorELNS0_4arch9wavefront6targetE1EEEvT1_
    .private_segment_fixed_size: 0
    .sgpr_count:     6
    .sgpr_spill_count: 0
    .symbol:         _ZN7rocprim17ROCPRIM_400000_NS6detail17trampoline_kernelINS0_14default_configENS1_20scan_config_selectorIN3c107complexIfEEEEZZNS1_9scan_implILNS1_25lookback_scan_determinismE0ELb0ELb0ES3_PKS7_PS7_S7_ZZZN2at6native31launch_logcumsumexp_cuda_kernelERKNSE_10TensorBaseESI_lENKUlvE_clEvENKUlvE2_clEvEUlS7_S7_E_S7_EEDaPvRmT3_T4_T5_mT6_P12ihipStream_tbENKUlT_T0_E_clISt17integral_constantIbLb1EESY_IbLb0EEEEDaSU_SV_EUlSU_E_NS1_11comp_targetILNS1_3genE5ELNS1_11target_archE942ELNS1_3gpuE9ELNS1_3repE0EEENS1_30default_config_static_selectorELNS0_4arch9wavefront6targetE1EEEvT1_.kd
    .uniform_work_group_size: 1
    .uses_dynamic_stack: false
    .vgpr_count:     0
    .vgpr_spill_count: 0
    .wavefront_size: 64
  - .agpr_count:     0
    .args:
      - .offset:         0
        .size:           104
        .value_kind:     by_value
    .group_segment_fixed_size: 0
    .kernarg_segment_align: 8
    .kernarg_segment_size: 104
    .language:       OpenCL C
    .language_version:
      - 2
      - 0
    .max_flat_workgroup_size: 128
    .name:           _ZN7rocprim17ROCPRIM_400000_NS6detail17trampoline_kernelINS0_14default_configENS1_20scan_config_selectorIN3c107complexIfEEEEZZNS1_9scan_implILNS1_25lookback_scan_determinismE0ELb0ELb0ES3_PKS7_PS7_S7_ZZZN2at6native31launch_logcumsumexp_cuda_kernelERKNSE_10TensorBaseESI_lENKUlvE_clEvENKUlvE2_clEvEUlS7_S7_E_S7_EEDaPvRmT3_T4_T5_mT6_P12ihipStream_tbENKUlT_T0_E_clISt17integral_constantIbLb1EESY_IbLb0EEEEDaSU_SV_EUlSU_E_NS1_11comp_targetILNS1_3genE4ELNS1_11target_archE910ELNS1_3gpuE8ELNS1_3repE0EEENS1_30default_config_static_selectorELNS0_4arch9wavefront6targetE1EEEvT1_
    .private_segment_fixed_size: 0
    .sgpr_count:     6
    .sgpr_spill_count: 0
    .symbol:         _ZN7rocprim17ROCPRIM_400000_NS6detail17trampoline_kernelINS0_14default_configENS1_20scan_config_selectorIN3c107complexIfEEEEZZNS1_9scan_implILNS1_25lookback_scan_determinismE0ELb0ELb0ES3_PKS7_PS7_S7_ZZZN2at6native31launch_logcumsumexp_cuda_kernelERKNSE_10TensorBaseESI_lENKUlvE_clEvENKUlvE2_clEvEUlS7_S7_E_S7_EEDaPvRmT3_T4_T5_mT6_P12ihipStream_tbENKUlT_T0_E_clISt17integral_constantIbLb1EESY_IbLb0EEEEDaSU_SV_EUlSU_E_NS1_11comp_targetILNS1_3genE4ELNS1_11target_archE910ELNS1_3gpuE8ELNS1_3repE0EEENS1_30default_config_static_selectorELNS0_4arch9wavefront6targetE1EEEvT1_.kd
    .uniform_work_group_size: 1
    .uses_dynamic_stack: false
    .vgpr_count:     0
    .vgpr_spill_count: 0
    .wavefront_size: 64
  - .agpr_count:     0
    .args:
      - .offset:         0
        .size:           104
        .value_kind:     by_value
    .group_segment_fixed_size: 0
    .kernarg_segment_align: 8
    .kernarg_segment_size: 104
    .language:       OpenCL C
    .language_version:
      - 2
      - 0
    .max_flat_workgroup_size: 256
    .name:           _ZN7rocprim17ROCPRIM_400000_NS6detail17trampoline_kernelINS0_14default_configENS1_20scan_config_selectorIN3c107complexIfEEEEZZNS1_9scan_implILNS1_25lookback_scan_determinismE0ELb0ELb0ES3_PKS7_PS7_S7_ZZZN2at6native31launch_logcumsumexp_cuda_kernelERKNSE_10TensorBaseESI_lENKUlvE_clEvENKUlvE2_clEvEUlS7_S7_E_S7_EEDaPvRmT3_T4_T5_mT6_P12ihipStream_tbENKUlT_T0_E_clISt17integral_constantIbLb1EESY_IbLb0EEEEDaSU_SV_EUlSU_E_NS1_11comp_targetILNS1_3genE3ELNS1_11target_archE908ELNS1_3gpuE7ELNS1_3repE0EEENS1_30default_config_static_selectorELNS0_4arch9wavefront6targetE1EEEvT1_
    .private_segment_fixed_size: 0
    .sgpr_count:     6
    .sgpr_spill_count: 0
    .symbol:         _ZN7rocprim17ROCPRIM_400000_NS6detail17trampoline_kernelINS0_14default_configENS1_20scan_config_selectorIN3c107complexIfEEEEZZNS1_9scan_implILNS1_25lookback_scan_determinismE0ELb0ELb0ES3_PKS7_PS7_S7_ZZZN2at6native31launch_logcumsumexp_cuda_kernelERKNSE_10TensorBaseESI_lENKUlvE_clEvENKUlvE2_clEvEUlS7_S7_E_S7_EEDaPvRmT3_T4_T5_mT6_P12ihipStream_tbENKUlT_T0_E_clISt17integral_constantIbLb1EESY_IbLb0EEEEDaSU_SV_EUlSU_E_NS1_11comp_targetILNS1_3genE3ELNS1_11target_archE908ELNS1_3gpuE7ELNS1_3repE0EEENS1_30default_config_static_selectorELNS0_4arch9wavefront6targetE1EEEvT1_.kd
    .uniform_work_group_size: 1
    .uses_dynamic_stack: false
    .vgpr_count:     0
    .vgpr_spill_count: 0
    .wavefront_size: 64
  - .agpr_count:     0
    .args:
      - .offset:         0
        .size:           104
        .value_kind:     by_value
    .group_segment_fixed_size: 0
    .kernarg_segment_align: 8
    .kernarg_segment_size: 104
    .language:       OpenCL C
    .language_version:
      - 2
      - 0
    .max_flat_workgroup_size: 64
    .name:           _ZN7rocprim17ROCPRIM_400000_NS6detail17trampoline_kernelINS0_14default_configENS1_20scan_config_selectorIN3c107complexIfEEEEZZNS1_9scan_implILNS1_25lookback_scan_determinismE0ELb0ELb0ES3_PKS7_PS7_S7_ZZZN2at6native31launch_logcumsumexp_cuda_kernelERKNSE_10TensorBaseESI_lENKUlvE_clEvENKUlvE2_clEvEUlS7_S7_E_S7_EEDaPvRmT3_T4_T5_mT6_P12ihipStream_tbENKUlT_T0_E_clISt17integral_constantIbLb1EESY_IbLb0EEEEDaSU_SV_EUlSU_E_NS1_11comp_targetILNS1_3genE2ELNS1_11target_archE906ELNS1_3gpuE6ELNS1_3repE0EEENS1_30default_config_static_selectorELNS0_4arch9wavefront6targetE1EEEvT1_
    .private_segment_fixed_size: 0
    .sgpr_count:     6
    .sgpr_spill_count: 0
    .symbol:         _ZN7rocprim17ROCPRIM_400000_NS6detail17trampoline_kernelINS0_14default_configENS1_20scan_config_selectorIN3c107complexIfEEEEZZNS1_9scan_implILNS1_25lookback_scan_determinismE0ELb0ELb0ES3_PKS7_PS7_S7_ZZZN2at6native31launch_logcumsumexp_cuda_kernelERKNSE_10TensorBaseESI_lENKUlvE_clEvENKUlvE2_clEvEUlS7_S7_E_S7_EEDaPvRmT3_T4_T5_mT6_P12ihipStream_tbENKUlT_T0_E_clISt17integral_constantIbLb1EESY_IbLb0EEEEDaSU_SV_EUlSU_E_NS1_11comp_targetILNS1_3genE2ELNS1_11target_archE906ELNS1_3gpuE6ELNS1_3repE0EEENS1_30default_config_static_selectorELNS0_4arch9wavefront6targetE1EEEvT1_.kd
    .uniform_work_group_size: 1
    .uses_dynamic_stack: false
    .vgpr_count:     0
    .vgpr_spill_count: 0
    .wavefront_size: 64
  - .agpr_count:     0
    .args:
      - .offset:         0
        .size:           104
        .value_kind:     by_value
    .group_segment_fixed_size: 0
    .kernarg_segment_align: 8
    .kernarg_segment_size: 104
    .language:       OpenCL C
    .language_version:
      - 2
      - 0
    .max_flat_workgroup_size: 256
    .name:           _ZN7rocprim17ROCPRIM_400000_NS6detail17trampoline_kernelINS0_14default_configENS1_20scan_config_selectorIN3c107complexIfEEEEZZNS1_9scan_implILNS1_25lookback_scan_determinismE0ELb0ELb0ES3_PKS7_PS7_S7_ZZZN2at6native31launch_logcumsumexp_cuda_kernelERKNSE_10TensorBaseESI_lENKUlvE_clEvENKUlvE2_clEvEUlS7_S7_E_S7_EEDaPvRmT3_T4_T5_mT6_P12ihipStream_tbENKUlT_T0_E_clISt17integral_constantIbLb1EESY_IbLb0EEEEDaSU_SV_EUlSU_E_NS1_11comp_targetILNS1_3genE10ELNS1_11target_archE1201ELNS1_3gpuE5ELNS1_3repE0EEENS1_30default_config_static_selectorELNS0_4arch9wavefront6targetE1EEEvT1_
    .private_segment_fixed_size: 0
    .sgpr_count:     6
    .sgpr_spill_count: 0
    .symbol:         _ZN7rocprim17ROCPRIM_400000_NS6detail17trampoline_kernelINS0_14default_configENS1_20scan_config_selectorIN3c107complexIfEEEEZZNS1_9scan_implILNS1_25lookback_scan_determinismE0ELb0ELb0ES3_PKS7_PS7_S7_ZZZN2at6native31launch_logcumsumexp_cuda_kernelERKNSE_10TensorBaseESI_lENKUlvE_clEvENKUlvE2_clEvEUlS7_S7_E_S7_EEDaPvRmT3_T4_T5_mT6_P12ihipStream_tbENKUlT_T0_E_clISt17integral_constantIbLb1EESY_IbLb0EEEEDaSU_SV_EUlSU_E_NS1_11comp_targetILNS1_3genE10ELNS1_11target_archE1201ELNS1_3gpuE5ELNS1_3repE0EEENS1_30default_config_static_selectorELNS0_4arch9wavefront6targetE1EEEvT1_.kd
    .uniform_work_group_size: 1
    .uses_dynamic_stack: false
    .vgpr_count:     0
    .vgpr_spill_count: 0
    .wavefront_size: 64
  - .agpr_count:     0
    .args:
      - .offset:         0
        .size:           104
        .value_kind:     by_value
    .group_segment_fixed_size: 0
    .kernarg_segment_align: 8
    .kernarg_segment_size: 104
    .language:       OpenCL C
    .language_version:
      - 2
      - 0
    .max_flat_workgroup_size: 256
    .name:           _ZN7rocprim17ROCPRIM_400000_NS6detail17trampoline_kernelINS0_14default_configENS1_20scan_config_selectorIN3c107complexIfEEEEZZNS1_9scan_implILNS1_25lookback_scan_determinismE0ELb0ELb0ES3_PKS7_PS7_S7_ZZZN2at6native31launch_logcumsumexp_cuda_kernelERKNSE_10TensorBaseESI_lENKUlvE_clEvENKUlvE2_clEvEUlS7_S7_E_S7_EEDaPvRmT3_T4_T5_mT6_P12ihipStream_tbENKUlT_T0_E_clISt17integral_constantIbLb1EESY_IbLb0EEEEDaSU_SV_EUlSU_E_NS1_11comp_targetILNS1_3genE10ELNS1_11target_archE1200ELNS1_3gpuE4ELNS1_3repE0EEENS1_30default_config_static_selectorELNS0_4arch9wavefront6targetE1EEEvT1_
    .private_segment_fixed_size: 0
    .sgpr_count:     6
    .sgpr_spill_count: 0
    .symbol:         _ZN7rocprim17ROCPRIM_400000_NS6detail17trampoline_kernelINS0_14default_configENS1_20scan_config_selectorIN3c107complexIfEEEEZZNS1_9scan_implILNS1_25lookback_scan_determinismE0ELb0ELb0ES3_PKS7_PS7_S7_ZZZN2at6native31launch_logcumsumexp_cuda_kernelERKNSE_10TensorBaseESI_lENKUlvE_clEvENKUlvE2_clEvEUlS7_S7_E_S7_EEDaPvRmT3_T4_T5_mT6_P12ihipStream_tbENKUlT_T0_E_clISt17integral_constantIbLb1EESY_IbLb0EEEEDaSU_SV_EUlSU_E_NS1_11comp_targetILNS1_3genE10ELNS1_11target_archE1200ELNS1_3gpuE4ELNS1_3repE0EEENS1_30default_config_static_selectorELNS0_4arch9wavefront6targetE1EEEvT1_.kd
    .uniform_work_group_size: 1
    .uses_dynamic_stack: false
    .vgpr_count:     0
    .vgpr_spill_count: 0
    .wavefront_size: 64
  - .agpr_count:     0
    .args:
      - .offset:         0
        .size:           104
        .value_kind:     by_value
    .group_segment_fixed_size: 0
    .kernarg_segment_align: 8
    .kernarg_segment_size: 104
    .language:       OpenCL C
    .language_version:
      - 2
      - 0
    .max_flat_workgroup_size: 256
    .name:           _ZN7rocprim17ROCPRIM_400000_NS6detail17trampoline_kernelINS0_14default_configENS1_20scan_config_selectorIN3c107complexIfEEEEZZNS1_9scan_implILNS1_25lookback_scan_determinismE0ELb0ELb0ES3_PKS7_PS7_S7_ZZZN2at6native31launch_logcumsumexp_cuda_kernelERKNSE_10TensorBaseESI_lENKUlvE_clEvENKUlvE2_clEvEUlS7_S7_E_S7_EEDaPvRmT3_T4_T5_mT6_P12ihipStream_tbENKUlT_T0_E_clISt17integral_constantIbLb1EESY_IbLb0EEEEDaSU_SV_EUlSU_E_NS1_11comp_targetILNS1_3genE9ELNS1_11target_archE1100ELNS1_3gpuE3ELNS1_3repE0EEENS1_30default_config_static_selectorELNS0_4arch9wavefront6targetE1EEEvT1_
    .private_segment_fixed_size: 0
    .sgpr_count:     6
    .sgpr_spill_count: 0
    .symbol:         _ZN7rocprim17ROCPRIM_400000_NS6detail17trampoline_kernelINS0_14default_configENS1_20scan_config_selectorIN3c107complexIfEEEEZZNS1_9scan_implILNS1_25lookback_scan_determinismE0ELb0ELb0ES3_PKS7_PS7_S7_ZZZN2at6native31launch_logcumsumexp_cuda_kernelERKNSE_10TensorBaseESI_lENKUlvE_clEvENKUlvE2_clEvEUlS7_S7_E_S7_EEDaPvRmT3_T4_T5_mT6_P12ihipStream_tbENKUlT_T0_E_clISt17integral_constantIbLb1EESY_IbLb0EEEEDaSU_SV_EUlSU_E_NS1_11comp_targetILNS1_3genE9ELNS1_11target_archE1100ELNS1_3gpuE3ELNS1_3repE0EEENS1_30default_config_static_selectorELNS0_4arch9wavefront6targetE1EEEvT1_.kd
    .uniform_work_group_size: 1
    .uses_dynamic_stack: false
    .vgpr_count:     0
    .vgpr_spill_count: 0
    .wavefront_size: 64
  - .agpr_count:     0
    .args:
      - .offset:         0
        .size:           104
        .value_kind:     by_value
    .group_segment_fixed_size: 0
    .kernarg_segment_align: 8
    .kernarg_segment_size: 104
    .language:       OpenCL C
    .language_version:
      - 2
      - 0
    .max_flat_workgroup_size: 256
    .name:           _ZN7rocprim17ROCPRIM_400000_NS6detail17trampoline_kernelINS0_14default_configENS1_20scan_config_selectorIN3c107complexIfEEEEZZNS1_9scan_implILNS1_25lookback_scan_determinismE0ELb0ELb0ES3_PKS7_PS7_S7_ZZZN2at6native31launch_logcumsumexp_cuda_kernelERKNSE_10TensorBaseESI_lENKUlvE_clEvENKUlvE2_clEvEUlS7_S7_E_S7_EEDaPvRmT3_T4_T5_mT6_P12ihipStream_tbENKUlT_T0_E_clISt17integral_constantIbLb1EESY_IbLb0EEEEDaSU_SV_EUlSU_E_NS1_11comp_targetILNS1_3genE8ELNS1_11target_archE1030ELNS1_3gpuE2ELNS1_3repE0EEENS1_30default_config_static_selectorELNS0_4arch9wavefront6targetE1EEEvT1_
    .private_segment_fixed_size: 0
    .sgpr_count:     6
    .sgpr_spill_count: 0
    .symbol:         _ZN7rocprim17ROCPRIM_400000_NS6detail17trampoline_kernelINS0_14default_configENS1_20scan_config_selectorIN3c107complexIfEEEEZZNS1_9scan_implILNS1_25lookback_scan_determinismE0ELb0ELb0ES3_PKS7_PS7_S7_ZZZN2at6native31launch_logcumsumexp_cuda_kernelERKNSE_10TensorBaseESI_lENKUlvE_clEvENKUlvE2_clEvEUlS7_S7_E_S7_EEDaPvRmT3_T4_T5_mT6_P12ihipStream_tbENKUlT_T0_E_clISt17integral_constantIbLb1EESY_IbLb0EEEEDaSU_SV_EUlSU_E_NS1_11comp_targetILNS1_3genE8ELNS1_11target_archE1030ELNS1_3gpuE2ELNS1_3repE0EEENS1_30default_config_static_selectorELNS0_4arch9wavefront6targetE1EEEvT1_.kd
    .uniform_work_group_size: 1
    .uses_dynamic_stack: false
    .vgpr_count:     0
    .vgpr_spill_count: 0
    .wavefront_size: 64
  - .agpr_count:     0
    .args:
      - .offset:         0
        .size:           40
        .value_kind:     by_value
    .group_segment_fixed_size: 12288
    .kernarg_segment_align: 8
    .kernarg_segment_size: 40
    .language:       OpenCL C
    .language_version:
      - 2
      - 0
    .max_flat_workgroup_size: 256
    .name:           _ZN7rocprim17ROCPRIM_400000_NS6detail17trampoline_kernelINS0_14default_configENS1_20scan_config_selectorIN3c107complexIfEEEEZZNS1_9scan_implILNS1_25lookback_scan_determinismE0ELb0ELb0ES3_PKS7_PS7_S7_ZZZN2at6native31launch_logcumsumexp_cuda_kernelERKNSE_10TensorBaseESI_lENKUlvE_clEvENKUlvE2_clEvEUlS7_S7_E_S7_EEDaPvRmT3_T4_T5_mT6_P12ihipStream_tbENKUlT_T0_E_clISt17integral_constantIbLb1EESY_IbLb0EEEEDaSU_SV_EUlSU_E0_NS1_11comp_targetILNS1_3genE0ELNS1_11target_archE4294967295ELNS1_3gpuE0ELNS1_3repE0EEENS1_30default_config_static_selectorELNS0_4arch9wavefront6targetE1EEEvT1_
    .private_segment_fixed_size: 0
    .sgpr_count:     44
    .sgpr_spill_count: 0
    .symbol:         _ZN7rocprim17ROCPRIM_400000_NS6detail17trampoline_kernelINS0_14default_configENS1_20scan_config_selectorIN3c107complexIfEEEEZZNS1_9scan_implILNS1_25lookback_scan_determinismE0ELb0ELb0ES3_PKS7_PS7_S7_ZZZN2at6native31launch_logcumsumexp_cuda_kernelERKNSE_10TensorBaseESI_lENKUlvE_clEvENKUlvE2_clEvEUlS7_S7_E_S7_EEDaPvRmT3_T4_T5_mT6_P12ihipStream_tbENKUlT_T0_E_clISt17integral_constantIbLb1EESY_IbLb0EEEEDaSU_SV_EUlSU_E0_NS1_11comp_targetILNS1_3genE0ELNS1_11target_archE4294967295ELNS1_3gpuE0ELNS1_3repE0EEENS1_30default_config_static_selectorELNS0_4arch9wavefront6targetE1EEEvT1_.kd
    .uniform_work_group_size: 1
    .uses_dynamic_stack: false
    .vgpr_count:     58
    .vgpr_spill_count: 0
    .wavefront_size: 64
  - .agpr_count:     0
    .args:
      - .offset:         0
        .size:           40
        .value_kind:     by_value
    .group_segment_fixed_size: 0
    .kernarg_segment_align: 8
    .kernarg_segment_size: 40
    .language:       OpenCL C
    .language_version:
      - 2
      - 0
    .max_flat_workgroup_size: 256
    .name:           _ZN7rocprim17ROCPRIM_400000_NS6detail17trampoline_kernelINS0_14default_configENS1_20scan_config_selectorIN3c107complexIfEEEEZZNS1_9scan_implILNS1_25lookback_scan_determinismE0ELb0ELb0ES3_PKS7_PS7_S7_ZZZN2at6native31launch_logcumsumexp_cuda_kernelERKNSE_10TensorBaseESI_lENKUlvE_clEvENKUlvE2_clEvEUlS7_S7_E_S7_EEDaPvRmT3_T4_T5_mT6_P12ihipStream_tbENKUlT_T0_E_clISt17integral_constantIbLb1EESY_IbLb0EEEEDaSU_SV_EUlSU_E0_NS1_11comp_targetILNS1_3genE5ELNS1_11target_archE942ELNS1_3gpuE9ELNS1_3repE0EEENS1_30default_config_static_selectorELNS0_4arch9wavefront6targetE1EEEvT1_
    .private_segment_fixed_size: 0
    .sgpr_count:     6
    .sgpr_spill_count: 0
    .symbol:         _ZN7rocprim17ROCPRIM_400000_NS6detail17trampoline_kernelINS0_14default_configENS1_20scan_config_selectorIN3c107complexIfEEEEZZNS1_9scan_implILNS1_25lookback_scan_determinismE0ELb0ELb0ES3_PKS7_PS7_S7_ZZZN2at6native31launch_logcumsumexp_cuda_kernelERKNSE_10TensorBaseESI_lENKUlvE_clEvENKUlvE2_clEvEUlS7_S7_E_S7_EEDaPvRmT3_T4_T5_mT6_P12ihipStream_tbENKUlT_T0_E_clISt17integral_constantIbLb1EESY_IbLb0EEEEDaSU_SV_EUlSU_E0_NS1_11comp_targetILNS1_3genE5ELNS1_11target_archE942ELNS1_3gpuE9ELNS1_3repE0EEENS1_30default_config_static_selectorELNS0_4arch9wavefront6targetE1EEEvT1_.kd
    .uniform_work_group_size: 1
    .uses_dynamic_stack: false
    .vgpr_count:     0
    .vgpr_spill_count: 0
    .wavefront_size: 64
  - .agpr_count:     0
    .args:
      - .offset:         0
        .size:           40
        .value_kind:     by_value
    .group_segment_fixed_size: 0
    .kernarg_segment_align: 8
    .kernarg_segment_size: 40
    .language:       OpenCL C
    .language_version:
      - 2
      - 0
    .max_flat_workgroup_size: 128
    .name:           _ZN7rocprim17ROCPRIM_400000_NS6detail17trampoline_kernelINS0_14default_configENS1_20scan_config_selectorIN3c107complexIfEEEEZZNS1_9scan_implILNS1_25lookback_scan_determinismE0ELb0ELb0ES3_PKS7_PS7_S7_ZZZN2at6native31launch_logcumsumexp_cuda_kernelERKNSE_10TensorBaseESI_lENKUlvE_clEvENKUlvE2_clEvEUlS7_S7_E_S7_EEDaPvRmT3_T4_T5_mT6_P12ihipStream_tbENKUlT_T0_E_clISt17integral_constantIbLb1EESY_IbLb0EEEEDaSU_SV_EUlSU_E0_NS1_11comp_targetILNS1_3genE4ELNS1_11target_archE910ELNS1_3gpuE8ELNS1_3repE0EEENS1_30default_config_static_selectorELNS0_4arch9wavefront6targetE1EEEvT1_
    .private_segment_fixed_size: 0
    .sgpr_count:     6
    .sgpr_spill_count: 0
    .symbol:         _ZN7rocprim17ROCPRIM_400000_NS6detail17trampoline_kernelINS0_14default_configENS1_20scan_config_selectorIN3c107complexIfEEEEZZNS1_9scan_implILNS1_25lookback_scan_determinismE0ELb0ELb0ES3_PKS7_PS7_S7_ZZZN2at6native31launch_logcumsumexp_cuda_kernelERKNSE_10TensorBaseESI_lENKUlvE_clEvENKUlvE2_clEvEUlS7_S7_E_S7_EEDaPvRmT3_T4_T5_mT6_P12ihipStream_tbENKUlT_T0_E_clISt17integral_constantIbLb1EESY_IbLb0EEEEDaSU_SV_EUlSU_E0_NS1_11comp_targetILNS1_3genE4ELNS1_11target_archE910ELNS1_3gpuE8ELNS1_3repE0EEENS1_30default_config_static_selectorELNS0_4arch9wavefront6targetE1EEEvT1_.kd
    .uniform_work_group_size: 1
    .uses_dynamic_stack: false
    .vgpr_count:     0
    .vgpr_spill_count: 0
    .wavefront_size: 64
  - .agpr_count:     0
    .args:
      - .offset:         0
        .size:           40
        .value_kind:     by_value
    .group_segment_fixed_size: 0
    .kernarg_segment_align: 8
    .kernarg_segment_size: 40
    .language:       OpenCL C
    .language_version:
      - 2
      - 0
    .max_flat_workgroup_size: 256
    .name:           _ZN7rocprim17ROCPRIM_400000_NS6detail17trampoline_kernelINS0_14default_configENS1_20scan_config_selectorIN3c107complexIfEEEEZZNS1_9scan_implILNS1_25lookback_scan_determinismE0ELb0ELb0ES3_PKS7_PS7_S7_ZZZN2at6native31launch_logcumsumexp_cuda_kernelERKNSE_10TensorBaseESI_lENKUlvE_clEvENKUlvE2_clEvEUlS7_S7_E_S7_EEDaPvRmT3_T4_T5_mT6_P12ihipStream_tbENKUlT_T0_E_clISt17integral_constantIbLb1EESY_IbLb0EEEEDaSU_SV_EUlSU_E0_NS1_11comp_targetILNS1_3genE3ELNS1_11target_archE908ELNS1_3gpuE7ELNS1_3repE0EEENS1_30default_config_static_selectorELNS0_4arch9wavefront6targetE1EEEvT1_
    .private_segment_fixed_size: 0
    .sgpr_count:     6
    .sgpr_spill_count: 0
    .symbol:         _ZN7rocprim17ROCPRIM_400000_NS6detail17trampoline_kernelINS0_14default_configENS1_20scan_config_selectorIN3c107complexIfEEEEZZNS1_9scan_implILNS1_25lookback_scan_determinismE0ELb0ELb0ES3_PKS7_PS7_S7_ZZZN2at6native31launch_logcumsumexp_cuda_kernelERKNSE_10TensorBaseESI_lENKUlvE_clEvENKUlvE2_clEvEUlS7_S7_E_S7_EEDaPvRmT3_T4_T5_mT6_P12ihipStream_tbENKUlT_T0_E_clISt17integral_constantIbLb1EESY_IbLb0EEEEDaSU_SV_EUlSU_E0_NS1_11comp_targetILNS1_3genE3ELNS1_11target_archE908ELNS1_3gpuE7ELNS1_3repE0EEENS1_30default_config_static_selectorELNS0_4arch9wavefront6targetE1EEEvT1_.kd
    .uniform_work_group_size: 1
    .uses_dynamic_stack: false
    .vgpr_count:     0
    .vgpr_spill_count: 0
    .wavefront_size: 64
  - .agpr_count:     0
    .args:
      - .offset:         0
        .size:           40
        .value_kind:     by_value
    .group_segment_fixed_size: 0
    .kernarg_segment_align: 8
    .kernarg_segment_size: 40
    .language:       OpenCL C
    .language_version:
      - 2
      - 0
    .max_flat_workgroup_size: 64
    .name:           _ZN7rocprim17ROCPRIM_400000_NS6detail17trampoline_kernelINS0_14default_configENS1_20scan_config_selectorIN3c107complexIfEEEEZZNS1_9scan_implILNS1_25lookback_scan_determinismE0ELb0ELb0ES3_PKS7_PS7_S7_ZZZN2at6native31launch_logcumsumexp_cuda_kernelERKNSE_10TensorBaseESI_lENKUlvE_clEvENKUlvE2_clEvEUlS7_S7_E_S7_EEDaPvRmT3_T4_T5_mT6_P12ihipStream_tbENKUlT_T0_E_clISt17integral_constantIbLb1EESY_IbLb0EEEEDaSU_SV_EUlSU_E0_NS1_11comp_targetILNS1_3genE2ELNS1_11target_archE906ELNS1_3gpuE6ELNS1_3repE0EEENS1_30default_config_static_selectorELNS0_4arch9wavefront6targetE1EEEvT1_
    .private_segment_fixed_size: 0
    .sgpr_count:     6
    .sgpr_spill_count: 0
    .symbol:         _ZN7rocprim17ROCPRIM_400000_NS6detail17trampoline_kernelINS0_14default_configENS1_20scan_config_selectorIN3c107complexIfEEEEZZNS1_9scan_implILNS1_25lookback_scan_determinismE0ELb0ELb0ES3_PKS7_PS7_S7_ZZZN2at6native31launch_logcumsumexp_cuda_kernelERKNSE_10TensorBaseESI_lENKUlvE_clEvENKUlvE2_clEvEUlS7_S7_E_S7_EEDaPvRmT3_T4_T5_mT6_P12ihipStream_tbENKUlT_T0_E_clISt17integral_constantIbLb1EESY_IbLb0EEEEDaSU_SV_EUlSU_E0_NS1_11comp_targetILNS1_3genE2ELNS1_11target_archE906ELNS1_3gpuE6ELNS1_3repE0EEENS1_30default_config_static_selectorELNS0_4arch9wavefront6targetE1EEEvT1_.kd
    .uniform_work_group_size: 1
    .uses_dynamic_stack: false
    .vgpr_count:     0
    .vgpr_spill_count: 0
    .wavefront_size: 64
  - .agpr_count:     0
    .args:
      - .offset:         0
        .size:           40
        .value_kind:     by_value
    .group_segment_fixed_size: 0
    .kernarg_segment_align: 8
    .kernarg_segment_size: 40
    .language:       OpenCL C
    .language_version:
      - 2
      - 0
    .max_flat_workgroup_size: 256
    .name:           _ZN7rocprim17ROCPRIM_400000_NS6detail17trampoline_kernelINS0_14default_configENS1_20scan_config_selectorIN3c107complexIfEEEEZZNS1_9scan_implILNS1_25lookback_scan_determinismE0ELb0ELb0ES3_PKS7_PS7_S7_ZZZN2at6native31launch_logcumsumexp_cuda_kernelERKNSE_10TensorBaseESI_lENKUlvE_clEvENKUlvE2_clEvEUlS7_S7_E_S7_EEDaPvRmT3_T4_T5_mT6_P12ihipStream_tbENKUlT_T0_E_clISt17integral_constantIbLb1EESY_IbLb0EEEEDaSU_SV_EUlSU_E0_NS1_11comp_targetILNS1_3genE10ELNS1_11target_archE1201ELNS1_3gpuE5ELNS1_3repE0EEENS1_30default_config_static_selectorELNS0_4arch9wavefront6targetE1EEEvT1_
    .private_segment_fixed_size: 0
    .sgpr_count:     6
    .sgpr_spill_count: 0
    .symbol:         _ZN7rocprim17ROCPRIM_400000_NS6detail17trampoline_kernelINS0_14default_configENS1_20scan_config_selectorIN3c107complexIfEEEEZZNS1_9scan_implILNS1_25lookback_scan_determinismE0ELb0ELb0ES3_PKS7_PS7_S7_ZZZN2at6native31launch_logcumsumexp_cuda_kernelERKNSE_10TensorBaseESI_lENKUlvE_clEvENKUlvE2_clEvEUlS7_S7_E_S7_EEDaPvRmT3_T4_T5_mT6_P12ihipStream_tbENKUlT_T0_E_clISt17integral_constantIbLb1EESY_IbLb0EEEEDaSU_SV_EUlSU_E0_NS1_11comp_targetILNS1_3genE10ELNS1_11target_archE1201ELNS1_3gpuE5ELNS1_3repE0EEENS1_30default_config_static_selectorELNS0_4arch9wavefront6targetE1EEEvT1_.kd
    .uniform_work_group_size: 1
    .uses_dynamic_stack: false
    .vgpr_count:     0
    .vgpr_spill_count: 0
    .wavefront_size: 64
  - .agpr_count:     0
    .args:
      - .offset:         0
        .size:           40
        .value_kind:     by_value
    .group_segment_fixed_size: 0
    .kernarg_segment_align: 8
    .kernarg_segment_size: 40
    .language:       OpenCL C
    .language_version:
      - 2
      - 0
    .max_flat_workgroup_size: 256
    .name:           _ZN7rocprim17ROCPRIM_400000_NS6detail17trampoline_kernelINS0_14default_configENS1_20scan_config_selectorIN3c107complexIfEEEEZZNS1_9scan_implILNS1_25lookback_scan_determinismE0ELb0ELb0ES3_PKS7_PS7_S7_ZZZN2at6native31launch_logcumsumexp_cuda_kernelERKNSE_10TensorBaseESI_lENKUlvE_clEvENKUlvE2_clEvEUlS7_S7_E_S7_EEDaPvRmT3_T4_T5_mT6_P12ihipStream_tbENKUlT_T0_E_clISt17integral_constantIbLb1EESY_IbLb0EEEEDaSU_SV_EUlSU_E0_NS1_11comp_targetILNS1_3genE10ELNS1_11target_archE1200ELNS1_3gpuE4ELNS1_3repE0EEENS1_30default_config_static_selectorELNS0_4arch9wavefront6targetE1EEEvT1_
    .private_segment_fixed_size: 0
    .sgpr_count:     6
    .sgpr_spill_count: 0
    .symbol:         _ZN7rocprim17ROCPRIM_400000_NS6detail17trampoline_kernelINS0_14default_configENS1_20scan_config_selectorIN3c107complexIfEEEEZZNS1_9scan_implILNS1_25lookback_scan_determinismE0ELb0ELb0ES3_PKS7_PS7_S7_ZZZN2at6native31launch_logcumsumexp_cuda_kernelERKNSE_10TensorBaseESI_lENKUlvE_clEvENKUlvE2_clEvEUlS7_S7_E_S7_EEDaPvRmT3_T4_T5_mT6_P12ihipStream_tbENKUlT_T0_E_clISt17integral_constantIbLb1EESY_IbLb0EEEEDaSU_SV_EUlSU_E0_NS1_11comp_targetILNS1_3genE10ELNS1_11target_archE1200ELNS1_3gpuE4ELNS1_3repE0EEENS1_30default_config_static_selectorELNS0_4arch9wavefront6targetE1EEEvT1_.kd
    .uniform_work_group_size: 1
    .uses_dynamic_stack: false
    .vgpr_count:     0
    .vgpr_spill_count: 0
    .wavefront_size: 64
  - .agpr_count:     0
    .args:
      - .offset:         0
        .size:           40
        .value_kind:     by_value
    .group_segment_fixed_size: 0
    .kernarg_segment_align: 8
    .kernarg_segment_size: 40
    .language:       OpenCL C
    .language_version:
      - 2
      - 0
    .max_flat_workgroup_size: 256
    .name:           _ZN7rocprim17ROCPRIM_400000_NS6detail17trampoline_kernelINS0_14default_configENS1_20scan_config_selectorIN3c107complexIfEEEEZZNS1_9scan_implILNS1_25lookback_scan_determinismE0ELb0ELb0ES3_PKS7_PS7_S7_ZZZN2at6native31launch_logcumsumexp_cuda_kernelERKNSE_10TensorBaseESI_lENKUlvE_clEvENKUlvE2_clEvEUlS7_S7_E_S7_EEDaPvRmT3_T4_T5_mT6_P12ihipStream_tbENKUlT_T0_E_clISt17integral_constantIbLb1EESY_IbLb0EEEEDaSU_SV_EUlSU_E0_NS1_11comp_targetILNS1_3genE9ELNS1_11target_archE1100ELNS1_3gpuE3ELNS1_3repE0EEENS1_30default_config_static_selectorELNS0_4arch9wavefront6targetE1EEEvT1_
    .private_segment_fixed_size: 0
    .sgpr_count:     6
    .sgpr_spill_count: 0
    .symbol:         _ZN7rocprim17ROCPRIM_400000_NS6detail17trampoline_kernelINS0_14default_configENS1_20scan_config_selectorIN3c107complexIfEEEEZZNS1_9scan_implILNS1_25lookback_scan_determinismE0ELb0ELb0ES3_PKS7_PS7_S7_ZZZN2at6native31launch_logcumsumexp_cuda_kernelERKNSE_10TensorBaseESI_lENKUlvE_clEvENKUlvE2_clEvEUlS7_S7_E_S7_EEDaPvRmT3_T4_T5_mT6_P12ihipStream_tbENKUlT_T0_E_clISt17integral_constantIbLb1EESY_IbLb0EEEEDaSU_SV_EUlSU_E0_NS1_11comp_targetILNS1_3genE9ELNS1_11target_archE1100ELNS1_3gpuE3ELNS1_3repE0EEENS1_30default_config_static_selectorELNS0_4arch9wavefront6targetE1EEEvT1_.kd
    .uniform_work_group_size: 1
    .uses_dynamic_stack: false
    .vgpr_count:     0
    .vgpr_spill_count: 0
    .wavefront_size: 64
  - .agpr_count:     0
    .args:
      - .offset:         0
        .size:           40
        .value_kind:     by_value
    .group_segment_fixed_size: 0
    .kernarg_segment_align: 8
    .kernarg_segment_size: 40
    .language:       OpenCL C
    .language_version:
      - 2
      - 0
    .max_flat_workgroup_size: 256
    .name:           _ZN7rocprim17ROCPRIM_400000_NS6detail17trampoline_kernelINS0_14default_configENS1_20scan_config_selectorIN3c107complexIfEEEEZZNS1_9scan_implILNS1_25lookback_scan_determinismE0ELb0ELb0ES3_PKS7_PS7_S7_ZZZN2at6native31launch_logcumsumexp_cuda_kernelERKNSE_10TensorBaseESI_lENKUlvE_clEvENKUlvE2_clEvEUlS7_S7_E_S7_EEDaPvRmT3_T4_T5_mT6_P12ihipStream_tbENKUlT_T0_E_clISt17integral_constantIbLb1EESY_IbLb0EEEEDaSU_SV_EUlSU_E0_NS1_11comp_targetILNS1_3genE8ELNS1_11target_archE1030ELNS1_3gpuE2ELNS1_3repE0EEENS1_30default_config_static_selectorELNS0_4arch9wavefront6targetE1EEEvT1_
    .private_segment_fixed_size: 0
    .sgpr_count:     6
    .sgpr_spill_count: 0
    .symbol:         _ZN7rocprim17ROCPRIM_400000_NS6detail17trampoline_kernelINS0_14default_configENS1_20scan_config_selectorIN3c107complexIfEEEEZZNS1_9scan_implILNS1_25lookback_scan_determinismE0ELb0ELb0ES3_PKS7_PS7_S7_ZZZN2at6native31launch_logcumsumexp_cuda_kernelERKNSE_10TensorBaseESI_lENKUlvE_clEvENKUlvE2_clEvEUlS7_S7_E_S7_EEDaPvRmT3_T4_T5_mT6_P12ihipStream_tbENKUlT_T0_E_clISt17integral_constantIbLb1EESY_IbLb0EEEEDaSU_SV_EUlSU_E0_NS1_11comp_targetILNS1_3genE8ELNS1_11target_archE1030ELNS1_3gpuE2ELNS1_3repE0EEENS1_30default_config_static_selectorELNS0_4arch9wavefront6targetE1EEEvT1_.kd
    .uniform_work_group_size: 1
    .uses_dynamic_stack: false
    .vgpr_count:     0
    .vgpr_spill_count: 0
    .wavefront_size: 64
  - .agpr_count:     0
    .args:
      - .address_space:  global
        .offset:         0
        .size:           8
        .value_kind:     global_buffer
      - .offset:         8
        .size:           4
        .value_kind:     by_value
      - .address_space:  global
        .offset:         16
        .size:           8
        .value_kind:     global_buffer
      - .offset:         24
        .size:           4
        .value_kind:     by_value
      - .address_space:  global
        .offset:         32
        .size:           8
        .value_kind:     global_buffer
      - .offset:         40
        .size:           4
        .value_kind:     hidden_block_count_x
      - .offset:         44
        .size:           4
        .value_kind:     hidden_block_count_y
      - .offset:         48
        .size:           4
        .value_kind:     hidden_block_count_z
      - .offset:         52
        .size:           2
        .value_kind:     hidden_group_size_x
      - .offset:         54
        .size:           2
        .value_kind:     hidden_group_size_y
      - .offset:         56
        .size:           2
        .value_kind:     hidden_group_size_z
      - .offset:         58
        .size:           2
        .value_kind:     hidden_remainder_x
      - .offset:         60
        .size:           2
        .value_kind:     hidden_remainder_y
      - .offset:         62
        .size:           2
        .value_kind:     hidden_remainder_z
      - .offset:         80
        .size:           8
        .value_kind:     hidden_global_offset_x
      - .offset:         88
        .size:           8
        .value_kind:     hidden_global_offset_y
      - .offset:         96
        .size:           8
        .value_kind:     hidden_global_offset_z
      - .offset:         104
        .size:           2
        .value_kind:     hidden_grid_dims
    .group_segment_fixed_size: 0
    .kernarg_segment_align: 8
    .kernarg_segment_size: 296
    .language:       OpenCL C
    .language_version:
      - 2
      - 0
    .max_flat_workgroup_size: 256
    .name:           _ZN7rocprim17ROCPRIM_400000_NS6detail31init_lookback_scan_state_kernelINS1_19lookback_scan_stateIN3c107complexIfEELb0ELb1EEENS1_16block_id_wrapperIjLb1EEEEEvT_jT0_jPNSA_10value_typeE
    .private_segment_fixed_size: 0
    .sgpr_count:     21
    .sgpr_spill_count: 0
    .symbol:         _ZN7rocprim17ROCPRIM_400000_NS6detail31init_lookback_scan_state_kernelINS1_19lookback_scan_stateIN3c107complexIfEELb0ELb1EEENS1_16block_id_wrapperIjLb1EEEEEvT_jT0_jPNSA_10value_typeE.kd
    .uniform_work_group_size: 1
    .uses_dynamic_stack: false
    .vgpr_count:     10
    .vgpr_spill_count: 0
    .wavefront_size: 64
  - .agpr_count:     0
    .args:
      - .offset:         0
        .size:           104
        .value_kind:     by_value
    .group_segment_fixed_size: 12288
    .kernarg_segment_align: 8
    .kernarg_segment_size: 104
    .language:       OpenCL C
    .language_version:
      - 2
      - 0
    .max_flat_workgroup_size: 256
    .name:           _ZN7rocprim17ROCPRIM_400000_NS6detail17trampoline_kernelINS0_14default_configENS1_20scan_config_selectorIN3c107complexIfEEEEZZNS1_9scan_implILNS1_25lookback_scan_determinismE0ELb0ELb0ES3_PKS7_PS7_S7_ZZZN2at6native31launch_logcumsumexp_cuda_kernelERKNSE_10TensorBaseESI_lENKUlvE_clEvENKUlvE2_clEvEUlS7_S7_E_S7_EEDaPvRmT3_T4_T5_mT6_P12ihipStream_tbENKUlT_T0_E_clISt17integral_constantIbLb0EESY_IbLb1EEEEDaSU_SV_EUlSU_E_NS1_11comp_targetILNS1_3genE0ELNS1_11target_archE4294967295ELNS1_3gpuE0ELNS1_3repE0EEENS1_30default_config_static_selectorELNS0_4arch9wavefront6targetE1EEEvT1_
    .private_segment_fixed_size: 0
    .sgpr_count:     58
    .sgpr_spill_count: 0
    .symbol:         _ZN7rocprim17ROCPRIM_400000_NS6detail17trampoline_kernelINS0_14default_configENS1_20scan_config_selectorIN3c107complexIfEEEEZZNS1_9scan_implILNS1_25lookback_scan_determinismE0ELb0ELb0ES3_PKS7_PS7_S7_ZZZN2at6native31launch_logcumsumexp_cuda_kernelERKNSE_10TensorBaseESI_lENKUlvE_clEvENKUlvE2_clEvEUlS7_S7_E_S7_EEDaPvRmT3_T4_T5_mT6_P12ihipStream_tbENKUlT_T0_E_clISt17integral_constantIbLb0EESY_IbLb1EEEEDaSU_SV_EUlSU_E_NS1_11comp_targetILNS1_3genE0ELNS1_11target_archE4294967295ELNS1_3gpuE0ELNS1_3repE0EEENS1_30default_config_static_selectorELNS0_4arch9wavefront6targetE1EEEvT1_.kd
    .uniform_work_group_size: 1
    .uses_dynamic_stack: false
    .vgpr_count:     75
    .vgpr_spill_count: 0
    .wavefront_size: 64
  - .agpr_count:     0
    .args:
      - .offset:         0
        .size:           104
        .value_kind:     by_value
    .group_segment_fixed_size: 0
    .kernarg_segment_align: 8
    .kernarg_segment_size: 104
    .language:       OpenCL C
    .language_version:
      - 2
      - 0
    .max_flat_workgroup_size: 256
    .name:           _ZN7rocprim17ROCPRIM_400000_NS6detail17trampoline_kernelINS0_14default_configENS1_20scan_config_selectorIN3c107complexIfEEEEZZNS1_9scan_implILNS1_25lookback_scan_determinismE0ELb0ELb0ES3_PKS7_PS7_S7_ZZZN2at6native31launch_logcumsumexp_cuda_kernelERKNSE_10TensorBaseESI_lENKUlvE_clEvENKUlvE2_clEvEUlS7_S7_E_S7_EEDaPvRmT3_T4_T5_mT6_P12ihipStream_tbENKUlT_T0_E_clISt17integral_constantIbLb0EESY_IbLb1EEEEDaSU_SV_EUlSU_E_NS1_11comp_targetILNS1_3genE5ELNS1_11target_archE942ELNS1_3gpuE9ELNS1_3repE0EEENS1_30default_config_static_selectorELNS0_4arch9wavefront6targetE1EEEvT1_
    .private_segment_fixed_size: 0
    .sgpr_count:     6
    .sgpr_spill_count: 0
    .symbol:         _ZN7rocprim17ROCPRIM_400000_NS6detail17trampoline_kernelINS0_14default_configENS1_20scan_config_selectorIN3c107complexIfEEEEZZNS1_9scan_implILNS1_25lookback_scan_determinismE0ELb0ELb0ES3_PKS7_PS7_S7_ZZZN2at6native31launch_logcumsumexp_cuda_kernelERKNSE_10TensorBaseESI_lENKUlvE_clEvENKUlvE2_clEvEUlS7_S7_E_S7_EEDaPvRmT3_T4_T5_mT6_P12ihipStream_tbENKUlT_T0_E_clISt17integral_constantIbLb0EESY_IbLb1EEEEDaSU_SV_EUlSU_E_NS1_11comp_targetILNS1_3genE5ELNS1_11target_archE942ELNS1_3gpuE9ELNS1_3repE0EEENS1_30default_config_static_selectorELNS0_4arch9wavefront6targetE1EEEvT1_.kd
    .uniform_work_group_size: 1
    .uses_dynamic_stack: false
    .vgpr_count:     0
    .vgpr_spill_count: 0
    .wavefront_size: 64
  - .agpr_count:     0
    .args:
      - .offset:         0
        .size:           104
        .value_kind:     by_value
    .group_segment_fixed_size: 0
    .kernarg_segment_align: 8
    .kernarg_segment_size: 104
    .language:       OpenCL C
    .language_version:
      - 2
      - 0
    .max_flat_workgroup_size: 128
    .name:           _ZN7rocprim17ROCPRIM_400000_NS6detail17trampoline_kernelINS0_14default_configENS1_20scan_config_selectorIN3c107complexIfEEEEZZNS1_9scan_implILNS1_25lookback_scan_determinismE0ELb0ELb0ES3_PKS7_PS7_S7_ZZZN2at6native31launch_logcumsumexp_cuda_kernelERKNSE_10TensorBaseESI_lENKUlvE_clEvENKUlvE2_clEvEUlS7_S7_E_S7_EEDaPvRmT3_T4_T5_mT6_P12ihipStream_tbENKUlT_T0_E_clISt17integral_constantIbLb0EESY_IbLb1EEEEDaSU_SV_EUlSU_E_NS1_11comp_targetILNS1_3genE4ELNS1_11target_archE910ELNS1_3gpuE8ELNS1_3repE0EEENS1_30default_config_static_selectorELNS0_4arch9wavefront6targetE1EEEvT1_
    .private_segment_fixed_size: 0
    .sgpr_count:     6
    .sgpr_spill_count: 0
    .symbol:         _ZN7rocprim17ROCPRIM_400000_NS6detail17trampoline_kernelINS0_14default_configENS1_20scan_config_selectorIN3c107complexIfEEEEZZNS1_9scan_implILNS1_25lookback_scan_determinismE0ELb0ELb0ES3_PKS7_PS7_S7_ZZZN2at6native31launch_logcumsumexp_cuda_kernelERKNSE_10TensorBaseESI_lENKUlvE_clEvENKUlvE2_clEvEUlS7_S7_E_S7_EEDaPvRmT3_T4_T5_mT6_P12ihipStream_tbENKUlT_T0_E_clISt17integral_constantIbLb0EESY_IbLb1EEEEDaSU_SV_EUlSU_E_NS1_11comp_targetILNS1_3genE4ELNS1_11target_archE910ELNS1_3gpuE8ELNS1_3repE0EEENS1_30default_config_static_selectorELNS0_4arch9wavefront6targetE1EEEvT1_.kd
    .uniform_work_group_size: 1
    .uses_dynamic_stack: false
    .vgpr_count:     0
    .vgpr_spill_count: 0
    .wavefront_size: 64
  - .agpr_count:     0
    .args:
      - .offset:         0
        .size:           104
        .value_kind:     by_value
    .group_segment_fixed_size: 0
    .kernarg_segment_align: 8
    .kernarg_segment_size: 104
    .language:       OpenCL C
    .language_version:
      - 2
      - 0
    .max_flat_workgroup_size: 256
    .name:           _ZN7rocprim17ROCPRIM_400000_NS6detail17trampoline_kernelINS0_14default_configENS1_20scan_config_selectorIN3c107complexIfEEEEZZNS1_9scan_implILNS1_25lookback_scan_determinismE0ELb0ELb0ES3_PKS7_PS7_S7_ZZZN2at6native31launch_logcumsumexp_cuda_kernelERKNSE_10TensorBaseESI_lENKUlvE_clEvENKUlvE2_clEvEUlS7_S7_E_S7_EEDaPvRmT3_T4_T5_mT6_P12ihipStream_tbENKUlT_T0_E_clISt17integral_constantIbLb0EESY_IbLb1EEEEDaSU_SV_EUlSU_E_NS1_11comp_targetILNS1_3genE3ELNS1_11target_archE908ELNS1_3gpuE7ELNS1_3repE0EEENS1_30default_config_static_selectorELNS0_4arch9wavefront6targetE1EEEvT1_
    .private_segment_fixed_size: 0
    .sgpr_count:     6
    .sgpr_spill_count: 0
    .symbol:         _ZN7rocprim17ROCPRIM_400000_NS6detail17trampoline_kernelINS0_14default_configENS1_20scan_config_selectorIN3c107complexIfEEEEZZNS1_9scan_implILNS1_25lookback_scan_determinismE0ELb0ELb0ES3_PKS7_PS7_S7_ZZZN2at6native31launch_logcumsumexp_cuda_kernelERKNSE_10TensorBaseESI_lENKUlvE_clEvENKUlvE2_clEvEUlS7_S7_E_S7_EEDaPvRmT3_T4_T5_mT6_P12ihipStream_tbENKUlT_T0_E_clISt17integral_constantIbLb0EESY_IbLb1EEEEDaSU_SV_EUlSU_E_NS1_11comp_targetILNS1_3genE3ELNS1_11target_archE908ELNS1_3gpuE7ELNS1_3repE0EEENS1_30default_config_static_selectorELNS0_4arch9wavefront6targetE1EEEvT1_.kd
    .uniform_work_group_size: 1
    .uses_dynamic_stack: false
    .vgpr_count:     0
    .vgpr_spill_count: 0
    .wavefront_size: 64
  - .agpr_count:     0
    .args:
      - .offset:         0
        .size:           104
        .value_kind:     by_value
    .group_segment_fixed_size: 0
    .kernarg_segment_align: 8
    .kernarg_segment_size: 104
    .language:       OpenCL C
    .language_version:
      - 2
      - 0
    .max_flat_workgroup_size: 64
    .name:           _ZN7rocprim17ROCPRIM_400000_NS6detail17trampoline_kernelINS0_14default_configENS1_20scan_config_selectorIN3c107complexIfEEEEZZNS1_9scan_implILNS1_25lookback_scan_determinismE0ELb0ELb0ES3_PKS7_PS7_S7_ZZZN2at6native31launch_logcumsumexp_cuda_kernelERKNSE_10TensorBaseESI_lENKUlvE_clEvENKUlvE2_clEvEUlS7_S7_E_S7_EEDaPvRmT3_T4_T5_mT6_P12ihipStream_tbENKUlT_T0_E_clISt17integral_constantIbLb0EESY_IbLb1EEEEDaSU_SV_EUlSU_E_NS1_11comp_targetILNS1_3genE2ELNS1_11target_archE906ELNS1_3gpuE6ELNS1_3repE0EEENS1_30default_config_static_selectorELNS0_4arch9wavefront6targetE1EEEvT1_
    .private_segment_fixed_size: 0
    .sgpr_count:     6
    .sgpr_spill_count: 0
    .symbol:         _ZN7rocprim17ROCPRIM_400000_NS6detail17trampoline_kernelINS0_14default_configENS1_20scan_config_selectorIN3c107complexIfEEEEZZNS1_9scan_implILNS1_25lookback_scan_determinismE0ELb0ELb0ES3_PKS7_PS7_S7_ZZZN2at6native31launch_logcumsumexp_cuda_kernelERKNSE_10TensorBaseESI_lENKUlvE_clEvENKUlvE2_clEvEUlS7_S7_E_S7_EEDaPvRmT3_T4_T5_mT6_P12ihipStream_tbENKUlT_T0_E_clISt17integral_constantIbLb0EESY_IbLb1EEEEDaSU_SV_EUlSU_E_NS1_11comp_targetILNS1_3genE2ELNS1_11target_archE906ELNS1_3gpuE6ELNS1_3repE0EEENS1_30default_config_static_selectorELNS0_4arch9wavefront6targetE1EEEvT1_.kd
    .uniform_work_group_size: 1
    .uses_dynamic_stack: false
    .vgpr_count:     0
    .vgpr_spill_count: 0
    .wavefront_size: 64
  - .agpr_count:     0
    .args:
      - .offset:         0
        .size:           104
        .value_kind:     by_value
    .group_segment_fixed_size: 0
    .kernarg_segment_align: 8
    .kernarg_segment_size: 104
    .language:       OpenCL C
    .language_version:
      - 2
      - 0
    .max_flat_workgroup_size: 256
    .name:           _ZN7rocprim17ROCPRIM_400000_NS6detail17trampoline_kernelINS0_14default_configENS1_20scan_config_selectorIN3c107complexIfEEEEZZNS1_9scan_implILNS1_25lookback_scan_determinismE0ELb0ELb0ES3_PKS7_PS7_S7_ZZZN2at6native31launch_logcumsumexp_cuda_kernelERKNSE_10TensorBaseESI_lENKUlvE_clEvENKUlvE2_clEvEUlS7_S7_E_S7_EEDaPvRmT3_T4_T5_mT6_P12ihipStream_tbENKUlT_T0_E_clISt17integral_constantIbLb0EESY_IbLb1EEEEDaSU_SV_EUlSU_E_NS1_11comp_targetILNS1_3genE10ELNS1_11target_archE1201ELNS1_3gpuE5ELNS1_3repE0EEENS1_30default_config_static_selectorELNS0_4arch9wavefront6targetE1EEEvT1_
    .private_segment_fixed_size: 0
    .sgpr_count:     6
    .sgpr_spill_count: 0
    .symbol:         _ZN7rocprim17ROCPRIM_400000_NS6detail17trampoline_kernelINS0_14default_configENS1_20scan_config_selectorIN3c107complexIfEEEEZZNS1_9scan_implILNS1_25lookback_scan_determinismE0ELb0ELb0ES3_PKS7_PS7_S7_ZZZN2at6native31launch_logcumsumexp_cuda_kernelERKNSE_10TensorBaseESI_lENKUlvE_clEvENKUlvE2_clEvEUlS7_S7_E_S7_EEDaPvRmT3_T4_T5_mT6_P12ihipStream_tbENKUlT_T0_E_clISt17integral_constantIbLb0EESY_IbLb1EEEEDaSU_SV_EUlSU_E_NS1_11comp_targetILNS1_3genE10ELNS1_11target_archE1201ELNS1_3gpuE5ELNS1_3repE0EEENS1_30default_config_static_selectorELNS0_4arch9wavefront6targetE1EEEvT1_.kd
    .uniform_work_group_size: 1
    .uses_dynamic_stack: false
    .vgpr_count:     0
    .vgpr_spill_count: 0
    .wavefront_size: 64
  - .agpr_count:     0
    .args:
      - .offset:         0
        .size:           104
        .value_kind:     by_value
    .group_segment_fixed_size: 0
    .kernarg_segment_align: 8
    .kernarg_segment_size: 104
    .language:       OpenCL C
    .language_version:
      - 2
      - 0
    .max_flat_workgroup_size: 256
    .name:           _ZN7rocprim17ROCPRIM_400000_NS6detail17trampoline_kernelINS0_14default_configENS1_20scan_config_selectorIN3c107complexIfEEEEZZNS1_9scan_implILNS1_25lookback_scan_determinismE0ELb0ELb0ES3_PKS7_PS7_S7_ZZZN2at6native31launch_logcumsumexp_cuda_kernelERKNSE_10TensorBaseESI_lENKUlvE_clEvENKUlvE2_clEvEUlS7_S7_E_S7_EEDaPvRmT3_T4_T5_mT6_P12ihipStream_tbENKUlT_T0_E_clISt17integral_constantIbLb0EESY_IbLb1EEEEDaSU_SV_EUlSU_E_NS1_11comp_targetILNS1_3genE10ELNS1_11target_archE1200ELNS1_3gpuE4ELNS1_3repE0EEENS1_30default_config_static_selectorELNS0_4arch9wavefront6targetE1EEEvT1_
    .private_segment_fixed_size: 0
    .sgpr_count:     6
    .sgpr_spill_count: 0
    .symbol:         _ZN7rocprim17ROCPRIM_400000_NS6detail17trampoline_kernelINS0_14default_configENS1_20scan_config_selectorIN3c107complexIfEEEEZZNS1_9scan_implILNS1_25lookback_scan_determinismE0ELb0ELb0ES3_PKS7_PS7_S7_ZZZN2at6native31launch_logcumsumexp_cuda_kernelERKNSE_10TensorBaseESI_lENKUlvE_clEvENKUlvE2_clEvEUlS7_S7_E_S7_EEDaPvRmT3_T4_T5_mT6_P12ihipStream_tbENKUlT_T0_E_clISt17integral_constantIbLb0EESY_IbLb1EEEEDaSU_SV_EUlSU_E_NS1_11comp_targetILNS1_3genE10ELNS1_11target_archE1200ELNS1_3gpuE4ELNS1_3repE0EEENS1_30default_config_static_selectorELNS0_4arch9wavefront6targetE1EEEvT1_.kd
    .uniform_work_group_size: 1
    .uses_dynamic_stack: false
    .vgpr_count:     0
    .vgpr_spill_count: 0
    .wavefront_size: 64
  - .agpr_count:     0
    .args:
      - .offset:         0
        .size:           104
        .value_kind:     by_value
    .group_segment_fixed_size: 0
    .kernarg_segment_align: 8
    .kernarg_segment_size: 104
    .language:       OpenCL C
    .language_version:
      - 2
      - 0
    .max_flat_workgroup_size: 256
    .name:           _ZN7rocprim17ROCPRIM_400000_NS6detail17trampoline_kernelINS0_14default_configENS1_20scan_config_selectorIN3c107complexIfEEEEZZNS1_9scan_implILNS1_25lookback_scan_determinismE0ELb0ELb0ES3_PKS7_PS7_S7_ZZZN2at6native31launch_logcumsumexp_cuda_kernelERKNSE_10TensorBaseESI_lENKUlvE_clEvENKUlvE2_clEvEUlS7_S7_E_S7_EEDaPvRmT3_T4_T5_mT6_P12ihipStream_tbENKUlT_T0_E_clISt17integral_constantIbLb0EESY_IbLb1EEEEDaSU_SV_EUlSU_E_NS1_11comp_targetILNS1_3genE9ELNS1_11target_archE1100ELNS1_3gpuE3ELNS1_3repE0EEENS1_30default_config_static_selectorELNS0_4arch9wavefront6targetE1EEEvT1_
    .private_segment_fixed_size: 0
    .sgpr_count:     6
    .sgpr_spill_count: 0
    .symbol:         _ZN7rocprim17ROCPRIM_400000_NS6detail17trampoline_kernelINS0_14default_configENS1_20scan_config_selectorIN3c107complexIfEEEEZZNS1_9scan_implILNS1_25lookback_scan_determinismE0ELb0ELb0ES3_PKS7_PS7_S7_ZZZN2at6native31launch_logcumsumexp_cuda_kernelERKNSE_10TensorBaseESI_lENKUlvE_clEvENKUlvE2_clEvEUlS7_S7_E_S7_EEDaPvRmT3_T4_T5_mT6_P12ihipStream_tbENKUlT_T0_E_clISt17integral_constantIbLb0EESY_IbLb1EEEEDaSU_SV_EUlSU_E_NS1_11comp_targetILNS1_3genE9ELNS1_11target_archE1100ELNS1_3gpuE3ELNS1_3repE0EEENS1_30default_config_static_selectorELNS0_4arch9wavefront6targetE1EEEvT1_.kd
    .uniform_work_group_size: 1
    .uses_dynamic_stack: false
    .vgpr_count:     0
    .vgpr_spill_count: 0
    .wavefront_size: 64
  - .agpr_count:     0
    .args:
      - .offset:         0
        .size:           104
        .value_kind:     by_value
    .group_segment_fixed_size: 0
    .kernarg_segment_align: 8
    .kernarg_segment_size: 104
    .language:       OpenCL C
    .language_version:
      - 2
      - 0
    .max_flat_workgroup_size: 256
    .name:           _ZN7rocprim17ROCPRIM_400000_NS6detail17trampoline_kernelINS0_14default_configENS1_20scan_config_selectorIN3c107complexIfEEEEZZNS1_9scan_implILNS1_25lookback_scan_determinismE0ELb0ELb0ES3_PKS7_PS7_S7_ZZZN2at6native31launch_logcumsumexp_cuda_kernelERKNSE_10TensorBaseESI_lENKUlvE_clEvENKUlvE2_clEvEUlS7_S7_E_S7_EEDaPvRmT3_T4_T5_mT6_P12ihipStream_tbENKUlT_T0_E_clISt17integral_constantIbLb0EESY_IbLb1EEEEDaSU_SV_EUlSU_E_NS1_11comp_targetILNS1_3genE8ELNS1_11target_archE1030ELNS1_3gpuE2ELNS1_3repE0EEENS1_30default_config_static_selectorELNS0_4arch9wavefront6targetE1EEEvT1_
    .private_segment_fixed_size: 0
    .sgpr_count:     6
    .sgpr_spill_count: 0
    .symbol:         _ZN7rocprim17ROCPRIM_400000_NS6detail17trampoline_kernelINS0_14default_configENS1_20scan_config_selectorIN3c107complexIfEEEEZZNS1_9scan_implILNS1_25lookback_scan_determinismE0ELb0ELb0ES3_PKS7_PS7_S7_ZZZN2at6native31launch_logcumsumexp_cuda_kernelERKNSE_10TensorBaseESI_lENKUlvE_clEvENKUlvE2_clEvEUlS7_S7_E_S7_EEDaPvRmT3_T4_T5_mT6_P12ihipStream_tbENKUlT_T0_E_clISt17integral_constantIbLb0EESY_IbLb1EEEEDaSU_SV_EUlSU_E_NS1_11comp_targetILNS1_3genE8ELNS1_11target_archE1030ELNS1_3gpuE2ELNS1_3repE0EEENS1_30default_config_static_selectorELNS0_4arch9wavefront6targetE1EEEvT1_.kd
    .uniform_work_group_size: 1
    .uses_dynamic_stack: false
    .vgpr_count:     0
    .vgpr_spill_count: 0
    .wavefront_size: 64
  - .agpr_count:     0
    .args:
      - .offset:         0
        .size:           40
        .value_kind:     by_value
    .group_segment_fixed_size: 12288
    .kernarg_segment_align: 8
    .kernarg_segment_size: 40
    .language:       OpenCL C
    .language_version:
      - 2
      - 0
    .max_flat_workgroup_size: 256
    .name:           _ZN7rocprim17ROCPRIM_400000_NS6detail17trampoline_kernelINS0_14default_configENS1_20scan_config_selectorIN3c107complexIfEEEEZZNS1_9scan_implILNS1_25lookback_scan_determinismE0ELb0ELb0ES3_PKS7_PS7_S7_ZZZN2at6native31launch_logcumsumexp_cuda_kernelERKNSE_10TensorBaseESI_lENKUlvE_clEvENKUlvE2_clEvEUlS7_S7_E_S7_EEDaPvRmT3_T4_T5_mT6_P12ihipStream_tbENKUlT_T0_E_clISt17integral_constantIbLb0EESY_IbLb1EEEEDaSU_SV_EUlSU_E0_NS1_11comp_targetILNS1_3genE0ELNS1_11target_archE4294967295ELNS1_3gpuE0ELNS1_3repE0EEENS1_30default_config_static_selectorELNS0_4arch9wavefront6targetE1EEEvT1_
    .private_segment_fixed_size: 0
    .sgpr_count:     44
    .sgpr_spill_count: 0
    .symbol:         _ZN7rocprim17ROCPRIM_400000_NS6detail17trampoline_kernelINS0_14default_configENS1_20scan_config_selectorIN3c107complexIfEEEEZZNS1_9scan_implILNS1_25lookback_scan_determinismE0ELb0ELb0ES3_PKS7_PS7_S7_ZZZN2at6native31launch_logcumsumexp_cuda_kernelERKNSE_10TensorBaseESI_lENKUlvE_clEvENKUlvE2_clEvEUlS7_S7_E_S7_EEDaPvRmT3_T4_T5_mT6_P12ihipStream_tbENKUlT_T0_E_clISt17integral_constantIbLb0EESY_IbLb1EEEEDaSU_SV_EUlSU_E0_NS1_11comp_targetILNS1_3genE0ELNS1_11target_archE4294967295ELNS1_3gpuE0ELNS1_3repE0EEENS1_30default_config_static_selectorELNS0_4arch9wavefront6targetE1EEEvT1_.kd
    .uniform_work_group_size: 1
    .uses_dynamic_stack: false
    .vgpr_count:     58
    .vgpr_spill_count: 0
    .wavefront_size: 64
  - .agpr_count:     0
    .args:
      - .offset:         0
        .size:           40
        .value_kind:     by_value
    .group_segment_fixed_size: 0
    .kernarg_segment_align: 8
    .kernarg_segment_size: 40
    .language:       OpenCL C
    .language_version:
      - 2
      - 0
    .max_flat_workgroup_size: 256
    .name:           _ZN7rocprim17ROCPRIM_400000_NS6detail17trampoline_kernelINS0_14default_configENS1_20scan_config_selectorIN3c107complexIfEEEEZZNS1_9scan_implILNS1_25lookback_scan_determinismE0ELb0ELb0ES3_PKS7_PS7_S7_ZZZN2at6native31launch_logcumsumexp_cuda_kernelERKNSE_10TensorBaseESI_lENKUlvE_clEvENKUlvE2_clEvEUlS7_S7_E_S7_EEDaPvRmT3_T4_T5_mT6_P12ihipStream_tbENKUlT_T0_E_clISt17integral_constantIbLb0EESY_IbLb1EEEEDaSU_SV_EUlSU_E0_NS1_11comp_targetILNS1_3genE5ELNS1_11target_archE942ELNS1_3gpuE9ELNS1_3repE0EEENS1_30default_config_static_selectorELNS0_4arch9wavefront6targetE1EEEvT1_
    .private_segment_fixed_size: 0
    .sgpr_count:     6
    .sgpr_spill_count: 0
    .symbol:         _ZN7rocprim17ROCPRIM_400000_NS6detail17trampoline_kernelINS0_14default_configENS1_20scan_config_selectorIN3c107complexIfEEEEZZNS1_9scan_implILNS1_25lookback_scan_determinismE0ELb0ELb0ES3_PKS7_PS7_S7_ZZZN2at6native31launch_logcumsumexp_cuda_kernelERKNSE_10TensorBaseESI_lENKUlvE_clEvENKUlvE2_clEvEUlS7_S7_E_S7_EEDaPvRmT3_T4_T5_mT6_P12ihipStream_tbENKUlT_T0_E_clISt17integral_constantIbLb0EESY_IbLb1EEEEDaSU_SV_EUlSU_E0_NS1_11comp_targetILNS1_3genE5ELNS1_11target_archE942ELNS1_3gpuE9ELNS1_3repE0EEENS1_30default_config_static_selectorELNS0_4arch9wavefront6targetE1EEEvT1_.kd
    .uniform_work_group_size: 1
    .uses_dynamic_stack: false
    .vgpr_count:     0
    .vgpr_spill_count: 0
    .wavefront_size: 64
  - .agpr_count:     0
    .args:
      - .offset:         0
        .size:           40
        .value_kind:     by_value
    .group_segment_fixed_size: 0
    .kernarg_segment_align: 8
    .kernarg_segment_size: 40
    .language:       OpenCL C
    .language_version:
      - 2
      - 0
    .max_flat_workgroup_size: 128
    .name:           _ZN7rocprim17ROCPRIM_400000_NS6detail17trampoline_kernelINS0_14default_configENS1_20scan_config_selectorIN3c107complexIfEEEEZZNS1_9scan_implILNS1_25lookback_scan_determinismE0ELb0ELb0ES3_PKS7_PS7_S7_ZZZN2at6native31launch_logcumsumexp_cuda_kernelERKNSE_10TensorBaseESI_lENKUlvE_clEvENKUlvE2_clEvEUlS7_S7_E_S7_EEDaPvRmT3_T4_T5_mT6_P12ihipStream_tbENKUlT_T0_E_clISt17integral_constantIbLb0EESY_IbLb1EEEEDaSU_SV_EUlSU_E0_NS1_11comp_targetILNS1_3genE4ELNS1_11target_archE910ELNS1_3gpuE8ELNS1_3repE0EEENS1_30default_config_static_selectorELNS0_4arch9wavefront6targetE1EEEvT1_
    .private_segment_fixed_size: 0
    .sgpr_count:     6
    .sgpr_spill_count: 0
    .symbol:         _ZN7rocprim17ROCPRIM_400000_NS6detail17trampoline_kernelINS0_14default_configENS1_20scan_config_selectorIN3c107complexIfEEEEZZNS1_9scan_implILNS1_25lookback_scan_determinismE0ELb0ELb0ES3_PKS7_PS7_S7_ZZZN2at6native31launch_logcumsumexp_cuda_kernelERKNSE_10TensorBaseESI_lENKUlvE_clEvENKUlvE2_clEvEUlS7_S7_E_S7_EEDaPvRmT3_T4_T5_mT6_P12ihipStream_tbENKUlT_T0_E_clISt17integral_constantIbLb0EESY_IbLb1EEEEDaSU_SV_EUlSU_E0_NS1_11comp_targetILNS1_3genE4ELNS1_11target_archE910ELNS1_3gpuE8ELNS1_3repE0EEENS1_30default_config_static_selectorELNS0_4arch9wavefront6targetE1EEEvT1_.kd
    .uniform_work_group_size: 1
    .uses_dynamic_stack: false
    .vgpr_count:     0
    .vgpr_spill_count: 0
    .wavefront_size: 64
  - .agpr_count:     0
    .args:
      - .offset:         0
        .size:           40
        .value_kind:     by_value
    .group_segment_fixed_size: 0
    .kernarg_segment_align: 8
    .kernarg_segment_size: 40
    .language:       OpenCL C
    .language_version:
      - 2
      - 0
    .max_flat_workgroup_size: 256
    .name:           _ZN7rocprim17ROCPRIM_400000_NS6detail17trampoline_kernelINS0_14default_configENS1_20scan_config_selectorIN3c107complexIfEEEEZZNS1_9scan_implILNS1_25lookback_scan_determinismE0ELb0ELb0ES3_PKS7_PS7_S7_ZZZN2at6native31launch_logcumsumexp_cuda_kernelERKNSE_10TensorBaseESI_lENKUlvE_clEvENKUlvE2_clEvEUlS7_S7_E_S7_EEDaPvRmT3_T4_T5_mT6_P12ihipStream_tbENKUlT_T0_E_clISt17integral_constantIbLb0EESY_IbLb1EEEEDaSU_SV_EUlSU_E0_NS1_11comp_targetILNS1_3genE3ELNS1_11target_archE908ELNS1_3gpuE7ELNS1_3repE0EEENS1_30default_config_static_selectorELNS0_4arch9wavefront6targetE1EEEvT1_
    .private_segment_fixed_size: 0
    .sgpr_count:     6
    .sgpr_spill_count: 0
    .symbol:         _ZN7rocprim17ROCPRIM_400000_NS6detail17trampoline_kernelINS0_14default_configENS1_20scan_config_selectorIN3c107complexIfEEEEZZNS1_9scan_implILNS1_25lookback_scan_determinismE0ELb0ELb0ES3_PKS7_PS7_S7_ZZZN2at6native31launch_logcumsumexp_cuda_kernelERKNSE_10TensorBaseESI_lENKUlvE_clEvENKUlvE2_clEvEUlS7_S7_E_S7_EEDaPvRmT3_T4_T5_mT6_P12ihipStream_tbENKUlT_T0_E_clISt17integral_constantIbLb0EESY_IbLb1EEEEDaSU_SV_EUlSU_E0_NS1_11comp_targetILNS1_3genE3ELNS1_11target_archE908ELNS1_3gpuE7ELNS1_3repE0EEENS1_30default_config_static_selectorELNS0_4arch9wavefront6targetE1EEEvT1_.kd
    .uniform_work_group_size: 1
    .uses_dynamic_stack: false
    .vgpr_count:     0
    .vgpr_spill_count: 0
    .wavefront_size: 64
  - .agpr_count:     0
    .args:
      - .offset:         0
        .size:           40
        .value_kind:     by_value
    .group_segment_fixed_size: 0
    .kernarg_segment_align: 8
    .kernarg_segment_size: 40
    .language:       OpenCL C
    .language_version:
      - 2
      - 0
    .max_flat_workgroup_size: 64
    .name:           _ZN7rocprim17ROCPRIM_400000_NS6detail17trampoline_kernelINS0_14default_configENS1_20scan_config_selectorIN3c107complexIfEEEEZZNS1_9scan_implILNS1_25lookback_scan_determinismE0ELb0ELb0ES3_PKS7_PS7_S7_ZZZN2at6native31launch_logcumsumexp_cuda_kernelERKNSE_10TensorBaseESI_lENKUlvE_clEvENKUlvE2_clEvEUlS7_S7_E_S7_EEDaPvRmT3_T4_T5_mT6_P12ihipStream_tbENKUlT_T0_E_clISt17integral_constantIbLb0EESY_IbLb1EEEEDaSU_SV_EUlSU_E0_NS1_11comp_targetILNS1_3genE2ELNS1_11target_archE906ELNS1_3gpuE6ELNS1_3repE0EEENS1_30default_config_static_selectorELNS0_4arch9wavefront6targetE1EEEvT1_
    .private_segment_fixed_size: 0
    .sgpr_count:     6
    .sgpr_spill_count: 0
    .symbol:         _ZN7rocprim17ROCPRIM_400000_NS6detail17trampoline_kernelINS0_14default_configENS1_20scan_config_selectorIN3c107complexIfEEEEZZNS1_9scan_implILNS1_25lookback_scan_determinismE0ELb0ELb0ES3_PKS7_PS7_S7_ZZZN2at6native31launch_logcumsumexp_cuda_kernelERKNSE_10TensorBaseESI_lENKUlvE_clEvENKUlvE2_clEvEUlS7_S7_E_S7_EEDaPvRmT3_T4_T5_mT6_P12ihipStream_tbENKUlT_T0_E_clISt17integral_constantIbLb0EESY_IbLb1EEEEDaSU_SV_EUlSU_E0_NS1_11comp_targetILNS1_3genE2ELNS1_11target_archE906ELNS1_3gpuE6ELNS1_3repE0EEENS1_30default_config_static_selectorELNS0_4arch9wavefront6targetE1EEEvT1_.kd
    .uniform_work_group_size: 1
    .uses_dynamic_stack: false
    .vgpr_count:     0
    .vgpr_spill_count: 0
    .wavefront_size: 64
  - .agpr_count:     0
    .args:
      - .offset:         0
        .size:           40
        .value_kind:     by_value
    .group_segment_fixed_size: 0
    .kernarg_segment_align: 8
    .kernarg_segment_size: 40
    .language:       OpenCL C
    .language_version:
      - 2
      - 0
    .max_flat_workgroup_size: 256
    .name:           _ZN7rocprim17ROCPRIM_400000_NS6detail17trampoline_kernelINS0_14default_configENS1_20scan_config_selectorIN3c107complexIfEEEEZZNS1_9scan_implILNS1_25lookback_scan_determinismE0ELb0ELb0ES3_PKS7_PS7_S7_ZZZN2at6native31launch_logcumsumexp_cuda_kernelERKNSE_10TensorBaseESI_lENKUlvE_clEvENKUlvE2_clEvEUlS7_S7_E_S7_EEDaPvRmT3_T4_T5_mT6_P12ihipStream_tbENKUlT_T0_E_clISt17integral_constantIbLb0EESY_IbLb1EEEEDaSU_SV_EUlSU_E0_NS1_11comp_targetILNS1_3genE10ELNS1_11target_archE1201ELNS1_3gpuE5ELNS1_3repE0EEENS1_30default_config_static_selectorELNS0_4arch9wavefront6targetE1EEEvT1_
    .private_segment_fixed_size: 0
    .sgpr_count:     6
    .sgpr_spill_count: 0
    .symbol:         _ZN7rocprim17ROCPRIM_400000_NS6detail17trampoline_kernelINS0_14default_configENS1_20scan_config_selectorIN3c107complexIfEEEEZZNS1_9scan_implILNS1_25lookback_scan_determinismE0ELb0ELb0ES3_PKS7_PS7_S7_ZZZN2at6native31launch_logcumsumexp_cuda_kernelERKNSE_10TensorBaseESI_lENKUlvE_clEvENKUlvE2_clEvEUlS7_S7_E_S7_EEDaPvRmT3_T4_T5_mT6_P12ihipStream_tbENKUlT_T0_E_clISt17integral_constantIbLb0EESY_IbLb1EEEEDaSU_SV_EUlSU_E0_NS1_11comp_targetILNS1_3genE10ELNS1_11target_archE1201ELNS1_3gpuE5ELNS1_3repE0EEENS1_30default_config_static_selectorELNS0_4arch9wavefront6targetE1EEEvT1_.kd
    .uniform_work_group_size: 1
    .uses_dynamic_stack: false
    .vgpr_count:     0
    .vgpr_spill_count: 0
    .wavefront_size: 64
  - .agpr_count:     0
    .args:
      - .offset:         0
        .size:           40
        .value_kind:     by_value
    .group_segment_fixed_size: 0
    .kernarg_segment_align: 8
    .kernarg_segment_size: 40
    .language:       OpenCL C
    .language_version:
      - 2
      - 0
    .max_flat_workgroup_size: 256
    .name:           _ZN7rocprim17ROCPRIM_400000_NS6detail17trampoline_kernelINS0_14default_configENS1_20scan_config_selectorIN3c107complexIfEEEEZZNS1_9scan_implILNS1_25lookback_scan_determinismE0ELb0ELb0ES3_PKS7_PS7_S7_ZZZN2at6native31launch_logcumsumexp_cuda_kernelERKNSE_10TensorBaseESI_lENKUlvE_clEvENKUlvE2_clEvEUlS7_S7_E_S7_EEDaPvRmT3_T4_T5_mT6_P12ihipStream_tbENKUlT_T0_E_clISt17integral_constantIbLb0EESY_IbLb1EEEEDaSU_SV_EUlSU_E0_NS1_11comp_targetILNS1_3genE10ELNS1_11target_archE1200ELNS1_3gpuE4ELNS1_3repE0EEENS1_30default_config_static_selectorELNS0_4arch9wavefront6targetE1EEEvT1_
    .private_segment_fixed_size: 0
    .sgpr_count:     6
    .sgpr_spill_count: 0
    .symbol:         _ZN7rocprim17ROCPRIM_400000_NS6detail17trampoline_kernelINS0_14default_configENS1_20scan_config_selectorIN3c107complexIfEEEEZZNS1_9scan_implILNS1_25lookback_scan_determinismE0ELb0ELb0ES3_PKS7_PS7_S7_ZZZN2at6native31launch_logcumsumexp_cuda_kernelERKNSE_10TensorBaseESI_lENKUlvE_clEvENKUlvE2_clEvEUlS7_S7_E_S7_EEDaPvRmT3_T4_T5_mT6_P12ihipStream_tbENKUlT_T0_E_clISt17integral_constantIbLb0EESY_IbLb1EEEEDaSU_SV_EUlSU_E0_NS1_11comp_targetILNS1_3genE10ELNS1_11target_archE1200ELNS1_3gpuE4ELNS1_3repE0EEENS1_30default_config_static_selectorELNS0_4arch9wavefront6targetE1EEEvT1_.kd
    .uniform_work_group_size: 1
    .uses_dynamic_stack: false
    .vgpr_count:     0
    .vgpr_spill_count: 0
    .wavefront_size: 64
  - .agpr_count:     0
    .args:
      - .offset:         0
        .size:           40
        .value_kind:     by_value
    .group_segment_fixed_size: 0
    .kernarg_segment_align: 8
    .kernarg_segment_size: 40
    .language:       OpenCL C
    .language_version:
      - 2
      - 0
    .max_flat_workgroup_size: 256
    .name:           _ZN7rocprim17ROCPRIM_400000_NS6detail17trampoline_kernelINS0_14default_configENS1_20scan_config_selectorIN3c107complexIfEEEEZZNS1_9scan_implILNS1_25lookback_scan_determinismE0ELb0ELb0ES3_PKS7_PS7_S7_ZZZN2at6native31launch_logcumsumexp_cuda_kernelERKNSE_10TensorBaseESI_lENKUlvE_clEvENKUlvE2_clEvEUlS7_S7_E_S7_EEDaPvRmT3_T4_T5_mT6_P12ihipStream_tbENKUlT_T0_E_clISt17integral_constantIbLb0EESY_IbLb1EEEEDaSU_SV_EUlSU_E0_NS1_11comp_targetILNS1_3genE9ELNS1_11target_archE1100ELNS1_3gpuE3ELNS1_3repE0EEENS1_30default_config_static_selectorELNS0_4arch9wavefront6targetE1EEEvT1_
    .private_segment_fixed_size: 0
    .sgpr_count:     6
    .sgpr_spill_count: 0
    .symbol:         _ZN7rocprim17ROCPRIM_400000_NS6detail17trampoline_kernelINS0_14default_configENS1_20scan_config_selectorIN3c107complexIfEEEEZZNS1_9scan_implILNS1_25lookback_scan_determinismE0ELb0ELb0ES3_PKS7_PS7_S7_ZZZN2at6native31launch_logcumsumexp_cuda_kernelERKNSE_10TensorBaseESI_lENKUlvE_clEvENKUlvE2_clEvEUlS7_S7_E_S7_EEDaPvRmT3_T4_T5_mT6_P12ihipStream_tbENKUlT_T0_E_clISt17integral_constantIbLb0EESY_IbLb1EEEEDaSU_SV_EUlSU_E0_NS1_11comp_targetILNS1_3genE9ELNS1_11target_archE1100ELNS1_3gpuE3ELNS1_3repE0EEENS1_30default_config_static_selectorELNS0_4arch9wavefront6targetE1EEEvT1_.kd
    .uniform_work_group_size: 1
    .uses_dynamic_stack: false
    .vgpr_count:     0
    .vgpr_spill_count: 0
    .wavefront_size: 64
  - .agpr_count:     0
    .args:
      - .offset:         0
        .size:           40
        .value_kind:     by_value
    .group_segment_fixed_size: 0
    .kernarg_segment_align: 8
    .kernarg_segment_size: 40
    .language:       OpenCL C
    .language_version:
      - 2
      - 0
    .max_flat_workgroup_size: 256
    .name:           _ZN7rocprim17ROCPRIM_400000_NS6detail17trampoline_kernelINS0_14default_configENS1_20scan_config_selectorIN3c107complexIfEEEEZZNS1_9scan_implILNS1_25lookback_scan_determinismE0ELb0ELb0ES3_PKS7_PS7_S7_ZZZN2at6native31launch_logcumsumexp_cuda_kernelERKNSE_10TensorBaseESI_lENKUlvE_clEvENKUlvE2_clEvEUlS7_S7_E_S7_EEDaPvRmT3_T4_T5_mT6_P12ihipStream_tbENKUlT_T0_E_clISt17integral_constantIbLb0EESY_IbLb1EEEEDaSU_SV_EUlSU_E0_NS1_11comp_targetILNS1_3genE8ELNS1_11target_archE1030ELNS1_3gpuE2ELNS1_3repE0EEENS1_30default_config_static_selectorELNS0_4arch9wavefront6targetE1EEEvT1_
    .private_segment_fixed_size: 0
    .sgpr_count:     6
    .sgpr_spill_count: 0
    .symbol:         _ZN7rocprim17ROCPRIM_400000_NS6detail17trampoline_kernelINS0_14default_configENS1_20scan_config_selectorIN3c107complexIfEEEEZZNS1_9scan_implILNS1_25lookback_scan_determinismE0ELb0ELb0ES3_PKS7_PS7_S7_ZZZN2at6native31launch_logcumsumexp_cuda_kernelERKNSE_10TensorBaseESI_lENKUlvE_clEvENKUlvE2_clEvEUlS7_S7_E_S7_EEDaPvRmT3_T4_T5_mT6_P12ihipStream_tbENKUlT_T0_E_clISt17integral_constantIbLb0EESY_IbLb1EEEEDaSU_SV_EUlSU_E0_NS1_11comp_targetILNS1_3genE8ELNS1_11target_archE1030ELNS1_3gpuE2ELNS1_3repE0EEENS1_30default_config_static_selectorELNS0_4arch9wavefront6targetE1EEEvT1_.kd
    .uniform_work_group_size: 1
    .uses_dynamic_stack: false
    .vgpr_count:     0
    .vgpr_spill_count: 0
    .wavefront_size: 64
  - .agpr_count:     0
    .args:
      - .address_space:  global
        .offset:         0
        .size:           8
        .value_kind:     global_buffer
      - .address_space:  global
        .offset:         8
        .size:           8
        .value_kind:     global_buffer
      - .offset:         16
        .size:           4
        .value_kind:     by_value
      - .offset:         20
        .size:           4
        .value_kind:     by_value
      - .offset:         24
        .size:           4
        .value_kind:     by_value
      - .offset:         32
        .size:           8
        .value_kind:     by_value
      - .offset:         40
        .size:           1
        .value_kind:     by_value
      - .offset:         48
        .size:           4
        .value_kind:     hidden_block_count_x
      - .offset:         52
        .size:           4
        .value_kind:     hidden_block_count_y
      - .offset:         56
        .size:           4
        .value_kind:     hidden_block_count_z
      - .offset:         60
        .size:           2
        .value_kind:     hidden_group_size_x
      - .offset:         62
        .size:           2
        .value_kind:     hidden_group_size_y
      - .offset:         64
        .size:           2
        .value_kind:     hidden_group_size_z
      - .offset:         66
        .size:           2
        .value_kind:     hidden_remainder_x
      - .offset:         68
        .size:           2
        .value_kind:     hidden_remainder_y
      - .offset:         70
        .size:           2
        .value_kind:     hidden_remainder_z
      - .offset:         88
        .size:           8
        .value_kind:     hidden_global_offset_x
      - .offset:         96
        .size:           8
        .value_kind:     hidden_global_offset_y
      - .offset:         104
        .size:           8
        .value_kind:     hidden_global_offset_z
      - .offset:         112
        .size:           2
        .value_kind:     hidden_grid_dims
      - .offset:         168
        .size:           4
        .value_kind:     hidden_dynamic_lds_size
    .group_segment_fixed_size: 0
    .kernarg_segment_align: 8
    .kernarg_segment_size: 304
    .language:       OpenCL C
    .language_version:
      - 2
      - 0
    .max_flat_workgroup_size: 1024
    .name:           _ZN2at6native32tensor_kernel_scan_innermost_dimIN3c107complexIfEEZZZNS0_31launch_logcumsumexp_cuda_kernelERKNS_10TensorBaseES7_lENKUlvE_clEvENKUlvE2_clEvEUlS4_S4_E_EEvPT_PKSB_jjjSB_T0_
    .private_segment_fixed_size: 0
    .sgpr_count:     79
    .sgpr_spill_count: 0
    .symbol:         _ZN2at6native32tensor_kernel_scan_innermost_dimIN3c107complexIfEEZZZNS0_31launch_logcumsumexp_cuda_kernelERKNS_10TensorBaseES7_lENKUlvE_clEvENKUlvE2_clEvEUlS4_S4_E_EEvPT_PKSB_jjjSB_T0_.kd
    .uniform_work_group_size: 1
    .uses_dynamic_stack: false
    .vgpr_count:     64
    .vgpr_spill_count: 0
    .wavefront_size: 64
  - .agpr_count:     0
    .args:
      - .address_space:  global
        .offset:         0
        .size:           8
        .value_kind:     global_buffer
      - .address_space:  global
        .offset:         8
        .size:           8
        .value_kind:     global_buffer
      - .offset:         16
        .size:           4
        .value_kind:     by_value
      - .offset:         20
        .size:           4
        .value_kind:     by_value
      - .offset:         24
        .size:           4
        .value_kind:     by_value
      - .offset:         32
        .size:           8
        .value_kind:     by_value
      - .offset:         40
        .size:           1
        .value_kind:     by_value
      - .offset:         48
        .size:           4
        .value_kind:     hidden_block_count_x
      - .offset:         52
        .size:           4
        .value_kind:     hidden_block_count_y
      - .offset:         56
        .size:           4
        .value_kind:     hidden_block_count_z
      - .offset:         60
        .size:           2
        .value_kind:     hidden_group_size_x
      - .offset:         62
        .size:           2
        .value_kind:     hidden_group_size_y
      - .offset:         64
        .size:           2
        .value_kind:     hidden_group_size_z
      - .offset:         66
        .size:           2
        .value_kind:     hidden_remainder_x
      - .offset:         68
        .size:           2
        .value_kind:     hidden_remainder_y
      - .offset:         70
        .size:           2
        .value_kind:     hidden_remainder_z
      - .offset:         88
        .size:           8
        .value_kind:     hidden_global_offset_x
      - .offset:         96
        .size:           8
        .value_kind:     hidden_global_offset_y
      - .offset:         104
        .size:           8
        .value_kind:     hidden_global_offset_z
      - .offset:         112
        .size:           2
        .value_kind:     hidden_grid_dims
    .group_segment_fixed_size: 0
    .kernarg_segment_align: 8
    .kernarg_segment_size: 304
    .language:       OpenCL C
    .language_version:
      - 2
      - 0
    .max_flat_workgroup_size: 1024
    .name:           _ZN2at6native28tensor_kernel_scan_outer_dimIN3c107complexIfEEjZZZNS0_31launch_logcumsumexp_cuda_kernelERKNS_10TensorBaseES7_lENKUlvE_clEvENKUlvE2_clEvEUlS4_S4_E_EEvPT_PKSB_jjjSB_T1_
    .private_segment_fixed_size: 0
    .sgpr_count:     78
    .sgpr_spill_count: 0
    .symbol:         _ZN2at6native28tensor_kernel_scan_outer_dimIN3c107complexIfEEjZZZNS0_31launch_logcumsumexp_cuda_kernelERKNS_10TensorBaseES7_lENKUlvE_clEvENKUlvE2_clEvEUlS4_S4_E_EEvPT_PKSB_jjjSB_T1_.kd
    .uniform_work_group_size: 1
    .uses_dynamic_stack: false
    .vgpr_count:     50
    .vgpr_spill_count: 0
    .wavefront_size: 64
  - .agpr_count:     0
    .args:
      - .address_space:  global
        .offset:         0
        .size:           8
        .value_kind:     global_buffer
      - .address_space:  global
        .offset:         8
        .size:           8
        .value_kind:     global_buffer
      - .offset:         16
        .size:           4
        .value_kind:     by_value
      - .offset:         20
        .size:           4
        .value_kind:     by_value
      - .offset:         24
        .size:           4
        .value_kind:     by_value
      - .offset:         32
        .size:           8
        .value_kind:     by_value
      - .offset:         40
        .size:           1
        .value_kind:     by_value
      - .offset:         48
        .size:           4
        .value_kind:     hidden_block_count_x
      - .offset:         52
        .size:           4
        .value_kind:     hidden_block_count_y
      - .offset:         56
        .size:           4
        .value_kind:     hidden_block_count_z
      - .offset:         60
        .size:           2
        .value_kind:     hidden_group_size_x
      - .offset:         62
        .size:           2
        .value_kind:     hidden_group_size_y
      - .offset:         64
        .size:           2
        .value_kind:     hidden_group_size_z
      - .offset:         66
        .size:           2
        .value_kind:     hidden_remainder_x
      - .offset:         68
        .size:           2
        .value_kind:     hidden_remainder_y
      - .offset:         70
        .size:           2
        .value_kind:     hidden_remainder_z
      - .offset:         88
        .size:           8
        .value_kind:     hidden_global_offset_x
      - .offset:         96
        .size:           8
        .value_kind:     hidden_global_offset_y
      - .offset:         104
        .size:           8
        .value_kind:     hidden_global_offset_z
      - .offset:         112
        .size:           2
        .value_kind:     hidden_grid_dims
    .group_segment_fixed_size: 0
    .kernarg_segment_align: 8
    .kernarg_segment_size: 304
    .language:       OpenCL C
    .language_version:
      - 2
      - 0
    .max_flat_workgroup_size: 1024
    .name:           _ZN2at6native28tensor_kernel_scan_outer_dimIN3c107complexIfEEmZZZNS0_31launch_logcumsumexp_cuda_kernelERKNS_10TensorBaseES7_lENKUlvE_clEvENKUlvE2_clEvEUlS4_S4_E_EEvPT_PKSB_jjjSB_T1_
    .private_segment_fixed_size: 0
    .sgpr_count:     77
    .sgpr_spill_count: 0
    .symbol:         _ZN2at6native28tensor_kernel_scan_outer_dimIN3c107complexIfEEmZZZNS0_31launch_logcumsumexp_cuda_kernelERKNS_10TensorBaseES7_lENKUlvE_clEvENKUlvE2_clEvEUlS4_S4_E_EEvPT_PKSB_jjjSB_T1_.kd
    .uniform_work_group_size: 1
    .uses_dynamic_stack: false
    .vgpr_count:     50
    .vgpr_spill_count: 0
    .wavefront_size: 64
  - .agpr_count:     0
    .args:
      - .address_space:  global
        .offset:         0
        .size:           8
        .value_kind:     global_buffer
      - .offset:         8
        .size:           4
        .value_kind:     by_value
      - .offset:         12
        .size:           1
        .value_kind:     by_value
      - .offset:         16
        .size:           4
        .value_kind:     by_value
      - .address_space:  global
        .offset:         24
        .size:           8
        .value_kind:     global_buffer
      - .offset:         32
        .size:           4
        .value_kind:     hidden_block_count_x
      - .offset:         36
        .size:           4
        .value_kind:     hidden_block_count_y
      - .offset:         40
        .size:           4
        .value_kind:     hidden_block_count_z
      - .offset:         44
        .size:           2
        .value_kind:     hidden_group_size_x
      - .offset:         46
        .size:           2
        .value_kind:     hidden_group_size_y
      - .offset:         48
        .size:           2
        .value_kind:     hidden_group_size_z
      - .offset:         50
        .size:           2
        .value_kind:     hidden_remainder_x
      - .offset:         52
        .size:           2
        .value_kind:     hidden_remainder_y
      - .offset:         54
        .size:           2
        .value_kind:     hidden_remainder_z
      - .offset:         72
        .size:           8
        .value_kind:     hidden_global_offset_x
      - .offset:         80
        .size:           8
        .value_kind:     hidden_global_offset_y
      - .offset:         88
        .size:           8
        .value_kind:     hidden_global_offset_z
      - .offset:         96
        .size:           2
        .value_kind:     hidden_grid_dims
    .group_segment_fixed_size: 0
    .kernarg_segment_align: 8
    .kernarg_segment_size: 288
    .language:       OpenCL C
    .language_version:
      - 2
      - 0
    .max_flat_workgroup_size: 256
    .name:           _ZN7rocprim17ROCPRIM_400000_NS6detail31init_lookback_scan_state_kernelINS1_19lookback_scan_stateIN3c104HalfELb0ELb1EEENS1_16block_id_wrapperIjLb0EEEEEvT_jT0_jPNS9_10value_typeE
    .private_segment_fixed_size: 0
    .sgpr_count:     15
    .sgpr_spill_count: 0
    .symbol:         _ZN7rocprim17ROCPRIM_400000_NS6detail31init_lookback_scan_state_kernelINS1_19lookback_scan_stateIN3c104HalfELb0ELb1EEENS1_16block_id_wrapperIjLb0EEEEEvT_jT0_jPNS9_10value_typeE.kd
    .uniform_work_group_size: 1
    .uses_dynamic_stack: false
    .vgpr_count:     6
    .vgpr_spill_count: 0
    .wavefront_size: 64
  - .agpr_count:     0
    .args:
      - .offset:         0
        .size:           96
        .value_kind:     by_value
    .group_segment_fixed_size: 3584
    .kernarg_segment_align: 8
    .kernarg_segment_size: 96
    .language:       OpenCL C
    .language_version:
      - 2
      - 0
    .max_flat_workgroup_size: 128
    .name:           _ZN7rocprim17ROCPRIM_400000_NS6detail17trampoline_kernelINS0_14default_configENS1_20scan_config_selectorIN3c104HalfEEEZZNS1_9scan_implILNS1_25lookback_scan_determinismE0ELb0ELb0ES3_PKS6_PS6_S6_ZZZN2at6native31launch_logcumsumexp_cuda_kernelERKNSD_10TensorBaseESH_lENKUlvE_clEvENKUlvE3_clEvEUlS6_S6_E_S6_EEDaPvRmT3_T4_T5_mT6_P12ihipStream_tbENKUlT_T0_E_clISt17integral_constantIbLb0EESY_EEDaST_SU_EUlST_E_NS1_11comp_targetILNS1_3genE0ELNS1_11target_archE4294967295ELNS1_3gpuE0ELNS1_3repE0EEENS1_30default_config_static_selectorELNS0_4arch9wavefront6targetE1EEEvT1_
    .private_segment_fixed_size: 0
    .sgpr_count:     68
    .sgpr_spill_count: 0
    .symbol:         _ZN7rocprim17ROCPRIM_400000_NS6detail17trampoline_kernelINS0_14default_configENS1_20scan_config_selectorIN3c104HalfEEEZZNS1_9scan_implILNS1_25lookback_scan_determinismE0ELb0ELb0ES3_PKS6_PS6_S6_ZZZN2at6native31launch_logcumsumexp_cuda_kernelERKNSD_10TensorBaseESH_lENKUlvE_clEvENKUlvE3_clEvEUlS6_S6_E_S6_EEDaPvRmT3_T4_T5_mT6_P12ihipStream_tbENKUlT_T0_E_clISt17integral_constantIbLb0EESY_EEDaST_SU_EUlST_E_NS1_11comp_targetILNS1_3genE0ELNS1_11target_archE4294967295ELNS1_3gpuE0ELNS1_3repE0EEENS1_30default_config_static_selectorELNS0_4arch9wavefront6targetE1EEEvT1_.kd
    .uniform_work_group_size: 1
    .uses_dynamic_stack: false
    .vgpr_count:     67
    .vgpr_spill_count: 0
    .wavefront_size: 64
  - .agpr_count:     0
    .args:
      - .offset:         0
        .size:           96
        .value_kind:     by_value
    .group_segment_fixed_size: 0
    .kernarg_segment_align: 8
    .kernarg_segment_size: 96
    .language:       OpenCL C
    .language_version:
      - 2
      - 0
    .max_flat_workgroup_size: 256
    .name:           _ZN7rocprim17ROCPRIM_400000_NS6detail17trampoline_kernelINS0_14default_configENS1_20scan_config_selectorIN3c104HalfEEEZZNS1_9scan_implILNS1_25lookback_scan_determinismE0ELb0ELb0ES3_PKS6_PS6_S6_ZZZN2at6native31launch_logcumsumexp_cuda_kernelERKNSD_10TensorBaseESH_lENKUlvE_clEvENKUlvE3_clEvEUlS6_S6_E_S6_EEDaPvRmT3_T4_T5_mT6_P12ihipStream_tbENKUlT_T0_E_clISt17integral_constantIbLb0EESY_EEDaST_SU_EUlST_E_NS1_11comp_targetILNS1_3genE5ELNS1_11target_archE942ELNS1_3gpuE9ELNS1_3repE0EEENS1_30default_config_static_selectorELNS0_4arch9wavefront6targetE1EEEvT1_
    .private_segment_fixed_size: 0
    .sgpr_count:     6
    .sgpr_spill_count: 0
    .symbol:         _ZN7rocprim17ROCPRIM_400000_NS6detail17trampoline_kernelINS0_14default_configENS1_20scan_config_selectorIN3c104HalfEEEZZNS1_9scan_implILNS1_25lookback_scan_determinismE0ELb0ELb0ES3_PKS6_PS6_S6_ZZZN2at6native31launch_logcumsumexp_cuda_kernelERKNSD_10TensorBaseESH_lENKUlvE_clEvENKUlvE3_clEvEUlS6_S6_E_S6_EEDaPvRmT3_T4_T5_mT6_P12ihipStream_tbENKUlT_T0_E_clISt17integral_constantIbLb0EESY_EEDaST_SU_EUlST_E_NS1_11comp_targetILNS1_3genE5ELNS1_11target_archE942ELNS1_3gpuE9ELNS1_3repE0EEENS1_30default_config_static_selectorELNS0_4arch9wavefront6targetE1EEEvT1_.kd
    .uniform_work_group_size: 1
    .uses_dynamic_stack: false
    .vgpr_count:     0
    .vgpr_spill_count: 0
    .wavefront_size: 64
  - .agpr_count:     0
    .args:
      - .offset:         0
        .size:           96
        .value_kind:     by_value
    .group_segment_fixed_size: 0
    .kernarg_segment_align: 8
    .kernarg_segment_size: 96
    .language:       OpenCL C
    .language_version:
      - 2
      - 0
    .max_flat_workgroup_size: 64
    .name:           _ZN7rocprim17ROCPRIM_400000_NS6detail17trampoline_kernelINS0_14default_configENS1_20scan_config_selectorIN3c104HalfEEEZZNS1_9scan_implILNS1_25lookback_scan_determinismE0ELb0ELb0ES3_PKS6_PS6_S6_ZZZN2at6native31launch_logcumsumexp_cuda_kernelERKNSD_10TensorBaseESH_lENKUlvE_clEvENKUlvE3_clEvEUlS6_S6_E_S6_EEDaPvRmT3_T4_T5_mT6_P12ihipStream_tbENKUlT_T0_E_clISt17integral_constantIbLb0EESY_EEDaST_SU_EUlST_E_NS1_11comp_targetILNS1_3genE4ELNS1_11target_archE910ELNS1_3gpuE8ELNS1_3repE0EEENS1_30default_config_static_selectorELNS0_4arch9wavefront6targetE1EEEvT1_
    .private_segment_fixed_size: 0
    .sgpr_count:     6
    .sgpr_spill_count: 0
    .symbol:         _ZN7rocprim17ROCPRIM_400000_NS6detail17trampoline_kernelINS0_14default_configENS1_20scan_config_selectorIN3c104HalfEEEZZNS1_9scan_implILNS1_25lookback_scan_determinismE0ELb0ELb0ES3_PKS6_PS6_S6_ZZZN2at6native31launch_logcumsumexp_cuda_kernelERKNSD_10TensorBaseESH_lENKUlvE_clEvENKUlvE3_clEvEUlS6_S6_E_S6_EEDaPvRmT3_T4_T5_mT6_P12ihipStream_tbENKUlT_T0_E_clISt17integral_constantIbLb0EESY_EEDaST_SU_EUlST_E_NS1_11comp_targetILNS1_3genE4ELNS1_11target_archE910ELNS1_3gpuE8ELNS1_3repE0EEENS1_30default_config_static_selectorELNS0_4arch9wavefront6targetE1EEEvT1_.kd
    .uniform_work_group_size: 1
    .uses_dynamic_stack: false
    .vgpr_count:     0
    .vgpr_spill_count: 0
    .wavefront_size: 64
  - .agpr_count:     0
    .args:
      - .offset:         0
        .size:           96
        .value_kind:     by_value
    .group_segment_fixed_size: 0
    .kernarg_segment_align: 8
    .kernarg_segment_size: 96
    .language:       OpenCL C
    .language_version:
      - 2
      - 0
    .max_flat_workgroup_size: 128
    .name:           _ZN7rocprim17ROCPRIM_400000_NS6detail17trampoline_kernelINS0_14default_configENS1_20scan_config_selectorIN3c104HalfEEEZZNS1_9scan_implILNS1_25lookback_scan_determinismE0ELb0ELb0ES3_PKS6_PS6_S6_ZZZN2at6native31launch_logcumsumexp_cuda_kernelERKNSD_10TensorBaseESH_lENKUlvE_clEvENKUlvE3_clEvEUlS6_S6_E_S6_EEDaPvRmT3_T4_T5_mT6_P12ihipStream_tbENKUlT_T0_E_clISt17integral_constantIbLb0EESY_EEDaST_SU_EUlST_E_NS1_11comp_targetILNS1_3genE3ELNS1_11target_archE908ELNS1_3gpuE7ELNS1_3repE0EEENS1_30default_config_static_selectorELNS0_4arch9wavefront6targetE1EEEvT1_
    .private_segment_fixed_size: 0
    .sgpr_count:     6
    .sgpr_spill_count: 0
    .symbol:         _ZN7rocprim17ROCPRIM_400000_NS6detail17trampoline_kernelINS0_14default_configENS1_20scan_config_selectorIN3c104HalfEEEZZNS1_9scan_implILNS1_25lookback_scan_determinismE0ELb0ELb0ES3_PKS6_PS6_S6_ZZZN2at6native31launch_logcumsumexp_cuda_kernelERKNSD_10TensorBaseESH_lENKUlvE_clEvENKUlvE3_clEvEUlS6_S6_E_S6_EEDaPvRmT3_T4_T5_mT6_P12ihipStream_tbENKUlT_T0_E_clISt17integral_constantIbLb0EESY_EEDaST_SU_EUlST_E_NS1_11comp_targetILNS1_3genE3ELNS1_11target_archE908ELNS1_3gpuE7ELNS1_3repE0EEENS1_30default_config_static_selectorELNS0_4arch9wavefront6targetE1EEEvT1_.kd
    .uniform_work_group_size: 1
    .uses_dynamic_stack: false
    .vgpr_count:     0
    .vgpr_spill_count: 0
    .wavefront_size: 64
  - .agpr_count:     0
    .args:
      - .offset:         0
        .size:           96
        .value_kind:     by_value
    .group_segment_fixed_size: 0
    .kernarg_segment_align: 8
    .kernarg_segment_size: 96
    .language:       OpenCL C
    .language_version:
      - 2
      - 0
    .max_flat_workgroup_size: 256
    .name:           _ZN7rocprim17ROCPRIM_400000_NS6detail17trampoline_kernelINS0_14default_configENS1_20scan_config_selectorIN3c104HalfEEEZZNS1_9scan_implILNS1_25lookback_scan_determinismE0ELb0ELb0ES3_PKS6_PS6_S6_ZZZN2at6native31launch_logcumsumexp_cuda_kernelERKNSD_10TensorBaseESH_lENKUlvE_clEvENKUlvE3_clEvEUlS6_S6_E_S6_EEDaPvRmT3_T4_T5_mT6_P12ihipStream_tbENKUlT_T0_E_clISt17integral_constantIbLb0EESY_EEDaST_SU_EUlST_E_NS1_11comp_targetILNS1_3genE2ELNS1_11target_archE906ELNS1_3gpuE6ELNS1_3repE0EEENS1_30default_config_static_selectorELNS0_4arch9wavefront6targetE1EEEvT1_
    .private_segment_fixed_size: 0
    .sgpr_count:     6
    .sgpr_spill_count: 0
    .symbol:         _ZN7rocprim17ROCPRIM_400000_NS6detail17trampoline_kernelINS0_14default_configENS1_20scan_config_selectorIN3c104HalfEEEZZNS1_9scan_implILNS1_25lookback_scan_determinismE0ELb0ELb0ES3_PKS6_PS6_S6_ZZZN2at6native31launch_logcumsumexp_cuda_kernelERKNSD_10TensorBaseESH_lENKUlvE_clEvENKUlvE3_clEvEUlS6_S6_E_S6_EEDaPvRmT3_T4_T5_mT6_P12ihipStream_tbENKUlT_T0_E_clISt17integral_constantIbLb0EESY_EEDaST_SU_EUlST_E_NS1_11comp_targetILNS1_3genE2ELNS1_11target_archE906ELNS1_3gpuE6ELNS1_3repE0EEENS1_30default_config_static_selectorELNS0_4arch9wavefront6targetE1EEEvT1_.kd
    .uniform_work_group_size: 1
    .uses_dynamic_stack: false
    .vgpr_count:     0
    .vgpr_spill_count: 0
    .wavefront_size: 64
  - .agpr_count:     0
    .args:
      - .offset:         0
        .size:           96
        .value_kind:     by_value
    .group_segment_fixed_size: 0
    .kernarg_segment_align: 8
    .kernarg_segment_size: 96
    .language:       OpenCL C
    .language_version:
      - 2
      - 0
    .max_flat_workgroup_size: 256
    .name:           _ZN7rocprim17ROCPRIM_400000_NS6detail17trampoline_kernelINS0_14default_configENS1_20scan_config_selectorIN3c104HalfEEEZZNS1_9scan_implILNS1_25lookback_scan_determinismE0ELb0ELb0ES3_PKS6_PS6_S6_ZZZN2at6native31launch_logcumsumexp_cuda_kernelERKNSD_10TensorBaseESH_lENKUlvE_clEvENKUlvE3_clEvEUlS6_S6_E_S6_EEDaPvRmT3_T4_T5_mT6_P12ihipStream_tbENKUlT_T0_E_clISt17integral_constantIbLb0EESY_EEDaST_SU_EUlST_E_NS1_11comp_targetILNS1_3genE10ELNS1_11target_archE1201ELNS1_3gpuE5ELNS1_3repE0EEENS1_30default_config_static_selectorELNS0_4arch9wavefront6targetE1EEEvT1_
    .private_segment_fixed_size: 0
    .sgpr_count:     6
    .sgpr_spill_count: 0
    .symbol:         _ZN7rocprim17ROCPRIM_400000_NS6detail17trampoline_kernelINS0_14default_configENS1_20scan_config_selectorIN3c104HalfEEEZZNS1_9scan_implILNS1_25lookback_scan_determinismE0ELb0ELb0ES3_PKS6_PS6_S6_ZZZN2at6native31launch_logcumsumexp_cuda_kernelERKNSD_10TensorBaseESH_lENKUlvE_clEvENKUlvE3_clEvEUlS6_S6_E_S6_EEDaPvRmT3_T4_T5_mT6_P12ihipStream_tbENKUlT_T0_E_clISt17integral_constantIbLb0EESY_EEDaST_SU_EUlST_E_NS1_11comp_targetILNS1_3genE10ELNS1_11target_archE1201ELNS1_3gpuE5ELNS1_3repE0EEENS1_30default_config_static_selectorELNS0_4arch9wavefront6targetE1EEEvT1_.kd
    .uniform_work_group_size: 1
    .uses_dynamic_stack: false
    .vgpr_count:     0
    .vgpr_spill_count: 0
    .wavefront_size: 64
  - .agpr_count:     0
    .args:
      - .offset:         0
        .size:           96
        .value_kind:     by_value
    .group_segment_fixed_size: 0
    .kernarg_segment_align: 8
    .kernarg_segment_size: 96
    .language:       OpenCL C
    .language_version:
      - 2
      - 0
    .max_flat_workgroup_size: 256
    .name:           _ZN7rocprim17ROCPRIM_400000_NS6detail17trampoline_kernelINS0_14default_configENS1_20scan_config_selectorIN3c104HalfEEEZZNS1_9scan_implILNS1_25lookback_scan_determinismE0ELb0ELb0ES3_PKS6_PS6_S6_ZZZN2at6native31launch_logcumsumexp_cuda_kernelERKNSD_10TensorBaseESH_lENKUlvE_clEvENKUlvE3_clEvEUlS6_S6_E_S6_EEDaPvRmT3_T4_T5_mT6_P12ihipStream_tbENKUlT_T0_E_clISt17integral_constantIbLb0EESY_EEDaST_SU_EUlST_E_NS1_11comp_targetILNS1_3genE10ELNS1_11target_archE1200ELNS1_3gpuE4ELNS1_3repE0EEENS1_30default_config_static_selectorELNS0_4arch9wavefront6targetE1EEEvT1_
    .private_segment_fixed_size: 0
    .sgpr_count:     6
    .sgpr_spill_count: 0
    .symbol:         _ZN7rocprim17ROCPRIM_400000_NS6detail17trampoline_kernelINS0_14default_configENS1_20scan_config_selectorIN3c104HalfEEEZZNS1_9scan_implILNS1_25lookback_scan_determinismE0ELb0ELb0ES3_PKS6_PS6_S6_ZZZN2at6native31launch_logcumsumexp_cuda_kernelERKNSD_10TensorBaseESH_lENKUlvE_clEvENKUlvE3_clEvEUlS6_S6_E_S6_EEDaPvRmT3_T4_T5_mT6_P12ihipStream_tbENKUlT_T0_E_clISt17integral_constantIbLb0EESY_EEDaST_SU_EUlST_E_NS1_11comp_targetILNS1_3genE10ELNS1_11target_archE1200ELNS1_3gpuE4ELNS1_3repE0EEENS1_30default_config_static_selectorELNS0_4arch9wavefront6targetE1EEEvT1_.kd
    .uniform_work_group_size: 1
    .uses_dynamic_stack: false
    .vgpr_count:     0
    .vgpr_spill_count: 0
    .wavefront_size: 64
  - .agpr_count:     0
    .args:
      - .offset:         0
        .size:           96
        .value_kind:     by_value
    .group_segment_fixed_size: 0
    .kernarg_segment_align: 8
    .kernarg_segment_size: 96
    .language:       OpenCL C
    .language_version:
      - 2
      - 0
    .max_flat_workgroup_size: 64
    .name:           _ZN7rocprim17ROCPRIM_400000_NS6detail17trampoline_kernelINS0_14default_configENS1_20scan_config_selectorIN3c104HalfEEEZZNS1_9scan_implILNS1_25lookback_scan_determinismE0ELb0ELb0ES3_PKS6_PS6_S6_ZZZN2at6native31launch_logcumsumexp_cuda_kernelERKNSD_10TensorBaseESH_lENKUlvE_clEvENKUlvE3_clEvEUlS6_S6_E_S6_EEDaPvRmT3_T4_T5_mT6_P12ihipStream_tbENKUlT_T0_E_clISt17integral_constantIbLb0EESY_EEDaST_SU_EUlST_E_NS1_11comp_targetILNS1_3genE9ELNS1_11target_archE1100ELNS1_3gpuE3ELNS1_3repE0EEENS1_30default_config_static_selectorELNS0_4arch9wavefront6targetE1EEEvT1_
    .private_segment_fixed_size: 0
    .sgpr_count:     6
    .sgpr_spill_count: 0
    .symbol:         _ZN7rocprim17ROCPRIM_400000_NS6detail17trampoline_kernelINS0_14default_configENS1_20scan_config_selectorIN3c104HalfEEEZZNS1_9scan_implILNS1_25lookback_scan_determinismE0ELb0ELb0ES3_PKS6_PS6_S6_ZZZN2at6native31launch_logcumsumexp_cuda_kernelERKNSD_10TensorBaseESH_lENKUlvE_clEvENKUlvE3_clEvEUlS6_S6_E_S6_EEDaPvRmT3_T4_T5_mT6_P12ihipStream_tbENKUlT_T0_E_clISt17integral_constantIbLb0EESY_EEDaST_SU_EUlST_E_NS1_11comp_targetILNS1_3genE9ELNS1_11target_archE1100ELNS1_3gpuE3ELNS1_3repE0EEENS1_30default_config_static_selectorELNS0_4arch9wavefront6targetE1EEEvT1_.kd
    .uniform_work_group_size: 1
    .uses_dynamic_stack: false
    .vgpr_count:     0
    .vgpr_spill_count: 0
    .wavefront_size: 64
  - .agpr_count:     0
    .args:
      - .offset:         0
        .size:           96
        .value_kind:     by_value
    .group_segment_fixed_size: 0
    .kernarg_segment_align: 8
    .kernarg_segment_size: 96
    .language:       OpenCL C
    .language_version:
      - 2
      - 0
    .max_flat_workgroup_size: 64
    .name:           _ZN7rocprim17ROCPRIM_400000_NS6detail17trampoline_kernelINS0_14default_configENS1_20scan_config_selectorIN3c104HalfEEEZZNS1_9scan_implILNS1_25lookback_scan_determinismE0ELb0ELb0ES3_PKS6_PS6_S6_ZZZN2at6native31launch_logcumsumexp_cuda_kernelERKNSD_10TensorBaseESH_lENKUlvE_clEvENKUlvE3_clEvEUlS6_S6_E_S6_EEDaPvRmT3_T4_T5_mT6_P12ihipStream_tbENKUlT_T0_E_clISt17integral_constantIbLb0EESY_EEDaST_SU_EUlST_E_NS1_11comp_targetILNS1_3genE8ELNS1_11target_archE1030ELNS1_3gpuE2ELNS1_3repE0EEENS1_30default_config_static_selectorELNS0_4arch9wavefront6targetE1EEEvT1_
    .private_segment_fixed_size: 0
    .sgpr_count:     6
    .sgpr_spill_count: 0
    .symbol:         _ZN7rocprim17ROCPRIM_400000_NS6detail17trampoline_kernelINS0_14default_configENS1_20scan_config_selectorIN3c104HalfEEEZZNS1_9scan_implILNS1_25lookback_scan_determinismE0ELb0ELb0ES3_PKS6_PS6_S6_ZZZN2at6native31launch_logcumsumexp_cuda_kernelERKNSD_10TensorBaseESH_lENKUlvE_clEvENKUlvE3_clEvEUlS6_S6_E_S6_EEDaPvRmT3_T4_T5_mT6_P12ihipStream_tbENKUlT_T0_E_clISt17integral_constantIbLb0EESY_EEDaST_SU_EUlST_E_NS1_11comp_targetILNS1_3genE8ELNS1_11target_archE1030ELNS1_3gpuE2ELNS1_3repE0EEENS1_30default_config_static_selectorELNS0_4arch9wavefront6targetE1EEEvT1_.kd
    .uniform_work_group_size: 1
    .uses_dynamic_stack: false
    .vgpr_count:     0
    .vgpr_spill_count: 0
    .wavefront_size: 64
  - .agpr_count:     0
    .args:
      - .offset:         0
        .size:           40
        .value_kind:     by_value
      - .offset:         40
        .size:           4
        .value_kind:     hidden_block_count_x
      - .offset:         44
        .size:           4
        .value_kind:     hidden_block_count_y
      - .offset:         48
        .size:           4
        .value_kind:     hidden_block_count_z
      - .offset:         52
        .size:           2
        .value_kind:     hidden_group_size_x
      - .offset:         54
        .size:           2
        .value_kind:     hidden_group_size_y
      - .offset:         56
        .size:           2
        .value_kind:     hidden_group_size_z
      - .offset:         58
        .size:           2
        .value_kind:     hidden_remainder_x
      - .offset:         60
        .size:           2
        .value_kind:     hidden_remainder_y
      - .offset:         62
        .size:           2
        .value_kind:     hidden_remainder_z
      - .offset:         80
        .size:           8
        .value_kind:     hidden_global_offset_x
      - .offset:         88
        .size:           8
        .value_kind:     hidden_global_offset_y
      - .offset:         96
        .size:           8
        .value_kind:     hidden_global_offset_z
      - .offset:         104
        .size:           2
        .value_kind:     hidden_grid_dims
    .group_segment_fixed_size: 0
    .kernarg_segment_align: 8
    .kernarg_segment_size: 296
    .language:       OpenCL C
    .language_version:
      - 2
      - 0
    .max_flat_workgroup_size: 128
    .name:           _ZN7rocprim17ROCPRIM_400000_NS6detail17trampoline_kernelINS0_14default_configENS1_25transform_config_selectorIN3c104HalfELb1EEEZNS1_14transform_implILb1ES3_S7_PS6_S9_NS0_8identityIS6_EEEE10hipError_tT2_T3_mT4_P12ihipStream_tbEUlT_E_NS1_11comp_targetILNS1_3genE0ELNS1_11target_archE4294967295ELNS1_3gpuE0ELNS1_3repE0EEENS1_30default_config_static_selectorELNS0_4arch9wavefront6targetE1EEEvT1_
    .private_segment_fixed_size: 0
    .sgpr_count:     24
    .sgpr_spill_count: 0
    .symbol:         _ZN7rocprim17ROCPRIM_400000_NS6detail17trampoline_kernelINS0_14default_configENS1_25transform_config_selectorIN3c104HalfELb1EEEZNS1_14transform_implILb1ES3_S7_PS6_S9_NS0_8identityIS6_EEEE10hipError_tT2_T3_mT4_P12ihipStream_tbEUlT_E_NS1_11comp_targetILNS1_3genE0ELNS1_11target_archE4294967295ELNS1_3gpuE0ELNS1_3repE0EEENS1_30default_config_static_selectorELNS0_4arch9wavefront6targetE1EEEvT1_.kd
    .uniform_work_group_size: 1
    .uses_dynamic_stack: false
    .vgpr_count:     6
    .vgpr_spill_count: 0
    .wavefront_size: 64
  - .agpr_count:     0
    .args:
      - .offset:         0
        .size:           40
        .value_kind:     by_value
    .group_segment_fixed_size: 0
    .kernarg_segment_align: 8
    .kernarg_segment_size: 40
    .language:       OpenCL C
    .language_version:
      - 2
      - 0
    .max_flat_workgroup_size: 64
    .name:           _ZN7rocprim17ROCPRIM_400000_NS6detail17trampoline_kernelINS0_14default_configENS1_25transform_config_selectorIN3c104HalfELb1EEEZNS1_14transform_implILb1ES3_S7_PS6_S9_NS0_8identityIS6_EEEE10hipError_tT2_T3_mT4_P12ihipStream_tbEUlT_E_NS1_11comp_targetILNS1_3genE10ELNS1_11target_archE1201ELNS1_3gpuE5ELNS1_3repE0EEENS1_30default_config_static_selectorELNS0_4arch9wavefront6targetE1EEEvT1_
    .private_segment_fixed_size: 0
    .sgpr_count:     6
    .sgpr_spill_count: 0
    .symbol:         _ZN7rocprim17ROCPRIM_400000_NS6detail17trampoline_kernelINS0_14default_configENS1_25transform_config_selectorIN3c104HalfELb1EEEZNS1_14transform_implILb1ES3_S7_PS6_S9_NS0_8identityIS6_EEEE10hipError_tT2_T3_mT4_P12ihipStream_tbEUlT_E_NS1_11comp_targetILNS1_3genE10ELNS1_11target_archE1201ELNS1_3gpuE5ELNS1_3repE0EEENS1_30default_config_static_selectorELNS0_4arch9wavefront6targetE1EEEvT1_.kd
    .uniform_work_group_size: 1
    .uses_dynamic_stack: false
    .vgpr_count:     0
    .vgpr_spill_count: 0
    .wavefront_size: 64
  - .agpr_count:     0
    .args:
      - .offset:         0
        .size:           40
        .value_kind:     by_value
    .group_segment_fixed_size: 0
    .kernarg_segment_align: 8
    .kernarg_segment_size: 40
    .language:       OpenCL C
    .language_version:
      - 2
      - 0
    .max_flat_workgroup_size: 256
    .name:           _ZN7rocprim17ROCPRIM_400000_NS6detail17trampoline_kernelINS0_14default_configENS1_25transform_config_selectorIN3c104HalfELb1EEEZNS1_14transform_implILb1ES3_S7_PS6_S9_NS0_8identityIS6_EEEE10hipError_tT2_T3_mT4_P12ihipStream_tbEUlT_E_NS1_11comp_targetILNS1_3genE5ELNS1_11target_archE942ELNS1_3gpuE9ELNS1_3repE0EEENS1_30default_config_static_selectorELNS0_4arch9wavefront6targetE1EEEvT1_
    .private_segment_fixed_size: 0
    .sgpr_count:     6
    .sgpr_spill_count: 0
    .symbol:         _ZN7rocprim17ROCPRIM_400000_NS6detail17trampoline_kernelINS0_14default_configENS1_25transform_config_selectorIN3c104HalfELb1EEEZNS1_14transform_implILb1ES3_S7_PS6_S9_NS0_8identityIS6_EEEE10hipError_tT2_T3_mT4_P12ihipStream_tbEUlT_E_NS1_11comp_targetILNS1_3genE5ELNS1_11target_archE942ELNS1_3gpuE9ELNS1_3repE0EEENS1_30default_config_static_selectorELNS0_4arch9wavefront6targetE1EEEvT1_.kd
    .uniform_work_group_size: 1
    .uses_dynamic_stack: false
    .vgpr_count:     0
    .vgpr_spill_count: 0
    .wavefront_size: 64
  - .agpr_count:     0
    .args:
      - .offset:         0
        .size:           40
        .value_kind:     by_value
    .group_segment_fixed_size: 0
    .kernarg_segment_align: 8
    .kernarg_segment_size: 40
    .language:       OpenCL C
    .language_version:
      - 2
      - 0
    .max_flat_workgroup_size: 1024
    .name:           _ZN7rocprim17ROCPRIM_400000_NS6detail17trampoline_kernelINS0_14default_configENS1_25transform_config_selectorIN3c104HalfELb1EEEZNS1_14transform_implILb1ES3_S7_PS6_S9_NS0_8identityIS6_EEEE10hipError_tT2_T3_mT4_P12ihipStream_tbEUlT_E_NS1_11comp_targetILNS1_3genE4ELNS1_11target_archE910ELNS1_3gpuE8ELNS1_3repE0EEENS1_30default_config_static_selectorELNS0_4arch9wavefront6targetE1EEEvT1_
    .private_segment_fixed_size: 0
    .sgpr_count:     6
    .sgpr_spill_count: 0
    .symbol:         _ZN7rocprim17ROCPRIM_400000_NS6detail17trampoline_kernelINS0_14default_configENS1_25transform_config_selectorIN3c104HalfELb1EEEZNS1_14transform_implILb1ES3_S7_PS6_S9_NS0_8identityIS6_EEEE10hipError_tT2_T3_mT4_P12ihipStream_tbEUlT_E_NS1_11comp_targetILNS1_3genE4ELNS1_11target_archE910ELNS1_3gpuE8ELNS1_3repE0EEENS1_30default_config_static_selectorELNS0_4arch9wavefront6targetE1EEEvT1_.kd
    .uniform_work_group_size: 1
    .uses_dynamic_stack: false
    .vgpr_count:     0
    .vgpr_spill_count: 0
    .wavefront_size: 64
  - .agpr_count:     0
    .args:
      - .offset:         0
        .size:           40
        .value_kind:     by_value
    .group_segment_fixed_size: 0
    .kernarg_segment_align: 8
    .kernarg_segment_size: 40
    .language:       OpenCL C
    .language_version:
      - 2
      - 0
    .max_flat_workgroup_size: 128
    .name:           _ZN7rocprim17ROCPRIM_400000_NS6detail17trampoline_kernelINS0_14default_configENS1_25transform_config_selectorIN3c104HalfELb1EEEZNS1_14transform_implILb1ES3_S7_PS6_S9_NS0_8identityIS6_EEEE10hipError_tT2_T3_mT4_P12ihipStream_tbEUlT_E_NS1_11comp_targetILNS1_3genE3ELNS1_11target_archE908ELNS1_3gpuE7ELNS1_3repE0EEENS1_30default_config_static_selectorELNS0_4arch9wavefront6targetE1EEEvT1_
    .private_segment_fixed_size: 0
    .sgpr_count:     6
    .sgpr_spill_count: 0
    .symbol:         _ZN7rocprim17ROCPRIM_400000_NS6detail17trampoline_kernelINS0_14default_configENS1_25transform_config_selectorIN3c104HalfELb1EEEZNS1_14transform_implILb1ES3_S7_PS6_S9_NS0_8identityIS6_EEEE10hipError_tT2_T3_mT4_P12ihipStream_tbEUlT_E_NS1_11comp_targetILNS1_3genE3ELNS1_11target_archE908ELNS1_3gpuE7ELNS1_3repE0EEENS1_30default_config_static_selectorELNS0_4arch9wavefront6targetE1EEEvT1_.kd
    .uniform_work_group_size: 1
    .uses_dynamic_stack: false
    .vgpr_count:     0
    .vgpr_spill_count: 0
    .wavefront_size: 64
  - .agpr_count:     0
    .args:
      - .offset:         0
        .size:           40
        .value_kind:     by_value
    .group_segment_fixed_size: 0
    .kernarg_segment_align: 8
    .kernarg_segment_size: 40
    .language:       OpenCL C
    .language_version:
      - 2
      - 0
    .max_flat_workgroup_size: 1024
    .name:           _ZN7rocprim17ROCPRIM_400000_NS6detail17trampoline_kernelINS0_14default_configENS1_25transform_config_selectorIN3c104HalfELb1EEEZNS1_14transform_implILb1ES3_S7_PS6_S9_NS0_8identityIS6_EEEE10hipError_tT2_T3_mT4_P12ihipStream_tbEUlT_E_NS1_11comp_targetILNS1_3genE2ELNS1_11target_archE906ELNS1_3gpuE6ELNS1_3repE0EEENS1_30default_config_static_selectorELNS0_4arch9wavefront6targetE1EEEvT1_
    .private_segment_fixed_size: 0
    .sgpr_count:     6
    .sgpr_spill_count: 0
    .symbol:         _ZN7rocprim17ROCPRIM_400000_NS6detail17trampoline_kernelINS0_14default_configENS1_25transform_config_selectorIN3c104HalfELb1EEEZNS1_14transform_implILb1ES3_S7_PS6_S9_NS0_8identityIS6_EEEE10hipError_tT2_T3_mT4_P12ihipStream_tbEUlT_E_NS1_11comp_targetILNS1_3genE2ELNS1_11target_archE906ELNS1_3gpuE6ELNS1_3repE0EEENS1_30default_config_static_selectorELNS0_4arch9wavefront6targetE1EEEvT1_.kd
    .uniform_work_group_size: 1
    .uses_dynamic_stack: false
    .vgpr_count:     0
    .vgpr_spill_count: 0
    .wavefront_size: 64
  - .agpr_count:     0
    .args:
      - .offset:         0
        .size:           40
        .value_kind:     by_value
    .group_segment_fixed_size: 0
    .kernarg_segment_align: 8
    .kernarg_segment_size: 40
    .language:       OpenCL C
    .language_version:
      - 2
      - 0
    .max_flat_workgroup_size: 1024
    .name:           _ZN7rocprim17ROCPRIM_400000_NS6detail17trampoline_kernelINS0_14default_configENS1_25transform_config_selectorIN3c104HalfELb1EEEZNS1_14transform_implILb1ES3_S7_PS6_S9_NS0_8identityIS6_EEEE10hipError_tT2_T3_mT4_P12ihipStream_tbEUlT_E_NS1_11comp_targetILNS1_3genE9ELNS1_11target_archE1100ELNS1_3gpuE3ELNS1_3repE0EEENS1_30default_config_static_selectorELNS0_4arch9wavefront6targetE1EEEvT1_
    .private_segment_fixed_size: 0
    .sgpr_count:     6
    .sgpr_spill_count: 0
    .symbol:         _ZN7rocprim17ROCPRIM_400000_NS6detail17trampoline_kernelINS0_14default_configENS1_25transform_config_selectorIN3c104HalfELb1EEEZNS1_14transform_implILb1ES3_S7_PS6_S9_NS0_8identityIS6_EEEE10hipError_tT2_T3_mT4_P12ihipStream_tbEUlT_E_NS1_11comp_targetILNS1_3genE9ELNS1_11target_archE1100ELNS1_3gpuE3ELNS1_3repE0EEENS1_30default_config_static_selectorELNS0_4arch9wavefront6targetE1EEEvT1_.kd
    .uniform_work_group_size: 1
    .uses_dynamic_stack: false
    .vgpr_count:     0
    .vgpr_spill_count: 0
    .wavefront_size: 64
  - .agpr_count:     0
    .args:
      - .offset:         0
        .size:           40
        .value_kind:     by_value
    .group_segment_fixed_size: 0
    .kernarg_segment_align: 8
    .kernarg_segment_size: 40
    .language:       OpenCL C
    .language_version:
      - 2
      - 0
    .max_flat_workgroup_size: 1024
    .name:           _ZN7rocprim17ROCPRIM_400000_NS6detail17trampoline_kernelINS0_14default_configENS1_25transform_config_selectorIN3c104HalfELb1EEEZNS1_14transform_implILb1ES3_S7_PS6_S9_NS0_8identityIS6_EEEE10hipError_tT2_T3_mT4_P12ihipStream_tbEUlT_E_NS1_11comp_targetILNS1_3genE8ELNS1_11target_archE1030ELNS1_3gpuE2ELNS1_3repE0EEENS1_30default_config_static_selectorELNS0_4arch9wavefront6targetE1EEEvT1_
    .private_segment_fixed_size: 0
    .sgpr_count:     6
    .sgpr_spill_count: 0
    .symbol:         _ZN7rocprim17ROCPRIM_400000_NS6detail17trampoline_kernelINS0_14default_configENS1_25transform_config_selectorIN3c104HalfELb1EEEZNS1_14transform_implILb1ES3_S7_PS6_S9_NS0_8identityIS6_EEEE10hipError_tT2_T3_mT4_P12ihipStream_tbEUlT_E_NS1_11comp_targetILNS1_3genE8ELNS1_11target_archE1030ELNS1_3gpuE2ELNS1_3repE0EEENS1_30default_config_static_selectorELNS0_4arch9wavefront6targetE1EEEvT1_.kd
    .uniform_work_group_size: 1
    .uses_dynamic_stack: false
    .vgpr_count:     0
    .vgpr_spill_count: 0
    .wavefront_size: 64
  - .agpr_count:     0
    .args:
      - .offset:         0
        .size:           32
        .value_kind:     by_value
    .group_segment_fixed_size: 3584
    .kernarg_segment_align: 8
    .kernarg_segment_size: 32
    .language:       OpenCL C
    .language_version:
      - 2
      - 0
    .max_flat_workgroup_size: 128
    .name:           _ZN7rocprim17ROCPRIM_400000_NS6detail17trampoline_kernelINS0_14default_configENS1_20scan_config_selectorIN3c104HalfEEEZZNS1_9scan_implILNS1_25lookback_scan_determinismE0ELb0ELb0ES3_PKS6_PS6_S6_ZZZN2at6native31launch_logcumsumexp_cuda_kernelERKNSD_10TensorBaseESH_lENKUlvE_clEvENKUlvE3_clEvEUlS6_S6_E_S6_EEDaPvRmT3_T4_T5_mT6_P12ihipStream_tbENKUlT_T0_E_clISt17integral_constantIbLb0EESY_EEDaST_SU_EUlST_E0_NS1_11comp_targetILNS1_3genE0ELNS1_11target_archE4294967295ELNS1_3gpuE0ELNS1_3repE0EEENS1_30default_config_static_selectorELNS0_4arch9wavefront6targetE1EEEvT1_
    .private_segment_fixed_size: 0
    .sgpr_count:     72
    .sgpr_spill_count: 0
    .symbol:         _ZN7rocprim17ROCPRIM_400000_NS6detail17trampoline_kernelINS0_14default_configENS1_20scan_config_selectorIN3c104HalfEEEZZNS1_9scan_implILNS1_25lookback_scan_determinismE0ELb0ELb0ES3_PKS6_PS6_S6_ZZZN2at6native31launch_logcumsumexp_cuda_kernelERKNSD_10TensorBaseESH_lENKUlvE_clEvENKUlvE3_clEvEUlS6_S6_E_S6_EEDaPvRmT3_T4_T5_mT6_P12ihipStream_tbENKUlT_T0_E_clISt17integral_constantIbLb0EESY_EEDaST_SU_EUlST_E0_NS1_11comp_targetILNS1_3genE0ELNS1_11target_archE4294967295ELNS1_3gpuE0ELNS1_3repE0EEENS1_30default_config_static_selectorELNS0_4arch9wavefront6targetE1EEEvT1_.kd
    .uniform_work_group_size: 1
    .uses_dynamic_stack: false
    .vgpr_count:     40
    .vgpr_spill_count: 0
    .wavefront_size: 64
  - .agpr_count:     0
    .args:
      - .offset:         0
        .size:           32
        .value_kind:     by_value
    .group_segment_fixed_size: 0
    .kernarg_segment_align: 8
    .kernarg_segment_size: 32
    .language:       OpenCL C
    .language_version:
      - 2
      - 0
    .max_flat_workgroup_size: 256
    .name:           _ZN7rocprim17ROCPRIM_400000_NS6detail17trampoline_kernelINS0_14default_configENS1_20scan_config_selectorIN3c104HalfEEEZZNS1_9scan_implILNS1_25lookback_scan_determinismE0ELb0ELb0ES3_PKS6_PS6_S6_ZZZN2at6native31launch_logcumsumexp_cuda_kernelERKNSD_10TensorBaseESH_lENKUlvE_clEvENKUlvE3_clEvEUlS6_S6_E_S6_EEDaPvRmT3_T4_T5_mT6_P12ihipStream_tbENKUlT_T0_E_clISt17integral_constantIbLb0EESY_EEDaST_SU_EUlST_E0_NS1_11comp_targetILNS1_3genE5ELNS1_11target_archE942ELNS1_3gpuE9ELNS1_3repE0EEENS1_30default_config_static_selectorELNS0_4arch9wavefront6targetE1EEEvT1_
    .private_segment_fixed_size: 0
    .sgpr_count:     6
    .sgpr_spill_count: 0
    .symbol:         _ZN7rocprim17ROCPRIM_400000_NS6detail17trampoline_kernelINS0_14default_configENS1_20scan_config_selectorIN3c104HalfEEEZZNS1_9scan_implILNS1_25lookback_scan_determinismE0ELb0ELb0ES3_PKS6_PS6_S6_ZZZN2at6native31launch_logcumsumexp_cuda_kernelERKNSD_10TensorBaseESH_lENKUlvE_clEvENKUlvE3_clEvEUlS6_S6_E_S6_EEDaPvRmT3_T4_T5_mT6_P12ihipStream_tbENKUlT_T0_E_clISt17integral_constantIbLb0EESY_EEDaST_SU_EUlST_E0_NS1_11comp_targetILNS1_3genE5ELNS1_11target_archE942ELNS1_3gpuE9ELNS1_3repE0EEENS1_30default_config_static_selectorELNS0_4arch9wavefront6targetE1EEEvT1_.kd
    .uniform_work_group_size: 1
    .uses_dynamic_stack: false
    .vgpr_count:     0
    .vgpr_spill_count: 0
    .wavefront_size: 64
  - .agpr_count:     0
    .args:
      - .offset:         0
        .size:           32
        .value_kind:     by_value
    .group_segment_fixed_size: 0
    .kernarg_segment_align: 8
    .kernarg_segment_size: 32
    .language:       OpenCL C
    .language_version:
      - 2
      - 0
    .max_flat_workgroup_size: 64
    .name:           _ZN7rocprim17ROCPRIM_400000_NS6detail17trampoline_kernelINS0_14default_configENS1_20scan_config_selectorIN3c104HalfEEEZZNS1_9scan_implILNS1_25lookback_scan_determinismE0ELb0ELb0ES3_PKS6_PS6_S6_ZZZN2at6native31launch_logcumsumexp_cuda_kernelERKNSD_10TensorBaseESH_lENKUlvE_clEvENKUlvE3_clEvEUlS6_S6_E_S6_EEDaPvRmT3_T4_T5_mT6_P12ihipStream_tbENKUlT_T0_E_clISt17integral_constantIbLb0EESY_EEDaST_SU_EUlST_E0_NS1_11comp_targetILNS1_3genE4ELNS1_11target_archE910ELNS1_3gpuE8ELNS1_3repE0EEENS1_30default_config_static_selectorELNS0_4arch9wavefront6targetE1EEEvT1_
    .private_segment_fixed_size: 0
    .sgpr_count:     6
    .sgpr_spill_count: 0
    .symbol:         _ZN7rocprim17ROCPRIM_400000_NS6detail17trampoline_kernelINS0_14default_configENS1_20scan_config_selectorIN3c104HalfEEEZZNS1_9scan_implILNS1_25lookback_scan_determinismE0ELb0ELb0ES3_PKS6_PS6_S6_ZZZN2at6native31launch_logcumsumexp_cuda_kernelERKNSD_10TensorBaseESH_lENKUlvE_clEvENKUlvE3_clEvEUlS6_S6_E_S6_EEDaPvRmT3_T4_T5_mT6_P12ihipStream_tbENKUlT_T0_E_clISt17integral_constantIbLb0EESY_EEDaST_SU_EUlST_E0_NS1_11comp_targetILNS1_3genE4ELNS1_11target_archE910ELNS1_3gpuE8ELNS1_3repE0EEENS1_30default_config_static_selectorELNS0_4arch9wavefront6targetE1EEEvT1_.kd
    .uniform_work_group_size: 1
    .uses_dynamic_stack: false
    .vgpr_count:     0
    .vgpr_spill_count: 0
    .wavefront_size: 64
  - .agpr_count:     0
    .args:
      - .offset:         0
        .size:           32
        .value_kind:     by_value
    .group_segment_fixed_size: 0
    .kernarg_segment_align: 8
    .kernarg_segment_size: 32
    .language:       OpenCL C
    .language_version:
      - 2
      - 0
    .max_flat_workgroup_size: 128
    .name:           _ZN7rocprim17ROCPRIM_400000_NS6detail17trampoline_kernelINS0_14default_configENS1_20scan_config_selectorIN3c104HalfEEEZZNS1_9scan_implILNS1_25lookback_scan_determinismE0ELb0ELb0ES3_PKS6_PS6_S6_ZZZN2at6native31launch_logcumsumexp_cuda_kernelERKNSD_10TensorBaseESH_lENKUlvE_clEvENKUlvE3_clEvEUlS6_S6_E_S6_EEDaPvRmT3_T4_T5_mT6_P12ihipStream_tbENKUlT_T0_E_clISt17integral_constantIbLb0EESY_EEDaST_SU_EUlST_E0_NS1_11comp_targetILNS1_3genE3ELNS1_11target_archE908ELNS1_3gpuE7ELNS1_3repE0EEENS1_30default_config_static_selectorELNS0_4arch9wavefront6targetE1EEEvT1_
    .private_segment_fixed_size: 0
    .sgpr_count:     6
    .sgpr_spill_count: 0
    .symbol:         _ZN7rocprim17ROCPRIM_400000_NS6detail17trampoline_kernelINS0_14default_configENS1_20scan_config_selectorIN3c104HalfEEEZZNS1_9scan_implILNS1_25lookback_scan_determinismE0ELb0ELb0ES3_PKS6_PS6_S6_ZZZN2at6native31launch_logcumsumexp_cuda_kernelERKNSD_10TensorBaseESH_lENKUlvE_clEvENKUlvE3_clEvEUlS6_S6_E_S6_EEDaPvRmT3_T4_T5_mT6_P12ihipStream_tbENKUlT_T0_E_clISt17integral_constantIbLb0EESY_EEDaST_SU_EUlST_E0_NS1_11comp_targetILNS1_3genE3ELNS1_11target_archE908ELNS1_3gpuE7ELNS1_3repE0EEENS1_30default_config_static_selectorELNS0_4arch9wavefront6targetE1EEEvT1_.kd
    .uniform_work_group_size: 1
    .uses_dynamic_stack: false
    .vgpr_count:     0
    .vgpr_spill_count: 0
    .wavefront_size: 64
  - .agpr_count:     0
    .args:
      - .offset:         0
        .size:           32
        .value_kind:     by_value
    .group_segment_fixed_size: 0
    .kernarg_segment_align: 8
    .kernarg_segment_size: 32
    .language:       OpenCL C
    .language_version:
      - 2
      - 0
    .max_flat_workgroup_size: 256
    .name:           _ZN7rocprim17ROCPRIM_400000_NS6detail17trampoline_kernelINS0_14default_configENS1_20scan_config_selectorIN3c104HalfEEEZZNS1_9scan_implILNS1_25lookback_scan_determinismE0ELb0ELb0ES3_PKS6_PS6_S6_ZZZN2at6native31launch_logcumsumexp_cuda_kernelERKNSD_10TensorBaseESH_lENKUlvE_clEvENKUlvE3_clEvEUlS6_S6_E_S6_EEDaPvRmT3_T4_T5_mT6_P12ihipStream_tbENKUlT_T0_E_clISt17integral_constantIbLb0EESY_EEDaST_SU_EUlST_E0_NS1_11comp_targetILNS1_3genE2ELNS1_11target_archE906ELNS1_3gpuE6ELNS1_3repE0EEENS1_30default_config_static_selectorELNS0_4arch9wavefront6targetE1EEEvT1_
    .private_segment_fixed_size: 0
    .sgpr_count:     6
    .sgpr_spill_count: 0
    .symbol:         _ZN7rocprim17ROCPRIM_400000_NS6detail17trampoline_kernelINS0_14default_configENS1_20scan_config_selectorIN3c104HalfEEEZZNS1_9scan_implILNS1_25lookback_scan_determinismE0ELb0ELb0ES3_PKS6_PS6_S6_ZZZN2at6native31launch_logcumsumexp_cuda_kernelERKNSD_10TensorBaseESH_lENKUlvE_clEvENKUlvE3_clEvEUlS6_S6_E_S6_EEDaPvRmT3_T4_T5_mT6_P12ihipStream_tbENKUlT_T0_E_clISt17integral_constantIbLb0EESY_EEDaST_SU_EUlST_E0_NS1_11comp_targetILNS1_3genE2ELNS1_11target_archE906ELNS1_3gpuE6ELNS1_3repE0EEENS1_30default_config_static_selectorELNS0_4arch9wavefront6targetE1EEEvT1_.kd
    .uniform_work_group_size: 1
    .uses_dynamic_stack: false
    .vgpr_count:     0
    .vgpr_spill_count: 0
    .wavefront_size: 64
  - .agpr_count:     0
    .args:
      - .offset:         0
        .size:           32
        .value_kind:     by_value
    .group_segment_fixed_size: 0
    .kernarg_segment_align: 8
    .kernarg_segment_size: 32
    .language:       OpenCL C
    .language_version:
      - 2
      - 0
    .max_flat_workgroup_size: 256
    .name:           _ZN7rocprim17ROCPRIM_400000_NS6detail17trampoline_kernelINS0_14default_configENS1_20scan_config_selectorIN3c104HalfEEEZZNS1_9scan_implILNS1_25lookback_scan_determinismE0ELb0ELb0ES3_PKS6_PS6_S6_ZZZN2at6native31launch_logcumsumexp_cuda_kernelERKNSD_10TensorBaseESH_lENKUlvE_clEvENKUlvE3_clEvEUlS6_S6_E_S6_EEDaPvRmT3_T4_T5_mT6_P12ihipStream_tbENKUlT_T0_E_clISt17integral_constantIbLb0EESY_EEDaST_SU_EUlST_E0_NS1_11comp_targetILNS1_3genE10ELNS1_11target_archE1201ELNS1_3gpuE5ELNS1_3repE0EEENS1_30default_config_static_selectorELNS0_4arch9wavefront6targetE1EEEvT1_
    .private_segment_fixed_size: 0
    .sgpr_count:     6
    .sgpr_spill_count: 0
    .symbol:         _ZN7rocprim17ROCPRIM_400000_NS6detail17trampoline_kernelINS0_14default_configENS1_20scan_config_selectorIN3c104HalfEEEZZNS1_9scan_implILNS1_25lookback_scan_determinismE0ELb0ELb0ES3_PKS6_PS6_S6_ZZZN2at6native31launch_logcumsumexp_cuda_kernelERKNSD_10TensorBaseESH_lENKUlvE_clEvENKUlvE3_clEvEUlS6_S6_E_S6_EEDaPvRmT3_T4_T5_mT6_P12ihipStream_tbENKUlT_T0_E_clISt17integral_constantIbLb0EESY_EEDaST_SU_EUlST_E0_NS1_11comp_targetILNS1_3genE10ELNS1_11target_archE1201ELNS1_3gpuE5ELNS1_3repE0EEENS1_30default_config_static_selectorELNS0_4arch9wavefront6targetE1EEEvT1_.kd
    .uniform_work_group_size: 1
    .uses_dynamic_stack: false
    .vgpr_count:     0
    .vgpr_spill_count: 0
    .wavefront_size: 64
  - .agpr_count:     0
    .args:
      - .offset:         0
        .size:           32
        .value_kind:     by_value
    .group_segment_fixed_size: 0
    .kernarg_segment_align: 8
    .kernarg_segment_size: 32
    .language:       OpenCL C
    .language_version:
      - 2
      - 0
    .max_flat_workgroup_size: 256
    .name:           _ZN7rocprim17ROCPRIM_400000_NS6detail17trampoline_kernelINS0_14default_configENS1_20scan_config_selectorIN3c104HalfEEEZZNS1_9scan_implILNS1_25lookback_scan_determinismE0ELb0ELb0ES3_PKS6_PS6_S6_ZZZN2at6native31launch_logcumsumexp_cuda_kernelERKNSD_10TensorBaseESH_lENKUlvE_clEvENKUlvE3_clEvEUlS6_S6_E_S6_EEDaPvRmT3_T4_T5_mT6_P12ihipStream_tbENKUlT_T0_E_clISt17integral_constantIbLb0EESY_EEDaST_SU_EUlST_E0_NS1_11comp_targetILNS1_3genE10ELNS1_11target_archE1200ELNS1_3gpuE4ELNS1_3repE0EEENS1_30default_config_static_selectorELNS0_4arch9wavefront6targetE1EEEvT1_
    .private_segment_fixed_size: 0
    .sgpr_count:     6
    .sgpr_spill_count: 0
    .symbol:         _ZN7rocprim17ROCPRIM_400000_NS6detail17trampoline_kernelINS0_14default_configENS1_20scan_config_selectorIN3c104HalfEEEZZNS1_9scan_implILNS1_25lookback_scan_determinismE0ELb0ELb0ES3_PKS6_PS6_S6_ZZZN2at6native31launch_logcumsumexp_cuda_kernelERKNSD_10TensorBaseESH_lENKUlvE_clEvENKUlvE3_clEvEUlS6_S6_E_S6_EEDaPvRmT3_T4_T5_mT6_P12ihipStream_tbENKUlT_T0_E_clISt17integral_constantIbLb0EESY_EEDaST_SU_EUlST_E0_NS1_11comp_targetILNS1_3genE10ELNS1_11target_archE1200ELNS1_3gpuE4ELNS1_3repE0EEENS1_30default_config_static_selectorELNS0_4arch9wavefront6targetE1EEEvT1_.kd
    .uniform_work_group_size: 1
    .uses_dynamic_stack: false
    .vgpr_count:     0
    .vgpr_spill_count: 0
    .wavefront_size: 64
  - .agpr_count:     0
    .args:
      - .offset:         0
        .size:           32
        .value_kind:     by_value
    .group_segment_fixed_size: 0
    .kernarg_segment_align: 8
    .kernarg_segment_size: 32
    .language:       OpenCL C
    .language_version:
      - 2
      - 0
    .max_flat_workgroup_size: 64
    .name:           _ZN7rocprim17ROCPRIM_400000_NS6detail17trampoline_kernelINS0_14default_configENS1_20scan_config_selectorIN3c104HalfEEEZZNS1_9scan_implILNS1_25lookback_scan_determinismE0ELb0ELb0ES3_PKS6_PS6_S6_ZZZN2at6native31launch_logcumsumexp_cuda_kernelERKNSD_10TensorBaseESH_lENKUlvE_clEvENKUlvE3_clEvEUlS6_S6_E_S6_EEDaPvRmT3_T4_T5_mT6_P12ihipStream_tbENKUlT_T0_E_clISt17integral_constantIbLb0EESY_EEDaST_SU_EUlST_E0_NS1_11comp_targetILNS1_3genE9ELNS1_11target_archE1100ELNS1_3gpuE3ELNS1_3repE0EEENS1_30default_config_static_selectorELNS0_4arch9wavefront6targetE1EEEvT1_
    .private_segment_fixed_size: 0
    .sgpr_count:     6
    .sgpr_spill_count: 0
    .symbol:         _ZN7rocprim17ROCPRIM_400000_NS6detail17trampoline_kernelINS0_14default_configENS1_20scan_config_selectorIN3c104HalfEEEZZNS1_9scan_implILNS1_25lookback_scan_determinismE0ELb0ELb0ES3_PKS6_PS6_S6_ZZZN2at6native31launch_logcumsumexp_cuda_kernelERKNSD_10TensorBaseESH_lENKUlvE_clEvENKUlvE3_clEvEUlS6_S6_E_S6_EEDaPvRmT3_T4_T5_mT6_P12ihipStream_tbENKUlT_T0_E_clISt17integral_constantIbLb0EESY_EEDaST_SU_EUlST_E0_NS1_11comp_targetILNS1_3genE9ELNS1_11target_archE1100ELNS1_3gpuE3ELNS1_3repE0EEENS1_30default_config_static_selectorELNS0_4arch9wavefront6targetE1EEEvT1_.kd
    .uniform_work_group_size: 1
    .uses_dynamic_stack: false
    .vgpr_count:     0
    .vgpr_spill_count: 0
    .wavefront_size: 64
  - .agpr_count:     0
    .args:
      - .offset:         0
        .size:           32
        .value_kind:     by_value
    .group_segment_fixed_size: 0
    .kernarg_segment_align: 8
    .kernarg_segment_size: 32
    .language:       OpenCL C
    .language_version:
      - 2
      - 0
    .max_flat_workgroup_size: 64
    .name:           _ZN7rocprim17ROCPRIM_400000_NS6detail17trampoline_kernelINS0_14default_configENS1_20scan_config_selectorIN3c104HalfEEEZZNS1_9scan_implILNS1_25lookback_scan_determinismE0ELb0ELb0ES3_PKS6_PS6_S6_ZZZN2at6native31launch_logcumsumexp_cuda_kernelERKNSD_10TensorBaseESH_lENKUlvE_clEvENKUlvE3_clEvEUlS6_S6_E_S6_EEDaPvRmT3_T4_T5_mT6_P12ihipStream_tbENKUlT_T0_E_clISt17integral_constantIbLb0EESY_EEDaST_SU_EUlST_E0_NS1_11comp_targetILNS1_3genE8ELNS1_11target_archE1030ELNS1_3gpuE2ELNS1_3repE0EEENS1_30default_config_static_selectorELNS0_4arch9wavefront6targetE1EEEvT1_
    .private_segment_fixed_size: 0
    .sgpr_count:     6
    .sgpr_spill_count: 0
    .symbol:         _ZN7rocprim17ROCPRIM_400000_NS6detail17trampoline_kernelINS0_14default_configENS1_20scan_config_selectorIN3c104HalfEEEZZNS1_9scan_implILNS1_25lookback_scan_determinismE0ELb0ELb0ES3_PKS6_PS6_S6_ZZZN2at6native31launch_logcumsumexp_cuda_kernelERKNSD_10TensorBaseESH_lENKUlvE_clEvENKUlvE3_clEvEUlS6_S6_E_S6_EEDaPvRmT3_T4_T5_mT6_P12ihipStream_tbENKUlT_T0_E_clISt17integral_constantIbLb0EESY_EEDaST_SU_EUlST_E0_NS1_11comp_targetILNS1_3genE8ELNS1_11target_archE1030ELNS1_3gpuE2ELNS1_3repE0EEENS1_30default_config_static_selectorELNS0_4arch9wavefront6targetE1EEEvT1_.kd
    .uniform_work_group_size: 1
    .uses_dynamic_stack: false
    .vgpr_count:     0
    .vgpr_spill_count: 0
    .wavefront_size: 64
  - .agpr_count:     0
    .args:
      - .address_space:  global
        .offset:         0
        .size:           8
        .value_kind:     global_buffer
      - .offset:         8
        .size:           4
        .value_kind:     by_value
      - .address_space:  global
        .offset:         16
        .size:           8
        .value_kind:     global_buffer
      - .offset:         24
        .size:           4
        .value_kind:     by_value
      - .address_space:  global
        .offset:         32
        .size:           8
        .value_kind:     global_buffer
      - .offset:         40
        .size:           4
        .value_kind:     hidden_block_count_x
      - .offset:         44
        .size:           4
        .value_kind:     hidden_block_count_y
      - .offset:         48
        .size:           4
        .value_kind:     hidden_block_count_z
      - .offset:         52
        .size:           2
        .value_kind:     hidden_group_size_x
      - .offset:         54
        .size:           2
        .value_kind:     hidden_group_size_y
      - .offset:         56
        .size:           2
        .value_kind:     hidden_group_size_z
      - .offset:         58
        .size:           2
        .value_kind:     hidden_remainder_x
      - .offset:         60
        .size:           2
        .value_kind:     hidden_remainder_y
      - .offset:         62
        .size:           2
        .value_kind:     hidden_remainder_z
      - .offset:         80
        .size:           8
        .value_kind:     hidden_global_offset_x
      - .offset:         88
        .size:           8
        .value_kind:     hidden_global_offset_y
      - .offset:         96
        .size:           8
        .value_kind:     hidden_global_offset_z
      - .offset:         104
        .size:           2
        .value_kind:     hidden_grid_dims
    .group_segment_fixed_size: 0
    .kernarg_segment_align: 8
    .kernarg_segment_size: 296
    .language:       OpenCL C
    .language_version:
      - 2
      - 0
    .max_flat_workgroup_size: 256
    .name:           _ZN7rocprim17ROCPRIM_400000_NS6detail31init_lookback_scan_state_kernelINS1_19lookback_scan_stateIN3c104HalfELb1ELb1EEENS1_16block_id_wrapperIjLb1EEEEEvT_jT0_jPNS9_10value_typeE
    .private_segment_fixed_size: 0
    .sgpr_count:     20
    .sgpr_spill_count: 0
    .symbol:         _ZN7rocprim17ROCPRIM_400000_NS6detail31init_lookback_scan_state_kernelINS1_19lookback_scan_stateIN3c104HalfELb1ELb1EEENS1_16block_id_wrapperIjLb1EEEEEvT_jT0_jPNS9_10value_typeE.kd
    .uniform_work_group_size: 1
    .uses_dynamic_stack: false
    .vgpr_count:     6
    .vgpr_spill_count: 0
    .wavefront_size: 64
  - .agpr_count:     0
    .args:
      - .offset:         0
        .size:           96
        .value_kind:     by_value
    .group_segment_fixed_size: 0
    .kernarg_segment_align: 8
    .kernarg_segment_size: 96
    .language:       OpenCL C
    .language_version:
      - 2
      - 0
    .max_flat_workgroup_size: 128
    .name:           _ZN7rocprim17ROCPRIM_400000_NS6detail17trampoline_kernelINS0_14default_configENS1_20scan_config_selectorIN3c104HalfEEEZZNS1_9scan_implILNS1_25lookback_scan_determinismE0ELb0ELb0ES3_PKS6_PS6_S6_ZZZN2at6native31launch_logcumsumexp_cuda_kernelERKNSD_10TensorBaseESH_lENKUlvE_clEvENKUlvE3_clEvEUlS6_S6_E_S6_EEDaPvRmT3_T4_T5_mT6_P12ihipStream_tbENKUlT_T0_E_clISt17integral_constantIbLb1EESY_EEDaST_SU_EUlST_E_NS1_11comp_targetILNS1_3genE0ELNS1_11target_archE4294967295ELNS1_3gpuE0ELNS1_3repE0EEENS1_30default_config_static_selectorELNS0_4arch9wavefront6targetE1EEEvT1_
    .private_segment_fixed_size: 0
    .sgpr_count:     6
    .sgpr_spill_count: 0
    .symbol:         _ZN7rocprim17ROCPRIM_400000_NS6detail17trampoline_kernelINS0_14default_configENS1_20scan_config_selectorIN3c104HalfEEEZZNS1_9scan_implILNS1_25lookback_scan_determinismE0ELb0ELb0ES3_PKS6_PS6_S6_ZZZN2at6native31launch_logcumsumexp_cuda_kernelERKNSD_10TensorBaseESH_lENKUlvE_clEvENKUlvE3_clEvEUlS6_S6_E_S6_EEDaPvRmT3_T4_T5_mT6_P12ihipStream_tbENKUlT_T0_E_clISt17integral_constantIbLb1EESY_EEDaST_SU_EUlST_E_NS1_11comp_targetILNS1_3genE0ELNS1_11target_archE4294967295ELNS1_3gpuE0ELNS1_3repE0EEENS1_30default_config_static_selectorELNS0_4arch9wavefront6targetE1EEEvT1_.kd
    .uniform_work_group_size: 1
    .uses_dynamic_stack: false
    .vgpr_count:     0
    .vgpr_spill_count: 0
    .wavefront_size: 64
  - .agpr_count:     0
    .args:
      - .offset:         0
        .size:           96
        .value_kind:     by_value
    .group_segment_fixed_size: 0
    .kernarg_segment_align: 8
    .kernarg_segment_size: 96
    .language:       OpenCL C
    .language_version:
      - 2
      - 0
    .max_flat_workgroup_size: 256
    .name:           _ZN7rocprim17ROCPRIM_400000_NS6detail17trampoline_kernelINS0_14default_configENS1_20scan_config_selectorIN3c104HalfEEEZZNS1_9scan_implILNS1_25lookback_scan_determinismE0ELb0ELb0ES3_PKS6_PS6_S6_ZZZN2at6native31launch_logcumsumexp_cuda_kernelERKNSD_10TensorBaseESH_lENKUlvE_clEvENKUlvE3_clEvEUlS6_S6_E_S6_EEDaPvRmT3_T4_T5_mT6_P12ihipStream_tbENKUlT_T0_E_clISt17integral_constantIbLb1EESY_EEDaST_SU_EUlST_E_NS1_11comp_targetILNS1_3genE5ELNS1_11target_archE942ELNS1_3gpuE9ELNS1_3repE0EEENS1_30default_config_static_selectorELNS0_4arch9wavefront6targetE1EEEvT1_
    .private_segment_fixed_size: 0
    .sgpr_count:     6
    .sgpr_spill_count: 0
    .symbol:         _ZN7rocprim17ROCPRIM_400000_NS6detail17trampoline_kernelINS0_14default_configENS1_20scan_config_selectorIN3c104HalfEEEZZNS1_9scan_implILNS1_25lookback_scan_determinismE0ELb0ELb0ES3_PKS6_PS6_S6_ZZZN2at6native31launch_logcumsumexp_cuda_kernelERKNSD_10TensorBaseESH_lENKUlvE_clEvENKUlvE3_clEvEUlS6_S6_E_S6_EEDaPvRmT3_T4_T5_mT6_P12ihipStream_tbENKUlT_T0_E_clISt17integral_constantIbLb1EESY_EEDaST_SU_EUlST_E_NS1_11comp_targetILNS1_3genE5ELNS1_11target_archE942ELNS1_3gpuE9ELNS1_3repE0EEENS1_30default_config_static_selectorELNS0_4arch9wavefront6targetE1EEEvT1_.kd
    .uniform_work_group_size: 1
    .uses_dynamic_stack: false
    .vgpr_count:     0
    .vgpr_spill_count: 0
    .wavefront_size: 64
  - .agpr_count:     0
    .args:
      - .offset:         0
        .size:           96
        .value_kind:     by_value
    .group_segment_fixed_size: 0
    .kernarg_segment_align: 8
    .kernarg_segment_size: 96
    .language:       OpenCL C
    .language_version:
      - 2
      - 0
    .max_flat_workgroup_size: 64
    .name:           _ZN7rocprim17ROCPRIM_400000_NS6detail17trampoline_kernelINS0_14default_configENS1_20scan_config_selectorIN3c104HalfEEEZZNS1_9scan_implILNS1_25lookback_scan_determinismE0ELb0ELb0ES3_PKS6_PS6_S6_ZZZN2at6native31launch_logcumsumexp_cuda_kernelERKNSD_10TensorBaseESH_lENKUlvE_clEvENKUlvE3_clEvEUlS6_S6_E_S6_EEDaPvRmT3_T4_T5_mT6_P12ihipStream_tbENKUlT_T0_E_clISt17integral_constantIbLb1EESY_EEDaST_SU_EUlST_E_NS1_11comp_targetILNS1_3genE4ELNS1_11target_archE910ELNS1_3gpuE8ELNS1_3repE0EEENS1_30default_config_static_selectorELNS0_4arch9wavefront6targetE1EEEvT1_
    .private_segment_fixed_size: 0
    .sgpr_count:     6
    .sgpr_spill_count: 0
    .symbol:         _ZN7rocprim17ROCPRIM_400000_NS6detail17trampoline_kernelINS0_14default_configENS1_20scan_config_selectorIN3c104HalfEEEZZNS1_9scan_implILNS1_25lookback_scan_determinismE0ELb0ELb0ES3_PKS6_PS6_S6_ZZZN2at6native31launch_logcumsumexp_cuda_kernelERKNSD_10TensorBaseESH_lENKUlvE_clEvENKUlvE3_clEvEUlS6_S6_E_S6_EEDaPvRmT3_T4_T5_mT6_P12ihipStream_tbENKUlT_T0_E_clISt17integral_constantIbLb1EESY_EEDaST_SU_EUlST_E_NS1_11comp_targetILNS1_3genE4ELNS1_11target_archE910ELNS1_3gpuE8ELNS1_3repE0EEENS1_30default_config_static_selectorELNS0_4arch9wavefront6targetE1EEEvT1_.kd
    .uniform_work_group_size: 1
    .uses_dynamic_stack: false
    .vgpr_count:     0
    .vgpr_spill_count: 0
    .wavefront_size: 64
  - .agpr_count:     0
    .args:
      - .offset:         0
        .size:           96
        .value_kind:     by_value
    .group_segment_fixed_size: 0
    .kernarg_segment_align: 8
    .kernarg_segment_size: 96
    .language:       OpenCL C
    .language_version:
      - 2
      - 0
    .max_flat_workgroup_size: 128
    .name:           _ZN7rocprim17ROCPRIM_400000_NS6detail17trampoline_kernelINS0_14default_configENS1_20scan_config_selectorIN3c104HalfEEEZZNS1_9scan_implILNS1_25lookback_scan_determinismE0ELb0ELb0ES3_PKS6_PS6_S6_ZZZN2at6native31launch_logcumsumexp_cuda_kernelERKNSD_10TensorBaseESH_lENKUlvE_clEvENKUlvE3_clEvEUlS6_S6_E_S6_EEDaPvRmT3_T4_T5_mT6_P12ihipStream_tbENKUlT_T0_E_clISt17integral_constantIbLb1EESY_EEDaST_SU_EUlST_E_NS1_11comp_targetILNS1_3genE3ELNS1_11target_archE908ELNS1_3gpuE7ELNS1_3repE0EEENS1_30default_config_static_selectorELNS0_4arch9wavefront6targetE1EEEvT1_
    .private_segment_fixed_size: 0
    .sgpr_count:     6
    .sgpr_spill_count: 0
    .symbol:         _ZN7rocprim17ROCPRIM_400000_NS6detail17trampoline_kernelINS0_14default_configENS1_20scan_config_selectorIN3c104HalfEEEZZNS1_9scan_implILNS1_25lookback_scan_determinismE0ELb0ELb0ES3_PKS6_PS6_S6_ZZZN2at6native31launch_logcumsumexp_cuda_kernelERKNSD_10TensorBaseESH_lENKUlvE_clEvENKUlvE3_clEvEUlS6_S6_E_S6_EEDaPvRmT3_T4_T5_mT6_P12ihipStream_tbENKUlT_T0_E_clISt17integral_constantIbLb1EESY_EEDaST_SU_EUlST_E_NS1_11comp_targetILNS1_3genE3ELNS1_11target_archE908ELNS1_3gpuE7ELNS1_3repE0EEENS1_30default_config_static_selectorELNS0_4arch9wavefront6targetE1EEEvT1_.kd
    .uniform_work_group_size: 1
    .uses_dynamic_stack: false
    .vgpr_count:     0
    .vgpr_spill_count: 0
    .wavefront_size: 64
  - .agpr_count:     0
    .args:
      - .offset:         0
        .size:           96
        .value_kind:     by_value
    .group_segment_fixed_size: 0
    .kernarg_segment_align: 8
    .kernarg_segment_size: 96
    .language:       OpenCL C
    .language_version:
      - 2
      - 0
    .max_flat_workgroup_size: 256
    .name:           _ZN7rocprim17ROCPRIM_400000_NS6detail17trampoline_kernelINS0_14default_configENS1_20scan_config_selectorIN3c104HalfEEEZZNS1_9scan_implILNS1_25lookback_scan_determinismE0ELb0ELb0ES3_PKS6_PS6_S6_ZZZN2at6native31launch_logcumsumexp_cuda_kernelERKNSD_10TensorBaseESH_lENKUlvE_clEvENKUlvE3_clEvEUlS6_S6_E_S6_EEDaPvRmT3_T4_T5_mT6_P12ihipStream_tbENKUlT_T0_E_clISt17integral_constantIbLb1EESY_EEDaST_SU_EUlST_E_NS1_11comp_targetILNS1_3genE2ELNS1_11target_archE906ELNS1_3gpuE6ELNS1_3repE0EEENS1_30default_config_static_selectorELNS0_4arch9wavefront6targetE1EEEvT1_
    .private_segment_fixed_size: 0
    .sgpr_count:     6
    .sgpr_spill_count: 0
    .symbol:         _ZN7rocprim17ROCPRIM_400000_NS6detail17trampoline_kernelINS0_14default_configENS1_20scan_config_selectorIN3c104HalfEEEZZNS1_9scan_implILNS1_25lookback_scan_determinismE0ELb0ELb0ES3_PKS6_PS6_S6_ZZZN2at6native31launch_logcumsumexp_cuda_kernelERKNSD_10TensorBaseESH_lENKUlvE_clEvENKUlvE3_clEvEUlS6_S6_E_S6_EEDaPvRmT3_T4_T5_mT6_P12ihipStream_tbENKUlT_T0_E_clISt17integral_constantIbLb1EESY_EEDaST_SU_EUlST_E_NS1_11comp_targetILNS1_3genE2ELNS1_11target_archE906ELNS1_3gpuE6ELNS1_3repE0EEENS1_30default_config_static_selectorELNS0_4arch9wavefront6targetE1EEEvT1_.kd
    .uniform_work_group_size: 1
    .uses_dynamic_stack: false
    .vgpr_count:     0
    .vgpr_spill_count: 0
    .wavefront_size: 64
  - .agpr_count:     0
    .args:
      - .offset:         0
        .size:           96
        .value_kind:     by_value
    .group_segment_fixed_size: 0
    .kernarg_segment_align: 8
    .kernarg_segment_size: 96
    .language:       OpenCL C
    .language_version:
      - 2
      - 0
    .max_flat_workgroup_size: 256
    .name:           _ZN7rocprim17ROCPRIM_400000_NS6detail17trampoline_kernelINS0_14default_configENS1_20scan_config_selectorIN3c104HalfEEEZZNS1_9scan_implILNS1_25lookback_scan_determinismE0ELb0ELb0ES3_PKS6_PS6_S6_ZZZN2at6native31launch_logcumsumexp_cuda_kernelERKNSD_10TensorBaseESH_lENKUlvE_clEvENKUlvE3_clEvEUlS6_S6_E_S6_EEDaPvRmT3_T4_T5_mT6_P12ihipStream_tbENKUlT_T0_E_clISt17integral_constantIbLb1EESY_EEDaST_SU_EUlST_E_NS1_11comp_targetILNS1_3genE10ELNS1_11target_archE1201ELNS1_3gpuE5ELNS1_3repE0EEENS1_30default_config_static_selectorELNS0_4arch9wavefront6targetE1EEEvT1_
    .private_segment_fixed_size: 0
    .sgpr_count:     6
    .sgpr_spill_count: 0
    .symbol:         _ZN7rocprim17ROCPRIM_400000_NS6detail17trampoline_kernelINS0_14default_configENS1_20scan_config_selectorIN3c104HalfEEEZZNS1_9scan_implILNS1_25lookback_scan_determinismE0ELb0ELb0ES3_PKS6_PS6_S6_ZZZN2at6native31launch_logcumsumexp_cuda_kernelERKNSD_10TensorBaseESH_lENKUlvE_clEvENKUlvE3_clEvEUlS6_S6_E_S6_EEDaPvRmT3_T4_T5_mT6_P12ihipStream_tbENKUlT_T0_E_clISt17integral_constantIbLb1EESY_EEDaST_SU_EUlST_E_NS1_11comp_targetILNS1_3genE10ELNS1_11target_archE1201ELNS1_3gpuE5ELNS1_3repE0EEENS1_30default_config_static_selectorELNS0_4arch9wavefront6targetE1EEEvT1_.kd
    .uniform_work_group_size: 1
    .uses_dynamic_stack: false
    .vgpr_count:     0
    .vgpr_spill_count: 0
    .wavefront_size: 64
  - .agpr_count:     0
    .args:
      - .offset:         0
        .size:           96
        .value_kind:     by_value
    .group_segment_fixed_size: 0
    .kernarg_segment_align: 8
    .kernarg_segment_size: 96
    .language:       OpenCL C
    .language_version:
      - 2
      - 0
    .max_flat_workgroup_size: 256
    .name:           _ZN7rocprim17ROCPRIM_400000_NS6detail17trampoline_kernelINS0_14default_configENS1_20scan_config_selectorIN3c104HalfEEEZZNS1_9scan_implILNS1_25lookback_scan_determinismE0ELb0ELb0ES3_PKS6_PS6_S6_ZZZN2at6native31launch_logcumsumexp_cuda_kernelERKNSD_10TensorBaseESH_lENKUlvE_clEvENKUlvE3_clEvEUlS6_S6_E_S6_EEDaPvRmT3_T4_T5_mT6_P12ihipStream_tbENKUlT_T0_E_clISt17integral_constantIbLb1EESY_EEDaST_SU_EUlST_E_NS1_11comp_targetILNS1_3genE10ELNS1_11target_archE1200ELNS1_3gpuE4ELNS1_3repE0EEENS1_30default_config_static_selectorELNS0_4arch9wavefront6targetE1EEEvT1_
    .private_segment_fixed_size: 0
    .sgpr_count:     6
    .sgpr_spill_count: 0
    .symbol:         _ZN7rocprim17ROCPRIM_400000_NS6detail17trampoline_kernelINS0_14default_configENS1_20scan_config_selectorIN3c104HalfEEEZZNS1_9scan_implILNS1_25lookback_scan_determinismE0ELb0ELb0ES3_PKS6_PS6_S6_ZZZN2at6native31launch_logcumsumexp_cuda_kernelERKNSD_10TensorBaseESH_lENKUlvE_clEvENKUlvE3_clEvEUlS6_S6_E_S6_EEDaPvRmT3_T4_T5_mT6_P12ihipStream_tbENKUlT_T0_E_clISt17integral_constantIbLb1EESY_EEDaST_SU_EUlST_E_NS1_11comp_targetILNS1_3genE10ELNS1_11target_archE1200ELNS1_3gpuE4ELNS1_3repE0EEENS1_30default_config_static_selectorELNS0_4arch9wavefront6targetE1EEEvT1_.kd
    .uniform_work_group_size: 1
    .uses_dynamic_stack: false
    .vgpr_count:     0
    .vgpr_spill_count: 0
    .wavefront_size: 64
  - .agpr_count:     0
    .args:
      - .offset:         0
        .size:           96
        .value_kind:     by_value
    .group_segment_fixed_size: 0
    .kernarg_segment_align: 8
    .kernarg_segment_size: 96
    .language:       OpenCL C
    .language_version:
      - 2
      - 0
    .max_flat_workgroup_size: 64
    .name:           _ZN7rocprim17ROCPRIM_400000_NS6detail17trampoline_kernelINS0_14default_configENS1_20scan_config_selectorIN3c104HalfEEEZZNS1_9scan_implILNS1_25lookback_scan_determinismE0ELb0ELb0ES3_PKS6_PS6_S6_ZZZN2at6native31launch_logcumsumexp_cuda_kernelERKNSD_10TensorBaseESH_lENKUlvE_clEvENKUlvE3_clEvEUlS6_S6_E_S6_EEDaPvRmT3_T4_T5_mT6_P12ihipStream_tbENKUlT_T0_E_clISt17integral_constantIbLb1EESY_EEDaST_SU_EUlST_E_NS1_11comp_targetILNS1_3genE9ELNS1_11target_archE1100ELNS1_3gpuE3ELNS1_3repE0EEENS1_30default_config_static_selectorELNS0_4arch9wavefront6targetE1EEEvT1_
    .private_segment_fixed_size: 0
    .sgpr_count:     6
    .sgpr_spill_count: 0
    .symbol:         _ZN7rocprim17ROCPRIM_400000_NS6detail17trampoline_kernelINS0_14default_configENS1_20scan_config_selectorIN3c104HalfEEEZZNS1_9scan_implILNS1_25lookback_scan_determinismE0ELb0ELb0ES3_PKS6_PS6_S6_ZZZN2at6native31launch_logcumsumexp_cuda_kernelERKNSD_10TensorBaseESH_lENKUlvE_clEvENKUlvE3_clEvEUlS6_S6_E_S6_EEDaPvRmT3_T4_T5_mT6_P12ihipStream_tbENKUlT_T0_E_clISt17integral_constantIbLb1EESY_EEDaST_SU_EUlST_E_NS1_11comp_targetILNS1_3genE9ELNS1_11target_archE1100ELNS1_3gpuE3ELNS1_3repE0EEENS1_30default_config_static_selectorELNS0_4arch9wavefront6targetE1EEEvT1_.kd
    .uniform_work_group_size: 1
    .uses_dynamic_stack: false
    .vgpr_count:     0
    .vgpr_spill_count: 0
    .wavefront_size: 64
  - .agpr_count:     0
    .args:
      - .offset:         0
        .size:           96
        .value_kind:     by_value
    .group_segment_fixed_size: 0
    .kernarg_segment_align: 8
    .kernarg_segment_size: 96
    .language:       OpenCL C
    .language_version:
      - 2
      - 0
    .max_flat_workgroup_size: 64
    .name:           _ZN7rocprim17ROCPRIM_400000_NS6detail17trampoline_kernelINS0_14default_configENS1_20scan_config_selectorIN3c104HalfEEEZZNS1_9scan_implILNS1_25lookback_scan_determinismE0ELb0ELb0ES3_PKS6_PS6_S6_ZZZN2at6native31launch_logcumsumexp_cuda_kernelERKNSD_10TensorBaseESH_lENKUlvE_clEvENKUlvE3_clEvEUlS6_S6_E_S6_EEDaPvRmT3_T4_T5_mT6_P12ihipStream_tbENKUlT_T0_E_clISt17integral_constantIbLb1EESY_EEDaST_SU_EUlST_E_NS1_11comp_targetILNS1_3genE8ELNS1_11target_archE1030ELNS1_3gpuE2ELNS1_3repE0EEENS1_30default_config_static_selectorELNS0_4arch9wavefront6targetE1EEEvT1_
    .private_segment_fixed_size: 0
    .sgpr_count:     6
    .sgpr_spill_count: 0
    .symbol:         _ZN7rocprim17ROCPRIM_400000_NS6detail17trampoline_kernelINS0_14default_configENS1_20scan_config_selectorIN3c104HalfEEEZZNS1_9scan_implILNS1_25lookback_scan_determinismE0ELb0ELb0ES3_PKS6_PS6_S6_ZZZN2at6native31launch_logcumsumexp_cuda_kernelERKNSD_10TensorBaseESH_lENKUlvE_clEvENKUlvE3_clEvEUlS6_S6_E_S6_EEDaPvRmT3_T4_T5_mT6_P12ihipStream_tbENKUlT_T0_E_clISt17integral_constantIbLb1EESY_EEDaST_SU_EUlST_E_NS1_11comp_targetILNS1_3genE8ELNS1_11target_archE1030ELNS1_3gpuE2ELNS1_3repE0EEENS1_30default_config_static_selectorELNS0_4arch9wavefront6targetE1EEEvT1_.kd
    .uniform_work_group_size: 1
    .uses_dynamic_stack: false
    .vgpr_count:     0
    .vgpr_spill_count: 0
    .wavefront_size: 64
  - .agpr_count:     0
    .args:
      - .offset:         0
        .size:           32
        .value_kind:     by_value
    .group_segment_fixed_size: 3584
    .kernarg_segment_align: 8
    .kernarg_segment_size: 32
    .language:       OpenCL C
    .language_version:
      - 2
      - 0
    .max_flat_workgroup_size: 128
    .name:           _ZN7rocprim17ROCPRIM_400000_NS6detail17trampoline_kernelINS0_14default_configENS1_20scan_config_selectorIN3c104HalfEEEZZNS1_9scan_implILNS1_25lookback_scan_determinismE0ELb0ELb0ES3_PKS6_PS6_S6_ZZZN2at6native31launch_logcumsumexp_cuda_kernelERKNSD_10TensorBaseESH_lENKUlvE_clEvENKUlvE3_clEvEUlS6_S6_E_S6_EEDaPvRmT3_T4_T5_mT6_P12ihipStream_tbENKUlT_T0_E_clISt17integral_constantIbLb1EESY_EEDaST_SU_EUlST_E0_NS1_11comp_targetILNS1_3genE0ELNS1_11target_archE4294967295ELNS1_3gpuE0ELNS1_3repE0EEENS1_30default_config_static_selectorELNS0_4arch9wavefront6targetE1EEEvT1_
    .private_segment_fixed_size: 0
    .sgpr_count:     72
    .sgpr_spill_count: 0
    .symbol:         _ZN7rocprim17ROCPRIM_400000_NS6detail17trampoline_kernelINS0_14default_configENS1_20scan_config_selectorIN3c104HalfEEEZZNS1_9scan_implILNS1_25lookback_scan_determinismE0ELb0ELb0ES3_PKS6_PS6_S6_ZZZN2at6native31launch_logcumsumexp_cuda_kernelERKNSD_10TensorBaseESH_lENKUlvE_clEvENKUlvE3_clEvEUlS6_S6_E_S6_EEDaPvRmT3_T4_T5_mT6_P12ihipStream_tbENKUlT_T0_E_clISt17integral_constantIbLb1EESY_EEDaST_SU_EUlST_E0_NS1_11comp_targetILNS1_3genE0ELNS1_11target_archE4294967295ELNS1_3gpuE0ELNS1_3repE0EEENS1_30default_config_static_selectorELNS0_4arch9wavefront6targetE1EEEvT1_.kd
    .uniform_work_group_size: 1
    .uses_dynamic_stack: false
    .vgpr_count:     40
    .vgpr_spill_count: 0
    .wavefront_size: 64
  - .agpr_count:     0
    .args:
      - .offset:         0
        .size:           32
        .value_kind:     by_value
    .group_segment_fixed_size: 0
    .kernarg_segment_align: 8
    .kernarg_segment_size: 32
    .language:       OpenCL C
    .language_version:
      - 2
      - 0
    .max_flat_workgroup_size: 256
    .name:           _ZN7rocprim17ROCPRIM_400000_NS6detail17trampoline_kernelINS0_14default_configENS1_20scan_config_selectorIN3c104HalfEEEZZNS1_9scan_implILNS1_25lookback_scan_determinismE0ELb0ELb0ES3_PKS6_PS6_S6_ZZZN2at6native31launch_logcumsumexp_cuda_kernelERKNSD_10TensorBaseESH_lENKUlvE_clEvENKUlvE3_clEvEUlS6_S6_E_S6_EEDaPvRmT3_T4_T5_mT6_P12ihipStream_tbENKUlT_T0_E_clISt17integral_constantIbLb1EESY_EEDaST_SU_EUlST_E0_NS1_11comp_targetILNS1_3genE5ELNS1_11target_archE942ELNS1_3gpuE9ELNS1_3repE0EEENS1_30default_config_static_selectorELNS0_4arch9wavefront6targetE1EEEvT1_
    .private_segment_fixed_size: 0
    .sgpr_count:     6
    .sgpr_spill_count: 0
    .symbol:         _ZN7rocprim17ROCPRIM_400000_NS6detail17trampoline_kernelINS0_14default_configENS1_20scan_config_selectorIN3c104HalfEEEZZNS1_9scan_implILNS1_25lookback_scan_determinismE0ELb0ELb0ES3_PKS6_PS6_S6_ZZZN2at6native31launch_logcumsumexp_cuda_kernelERKNSD_10TensorBaseESH_lENKUlvE_clEvENKUlvE3_clEvEUlS6_S6_E_S6_EEDaPvRmT3_T4_T5_mT6_P12ihipStream_tbENKUlT_T0_E_clISt17integral_constantIbLb1EESY_EEDaST_SU_EUlST_E0_NS1_11comp_targetILNS1_3genE5ELNS1_11target_archE942ELNS1_3gpuE9ELNS1_3repE0EEENS1_30default_config_static_selectorELNS0_4arch9wavefront6targetE1EEEvT1_.kd
    .uniform_work_group_size: 1
    .uses_dynamic_stack: false
    .vgpr_count:     0
    .vgpr_spill_count: 0
    .wavefront_size: 64
  - .agpr_count:     0
    .args:
      - .offset:         0
        .size:           32
        .value_kind:     by_value
    .group_segment_fixed_size: 0
    .kernarg_segment_align: 8
    .kernarg_segment_size: 32
    .language:       OpenCL C
    .language_version:
      - 2
      - 0
    .max_flat_workgroup_size: 64
    .name:           _ZN7rocprim17ROCPRIM_400000_NS6detail17trampoline_kernelINS0_14default_configENS1_20scan_config_selectorIN3c104HalfEEEZZNS1_9scan_implILNS1_25lookback_scan_determinismE0ELb0ELb0ES3_PKS6_PS6_S6_ZZZN2at6native31launch_logcumsumexp_cuda_kernelERKNSD_10TensorBaseESH_lENKUlvE_clEvENKUlvE3_clEvEUlS6_S6_E_S6_EEDaPvRmT3_T4_T5_mT6_P12ihipStream_tbENKUlT_T0_E_clISt17integral_constantIbLb1EESY_EEDaST_SU_EUlST_E0_NS1_11comp_targetILNS1_3genE4ELNS1_11target_archE910ELNS1_3gpuE8ELNS1_3repE0EEENS1_30default_config_static_selectorELNS0_4arch9wavefront6targetE1EEEvT1_
    .private_segment_fixed_size: 0
    .sgpr_count:     6
    .sgpr_spill_count: 0
    .symbol:         _ZN7rocprim17ROCPRIM_400000_NS6detail17trampoline_kernelINS0_14default_configENS1_20scan_config_selectorIN3c104HalfEEEZZNS1_9scan_implILNS1_25lookback_scan_determinismE0ELb0ELb0ES3_PKS6_PS6_S6_ZZZN2at6native31launch_logcumsumexp_cuda_kernelERKNSD_10TensorBaseESH_lENKUlvE_clEvENKUlvE3_clEvEUlS6_S6_E_S6_EEDaPvRmT3_T4_T5_mT6_P12ihipStream_tbENKUlT_T0_E_clISt17integral_constantIbLb1EESY_EEDaST_SU_EUlST_E0_NS1_11comp_targetILNS1_3genE4ELNS1_11target_archE910ELNS1_3gpuE8ELNS1_3repE0EEENS1_30default_config_static_selectorELNS0_4arch9wavefront6targetE1EEEvT1_.kd
    .uniform_work_group_size: 1
    .uses_dynamic_stack: false
    .vgpr_count:     0
    .vgpr_spill_count: 0
    .wavefront_size: 64
  - .agpr_count:     0
    .args:
      - .offset:         0
        .size:           32
        .value_kind:     by_value
    .group_segment_fixed_size: 0
    .kernarg_segment_align: 8
    .kernarg_segment_size: 32
    .language:       OpenCL C
    .language_version:
      - 2
      - 0
    .max_flat_workgroup_size: 128
    .name:           _ZN7rocprim17ROCPRIM_400000_NS6detail17trampoline_kernelINS0_14default_configENS1_20scan_config_selectorIN3c104HalfEEEZZNS1_9scan_implILNS1_25lookback_scan_determinismE0ELb0ELb0ES3_PKS6_PS6_S6_ZZZN2at6native31launch_logcumsumexp_cuda_kernelERKNSD_10TensorBaseESH_lENKUlvE_clEvENKUlvE3_clEvEUlS6_S6_E_S6_EEDaPvRmT3_T4_T5_mT6_P12ihipStream_tbENKUlT_T0_E_clISt17integral_constantIbLb1EESY_EEDaST_SU_EUlST_E0_NS1_11comp_targetILNS1_3genE3ELNS1_11target_archE908ELNS1_3gpuE7ELNS1_3repE0EEENS1_30default_config_static_selectorELNS0_4arch9wavefront6targetE1EEEvT1_
    .private_segment_fixed_size: 0
    .sgpr_count:     6
    .sgpr_spill_count: 0
    .symbol:         _ZN7rocprim17ROCPRIM_400000_NS6detail17trampoline_kernelINS0_14default_configENS1_20scan_config_selectorIN3c104HalfEEEZZNS1_9scan_implILNS1_25lookback_scan_determinismE0ELb0ELb0ES3_PKS6_PS6_S6_ZZZN2at6native31launch_logcumsumexp_cuda_kernelERKNSD_10TensorBaseESH_lENKUlvE_clEvENKUlvE3_clEvEUlS6_S6_E_S6_EEDaPvRmT3_T4_T5_mT6_P12ihipStream_tbENKUlT_T0_E_clISt17integral_constantIbLb1EESY_EEDaST_SU_EUlST_E0_NS1_11comp_targetILNS1_3genE3ELNS1_11target_archE908ELNS1_3gpuE7ELNS1_3repE0EEENS1_30default_config_static_selectorELNS0_4arch9wavefront6targetE1EEEvT1_.kd
    .uniform_work_group_size: 1
    .uses_dynamic_stack: false
    .vgpr_count:     0
    .vgpr_spill_count: 0
    .wavefront_size: 64
  - .agpr_count:     0
    .args:
      - .offset:         0
        .size:           32
        .value_kind:     by_value
    .group_segment_fixed_size: 0
    .kernarg_segment_align: 8
    .kernarg_segment_size: 32
    .language:       OpenCL C
    .language_version:
      - 2
      - 0
    .max_flat_workgroup_size: 256
    .name:           _ZN7rocprim17ROCPRIM_400000_NS6detail17trampoline_kernelINS0_14default_configENS1_20scan_config_selectorIN3c104HalfEEEZZNS1_9scan_implILNS1_25lookback_scan_determinismE0ELb0ELb0ES3_PKS6_PS6_S6_ZZZN2at6native31launch_logcumsumexp_cuda_kernelERKNSD_10TensorBaseESH_lENKUlvE_clEvENKUlvE3_clEvEUlS6_S6_E_S6_EEDaPvRmT3_T4_T5_mT6_P12ihipStream_tbENKUlT_T0_E_clISt17integral_constantIbLb1EESY_EEDaST_SU_EUlST_E0_NS1_11comp_targetILNS1_3genE2ELNS1_11target_archE906ELNS1_3gpuE6ELNS1_3repE0EEENS1_30default_config_static_selectorELNS0_4arch9wavefront6targetE1EEEvT1_
    .private_segment_fixed_size: 0
    .sgpr_count:     6
    .sgpr_spill_count: 0
    .symbol:         _ZN7rocprim17ROCPRIM_400000_NS6detail17trampoline_kernelINS0_14default_configENS1_20scan_config_selectorIN3c104HalfEEEZZNS1_9scan_implILNS1_25lookback_scan_determinismE0ELb0ELb0ES3_PKS6_PS6_S6_ZZZN2at6native31launch_logcumsumexp_cuda_kernelERKNSD_10TensorBaseESH_lENKUlvE_clEvENKUlvE3_clEvEUlS6_S6_E_S6_EEDaPvRmT3_T4_T5_mT6_P12ihipStream_tbENKUlT_T0_E_clISt17integral_constantIbLb1EESY_EEDaST_SU_EUlST_E0_NS1_11comp_targetILNS1_3genE2ELNS1_11target_archE906ELNS1_3gpuE6ELNS1_3repE0EEENS1_30default_config_static_selectorELNS0_4arch9wavefront6targetE1EEEvT1_.kd
    .uniform_work_group_size: 1
    .uses_dynamic_stack: false
    .vgpr_count:     0
    .vgpr_spill_count: 0
    .wavefront_size: 64
  - .agpr_count:     0
    .args:
      - .offset:         0
        .size:           32
        .value_kind:     by_value
    .group_segment_fixed_size: 0
    .kernarg_segment_align: 8
    .kernarg_segment_size: 32
    .language:       OpenCL C
    .language_version:
      - 2
      - 0
    .max_flat_workgroup_size: 256
    .name:           _ZN7rocprim17ROCPRIM_400000_NS6detail17trampoline_kernelINS0_14default_configENS1_20scan_config_selectorIN3c104HalfEEEZZNS1_9scan_implILNS1_25lookback_scan_determinismE0ELb0ELb0ES3_PKS6_PS6_S6_ZZZN2at6native31launch_logcumsumexp_cuda_kernelERKNSD_10TensorBaseESH_lENKUlvE_clEvENKUlvE3_clEvEUlS6_S6_E_S6_EEDaPvRmT3_T4_T5_mT6_P12ihipStream_tbENKUlT_T0_E_clISt17integral_constantIbLb1EESY_EEDaST_SU_EUlST_E0_NS1_11comp_targetILNS1_3genE10ELNS1_11target_archE1201ELNS1_3gpuE5ELNS1_3repE0EEENS1_30default_config_static_selectorELNS0_4arch9wavefront6targetE1EEEvT1_
    .private_segment_fixed_size: 0
    .sgpr_count:     6
    .sgpr_spill_count: 0
    .symbol:         _ZN7rocprim17ROCPRIM_400000_NS6detail17trampoline_kernelINS0_14default_configENS1_20scan_config_selectorIN3c104HalfEEEZZNS1_9scan_implILNS1_25lookback_scan_determinismE0ELb0ELb0ES3_PKS6_PS6_S6_ZZZN2at6native31launch_logcumsumexp_cuda_kernelERKNSD_10TensorBaseESH_lENKUlvE_clEvENKUlvE3_clEvEUlS6_S6_E_S6_EEDaPvRmT3_T4_T5_mT6_P12ihipStream_tbENKUlT_T0_E_clISt17integral_constantIbLb1EESY_EEDaST_SU_EUlST_E0_NS1_11comp_targetILNS1_3genE10ELNS1_11target_archE1201ELNS1_3gpuE5ELNS1_3repE0EEENS1_30default_config_static_selectorELNS0_4arch9wavefront6targetE1EEEvT1_.kd
    .uniform_work_group_size: 1
    .uses_dynamic_stack: false
    .vgpr_count:     0
    .vgpr_spill_count: 0
    .wavefront_size: 64
  - .agpr_count:     0
    .args:
      - .offset:         0
        .size:           32
        .value_kind:     by_value
    .group_segment_fixed_size: 0
    .kernarg_segment_align: 8
    .kernarg_segment_size: 32
    .language:       OpenCL C
    .language_version:
      - 2
      - 0
    .max_flat_workgroup_size: 256
    .name:           _ZN7rocprim17ROCPRIM_400000_NS6detail17trampoline_kernelINS0_14default_configENS1_20scan_config_selectorIN3c104HalfEEEZZNS1_9scan_implILNS1_25lookback_scan_determinismE0ELb0ELb0ES3_PKS6_PS6_S6_ZZZN2at6native31launch_logcumsumexp_cuda_kernelERKNSD_10TensorBaseESH_lENKUlvE_clEvENKUlvE3_clEvEUlS6_S6_E_S6_EEDaPvRmT3_T4_T5_mT6_P12ihipStream_tbENKUlT_T0_E_clISt17integral_constantIbLb1EESY_EEDaST_SU_EUlST_E0_NS1_11comp_targetILNS1_3genE10ELNS1_11target_archE1200ELNS1_3gpuE4ELNS1_3repE0EEENS1_30default_config_static_selectorELNS0_4arch9wavefront6targetE1EEEvT1_
    .private_segment_fixed_size: 0
    .sgpr_count:     6
    .sgpr_spill_count: 0
    .symbol:         _ZN7rocprim17ROCPRIM_400000_NS6detail17trampoline_kernelINS0_14default_configENS1_20scan_config_selectorIN3c104HalfEEEZZNS1_9scan_implILNS1_25lookback_scan_determinismE0ELb0ELb0ES3_PKS6_PS6_S6_ZZZN2at6native31launch_logcumsumexp_cuda_kernelERKNSD_10TensorBaseESH_lENKUlvE_clEvENKUlvE3_clEvEUlS6_S6_E_S6_EEDaPvRmT3_T4_T5_mT6_P12ihipStream_tbENKUlT_T0_E_clISt17integral_constantIbLb1EESY_EEDaST_SU_EUlST_E0_NS1_11comp_targetILNS1_3genE10ELNS1_11target_archE1200ELNS1_3gpuE4ELNS1_3repE0EEENS1_30default_config_static_selectorELNS0_4arch9wavefront6targetE1EEEvT1_.kd
    .uniform_work_group_size: 1
    .uses_dynamic_stack: false
    .vgpr_count:     0
    .vgpr_spill_count: 0
    .wavefront_size: 64
  - .agpr_count:     0
    .args:
      - .offset:         0
        .size:           32
        .value_kind:     by_value
    .group_segment_fixed_size: 0
    .kernarg_segment_align: 8
    .kernarg_segment_size: 32
    .language:       OpenCL C
    .language_version:
      - 2
      - 0
    .max_flat_workgroup_size: 64
    .name:           _ZN7rocprim17ROCPRIM_400000_NS6detail17trampoline_kernelINS0_14default_configENS1_20scan_config_selectorIN3c104HalfEEEZZNS1_9scan_implILNS1_25lookback_scan_determinismE0ELb0ELb0ES3_PKS6_PS6_S6_ZZZN2at6native31launch_logcumsumexp_cuda_kernelERKNSD_10TensorBaseESH_lENKUlvE_clEvENKUlvE3_clEvEUlS6_S6_E_S6_EEDaPvRmT3_T4_T5_mT6_P12ihipStream_tbENKUlT_T0_E_clISt17integral_constantIbLb1EESY_EEDaST_SU_EUlST_E0_NS1_11comp_targetILNS1_3genE9ELNS1_11target_archE1100ELNS1_3gpuE3ELNS1_3repE0EEENS1_30default_config_static_selectorELNS0_4arch9wavefront6targetE1EEEvT1_
    .private_segment_fixed_size: 0
    .sgpr_count:     6
    .sgpr_spill_count: 0
    .symbol:         _ZN7rocprim17ROCPRIM_400000_NS6detail17trampoline_kernelINS0_14default_configENS1_20scan_config_selectorIN3c104HalfEEEZZNS1_9scan_implILNS1_25lookback_scan_determinismE0ELb0ELb0ES3_PKS6_PS6_S6_ZZZN2at6native31launch_logcumsumexp_cuda_kernelERKNSD_10TensorBaseESH_lENKUlvE_clEvENKUlvE3_clEvEUlS6_S6_E_S6_EEDaPvRmT3_T4_T5_mT6_P12ihipStream_tbENKUlT_T0_E_clISt17integral_constantIbLb1EESY_EEDaST_SU_EUlST_E0_NS1_11comp_targetILNS1_3genE9ELNS1_11target_archE1100ELNS1_3gpuE3ELNS1_3repE0EEENS1_30default_config_static_selectorELNS0_4arch9wavefront6targetE1EEEvT1_.kd
    .uniform_work_group_size: 1
    .uses_dynamic_stack: false
    .vgpr_count:     0
    .vgpr_spill_count: 0
    .wavefront_size: 64
  - .agpr_count:     0
    .args:
      - .offset:         0
        .size:           32
        .value_kind:     by_value
    .group_segment_fixed_size: 0
    .kernarg_segment_align: 8
    .kernarg_segment_size: 32
    .language:       OpenCL C
    .language_version:
      - 2
      - 0
    .max_flat_workgroup_size: 64
    .name:           _ZN7rocprim17ROCPRIM_400000_NS6detail17trampoline_kernelINS0_14default_configENS1_20scan_config_selectorIN3c104HalfEEEZZNS1_9scan_implILNS1_25lookback_scan_determinismE0ELb0ELb0ES3_PKS6_PS6_S6_ZZZN2at6native31launch_logcumsumexp_cuda_kernelERKNSD_10TensorBaseESH_lENKUlvE_clEvENKUlvE3_clEvEUlS6_S6_E_S6_EEDaPvRmT3_T4_T5_mT6_P12ihipStream_tbENKUlT_T0_E_clISt17integral_constantIbLb1EESY_EEDaST_SU_EUlST_E0_NS1_11comp_targetILNS1_3genE8ELNS1_11target_archE1030ELNS1_3gpuE2ELNS1_3repE0EEENS1_30default_config_static_selectorELNS0_4arch9wavefront6targetE1EEEvT1_
    .private_segment_fixed_size: 0
    .sgpr_count:     6
    .sgpr_spill_count: 0
    .symbol:         _ZN7rocprim17ROCPRIM_400000_NS6detail17trampoline_kernelINS0_14default_configENS1_20scan_config_selectorIN3c104HalfEEEZZNS1_9scan_implILNS1_25lookback_scan_determinismE0ELb0ELb0ES3_PKS6_PS6_S6_ZZZN2at6native31launch_logcumsumexp_cuda_kernelERKNSD_10TensorBaseESH_lENKUlvE_clEvENKUlvE3_clEvEUlS6_S6_E_S6_EEDaPvRmT3_T4_T5_mT6_P12ihipStream_tbENKUlT_T0_E_clISt17integral_constantIbLb1EESY_EEDaST_SU_EUlST_E0_NS1_11comp_targetILNS1_3genE8ELNS1_11target_archE1030ELNS1_3gpuE2ELNS1_3repE0EEENS1_30default_config_static_selectorELNS0_4arch9wavefront6targetE1EEEvT1_.kd
    .uniform_work_group_size: 1
    .uses_dynamic_stack: false
    .vgpr_count:     0
    .vgpr_spill_count: 0
    .wavefront_size: 64
  - .agpr_count:     0
    .args:
      - .address_space:  global
        .offset:         0
        .size:           8
        .value_kind:     global_buffer
      - .offset:         8
        .size:           4
        .value_kind:     by_value
      - .offset:         12
        .size:           1
        .value_kind:     by_value
      - .offset:         16
        .size:           4
        .value_kind:     by_value
      - .address_space:  global
        .offset:         24
        .size:           8
        .value_kind:     global_buffer
      - .offset:         32
        .size:           4
        .value_kind:     hidden_block_count_x
      - .offset:         36
        .size:           4
        .value_kind:     hidden_block_count_y
      - .offset:         40
        .size:           4
        .value_kind:     hidden_block_count_z
      - .offset:         44
        .size:           2
        .value_kind:     hidden_group_size_x
      - .offset:         46
        .size:           2
        .value_kind:     hidden_group_size_y
      - .offset:         48
        .size:           2
        .value_kind:     hidden_group_size_z
      - .offset:         50
        .size:           2
        .value_kind:     hidden_remainder_x
      - .offset:         52
        .size:           2
        .value_kind:     hidden_remainder_y
      - .offset:         54
        .size:           2
        .value_kind:     hidden_remainder_z
      - .offset:         72
        .size:           8
        .value_kind:     hidden_global_offset_x
      - .offset:         80
        .size:           8
        .value_kind:     hidden_global_offset_y
      - .offset:         88
        .size:           8
        .value_kind:     hidden_global_offset_z
      - .offset:         96
        .size:           2
        .value_kind:     hidden_grid_dims
    .group_segment_fixed_size: 0
    .kernarg_segment_align: 8
    .kernarg_segment_size: 288
    .language:       OpenCL C
    .language_version:
      - 2
      - 0
    .max_flat_workgroup_size: 256
    .name:           _ZN7rocprim17ROCPRIM_400000_NS6detail31init_lookback_scan_state_kernelINS1_19lookback_scan_stateIN3c104HalfELb1ELb1EEENS1_16block_id_wrapperIjLb0EEEEEvT_jT0_jPNS9_10value_typeE
    .private_segment_fixed_size: 0
    .sgpr_count:     18
    .sgpr_spill_count: 0
    .symbol:         _ZN7rocprim17ROCPRIM_400000_NS6detail31init_lookback_scan_state_kernelINS1_19lookback_scan_stateIN3c104HalfELb1ELb1EEENS1_16block_id_wrapperIjLb0EEEEEvT_jT0_jPNS9_10value_typeE.kd
    .uniform_work_group_size: 1
    .uses_dynamic_stack: false
    .vgpr_count:     6
    .vgpr_spill_count: 0
    .wavefront_size: 64
  - .agpr_count:     0
    .args:
      - .offset:         0
        .size:           96
        .value_kind:     by_value
    .group_segment_fixed_size: 0
    .kernarg_segment_align: 8
    .kernarg_segment_size: 96
    .language:       OpenCL C
    .language_version:
      - 2
      - 0
    .max_flat_workgroup_size: 128
    .name:           _ZN7rocprim17ROCPRIM_400000_NS6detail17trampoline_kernelINS0_14default_configENS1_20scan_config_selectorIN3c104HalfEEEZZNS1_9scan_implILNS1_25lookback_scan_determinismE0ELb0ELb0ES3_PKS6_PS6_S6_ZZZN2at6native31launch_logcumsumexp_cuda_kernelERKNSD_10TensorBaseESH_lENKUlvE_clEvENKUlvE3_clEvEUlS6_S6_E_S6_EEDaPvRmT3_T4_T5_mT6_P12ihipStream_tbENKUlT_T0_E_clISt17integral_constantIbLb1EESX_IbLb0EEEEDaST_SU_EUlST_E_NS1_11comp_targetILNS1_3genE0ELNS1_11target_archE4294967295ELNS1_3gpuE0ELNS1_3repE0EEENS1_30default_config_static_selectorELNS0_4arch9wavefront6targetE1EEEvT1_
    .private_segment_fixed_size: 0
    .sgpr_count:     6
    .sgpr_spill_count: 0
    .symbol:         _ZN7rocprim17ROCPRIM_400000_NS6detail17trampoline_kernelINS0_14default_configENS1_20scan_config_selectorIN3c104HalfEEEZZNS1_9scan_implILNS1_25lookback_scan_determinismE0ELb0ELb0ES3_PKS6_PS6_S6_ZZZN2at6native31launch_logcumsumexp_cuda_kernelERKNSD_10TensorBaseESH_lENKUlvE_clEvENKUlvE3_clEvEUlS6_S6_E_S6_EEDaPvRmT3_T4_T5_mT6_P12ihipStream_tbENKUlT_T0_E_clISt17integral_constantIbLb1EESX_IbLb0EEEEDaST_SU_EUlST_E_NS1_11comp_targetILNS1_3genE0ELNS1_11target_archE4294967295ELNS1_3gpuE0ELNS1_3repE0EEENS1_30default_config_static_selectorELNS0_4arch9wavefront6targetE1EEEvT1_.kd
    .uniform_work_group_size: 1
    .uses_dynamic_stack: false
    .vgpr_count:     0
    .vgpr_spill_count: 0
    .wavefront_size: 64
  - .agpr_count:     0
    .args:
      - .offset:         0
        .size:           96
        .value_kind:     by_value
    .group_segment_fixed_size: 0
    .kernarg_segment_align: 8
    .kernarg_segment_size: 96
    .language:       OpenCL C
    .language_version:
      - 2
      - 0
    .max_flat_workgroup_size: 256
    .name:           _ZN7rocprim17ROCPRIM_400000_NS6detail17trampoline_kernelINS0_14default_configENS1_20scan_config_selectorIN3c104HalfEEEZZNS1_9scan_implILNS1_25lookback_scan_determinismE0ELb0ELb0ES3_PKS6_PS6_S6_ZZZN2at6native31launch_logcumsumexp_cuda_kernelERKNSD_10TensorBaseESH_lENKUlvE_clEvENKUlvE3_clEvEUlS6_S6_E_S6_EEDaPvRmT3_T4_T5_mT6_P12ihipStream_tbENKUlT_T0_E_clISt17integral_constantIbLb1EESX_IbLb0EEEEDaST_SU_EUlST_E_NS1_11comp_targetILNS1_3genE5ELNS1_11target_archE942ELNS1_3gpuE9ELNS1_3repE0EEENS1_30default_config_static_selectorELNS0_4arch9wavefront6targetE1EEEvT1_
    .private_segment_fixed_size: 0
    .sgpr_count:     6
    .sgpr_spill_count: 0
    .symbol:         _ZN7rocprim17ROCPRIM_400000_NS6detail17trampoline_kernelINS0_14default_configENS1_20scan_config_selectorIN3c104HalfEEEZZNS1_9scan_implILNS1_25lookback_scan_determinismE0ELb0ELb0ES3_PKS6_PS6_S6_ZZZN2at6native31launch_logcumsumexp_cuda_kernelERKNSD_10TensorBaseESH_lENKUlvE_clEvENKUlvE3_clEvEUlS6_S6_E_S6_EEDaPvRmT3_T4_T5_mT6_P12ihipStream_tbENKUlT_T0_E_clISt17integral_constantIbLb1EESX_IbLb0EEEEDaST_SU_EUlST_E_NS1_11comp_targetILNS1_3genE5ELNS1_11target_archE942ELNS1_3gpuE9ELNS1_3repE0EEENS1_30default_config_static_selectorELNS0_4arch9wavefront6targetE1EEEvT1_.kd
    .uniform_work_group_size: 1
    .uses_dynamic_stack: false
    .vgpr_count:     0
    .vgpr_spill_count: 0
    .wavefront_size: 64
  - .agpr_count:     0
    .args:
      - .offset:         0
        .size:           96
        .value_kind:     by_value
    .group_segment_fixed_size: 0
    .kernarg_segment_align: 8
    .kernarg_segment_size: 96
    .language:       OpenCL C
    .language_version:
      - 2
      - 0
    .max_flat_workgroup_size: 64
    .name:           _ZN7rocprim17ROCPRIM_400000_NS6detail17trampoline_kernelINS0_14default_configENS1_20scan_config_selectorIN3c104HalfEEEZZNS1_9scan_implILNS1_25lookback_scan_determinismE0ELb0ELb0ES3_PKS6_PS6_S6_ZZZN2at6native31launch_logcumsumexp_cuda_kernelERKNSD_10TensorBaseESH_lENKUlvE_clEvENKUlvE3_clEvEUlS6_S6_E_S6_EEDaPvRmT3_T4_T5_mT6_P12ihipStream_tbENKUlT_T0_E_clISt17integral_constantIbLb1EESX_IbLb0EEEEDaST_SU_EUlST_E_NS1_11comp_targetILNS1_3genE4ELNS1_11target_archE910ELNS1_3gpuE8ELNS1_3repE0EEENS1_30default_config_static_selectorELNS0_4arch9wavefront6targetE1EEEvT1_
    .private_segment_fixed_size: 0
    .sgpr_count:     6
    .sgpr_spill_count: 0
    .symbol:         _ZN7rocprim17ROCPRIM_400000_NS6detail17trampoline_kernelINS0_14default_configENS1_20scan_config_selectorIN3c104HalfEEEZZNS1_9scan_implILNS1_25lookback_scan_determinismE0ELb0ELb0ES3_PKS6_PS6_S6_ZZZN2at6native31launch_logcumsumexp_cuda_kernelERKNSD_10TensorBaseESH_lENKUlvE_clEvENKUlvE3_clEvEUlS6_S6_E_S6_EEDaPvRmT3_T4_T5_mT6_P12ihipStream_tbENKUlT_T0_E_clISt17integral_constantIbLb1EESX_IbLb0EEEEDaST_SU_EUlST_E_NS1_11comp_targetILNS1_3genE4ELNS1_11target_archE910ELNS1_3gpuE8ELNS1_3repE0EEENS1_30default_config_static_selectorELNS0_4arch9wavefront6targetE1EEEvT1_.kd
    .uniform_work_group_size: 1
    .uses_dynamic_stack: false
    .vgpr_count:     0
    .vgpr_spill_count: 0
    .wavefront_size: 64
  - .agpr_count:     0
    .args:
      - .offset:         0
        .size:           96
        .value_kind:     by_value
    .group_segment_fixed_size: 0
    .kernarg_segment_align: 8
    .kernarg_segment_size: 96
    .language:       OpenCL C
    .language_version:
      - 2
      - 0
    .max_flat_workgroup_size: 128
    .name:           _ZN7rocprim17ROCPRIM_400000_NS6detail17trampoline_kernelINS0_14default_configENS1_20scan_config_selectorIN3c104HalfEEEZZNS1_9scan_implILNS1_25lookback_scan_determinismE0ELb0ELb0ES3_PKS6_PS6_S6_ZZZN2at6native31launch_logcumsumexp_cuda_kernelERKNSD_10TensorBaseESH_lENKUlvE_clEvENKUlvE3_clEvEUlS6_S6_E_S6_EEDaPvRmT3_T4_T5_mT6_P12ihipStream_tbENKUlT_T0_E_clISt17integral_constantIbLb1EESX_IbLb0EEEEDaST_SU_EUlST_E_NS1_11comp_targetILNS1_3genE3ELNS1_11target_archE908ELNS1_3gpuE7ELNS1_3repE0EEENS1_30default_config_static_selectorELNS0_4arch9wavefront6targetE1EEEvT1_
    .private_segment_fixed_size: 0
    .sgpr_count:     6
    .sgpr_spill_count: 0
    .symbol:         _ZN7rocprim17ROCPRIM_400000_NS6detail17trampoline_kernelINS0_14default_configENS1_20scan_config_selectorIN3c104HalfEEEZZNS1_9scan_implILNS1_25lookback_scan_determinismE0ELb0ELb0ES3_PKS6_PS6_S6_ZZZN2at6native31launch_logcumsumexp_cuda_kernelERKNSD_10TensorBaseESH_lENKUlvE_clEvENKUlvE3_clEvEUlS6_S6_E_S6_EEDaPvRmT3_T4_T5_mT6_P12ihipStream_tbENKUlT_T0_E_clISt17integral_constantIbLb1EESX_IbLb0EEEEDaST_SU_EUlST_E_NS1_11comp_targetILNS1_3genE3ELNS1_11target_archE908ELNS1_3gpuE7ELNS1_3repE0EEENS1_30default_config_static_selectorELNS0_4arch9wavefront6targetE1EEEvT1_.kd
    .uniform_work_group_size: 1
    .uses_dynamic_stack: false
    .vgpr_count:     0
    .vgpr_spill_count: 0
    .wavefront_size: 64
  - .agpr_count:     0
    .args:
      - .offset:         0
        .size:           96
        .value_kind:     by_value
    .group_segment_fixed_size: 0
    .kernarg_segment_align: 8
    .kernarg_segment_size: 96
    .language:       OpenCL C
    .language_version:
      - 2
      - 0
    .max_flat_workgroup_size: 256
    .name:           _ZN7rocprim17ROCPRIM_400000_NS6detail17trampoline_kernelINS0_14default_configENS1_20scan_config_selectorIN3c104HalfEEEZZNS1_9scan_implILNS1_25lookback_scan_determinismE0ELb0ELb0ES3_PKS6_PS6_S6_ZZZN2at6native31launch_logcumsumexp_cuda_kernelERKNSD_10TensorBaseESH_lENKUlvE_clEvENKUlvE3_clEvEUlS6_S6_E_S6_EEDaPvRmT3_T4_T5_mT6_P12ihipStream_tbENKUlT_T0_E_clISt17integral_constantIbLb1EESX_IbLb0EEEEDaST_SU_EUlST_E_NS1_11comp_targetILNS1_3genE2ELNS1_11target_archE906ELNS1_3gpuE6ELNS1_3repE0EEENS1_30default_config_static_selectorELNS0_4arch9wavefront6targetE1EEEvT1_
    .private_segment_fixed_size: 0
    .sgpr_count:     6
    .sgpr_spill_count: 0
    .symbol:         _ZN7rocprim17ROCPRIM_400000_NS6detail17trampoline_kernelINS0_14default_configENS1_20scan_config_selectorIN3c104HalfEEEZZNS1_9scan_implILNS1_25lookback_scan_determinismE0ELb0ELb0ES3_PKS6_PS6_S6_ZZZN2at6native31launch_logcumsumexp_cuda_kernelERKNSD_10TensorBaseESH_lENKUlvE_clEvENKUlvE3_clEvEUlS6_S6_E_S6_EEDaPvRmT3_T4_T5_mT6_P12ihipStream_tbENKUlT_T0_E_clISt17integral_constantIbLb1EESX_IbLb0EEEEDaST_SU_EUlST_E_NS1_11comp_targetILNS1_3genE2ELNS1_11target_archE906ELNS1_3gpuE6ELNS1_3repE0EEENS1_30default_config_static_selectorELNS0_4arch9wavefront6targetE1EEEvT1_.kd
    .uniform_work_group_size: 1
    .uses_dynamic_stack: false
    .vgpr_count:     0
    .vgpr_spill_count: 0
    .wavefront_size: 64
  - .agpr_count:     0
    .args:
      - .offset:         0
        .size:           96
        .value_kind:     by_value
    .group_segment_fixed_size: 0
    .kernarg_segment_align: 8
    .kernarg_segment_size: 96
    .language:       OpenCL C
    .language_version:
      - 2
      - 0
    .max_flat_workgroup_size: 256
    .name:           _ZN7rocprim17ROCPRIM_400000_NS6detail17trampoline_kernelINS0_14default_configENS1_20scan_config_selectorIN3c104HalfEEEZZNS1_9scan_implILNS1_25lookback_scan_determinismE0ELb0ELb0ES3_PKS6_PS6_S6_ZZZN2at6native31launch_logcumsumexp_cuda_kernelERKNSD_10TensorBaseESH_lENKUlvE_clEvENKUlvE3_clEvEUlS6_S6_E_S6_EEDaPvRmT3_T4_T5_mT6_P12ihipStream_tbENKUlT_T0_E_clISt17integral_constantIbLb1EESX_IbLb0EEEEDaST_SU_EUlST_E_NS1_11comp_targetILNS1_3genE10ELNS1_11target_archE1201ELNS1_3gpuE5ELNS1_3repE0EEENS1_30default_config_static_selectorELNS0_4arch9wavefront6targetE1EEEvT1_
    .private_segment_fixed_size: 0
    .sgpr_count:     6
    .sgpr_spill_count: 0
    .symbol:         _ZN7rocprim17ROCPRIM_400000_NS6detail17trampoline_kernelINS0_14default_configENS1_20scan_config_selectorIN3c104HalfEEEZZNS1_9scan_implILNS1_25lookback_scan_determinismE0ELb0ELb0ES3_PKS6_PS6_S6_ZZZN2at6native31launch_logcumsumexp_cuda_kernelERKNSD_10TensorBaseESH_lENKUlvE_clEvENKUlvE3_clEvEUlS6_S6_E_S6_EEDaPvRmT3_T4_T5_mT6_P12ihipStream_tbENKUlT_T0_E_clISt17integral_constantIbLb1EESX_IbLb0EEEEDaST_SU_EUlST_E_NS1_11comp_targetILNS1_3genE10ELNS1_11target_archE1201ELNS1_3gpuE5ELNS1_3repE0EEENS1_30default_config_static_selectorELNS0_4arch9wavefront6targetE1EEEvT1_.kd
    .uniform_work_group_size: 1
    .uses_dynamic_stack: false
    .vgpr_count:     0
    .vgpr_spill_count: 0
    .wavefront_size: 64
  - .agpr_count:     0
    .args:
      - .offset:         0
        .size:           96
        .value_kind:     by_value
    .group_segment_fixed_size: 0
    .kernarg_segment_align: 8
    .kernarg_segment_size: 96
    .language:       OpenCL C
    .language_version:
      - 2
      - 0
    .max_flat_workgroup_size: 256
    .name:           _ZN7rocprim17ROCPRIM_400000_NS6detail17trampoline_kernelINS0_14default_configENS1_20scan_config_selectorIN3c104HalfEEEZZNS1_9scan_implILNS1_25lookback_scan_determinismE0ELb0ELb0ES3_PKS6_PS6_S6_ZZZN2at6native31launch_logcumsumexp_cuda_kernelERKNSD_10TensorBaseESH_lENKUlvE_clEvENKUlvE3_clEvEUlS6_S6_E_S6_EEDaPvRmT3_T4_T5_mT6_P12ihipStream_tbENKUlT_T0_E_clISt17integral_constantIbLb1EESX_IbLb0EEEEDaST_SU_EUlST_E_NS1_11comp_targetILNS1_3genE10ELNS1_11target_archE1200ELNS1_3gpuE4ELNS1_3repE0EEENS1_30default_config_static_selectorELNS0_4arch9wavefront6targetE1EEEvT1_
    .private_segment_fixed_size: 0
    .sgpr_count:     6
    .sgpr_spill_count: 0
    .symbol:         _ZN7rocprim17ROCPRIM_400000_NS6detail17trampoline_kernelINS0_14default_configENS1_20scan_config_selectorIN3c104HalfEEEZZNS1_9scan_implILNS1_25lookback_scan_determinismE0ELb0ELb0ES3_PKS6_PS6_S6_ZZZN2at6native31launch_logcumsumexp_cuda_kernelERKNSD_10TensorBaseESH_lENKUlvE_clEvENKUlvE3_clEvEUlS6_S6_E_S6_EEDaPvRmT3_T4_T5_mT6_P12ihipStream_tbENKUlT_T0_E_clISt17integral_constantIbLb1EESX_IbLb0EEEEDaST_SU_EUlST_E_NS1_11comp_targetILNS1_3genE10ELNS1_11target_archE1200ELNS1_3gpuE4ELNS1_3repE0EEENS1_30default_config_static_selectorELNS0_4arch9wavefront6targetE1EEEvT1_.kd
    .uniform_work_group_size: 1
    .uses_dynamic_stack: false
    .vgpr_count:     0
    .vgpr_spill_count: 0
    .wavefront_size: 64
  - .agpr_count:     0
    .args:
      - .offset:         0
        .size:           96
        .value_kind:     by_value
    .group_segment_fixed_size: 0
    .kernarg_segment_align: 8
    .kernarg_segment_size: 96
    .language:       OpenCL C
    .language_version:
      - 2
      - 0
    .max_flat_workgroup_size: 64
    .name:           _ZN7rocprim17ROCPRIM_400000_NS6detail17trampoline_kernelINS0_14default_configENS1_20scan_config_selectorIN3c104HalfEEEZZNS1_9scan_implILNS1_25lookback_scan_determinismE0ELb0ELb0ES3_PKS6_PS6_S6_ZZZN2at6native31launch_logcumsumexp_cuda_kernelERKNSD_10TensorBaseESH_lENKUlvE_clEvENKUlvE3_clEvEUlS6_S6_E_S6_EEDaPvRmT3_T4_T5_mT6_P12ihipStream_tbENKUlT_T0_E_clISt17integral_constantIbLb1EESX_IbLb0EEEEDaST_SU_EUlST_E_NS1_11comp_targetILNS1_3genE9ELNS1_11target_archE1100ELNS1_3gpuE3ELNS1_3repE0EEENS1_30default_config_static_selectorELNS0_4arch9wavefront6targetE1EEEvT1_
    .private_segment_fixed_size: 0
    .sgpr_count:     6
    .sgpr_spill_count: 0
    .symbol:         _ZN7rocprim17ROCPRIM_400000_NS6detail17trampoline_kernelINS0_14default_configENS1_20scan_config_selectorIN3c104HalfEEEZZNS1_9scan_implILNS1_25lookback_scan_determinismE0ELb0ELb0ES3_PKS6_PS6_S6_ZZZN2at6native31launch_logcumsumexp_cuda_kernelERKNSD_10TensorBaseESH_lENKUlvE_clEvENKUlvE3_clEvEUlS6_S6_E_S6_EEDaPvRmT3_T4_T5_mT6_P12ihipStream_tbENKUlT_T0_E_clISt17integral_constantIbLb1EESX_IbLb0EEEEDaST_SU_EUlST_E_NS1_11comp_targetILNS1_3genE9ELNS1_11target_archE1100ELNS1_3gpuE3ELNS1_3repE0EEENS1_30default_config_static_selectorELNS0_4arch9wavefront6targetE1EEEvT1_.kd
    .uniform_work_group_size: 1
    .uses_dynamic_stack: false
    .vgpr_count:     0
    .vgpr_spill_count: 0
    .wavefront_size: 64
  - .agpr_count:     0
    .args:
      - .offset:         0
        .size:           96
        .value_kind:     by_value
    .group_segment_fixed_size: 0
    .kernarg_segment_align: 8
    .kernarg_segment_size: 96
    .language:       OpenCL C
    .language_version:
      - 2
      - 0
    .max_flat_workgroup_size: 64
    .name:           _ZN7rocprim17ROCPRIM_400000_NS6detail17trampoline_kernelINS0_14default_configENS1_20scan_config_selectorIN3c104HalfEEEZZNS1_9scan_implILNS1_25lookback_scan_determinismE0ELb0ELb0ES3_PKS6_PS6_S6_ZZZN2at6native31launch_logcumsumexp_cuda_kernelERKNSD_10TensorBaseESH_lENKUlvE_clEvENKUlvE3_clEvEUlS6_S6_E_S6_EEDaPvRmT3_T4_T5_mT6_P12ihipStream_tbENKUlT_T0_E_clISt17integral_constantIbLb1EESX_IbLb0EEEEDaST_SU_EUlST_E_NS1_11comp_targetILNS1_3genE8ELNS1_11target_archE1030ELNS1_3gpuE2ELNS1_3repE0EEENS1_30default_config_static_selectorELNS0_4arch9wavefront6targetE1EEEvT1_
    .private_segment_fixed_size: 0
    .sgpr_count:     6
    .sgpr_spill_count: 0
    .symbol:         _ZN7rocprim17ROCPRIM_400000_NS6detail17trampoline_kernelINS0_14default_configENS1_20scan_config_selectorIN3c104HalfEEEZZNS1_9scan_implILNS1_25lookback_scan_determinismE0ELb0ELb0ES3_PKS6_PS6_S6_ZZZN2at6native31launch_logcumsumexp_cuda_kernelERKNSD_10TensorBaseESH_lENKUlvE_clEvENKUlvE3_clEvEUlS6_S6_E_S6_EEDaPvRmT3_T4_T5_mT6_P12ihipStream_tbENKUlT_T0_E_clISt17integral_constantIbLb1EESX_IbLb0EEEEDaST_SU_EUlST_E_NS1_11comp_targetILNS1_3genE8ELNS1_11target_archE1030ELNS1_3gpuE2ELNS1_3repE0EEENS1_30default_config_static_selectorELNS0_4arch9wavefront6targetE1EEEvT1_.kd
    .uniform_work_group_size: 1
    .uses_dynamic_stack: false
    .vgpr_count:     0
    .vgpr_spill_count: 0
    .wavefront_size: 64
  - .agpr_count:     0
    .args:
      - .offset:         0
        .size:           32
        .value_kind:     by_value
    .group_segment_fixed_size: 3584
    .kernarg_segment_align: 8
    .kernarg_segment_size: 32
    .language:       OpenCL C
    .language_version:
      - 2
      - 0
    .max_flat_workgroup_size: 128
    .name:           _ZN7rocprim17ROCPRIM_400000_NS6detail17trampoline_kernelINS0_14default_configENS1_20scan_config_selectorIN3c104HalfEEEZZNS1_9scan_implILNS1_25lookback_scan_determinismE0ELb0ELb0ES3_PKS6_PS6_S6_ZZZN2at6native31launch_logcumsumexp_cuda_kernelERKNSD_10TensorBaseESH_lENKUlvE_clEvENKUlvE3_clEvEUlS6_S6_E_S6_EEDaPvRmT3_T4_T5_mT6_P12ihipStream_tbENKUlT_T0_E_clISt17integral_constantIbLb1EESX_IbLb0EEEEDaST_SU_EUlST_E0_NS1_11comp_targetILNS1_3genE0ELNS1_11target_archE4294967295ELNS1_3gpuE0ELNS1_3repE0EEENS1_30default_config_static_selectorELNS0_4arch9wavefront6targetE1EEEvT1_
    .private_segment_fixed_size: 0
    .sgpr_count:     72
    .sgpr_spill_count: 0
    .symbol:         _ZN7rocprim17ROCPRIM_400000_NS6detail17trampoline_kernelINS0_14default_configENS1_20scan_config_selectorIN3c104HalfEEEZZNS1_9scan_implILNS1_25lookback_scan_determinismE0ELb0ELb0ES3_PKS6_PS6_S6_ZZZN2at6native31launch_logcumsumexp_cuda_kernelERKNSD_10TensorBaseESH_lENKUlvE_clEvENKUlvE3_clEvEUlS6_S6_E_S6_EEDaPvRmT3_T4_T5_mT6_P12ihipStream_tbENKUlT_T0_E_clISt17integral_constantIbLb1EESX_IbLb0EEEEDaST_SU_EUlST_E0_NS1_11comp_targetILNS1_3genE0ELNS1_11target_archE4294967295ELNS1_3gpuE0ELNS1_3repE0EEENS1_30default_config_static_selectorELNS0_4arch9wavefront6targetE1EEEvT1_.kd
    .uniform_work_group_size: 1
    .uses_dynamic_stack: false
    .vgpr_count:     40
    .vgpr_spill_count: 0
    .wavefront_size: 64
  - .agpr_count:     0
    .args:
      - .offset:         0
        .size:           32
        .value_kind:     by_value
    .group_segment_fixed_size: 0
    .kernarg_segment_align: 8
    .kernarg_segment_size: 32
    .language:       OpenCL C
    .language_version:
      - 2
      - 0
    .max_flat_workgroup_size: 256
    .name:           _ZN7rocprim17ROCPRIM_400000_NS6detail17trampoline_kernelINS0_14default_configENS1_20scan_config_selectorIN3c104HalfEEEZZNS1_9scan_implILNS1_25lookback_scan_determinismE0ELb0ELb0ES3_PKS6_PS6_S6_ZZZN2at6native31launch_logcumsumexp_cuda_kernelERKNSD_10TensorBaseESH_lENKUlvE_clEvENKUlvE3_clEvEUlS6_S6_E_S6_EEDaPvRmT3_T4_T5_mT6_P12ihipStream_tbENKUlT_T0_E_clISt17integral_constantIbLb1EESX_IbLb0EEEEDaST_SU_EUlST_E0_NS1_11comp_targetILNS1_3genE5ELNS1_11target_archE942ELNS1_3gpuE9ELNS1_3repE0EEENS1_30default_config_static_selectorELNS0_4arch9wavefront6targetE1EEEvT1_
    .private_segment_fixed_size: 0
    .sgpr_count:     6
    .sgpr_spill_count: 0
    .symbol:         _ZN7rocprim17ROCPRIM_400000_NS6detail17trampoline_kernelINS0_14default_configENS1_20scan_config_selectorIN3c104HalfEEEZZNS1_9scan_implILNS1_25lookback_scan_determinismE0ELb0ELb0ES3_PKS6_PS6_S6_ZZZN2at6native31launch_logcumsumexp_cuda_kernelERKNSD_10TensorBaseESH_lENKUlvE_clEvENKUlvE3_clEvEUlS6_S6_E_S6_EEDaPvRmT3_T4_T5_mT6_P12ihipStream_tbENKUlT_T0_E_clISt17integral_constantIbLb1EESX_IbLb0EEEEDaST_SU_EUlST_E0_NS1_11comp_targetILNS1_3genE5ELNS1_11target_archE942ELNS1_3gpuE9ELNS1_3repE0EEENS1_30default_config_static_selectorELNS0_4arch9wavefront6targetE1EEEvT1_.kd
    .uniform_work_group_size: 1
    .uses_dynamic_stack: false
    .vgpr_count:     0
    .vgpr_spill_count: 0
    .wavefront_size: 64
  - .agpr_count:     0
    .args:
      - .offset:         0
        .size:           32
        .value_kind:     by_value
    .group_segment_fixed_size: 0
    .kernarg_segment_align: 8
    .kernarg_segment_size: 32
    .language:       OpenCL C
    .language_version:
      - 2
      - 0
    .max_flat_workgroup_size: 64
    .name:           _ZN7rocprim17ROCPRIM_400000_NS6detail17trampoline_kernelINS0_14default_configENS1_20scan_config_selectorIN3c104HalfEEEZZNS1_9scan_implILNS1_25lookback_scan_determinismE0ELb0ELb0ES3_PKS6_PS6_S6_ZZZN2at6native31launch_logcumsumexp_cuda_kernelERKNSD_10TensorBaseESH_lENKUlvE_clEvENKUlvE3_clEvEUlS6_S6_E_S6_EEDaPvRmT3_T4_T5_mT6_P12ihipStream_tbENKUlT_T0_E_clISt17integral_constantIbLb1EESX_IbLb0EEEEDaST_SU_EUlST_E0_NS1_11comp_targetILNS1_3genE4ELNS1_11target_archE910ELNS1_3gpuE8ELNS1_3repE0EEENS1_30default_config_static_selectorELNS0_4arch9wavefront6targetE1EEEvT1_
    .private_segment_fixed_size: 0
    .sgpr_count:     6
    .sgpr_spill_count: 0
    .symbol:         _ZN7rocprim17ROCPRIM_400000_NS6detail17trampoline_kernelINS0_14default_configENS1_20scan_config_selectorIN3c104HalfEEEZZNS1_9scan_implILNS1_25lookback_scan_determinismE0ELb0ELb0ES3_PKS6_PS6_S6_ZZZN2at6native31launch_logcumsumexp_cuda_kernelERKNSD_10TensorBaseESH_lENKUlvE_clEvENKUlvE3_clEvEUlS6_S6_E_S6_EEDaPvRmT3_T4_T5_mT6_P12ihipStream_tbENKUlT_T0_E_clISt17integral_constantIbLb1EESX_IbLb0EEEEDaST_SU_EUlST_E0_NS1_11comp_targetILNS1_3genE4ELNS1_11target_archE910ELNS1_3gpuE8ELNS1_3repE0EEENS1_30default_config_static_selectorELNS0_4arch9wavefront6targetE1EEEvT1_.kd
    .uniform_work_group_size: 1
    .uses_dynamic_stack: false
    .vgpr_count:     0
    .vgpr_spill_count: 0
    .wavefront_size: 64
  - .agpr_count:     0
    .args:
      - .offset:         0
        .size:           32
        .value_kind:     by_value
    .group_segment_fixed_size: 0
    .kernarg_segment_align: 8
    .kernarg_segment_size: 32
    .language:       OpenCL C
    .language_version:
      - 2
      - 0
    .max_flat_workgroup_size: 128
    .name:           _ZN7rocprim17ROCPRIM_400000_NS6detail17trampoline_kernelINS0_14default_configENS1_20scan_config_selectorIN3c104HalfEEEZZNS1_9scan_implILNS1_25lookback_scan_determinismE0ELb0ELb0ES3_PKS6_PS6_S6_ZZZN2at6native31launch_logcumsumexp_cuda_kernelERKNSD_10TensorBaseESH_lENKUlvE_clEvENKUlvE3_clEvEUlS6_S6_E_S6_EEDaPvRmT3_T4_T5_mT6_P12ihipStream_tbENKUlT_T0_E_clISt17integral_constantIbLb1EESX_IbLb0EEEEDaST_SU_EUlST_E0_NS1_11comp_targetILNS1_3genE3ELNS1_11target_archE908ELNS1_3gpuE7ELNS1_3repE0EEENS1_30default_config_static_selectorELNS0_4arch9wavefront6targetE1EEEvT1_
    .private_segment_fixed_size: 0
    .sgpr_count:     6
    .sgpr_spill_count: 0
    .symbol:         _ZN7rocprim17ROCPRIM_400000_NS6detail17trampoline_kernelINS0_14default_configENS1_20scan_config_selectorIN3c104HalfEEEZZNS1_9scan_implILNS1_25lookback_scan_determinismE0ELb0ELb0ES3_PKS6_PS6_S6_ZZZN2at6native31launch_logcumsumexp_cuda_kernelERKNSD_10TensorBaseESH_lENKUlvE_clEvENKUlvE3_clEvEUlS6_S6_E_S6_EEDaPvRmT3_T4_T5_mT6_P12ihipStream_tbENKUlT_T0_E_clISt17integral_constantIbLb1EESX_IbLb0EEEEDaST_SU_EUlST_E0_NS1_11comp_targetILNS1_3genE3ELNS1_11target_archE908ELNS1_3gpuE7ELNS1_3repE0EEENS1_30default_config_static_selectorELNS0_4arch9wavefront6targetE1EEEvT1_.kd
    .uniform_work_group_size: 1
    .uses_dynamic_stack: false
    .vgpr_count:     0
    .vgpr_spill_count: 0
    .wavefront_size: 64
  - .agpr_count:     0
    .args:
      - .offset:         0
        .size:           32
        .value_kind:     by_value
    .group_segment_fixed_size: 0
    .kernarg_segment_align: 8
    .kernarg_segment_size: 32
    .language:       OpenCL C
    .language_version:
      - 2
      - 0
    .max_flat_workgroup_size: 256
    .name:           _ZN7rocprim17ROCPRIM_400000_NS6detail17trampoline_kernelINS0_14default_configENS1_20scan_config_selectorIN3c104HalfEEEZZNS1_9scan_implILNS1_25lookback_scan_determinismE0ELb0ELb0ES3_PKS6_PS6_S6_ZZZN2at6native31launch_logcumsumexp_cuda_kernelERKNSD_10TensorBaseESH_lENKUlvE_clEvENKUlvE3_clEvEUlS6_S6_E_S6_EEDaPvRmT3_T4_T5_mT6_P12ihipStream_tbENKUlT_T0_E_clISt17integral_constantIbLb1EESX_IbLb0EEEEDaST_SU_EUlST_E0_NS1_11comp_targetILNS1_3genE2ELNS1_11target_archE906ELNS1_3gpuE6ELNS1_3repE0EEENS1_30default_config_static_selectorELNS0_4arch9wavefront6targetE1EEEvT1_
    .private_segment_fixed_size: 0
    .sgpr_count:     6
    .sgpr_spill_count: 0
    .symbol:         _ZN7rocprim17ROCPRIM_400000_NS6detail17trampoline_kernelINS0_14default_configENS1_20scan_config_selectorIN3c104HalfEEEZZNS1_9scan_implILNS1_25lookback_scan_determinismE0ELb0ELb0ES3_PKS6_PS6_S6_ZZZN2at6native31launch_logcumsumexp_cuda_kernelERKNSD_10TensorBaseESH_lENKUlvE_clEvENKUlvE3_clEvEUlS6_S6_E_S6_EEDaPvRmT3_T4_T5_mT6_P12ihipStream_tbENKUlT_T0_E_clISt17integral_constantIbLb1EESX_IbLb0EEEEDaST_SU_EUlST_E0_NS1_11comp_targetILNS1_3genE2ELNS1_11target_archE906ELNS1_3gpuE6ELNS1_3repE0EEENS1_30default_config_static_selectorELNS0_4arch9wavefront6targetE1EEEvT1_.kd
    .uniform_work_group_size: 1
    .uses_dynamic_stack: false
    .vgpr_count:     0
    .vgpr_spill_count: 0
    .wavefront_size: 64
  - .agpr_count:     0
    .args:
      - .offset:         0
        .size:           32
        .value_kind:     by_value
    .group_segment_fixed_size: 0
    .kernarg_segment_align: 8
    .kernarg_segment_size: 32
    .language:       OpenCL C
    .language_version:
      - 2
      - 0
    .max_flat_workgroup_size: 256
    .name:           _ZN7rocprim17ROCPRIM_400000_NS6detail17trampoline_kernelINS0_14default_configENS1_20scan_config_selectorIN3c104HalfEEEZZNS1_9scan_implILNS1_25lookback_scan_determinismE0ELb0ELb0ES3_PKS6_PS6_S6_ZZZN2at6native31launch_logcumsumexp_cuda_kernelERKNSD_10TensorBaseESH_lENKUlvE_clEvENKUlvE3_clEvEUlS6_S6_E_S6_EEDaPvRmT3_T4_T5_mT6_P12ihipStream_tbENKUlT_T0_E_clISt17integral_constantIbLb1EESX_IbLb0EEEEDaST_SU_EUlST_E0_NS1_11comp_targetILNS1_3genE10ELNS1_11target_archE1201ELNS1_3gpuE5ELNS1_3repE0EEENS1_30default_config_static_selectorELNS0_4arch9wavefront6targetE1EEEvT1_
    .private_segment_fixed_size: 0
    .sgpr_count:     6
    .sgpr_spill_count: 0
    .symbol:         _ZN7rocprim17ROCPRIM_400000_NS6detail17trampoline_kernelINS0_14default_configENS1_20scan_config_selectorIN3c104HalfEEEZZNS1_9scan_implILNS1_25lookback_scan_determinismE0ELb0ELb0ES3_PKS6_PS6_S6_ZZZN2at6native31launch_logcumsumexp_cuda_kernelERKNSD_10TensorBaseESH_lENKUlvE_clEvENKUlvE3_clEvEUlS6_S6_E_S6_EEDaPvRmT3_T4_T5_mT6_P12ihipStream_tbENKUlT_T0_E_clISt17integral_constantIbLb1EESX_IbLb0EEEEDaST_SU_EUlST_E0_NS1_11comp_targetILNS1_3genE10ELNS1_11target_archE1201ELNS1_3gpuE5ELNS1_3repE0EEENS1_30default_config_static_selectorELNS0_4arch9wavefront6targetE1EEEvT1_.kd
    .uniform_work_group_size: 1
    .uses_dynamic_stack: false
    .vgpr_count:     0
    .vgpr_spill_count: 0
    .wavefront_size: 64
  - .agpr_count:     0
    .args:
      - .offset:         0
        .size:           32
        .value_kind:     by_value
    .group_segment_fixed_size: 0
    .kernarg_segment_align: 8
    .kernarg_segment_size: 32
    .language:       OpenCL C
    .language_version:
      - 2
      - 0
    .max_flat_workgroup_size: 256
    .name:           _ZN7rocprim17ROCPRIM_400000_NS6detail17trampoline_kernelINS0_14default_configENS1_20scan_config_selectorIN3c104HalfEEEZZNS1_9scan_implILNS1_25lookback_scan_determinismE0ELb0ELb0ES3_PKS6_PS6_S6_ZZZN2at6native31launch_logcumsumexp_cuda_kernelERKNSD_10TensorBaseESH_lENKUlvE_clEvENKUlvE3_clEvEUlS6_S6_E_S6_EEDaPvRmT3_T4_T5_mT6_P12ihipStream_tbENKUlT_T0_E_clISt17integral_constantIbLb1EESX_IbLb0EEEEDaST_SU_EUlST_E0_NS1_11comp_targetILNS1_3genE10ELNS1_11target_archE1200ELNS1_3gpuE4ELNS1_3repE0EEENS1_30default_config_static_selectorELNS0_4arch9wavefront6targetE1EEEvT1_
    .private_segment_fixed_size: 0
    .sgpr_count:     6
    .sgpr_spill_count: 0
    .symbol:         _ZN7rocprim17ROCPRIM_400000_NS6detail17trampoline_kernelINS0_14default_configENS1_20scan_config_selectorIN3c104HalfEEEZZNS1_9scan_implILNS1_25lookback_scan_determinismE0ELb0ELb0ES3_PKS6_PS6_S6_ZZZN2at6native31launch_logcumsumexp_cuda_kernelERKNSD_10TensorBaseESH_lENKUlvE_clEvENKUlvE3_clEvEUlS6_S6_E_S6_EEDaPvRmT3_T4_T5_mT6_P12ihipStream_tbENKUlT_T0_E_clISt17integral_constantIbLb1EESX_IbLb0EEEEDaST_SU_EUlST_E0_NS1_11comp_targetILNS1_3genE10ELNS1_11target_archE1200ELNS1_3gpuE4ELNS1_3repE0EEENS1_30default_config_static_selectorELNS0_4arch9wavefront6targetE1EEEvT1_.kd
    .uniform_work_group_size: 1
    .uses_dynamic_stack: false
    .vgpr_count:     0
    .vgpr_spill_count: 0
    .wavefront_size: 64
  - .agpr_count:     0
    .args:
      - .offset:         0
        .size:           32
        .value_kind:     by_value
    .group_segment_fixed_size: 0
    .kernarg_segment_align: 8
    .kernarg_segment_size: 32
    .language:       OpenCL C
    .language_version:
      - 2
      - 0
    .max_flat_workgroup_size: 64
    .name:           _ZN7rocprim17ROCPRIM_400000_NS6detail17trampoline_kernelINS0_14default_configENS1_20scan_config_selectorIN3c104HalfEEEZZNS1_9scan_implILNS1_25lookback_scan_determinismE0ELb0ELb0ES3_PKS6_PS6_S6_ZZZN2at6native31launch_logcumsumexp_cuda_kernelERKNSD_10TensorBaseESH_lENKUlvE_clEvENKUlvE3_clEvEUlS6_S6_E_S6_EEDaPvRmT3_T4_T5_mT6_P12ihipStream_tbENKUlT_T0_E_clISt17integral_constantIbLb1EESX_IbLb0EEEEDaST_SU_EUlST_E0_NS1_11comp_targetILNS1_3genE9ELNS1_11target_archE1100ELNS1_3gpuE3ELNS1_3repE0EEENS1_30default_config_static_selectorELNS0_4arch9wavefront6targetE1EEEvT1_
    .private_segment_fixed_size: 0
    .sgpr_count:     6
    .sgpr_spill_count: 0
    .symbol:         _ZN7rocprim17ROCPRIM_400000_NS6detail17trampoline_kernelINS0_14default_configENS1_20scan_config_selectorIN3c104HalfEEEZZNS1_9scan_implILNS1_25lookback_scan_determinismE0ELb0ELb0ES3_PKS6_PS6_S6_ZZZN2at6native31launch_logcumsumexp_cuda_kernelERKNSD_10TensorBaseESH_lENKUlvE_clEvENKUlvE3_clEvEUlS6_S6_E_S6_EEDaPvRmT3_T4_T5_mT6_P12ihipStream_tbENKUlT_T0_E_clISt17integral_constantIbLb1EESX_IbLb0EEEEDaST_SU_EUlST_E0_NS1_11comp_targetILNS1_3genE9ELNS1_11target_archE1100ELNS1_3gpuE3ELNS1_3repE0EEENS1_30default_config_static_selectorELNS0_4arch9wavefront6targetE1EEEvT1_.kd
    .uniform_work_group_size: 1
    .uses_dynamic_stack: false
    .vgpr_count:     0
    .vgpr_spill_count: 0
    .wavefront_size: 64
  - .agpr_count:     0
    .args:
      - .offset:         0
        .size:           32
        .value_kind:     by_value
    .group_segment_fixed_size: 0
    .kernarg_segment_align: 8
    .kernarg_segment_size: 32
    .language:       OpenCL C
    .language_version:
      - 2
      - 0
    .max_flat_workgroup_size: 64
    .name:           _ZN7rocprim17ROCPRIM_400000_NS6detail17trampoline_kernelINS0_14default_configENS1_20scan_config_selectorIN3c104HalfEEEZZNS1_9scan_implILNS1_25lookback_scan_determinismE0ELb0ELb0ES3_PKS6_PS6_S6_ZZZN2at6native31launch_logcumsumexp_cuda_kernelERKNSD_10TensorBaseESH_lENKUlvE_clEvENKUlvE3_clEvEUlS6_S6_E_S6_EEDaPvRmT3_T4_T5_mT6_P12ihipStream_tbENKUlT_T0_E_clISt17integral_constantIbLb1EESX_IbLb0EEEEDaST_SU_EUlST_E0_NS1_11comp_targetILNS1_3genE8ELNS1_11target_archE1030ELNS1_3gpuE2ELNS1_3repE0EEENS1_30default_config_static_selectorELNS0_4arch9wavefront6targetE1EEEvT1_
    .private_segment_fixed_size: 0
    .sgpr_count:     6
    .sgpr_spill_count: 0
    .symbol:         _ZN7rocprim17ROCPRIM_400000_NS6detail17trampoline_kernelINS0_14default_configENS1_20scan_config_selectorIN3c104HalfEEEZZNS1_9scan_implILNS1_25lookback_scan_determinismE0ELb0ELb0ES3_PKS6_PS6_S6_ZZZN2at6native31launch_logcumsumexp_cuda_kernelERKNSD_10TensorBaseESH_lENKUlvE_clEvENKUlvE3_clEvEUlS6_S6_E_S6_EEDaPvRmT3_T4_T5_mT6_P12ihipStream_tbENKUlT_T0_E_clISt17integral_constantIbLb1EESX_IbLb0EEEEDaST_SU_EUlST_E0_NS1_11comp_targetILNS1_3genE8ELNS1_11target_archE1030ELNS1_3gpuE2ELNS1_3repE0EEENS1_30default_config_static_selectorELNS0_4arch9wavefront6targetE1EEEvT1_.kd
    .uniform_work_group_size: 1
    .uses_dynamic_stack: false
    .vgpr_count:     0
    .vgpr_spill_count: 0
    .wavefront_size: 64
  - .agpr_count:     0
    .args:
      - .address_space:  global
        .offset:         0
        .size:           8
        .value_kind:     global_buffer
      - .offset:         8
        .size:           4
        .value_kind:     by_value
      - .address_space:  global
        .offset:         16
        .size:           8
        .value_kind:     global_buffer
      - .offset:         24
        .size:           4
        .value_kind:     by_value
      - .address_space:  global
        .offset:         32
        .size:           8
        .value_kind:     global_buffer
      - .offset:         40
        .size:           4
        .value_kind:     hidden_block_count_x
      - .offset:         44
        .size:           4
        .value_kind:     hidden_block_count_y
      - .offset:         48
        .size:           4
        .value_kind:     hidden_block_count_z
      - .offset:         52
        .size:           2
        .value_kind:     hidden_group_size_x
      - .offset:         54
        .size:           2
        .value_kind:     hidden_group_size_y
      - .offset:         56
        .size:           2
        .value_kind:     hidden_group_size_z
      - .offset:         58
        .size:           2
        .value_kind:     hidden_remainder_x
      - .offset:         60
        .size:           2
        .value_kind:     hidden_remainder_y
      - .offset:         62
        .size:           2
        .value_kind:     hidden_remainder_z
      - .offset:         80
        .size:           8
        .value_kind:     hidden_global_offset_x
      - .offset:         88
        .size:           8
        .value_kind:     hidden_global_offset_y
      - .offset:         96
        .size:           8
        .value_kind:     hidden_global_offset_z
      - .offset:         104
        .size:           2
        .value_kind:     hidden_grid_dims
    .group_segment_fixed_size: 0
    .kernarg_segment_align: 8
    .kernarg_segment_size: 296
    .language:       OpenCL C
    .language_version:
      - 2
      - 0
    .max_flat_workgroup_size: 256
    .name:           _ZN7rocprim17ROCPRIM_400000_NS6detail31init_lookback_scan_state_kernelINS1_19lookback_scan_stateIN3c104HalfELb0ELb1EEENS1_16block_id_wrapperIjLb1EEEEEvT_jT0_jPNS9_10value_typeE
    .private_segment_fixed_size: 0
    .sgpr_count:     17
    .sgpr_spill_count: 0
    .symbol:         _ZN7rocprim17ROCPRIM_400000_NS6detail31init_lookback_scan_state_kernelINS1_19lookback_scan_stateIN3c104HalfELb0ELb1EEENS1_16block_id_wrapperIjLb1EEEEEvT_jT0_jPNS9_10value_typeE.kd
    .uniform_work_group_size: 1
    .uses_dynamic_stack: false
    .vgpr_count:     6
    .vgpr_spill_count: 0
    .wavefront_size: 64
  - .agpr_count:     0
    .args:
      - .offset:         0
        .size:           96
        .value_kind:     by_value
    .group_segment_fixed_size: 3584
    .kernarg_segment_align: 8
    .kernarg_segment_size: 96
    .language:       OpenCL C
    .language_version:
      - 2
      - 0
    .max_flat_workgroup_size: 128
    .name:           _ZN7rocprim17ROCPRIM_400000_NS6detail17trampoline_kernelINS0_14default_configENS1_20scan_config_selectorIN3c104HalfEEEZZNS1_9scan_implILNS1_25lookback_scan_determinismE0ELb0ELb0ES3_PKS6_PS6_S6_ZZZN2at6native31launch_logcumsumexp_cuda_kernelERKNSD_10TensorBaseESH_lENKUlvE_clEvENKUlvE3_clEvEUlS6_S6_E_S6_EEDaPvRmT3_T4_T5_mT6_P12ihipStream_tbENKUlT_T0_E_clISt17integral_constantIbLb0EESX_IbLb1EEEEDaST_SU_EUlST_E_NS1_11comp_targetILNS1_3genE0ELNS1_11target_archE4294967295ELNS1_3gpuE0ELNS1_3repE0EEENS1_30default_config_static_selectorELNS0_4arch9wavefront6targetE1EEEvT1_
    .private_segment_fixed_size: 0
    .sgpr_count:     78
    .sgpr_spill_count: 0
    .symbol:         _ZN7rocprim17ROCPRIM_400000_NS6detail17trampoline_kernelINS0_14default_configENS1_20scan_config_selectorIN3c104HalfEEEZZNS1_9scan_implILNS1_25lookback_scan_determinismE0ELb0ELb0ES3_PKS6_PS6_S6_ZZZN2at6native31launch_logcumsumexp_cuda_kernelERKNSD_10TensorBaseESH_lENKUlvE_clEvENKUlvE3_clEvEUlS6_S6_E_S6_EEDaPvRmT3_T4_T5_mT6_P12ihipStream_tbENKUlT_T0_E_clISt17integral_constantIbLb0EESX_IbLb1EEEEDaST_SU_EUlST_E_NS1_11comp_targetILNS1_3genE0ELNS1_11target_archE4294967295ELNS1_3gpuE0ELNS1_3repE0EEENS1_30default_config_static_selectorELNS0_4arch9wavefront6targetE1EEEvT1_.kd
    .uniform_work_group_size: 1
    .uses_dynamic_stack: false
    .vgpr_count:     67
    .vgpr_spill_count: 0
    .wavefront_size: 64
  - .agpr_count:     0
    .args:
      - .offset:         0
        .size:           96
        .value_kind:     by_value
    .group_segment_fixed_size: 0
    .kernarg_segment_align: 8
    .kernarg_segment_size: 96
    .language:       OpenCL C
    .language_version:
      - 2
      - 0
    .max_flat_workgroup_size: 256
    .name:           _ZN7rocprim17ROCPRIM_400000_NS6detail17trampoline_kernelINS0_14default_configENS1_20scan_config_selectorIN3c104HalfEEEZZNS1_9scan_implILNS1_25lookback_scan_determinismE0ELb0ELb0ES3_PKS6_PS6_S6_ZZZN2at6native31launch_logcumsumexp_cuda_kernelERKNSD_10TensorBaseESH_lENKUlvE_clEvENKUlvE3_clEvEUlS6_S6_E_S6_EEDaPvRmT3_T4_T5_mT6_P12ihipStream_tbENKUlT_T0_E_clISt17integral_constantIbLb0EESX_IbLb1EEEEDaST_SU_EUlST_E_NS1_11comp_targetILNS1_3genE5ELNS1_11target_archE942ELNS1_3gpuE9ELNS1_3repE0EEENS1_30default_config_static_selectorELNS0_4arch9wavefront6targetE1EEEvT1_
    .private_segment_fixed_size: 0
    .sgpr_count:     6
    .sgpr_spill_count: 0
    .symbol:         _ZN7rocprim17ROCPRIM_400000_NS6detail17trampoline_kernelINS0_14default_configENS1_20scan_config_selectorIN3c104HalfEEEZZNS1_9scan_implILNS1_25lookback_scan_determinismE0ELb0ELb0ES3_PKS6_PS6_S6_ZZZN2at6native31launch_logcumsumexp_cuda_kernelERKNSD_10TensorBaseESH_lENKUlvE_clEvENKUlvE3_clEvEUlS6_S6_E_S6_EEDaPvRmT3_T4_T5_mT6_P12ihipStream_tbENKUlT_T0_E_clISt17integral_constantIbLb0EESX_IbLb1EEEEDaST_SU_EUlST_E_NS1_11comp_targetILNS1_3genE5ELNS1_11target_archE942ELNS1_3gpuE9ELNS1_3repE0EEENS1_30default_config_static_selectorELNS0_4arch9wavefront6targetE1EEEvT1_.kd
    .uniform_work_group_size: 1
    .uses_dynamic_stack: false
    .vgpr_count:     0
    .vgpr_spill_count: 0
    .wavefront_size: 64
  - .agpr_count:     0
    .args:
      - .offset:         0
        .size:           96
        .value_kind:     by_value
    .group_segment_fixed_size: 0
    .kernarg_segment_align: 8
    .kernarg_segment_size: 96
    .language:       OpenCL C
    .language_version:
      - 2
      - 0
    .max_flat_workgroup_size: 64
    .name:           _ZN7rocprim17ROCPRIM_400000_NS6detail17trampoline_kernelINS0_14default_configENS1_20scan_config_selectorIN3c104HalfEEEZZNS1_9scan_implILNS1_25lookback_scan_determinismE0ELb0ELb0ES3_PKS6_PS6_S6_ZZZN2at6native31launch_logcumsumexp_cuda_kernelERKNSD_10TensorBaseESH_lENKUlvE_clEvENKUlvE3_clEvEUlS6_S6_E_S6_EEDaPvRmT3_T4_T5_mT6_P12ihipStream_tbENKUlT_T0_E_clISt17integral_constantIbLb0EESX_IbLb1EEEEDaST_SU_EUlST_E_NS1_11comp_targetILNS1_3genE4ELNS1_11target_archE910ELNS1_3gpuE8ELNS1_3repE0EEENS1_30default_config_static_selectorELNS0_4arch9wavefront6targetE1EEEvT1_
    .private_segment_fixed_size: 0
    .sgpr_count:     6
    .sgpr_spill_count: 0
    .symbol:         _ZN7rocprim17ROCPRIM_400000_NS6detail17trampoline_kernelINS0_14default_configENS1_20scan_config_selectorIN3c104HalfEEEZZNS1_9scan_implILNS1_25lookback_scan_determinismE0ELb0ELb0ES3_PKS6_PS6_S6_ZZZN2at6native31launch_logcumsumexp_cuda_kernelERKNSD_10TensorBaseESH_lENKUlvE_clEvENKUlvE3_clEvEUlS6_S6_E_S6_EEDaPvRmT3_T4_T5_mT6_P12ihipStream_tbENKUlT_T0_E_clISt17integral_constantIbLb0EESX_IbLb1EEEEDaST_SU_EUlST_E_NS1_11comp_targetILNS1_3genE4ELNS1_11target_archE910ELNS1_3gpuE8ELNS1_3repE0EEENS1_30default_config_static_selectorELNS0_4arch9wavefront6targetE1EEEvT1_.kd
    .uniform_work_group_size: 1
    .uses_dynamic_stack: false
    .vgpr_count:     0
    .vgpr_spill_count: 0
    .wavefront_size: 64
  - .agpr_count:     0
    .args:
      - .offset:         0
        .size:           96
        .value_kind:     by_value
    .group_segment_fixed_size: 0
    .kernarg_segment_align: 8
    .kernarg_segment_size: 96
    .language:       OpenCL C
    .language_version:
      - 2
      - 0
    .max_flat_workgroup_size: 128
    .name:           _ZN7rocprim17ROCPRIM_400000_NS6detail17trampoline_kernelINS0_14default_configENS1_20scan_config_selectorIN3c104HalfEEEZZNS1_9scan_implILNS1_25lookback_scan_determinismE0ELb0ELb0ES3_PKS6_PS6_S6_ZZZN2at6native31launch_logcumsumexp_cuda_kernelERKNSD_10TensorBaseESH_lENKUlvE_clEvENKUlvE3_clEvEUlS6_S6_E_S6_EEDaPvRmT3_T4_T5_mT6_P12ihipStream_tbENKUlT_T0_E_clISt17integral_constantIbLb0EESX_IbLb1EEEEDaST_SU_EUlST_E_NS1_11comp_targetILNS1_3genE3ELNS1_11target_archE908ELNS1_3gpuE7ELNS1_3repE0EEENS1_30default_config_static_selectorELNS0_4arch9wavefront6targetE1EEEvT1_
    .private_segment_fixed_size: 0
    .sgpr_count:     6
    .sgpr_spill_count: 0
    .symbol:         _ZN7rocprim17ROCPRIM_400000_NS6detail17trampoline_kernelINS0_14default_configENS1_20scan_config_selectorIN3c104HalfEEEZZNS1_9scan_implILNS1_25lookback_scan_determinismE0ELb0ELb0ES3_PKS6_PS6_S6_ZZZN2at6native31launch_logcumsumexp_cuda_kernelERKNSD_10TensorBaseESH_lENKUlvE_clEvENKUlvE3_clEvEUlS6_S6_E_S6_EEDaPvRmT3_T4_T5_mT6_P12ihipStream_tbENKUlT_T0_E_clISt17integral_constantIbLb0EESX_IbLb1EEEEDaST_SU_EUlST_E_NS1_11comp_targetILNS1_3genE3ELNS1_11target_archE908ELNS1_3gpuE7ELNS1_3repE0EEENS1_30default_config_static_selectorELNS0_4arch9wavefront6targetE1EEEvT1_.kd
    .uniform_work_group_size: 1
    .uses_dynamic_stack: false
    .vgpr_count:     0
    .vgpr_spill_count: 0
    .wavefront_size: 64
  - .agpr_count:     0
    .args:
      - .offset:         0
        .size:           96
        .value_kind:     by_value
    .group_segment_fixed_size: 0
    .kernarg_segment_align: 8
    .kernarg_segment_size: 96
    .language:       OpenCL C
    .language_version:
      - 2
      - 0
    .max_flat_workgroup_size: 256
    .name:           _ZN7rocprim17ROCPRIM_400000_NS6detail17trampoline_kernelINS0_14default_configENS1_20scan_config_selectorIN3c104HalfEEEZZNS1_9scan_implILNS1_25lookback_scan_determinismE0ELb0ELb0ES3_PKS6_PS6_S6_ZZZN2at6native31launch_logcumsumexp_cuda_kernelERKNSD_10TensorBaseESH_lENKUlvE_clEvENKUlvE3_clEvEUlS6_S6_E_S6_EEDaPvRmT3_T4_T5_mT6_P12ihipStream_tbENKUlT_T0_E_clISt17integral_constantIbLb0EESX_IbLb1EEEEDaST_SU_EUlST_E_NS1_11comp_targetILNS1_3genE2ELNS1_11target_archE906ELNS1_3gpuE6ELNS1_3repE0EEENS1_30default_config_static_selectorELNS0_4arch9wavefront6targetE1EEEvT1_
    .private_segment_fixed_size: 0
    .sgpr_count:     6
    .sgpr_spill_count: 0
    .symbol:         _ZN7rocprim17ROCPRIM_400000_NS6detail17trampoline_kernelINS0_14default_configENS1_20scan_config_selectorIN3c104HalfEEEZZNS1_9scan_implILNS1_25lookback_scan_determinismE0ELb0ELb0ES3_PKS6_PS6_S6_ZZZN2at6native31launch_logcumsumexp_cuda_kernelERKNSD_10TensorBaseESH_lENKUlvE_clEvENKUlvE3_clEvEUlS6_S6_E_S6_EEDaPvRmT3_T4_T5_mT6_P12ihipStream_tbENKUlT_T0_E_clISt17integral_constantIbLb0EESX_IbLb1EEEEDaST_SU_EUlST_E_NS1_11comp_targetILNS1_3genE2ELNS1_11target_archE906ELNS1_3gpuE6ELNS1_3repE0EEENS1_30default_config_static_selectorELNS0_4arch9wavefront6targetE1EEEvT1_.kd
    .uniform_work_group_size: 1
    .uses_dynamic_stack: false
    .vgpr_count:     0
    .vgpr_spill_count: 0
    .wavefront_size: 64
  - .agpr_count:     0
    .args:
      - .offset:         0
        .size:           96
        .value_kind:     by_value
    .group_segment_fixed_size: 0
    .kernarg_segment_align: 8
    .kernarg_segment_size: 96
    .language:       OpenCL C
    .language_version:
      - 2
      - 0
    .max_flat_workgroup_size: 256
    .name:           _ZN7rocprim17ROCPRIM_400000_NS6detail17trampoline_kernelINS0_14default_configENS1_20scan_config_selectorIN3c104HalfEEEZZNS1_9scan_implILNS1_25lookback_scan_determinismE0ELb0ELb0ES3_PKS6_PS6_S6_ZZZN2at6native31launch_logcumsumexp_cuda_kernelERKNSD_10TensorBaseESH_lENKUlvE_clEvENKUlvE3_clEvEUlS6_S6_E_S6_EEDaPvRmT3_T4_T5_mT6_P12ihipStream_tbENKUlT_T0_E_clISt17integral_constantIbLb0EESX_IbLb1EEEEDaST_SU_EUlST_E_NS1_11comp_targetILNS1_3genE10ELNS1_11target_archE1201ELNS1_3gpuE5ELNS1_3repE0EEENS1_30default_config_static_selectorELNS0_4arch9wavefront6targetE1EEEvT1_
    .private_segment_fixed_size: 0
    .sgpr_count:     6
    .sgpr_spill_count: 0
    .symbol:         _ZN7rocprim17ROCPRIM_400000_NS6detail17trampoline_kernelINS0_14default_configENS1_20scan_config_selectorIN3c104HalfEEEZZNS1_9scan_implILNS1_25lookback_scan_determinismE0ELb0ELb0ES3_PKS6_PS6_S6_ZZZN2at6native31launch_logcumsumexp_cuda_kernelERKNSD_10TensorBaseESH_lENKUlvE_clEvENKUlvE3_clEvEUlS6_S6_E_S6_EEDaPvRmT3_T4_T5_mT6_P12ihipStream_tbENKUlT_T0_E_clISt17integral_constantIbLb0EESX_IbLb1EEEEDaST_SU_EUlST_E_NS1_11comp_targetILNS1_3genE10ELNS1_11target_archE1201ELNS1_3gpuE5ELNS1_3repE0EEENS1_30default_config_static_selectorELNS0_4arch9wavefront6targetE1EEEvT1_.kd
    .uniform_work_group_size: 1
    .uses_dynamic_stack: false
    .vgpr_count:     0
    .vgpr_spill_count: 0
    .wavefront_size: 64
  - .agpr_count:     0
    .args:
      - .offset:         0
        .size:           96
        .value_kind:     by_value
    .group_segment_fixed_size: 0
    .kernarg_segment_align: 8
    .kernarg_segment_size: 96
    .language:       OpenCL C
    .language_version:
      - 2
      - 0
    .max_flat_workgroup_size: 256
    .name:           _ZN7rocprim17ROCPRIM_400000_NS6detail17trampoline_kernelINS0_14default_configENS1_20scan_config_selectorIN3c104HalfEEEZZNS1_9scan_implILNS1_25lookback_scan_determinismE0ELb0ELb0ES3_PKS6_PS6_S6_ZZZN2at6native31launch_logcumsumexp_cuda_kernelERKNSD_10TensorBaseESH_lENKUlvE_clEvENKUlvE3_clEvEUlS6_S6_E_S6_EEDaPvRmT3_T4_T5_mT6_P12ihipStream_tbENKUlT_T0_E_clISt17integral_constantIbLb0EESX_IbLb1EEEEDaST_SU_EUlST_E_NS1_11comp_targetILNS1_3genE10ELNS1_11target_archE1200ELNS1_3gpuE4ELNS1_3repE0EEENS1_30default_config_static_selectorELNS0_4arch9wavefront6targetE1EEEvT1_
    .private_segment_fixed_size: 0
    .sgpr_count:     6
    .sgpr_spill_count: 0
    .symbol:         _ZN7rocprim17ROCPRIM_400000_NS6detail17trampoline_kernelINS0_14default_configENS1_20scan_config_selectorIN3c104HalfEEEZZNS1_9scan_implILNS1_25lookback_scan_determinismE0ELb0ELb0ES3_PKS6_PS6_S6_ZZZN2at6native31launch_logcumsumexp_cuda_kernelERKNSD_10TensorBaseESH_lENKUlvE_clEvENKUlvE3_clEvEUlS6_S6_E_S6_EEDaPvRmT3_T4_T5_mT6_P12ihipStream_tbENKUlT_T0_E_clISt17integral_constantIbLb0EESX_IbLb1EEEEDaST_SU_EUlST_E_NS1_11comp_targetILNS1_3genE10ELNS1_11target_archE1200ELNS1_3gpuE4ELNS1_3repE0EEENS1_30default_config_static_selectorELNS0_4arch9wavefront6targetE1EEEvT1_.kd
    .uniform_work_group_size: 1
    .uses_dynamic_stack: false
    .vgpr_count:     0
    .vgpr_spill_count: 0
    .wavefront_size: 64
  - .agpr_count:     0
    .args:
      - .offset:         0
        .size:           96
        .value_kind:     by_value
    .group_segment_fixed_size: 0
    .kernarg_segment_align: 8
    .kernarg_segment_size: 96
    .language:       OpenCL C
    .language_version:
      - 2
      - 0
    .max_flat_workgroup_size: 64
    .name:           _ZN7rocprim17ROCPRIM_400000_NS6detail17trampoline_kernelINS0_14default_configENS1_20scan_config_selectorIN3c104HalfEEEZZNS1_9scan_implILNS1_25lookback_scan_determinismE0ELb0ELb0ES3_PKS6_PS6_S6_ZZZN2at6native31launch_logcumsumexp_cuda_kernelERKNSD_10TensorBaseESH_lENKUlvE_clEvENKUlvE3_clEvEUlS6_S6_E_S6_EEDaPvRmT3_T4_T5_mT6_P12ihipStream_tbENKUlT_T0_E_clISt17integral_constantIbLb0EESX_IbLb1EEEEDaST_SU_EUlST_E_NS1_11comp_targetILNS1_3genE9ELNS1_11target_archE1100ELNS1_3gpuE3ELNS1_3repE0EEENS1_30default_config_static_selectorELNS0_4arch9wavefront6targetE1EEEvT1_
    .private_segment_fixed_size: 0
    .sgpr_count:     6
    .sgpr_spill_count: 0
    .symbol:         _ZN7rocprim17ROCPRIM_400000_NS6detail17trampoline_kernelINS0_14default_configENS1_20scan_config_selectorIN3c104HalfEEEZZNS1_9scan_implILNS1_25lookback_scan_determinismE0ELb0ELb0ES3_PKS6_PS6_S6_ZZZN2at6native31launch_logcumsumexp_cuda_kernelERKNSD_10TensorBaseESH_lENKUlvE_clEvENKUlvE3_clEvEUlS6_S6_E_S6_EEDaPvRmT3_T4_T5_mT6_P12ihipStream_tbENKUlT_T0_E_clISt17integral_constantIbLb0EESX_IbLb1EEEEDaST_SU_EUlST_E_NS1_11comp_targetILNS1_3genE9ELNS1_11target_archE1100ELNS1_3gpuE3ELNS1_3repE0EEENS1_30default_config_static_selectorELNS0_4arch9wavefront6targetE1EEEvT1_.kd
    .uniform_work_group_size: 1
    .uses_dynamic_stack: false
    .vgpr_count:     0
    .vgpr_spill_count: 0
    .wavefront_size: 64
  - .agpr_count:     0
    .args:
      - .offset:         0
        .size:           96
        .value_kind:     by_value
    .group_segment_fixed_size: 0
    .kernarg_segment_align: 8
    .kernarg_segment_size: 96
    .language:       OpenCL C
    .language_version:
      - 2
      - 0
    .max_flat_workgroup_size: 64
    .name:           _ZN7rocprim17ROCPRIM_400000_NS6detail17trampoline_kernelINS0_14default_configENS1_20scan_config_selectorIN3c104HalfEEEZZNS1_9scan_implILNS1_25lookback_scan_determinismE0ELb0ELb0ES3_PKS6_PS6_S6_ZZZN2at6native31launch_logcumsumexp_cuda_kernelERKNSD_10TensorBaseESH_lENKUlvE_clEvENKUlvE3_clEvEUlS6_S6_E_S6_EEDaPvRmT3_T4_T5_mT6_P12ihipStream_tbENKUlT_T0_E_clISt17integral_constantIbLb0EESX_IbLb1EEEEDaST_SU_EUlST_E_NS1_11comp_targetILNS1_3genE8ELNS1_11target_archE1030ELNS1_3gpuE2ELNS1_3repE0EEENS1_30default_config_static_selectorELNS0_4arch9wavefront6targetE1EEEvT1_
    .private_segment_fixed_size: 0
    .sgpr_count:     6
    .sgpr_spill_count: 0
    .symbol:         _ZN7rocprim17ROCPRIM_400000_NS6detail17trampoline_kernelINS0_14default_configENS1_20scan_config_selectorIN3c104HalfEEEZZNS1_9scan_implILNS1_25lookback_scan_determinismE0ELb0ELb0ES3_PKS6_PS6_S6_ZZZN2at6native31launch_logcumsumexp_cuda_kernelERKNSD_10TensorBaseESH_lENKUlvE_clEvENKUlvE3_clEvEUlS6_S6_E_S6_EEDaPvRmT3_T4_T5_mT6_P12ihipStream_tbENKUlT_T0_E_clISt17integral_constantIbLb0EESX_IbLb1EEEEDaST_SU_EUlST_E_NS1_11comp_targetILNS1_3genE8ELNS1_11target_archE1030ELNS1_3gpuE2ELNS1_3repE0EEENS1_30default_config_static_selectorELNS0_4arch9wavefront6targetE1EEEvT1_.kd
    .uniform_work_group_size: 1
    .uses_dynamic_stack: false
    .vgpr_count:     0
    .vgpr_spill_count: 0
    .wavefront_size: 64
  - .agpr_count:     0
    .args:
      - .offset:         0
        .size:           32
        .value_kind:     by_value
    .group_segment_fixed_size: 3584
    .kernarg_segment_align: 8
    .kernarg_segment_size: 32
    .language:       OpenCL C
    .language_version:
      - 2
      - 0
    .max_flat_workgroup_size: 128
    .name:           _ZN7rocprim17ROCPRIM_400000_NS6detail17trampoline_kernelINS0_14default_configENS1_20scan_config_selectorIN3c104HalfEEEZZNS1_9scan_implILNS1_25lookback_scan_determinismE0ELb0ELb0ES3_PKS6_PS6_S6_ZZZN2at6native31launch_logcumsumexp_cuda_kernelERKNSD_10TensorBaseESH_lENKUlvE_clEvENKUlvE3_clEvEUlS6_S6_E_S6_EEDaPvRmT3_T4_T5_mT6_P12ihipStream_tbENKUlT_T0_E_clISt17integral_constantIbLb0EESX_IbLb1EEEEDaST_SU_EUlST_E0_NS1_11comp_targetILNS1_3genE0ELNS1_11target_archE4294967295ELNS1_3gpuE0ELNS1_3repE0EEENS1_30default_config_static_selectorELNS0_4arch9wavefront6targetE1EEEvT1_
    .private_segment_fixed_size: 0
    .sgpr_count:     72
    .sgpr_spill_count: 0
    .symbol:         _ZN7rocprim17ROCPRIM_400000_NS6detail17trampoline_kernelINS0_14default_configENS1_20scan_config_selectorIN3c104HalfEEEZZNS1_9scan_implILNS1_25lookback_scan_determinismE0ELb0ELb0ES3_PKS6_PS6_S6_ZZZN2at6native31launch_logcumsumexp_cuda_kernelERKNSD_10TensorBaseESH_lENKUlvE_clEvENKUlvE3_clEvEUlS6_S6_E_S6_EEDaPvRmT3_T4_T5_mT6_P12ihipStream_tbENKUlT_T0_E_clISt17integral_constantIbLb0EESX_IbLb1EEEEDaST_SU_EUlST_E0_NS1_11comp_targetILNS1_3genE0ELNS1_11target_archE4294967295ELNS1_3gpuE0ELNS1_3repE0EEENS1_30default_config_static_selectorELNS0_4arch9wavefront6targetE1EEEvT1_.kd
    .uniform_work_group_size: 1
    .uses_dynamic_stack: false
    .vgpr_count:     40
    .vgpr_spill_count: 0
    .wavefront_size: 64
  - .agpr_count:     0
    .args:
      - .offset:         0
        .size:           32
        .value_kind:     by_value
    .group_segment_fixed_size: 0
    .kernarg_segment_align: 8
    .kernarg_segment_size: 32
    .language:       OpenCL C
    .language_version:
      - 2
      - 0
    .max_flat_workgroup_size: 256
    .name:           _ZN7rocprim17ROCPRIM_400000_NS6detail17trampoline_kernelINS0_14default_configENS1_20scan_config_selectorIN3c104HalfEEEZZNS1_9scan_implILNS1_25lookback_scan_determinismE0ELb0ELb0ES3_PKS6_PS6_S6_ZZZN2at6native31launch_logcumsumexp_cuda_kernelERKNSD_10TensorBaseESH_lENKUlvE_clEvENKUlvE3_clEvEUlS6_S6_E_S6_EEDaPvRmT3_T4_T5_mT6_P12ihipStream_tbENKUlT_T0_E_clISt17integral_constantIbLb0EESX_IbLb1EEEEDaST_SU_EUlST_E0_NS1_11comp_targetILNS1_3genE5ELNS1_11target_archE942ELNS1_3gpuE9ELNS1_3repE0EEENS1_30default_config_static_selectorELNS0_4arch9wavefront6targetE1EEEvT1_
    .private_segment_fixed_size: 0
    .sgpr_count:     6
    .sgpr_spill_count: 0
    .symbol:         _ZN7rocprim17ROCPRIM_400000_NS6detail17trampoline_kernelINS0_14default_configENS1_20scan_config_selectorIN3c104HalfEEEZZNS1_9scan_implILNS1_25lookback_scan_determinismE0ELb0ELb0ES3_PKS6_PS6_S6_ZZZN2at6native31launch_logcumsumexp_cuda_kernelERKNSD_10TensorBaseESH_lENKUlvE_clEvENKUlvE3_clEvEUlS6_S6_E_S6_EEDaPvRmT3_T4_T5_mT6_P12ihipStream_tbENKUlT_T0_E_clISt17integral_constantIbLb0EESX_IbLb1EEEEDaST_SU_EUlST_E0_NS1_11comp_targetILNS1_3genE5ELNS1_11target_archE942ELNS1_3gpuE9ELNS1_3repE0EEENS1_30default_config_static_selectorELNS0_4arch9wavefront6targetE1EEEvT1_.kd
    .uniform_work_group_size: 1
    .uses_dynamic_stack: false
    .vgpr_count:     0
    .vgpr_spill_count: 0
    .wavefront_size: 64
  - .agpr_count:     0
    .args:
      - .offset:         0
        .size:           32
        .value_kind:     by_value
    .group_segment_fixed_size: 0
    .kernarg_segment_align: 8
    .kernarg_segment_size: 32
    .language:       OpenCL C
    .language_version:
      - 2
      - 0
    .max_flat_workgroup_size: 64
    .name:           _ZN7rocprim17ROCPRIM_400000_NS6detail17trampoline_kernelINS0_14default_configENS1_20scan_config_selectorIN3c104HalfEEEZZNS1_9scan_implILNS1_25lookback_scan_determinismE0ELb0ELb0ES3_PKS6_PS6_S6_ZZZN2at6native31launch_logcumsumexp_cuda_kernelERKNSD_10TensorBaseESH_lENKUlvE_clEvENKUlvE3_clEvEUlS6_S6_E_S6_EEDaPvRmT3_T4_T5_mT6_P12ihipStream_tbENKUlT_T0_E_clISt17integral_constantIbLb0EESX_IbLb1EEEEDaST_SU_EUlST_E0_NS1_11comp_targetILNS1_3genE4ELNS1_11target_archE910ELNS1_3gpuE8ELNS1_3repE0EEENS1_30default_config_static_selectorELNS0_4arch9wavefront6targetE1EEEvT1_
    .private_segment_fixed_size: 0
    .sgpr_count:     6
    .sgpr_spill_count: 0
    .symbol:         _ZN7rocprim17ROCPRIM_400000_NS6detail17trampoline_kernelINS0_14default_configENS1_20scan_config_selectorIN3c104HalfEEEZZNS1_9scan_implILNS1_25lookback_scan_determinismE0ELb0ELb0ES3_PKS6_PS6_S6_ZZZN2at6native31launch_logcumsumexp_cuda_kernelERKNSD_10TensorBaseESH_lENKUlvE_clEvENKUlvE3_clEvEUlS6_S6_E_S6_EEDaPvRmT3_T4_T5_mT6_P12ihipStream_tbENKUlT_T0_E_clISt17integral_constantIbLb0EESX_IbLb1EEEEDaST_SU_EUlST_E0_NS1_11comp_targetILNS1_3genE4ELNS1_11target_archE910ELNS1_3gpuE8ELNS1_3repE0EEENS1_30default_config_static_selectorELNS0_4arch9wavefront6targetE1EEEvT1_.kd
    .uniform_work_group_size: 1
    .uses_dynamic_stack: false
    .vgpr_count:     0
    .vgpr_spill_count: 0
    .wavefront_size: 64
  - .agpr_count:     0
    .args:
      - .offset:         0
        .size:           32
        .value_kind:     by_value
    .group_segment_fixed_size: 0
    .kernarg_segment_align: 8
    .kernarg_segment_size: 32
    .language:       OpenCL C
    .language_version:
      - 2
      - 0
    .max_flat_workgroup_size: 128
    .name:           _ZN7rocprim17ROCPRIM_400000_NS6detail17trampoline_kernelINS0_14default_configENS1_20scan_config_selectorIN3c104HalfEEEZZNS1_9scan_implILNS1_25lookback_scan_determinismE0ELb0ELb0ES3_PKS6_PS6_S6_ZZZN2at6native31launch_logcumsumexp_cuda_kernelERKNSD_10TensorBaseESH_lENKUlvE_clEvENKUlvE3_clEvEUlS6_S6_E_S6_EEDaPvRmT3_T4_T5_mT6_P12ihipStream_tbENKUlT_T0_E_clISt17integral_constantIbLb0EESX_IbLb1EEEEDaST_SU_EUlST_E0_NS1_11comp_targetILNS1_3genE3ELNS1_11target_archE908ELNS1_3gpuE7ELNS1_3repE0EEENS1_30default_config_static_selectorELNS0_4arch9wavefront6targetE1EEEvT1_
    .private_segment_fixed_size: 0
    .sgpr_count:     6
    .sgpr_spill_count: 0
    .symbol:         _ZN7rocprim17ROCPRIM_400000_NS6detail17trampoline_kernelINS0_14default_configENS1_20scan_config_selectorIN3c104HalfEEEZZNS1_9scan_implILNS1_25lookback_scan_determinismE0ELb0ELb0ES3_PKS6_PS6_S6_ZZZN2at6native31launch_logcumsumexp_cuda_kernelERKNSD_10TensorBaseESH_lENKUlvE_clEvENKUlvE3_clEvEUlS6_S6_E_S6_EEDaPvRmT3_T4_T5_mT6_P12ihipStream_tbENKUlT_T0_E_clISt17integral_constantIbLb0EESX_IbLb1EEEEDaST_SU_EUlST_E0_NS1_11comp_targetILNS1_3genE3ELNS1_11target_archE908ELNS1_3gpuE7ELNS1_3repE0EEENS1_30default_config_static_selectorELNS0_4arch9wavefront6targetE1EEEvT1_.kd
    .uniform_work_group_size: 1
    .uses_dynamic_stack: false
    .vgpr_count:     0
    .vgpr_spill_count: 0
    .wavefront_size: 64
  - .agpr_count:     0
    .args:
      - .offset:         0
        .size:           32
        .value_kind:     by_value
    .group_segment_fixed_size: 0
    .kernarg_segment_align: 8
    .kernarg_segment_size: 32
    .language:       OpenCL C
    .language_version:
      - 2
      - 0
    .max_flat_workgroup_size: 256
    .name:           _ZN7rocprim17ROCPRIM_400000_NS6detail17trampoline_kernelINS0_14default_configENS1_20scan_config_selectorIN3c104HalfEEEZZNS1_9scan_implILNS1_25lookback_scan_determinismE0ELb0ELb0ES3_PKS6_PS6_S6_ZZZN2at6native31launch_logcumsumexp_cuda_kernelERKNSD_10TensorBaseESH_lENKUlvE_clEvENKUlvE3_clEvEUlS6_S6_E_S6_EEDaPvRmT3_T4_T5_mT6_P12ihipStream_tbENKUlT_T0_E_clISt17integral_constantIbLb0EESX_IbLb1EEEEDaST_SU_EUlST_E0_NS1_11comp_targetILNS1_3genE2ELNS1_11target_archE906ELNS1_3gpuE6ELNS1_3repE0EEENS1_30default_config_static_selectorELNS0_4arch9wavefront6targetE1EEEvT1_
    .private_segment_fixed_size: 0
    .sgpr_count:     6
    .sgpr_spill_count: 0
    .symbol:         _ZN7rocprim17ROCPRIM_400000_NS6detail17trampoline_kernelINS0_14default_configENS1_20scan_config_selectorIN3c104HalfEEEZZNS1_9scan_implILNS1_25lookback_scan_determinismE0ELb0ELb0ES3_PKS6_PS6_S6_ZZZN2at6native31launch_logcumsumexp_cuda_kernelERKNSD_10TensorBaseESH_lENKUlvE_clEvENKUlvE3_clEvEUlS6_S6_E_S6_EEDaPvRmT3_T4_T5_mT6_P12ihipStream_tbENKUlT_T0_E_clISt17integral_constantIbLb0EESX_IbLb1EEEEDaST_SU_EUlST_E0_NS1_11comp_targetILNS1_3genE2ELNS1_11target_archE906ELNS1_3gpuE6ELNS1_3repE0EEENS1_30default_config_static_selectorELNS0_4arch9wavefront6targetE1EEEvT1_.kd
    .uniform_work_group_size: 1
    .uses_dynamic_stack: false
    .vgpr_count:     0
    .vgpr_spill_count: 0
    .wavefront_size: 64
  - .agpr_count:     0
    .args:
      - .offset:         0
        .size:           32
        .value_kind:     by_value
    .group_segment_fixed_size: 0
    .kernarg_segment_align: 8
    .kernarg_segment_size: 32
    .language:       OpenCL C
    .language_version:
      - 2
      - 0
    .max_flat_workgroup_size: 256
    .name:           _ZN7rocprim17ROCPRIM_400000_NS6detail17trampoline_kernelINS0_14default_configENS1_20scan_config_selectorIN3c104HalfEEEZZNS1_9scan_implILNS1_25lookback_scan_determinismE0ELb0ELb0ES3_PKS6_PS6_S6_ZZZN2at6native31launch_logcumsumexp_cuda_kernelERKNSD_10TensorBaseESH_lENKUlvE_clEvENKUlvE3_clEvEUlS6_S6_E_S6_EEDaPvRmT3_T4_T5_mT6_P12ihipStream_tbENKUlT_T0_E_clISt17integral_constantIbLb0EESX_IbLb1EEEEDaST_SU_EUlST_E0_NS1_11comp_targetILNS1_3genE10ELNS1_11target_archE1201ELNS1_3gpuE5ELNS1_3repE0EEENS1_30default_config_static_selectorELNS0_4arch9wavefront6targetE1EEEvT1_
    .private_segment_fixed_size: 0
    .sgpr_count:     6
    .sgpr_spill_count: 0
    .symbol:         _ZN7rocprim17ROCPRIM_400000_NS6detail17trampoline_kernelINS0_14default_configENS1_20scan_config_selectorIN3c104HalfEEEZZNS1_9scan_implILNS1_25lookback_scan_determinismE0ELb0ELb0ES3_PKS6_PS6_S6_ZZZN2at6native31launch_logcumsumexp_cuda_kernelERKNSD_10TensorBaseESH_lENKUlvE_clEvENKUlvE3_clEvEUlS6_S6_E_S6_EEDaPvRmT3_T4_T5_mT6_P12ihipStream_tbENKUlT_T0_E_clISt17integral_constantIbLb0EESX_IbLb1EEEEDaST_SU_EUlST_E0_NS1_11comp_targetILNS1_3genE10ELNS1_11target_archE1201ELNS1_3gpuE5ELNS1_3repE0EEENS1_30default_config_static_selectorELNS0_4arch9wavefront6targetE1EEEvT1_.kd
    .uniform_work_group_size: 1
    .uses_dynamic_stack: false
    .vgpr_count:     0
    .vgpr_spill_count: 0
    .wavefront_size: 64
  - .agpr_count:     0
    .args:
      - .offset:         0
        .size:           32
        .value_kind:     by_value
    .group_segment_fixed_size: 0
    .kernarg_segment_align: 8
    .kernarg_segment_size: 32
    .language:       OpenCL C
    .language_version:
      - 2
      - 0
    .max_flat_workgroup_size: 256
    .name:           _ZN7rocprim17ROCPRIM_400000_NS6detail17trampoline_kernelINS0_14default_configENS1_20scan_config_selectorIN3c104HalfEEEZZNS1_9scan_implILNS1_25lookback_scan_determinismE0ELb0ELb0ES3_PKS6_PS6_S6_ZZZN2at6native31launch_logcumsumexp_cuda_kernelERKNSD_10TensorBaseESH_lENKUlvE_clEvENKUlvE3_clEvEUlS6_S6_E_S6_EEDaPvRmT3_T4_T5_mT6_P12ihipStream_tbENKUlT_T0_E_clISt17integral_constantIbLb0EESX_IbLb1EEEEDaST_SU_EUlST_E0_NS1_11comp_targetILNS1_3genE10ELNS1_11target_archE1200ELNS1_3gpuE4ELNS1_3repE0EEENS1_30default_config_static_selectorELNS0_4arch9wavefront6targetE1EEEvT1_
    .private_segment_fixed_size: 0
    .sgpr_count:     6
    .sgpr_spill_count: 0
    .symbol:         _ZN7rocprim17ROCPRIM_400000_NS6detail17trampoline_kernelINS0_14default_configENS1_20scan_config_selectorIN3c104HalfEEEZZNS1_9scan_implILNS1_25lookback_scan_determinismE0ELb0ELb0ES3_PKS6_PS6_S6_ZZZN2at6native31launch_logcumsumexp_cuda_kernelERKNSD_10TensorBaseESH_lENKUlvE_clEvENKUlvE3_clEvEUlS6_S6_E_S6_EEDaPvRmT3_T4_T5_mT6_P12ihipStream_tbENKUlT_T0_E_clISt17integral_constantIbLb0EESX_IbLb1EEEEDaST_SU_EUlST_E0_NS1_11comp_targetILNS1_3genE10ELNS1_11target_archE1200ELNS1_3gpuE4ELNS1_3repE0EEENS1_30default_config_static_selectorELNS0_4arch9wavefront6targetE1EEEvT1_.kd
    .uniform_work_group_size: 1
    .uses_dynamic_stack: false
    .vgpr_count:     0
    .vgpr_spill_count: 0
    .wavefront_size: 64
  - .agpr_count:     0
    .args:
      - .offset:         0
        .size:           32
        .value_kind:     by_value
    .group_segment_fixed_size: 0
    .kernarg_segment_align: 8
    .kernarg_segment_size: 32
    .language:       OpenCL C
    .language_version:
      - 2
      - 0
    .max_flat_workgroup_size: 64
    .name:           _ZN7rocprim17ROCPRIM_400000_NS6detail17trampoline_kernelINS0_14default_configENS1_20scan_config_selectorIN3c104HalfEEEZZNS1_9scan_implILNS1_25lookback_scan_determinismE0ELb0ELb0ES3_PKS6_PS6_S6_ZZZN2at6native31launch_logcumsumexp_cuda_kernelERKNSD_10TensorBaseESH_lENKUlvE_clEvENKUlvE3_clEvEUlS6_S6_E_S6_EEDaPvRmT3_T4_T5_mT6_P12ihipStream_tbENKUlT_T0_E_clISt17integral_constantIbLb0EESX_IbLb1EEEEDaST_SU_EUlST_E0_NS1_11comp_targetILNS1_3genE9ELNS1_11target_archE1100ELNS1_3gpuE3ELNS1_3repE0EEENS1_30default_config_static_selectorELNS0_4arch9wavefront6targetE1EEEvT1_
    .private_segment_fixed_size: 0
    .sgpr_count:     6
    .sgpr_spill_count: 0
    .symbol:         _ZN7rocprim17ROCPRIM_400000_NS6detail17trampoline_kernelINS0_14default_configENS1_20scan_config_selectorIN3c104HalfEEEZZNS1_9scan_implILNS1_25lookback_scan_determinismE0ELb0ELb0ES3_PKS6_PS6_S6_ZZZN2at6native31launch_logcumsumexp_cuda_kernelERKNSD_10TensorBaseESH_lENKUlvE_clEvENKUlvE3_clEvEUlS6_S6_E_S6_EEDaPvRmT3_T4_T5_mT6_P12ihipStream_tbENKUlT_T0_E_clISt17integral_constantIbLb0EESX_IbLb1EEEEDaST_SU_EUlST_E0_NS1_11comp_targetILNS1_3genE9ELNS1_11target_archE1100ELNS1_3gpuE3ELNS1_3repE0EEENS1_30default_config_static_selectorELNS0_4arch9wavefront6targetE1EEEvT1_.kd
    .uniform_work_group_size: 1
    .uses_dynamic_stack: false
    .vgpr_count:     0
    .vgpr_spill_count: 0
    .wavefront_size: 64
  - .agpr_count:     0
    .args:
      - .offset:         0
        .size:           32
        .value_kind:     by_value
    .group_segment_fixed_size: 0
    .kernarg_segment_align: 8
    .kernarg_segment_size: 32
    .language:       OpenCL C
    .language_version:
      - 2
      - 0
    .max_flat_workgroup_size: 64
    .name:           _ZN7rocprim17ROCPRIM_400000_NS6detail17trampoline_kernelINS0_14default_configENS1_20scan_config_selectorIN3c104HalfEEEZZNS1_9scan_implILNS1_25lookback_scan_determinismE0ELb0ELb0ES3_PKS6_PS6_S6_ZZZN2at6native31launch_logcumsumexp_cuda_kernelERKNSD_10TensorBaseESH_lENKUlvE_clEvENKUlvE3_clEvEUlS6_S6_E_S6_EEDaPvRmT3_T4_T5_mT6_P12ihipStream_tbENKUlT_T0_E_clISt17integral_constantIbLb0EESX_IbLb1EEEEDaST_SU_EUlST_E0_NS1_11comp_targetILNS1_3genE8ELNS1_11target_archE1030ELNS1_3gpuE2ELNS1_3repE0EEENS1_30default_config_static_selectorELNS0_4arch9wavefront6targetE1EEEvT1_
    .private_segment_fixed_size: 0
    .sgpr_count:     6
    .sgpr_spill_count: 0
    .symbol:         _ZN7rocprim17ROCPRIM_400000_NS6detail17trampoline_kernelINS0_14default_configENS1_20scan_config_selectorIN3c104HalfEEEZZNS1_9scan_implILNS1_25lookback_scan_determinismE0ELb0ELb0ES3_PKS6_PS6_S6_ZZZN2at6native31launch_logcumsumexp_cuda_kernelERKNSD_10TensorBaseESH_lENKUlvE_clEvENKUlvE3_clEvEUlS6_S6_E_S6_EEDaPvRmT3_T4_T5_mT6_P12ihipStream_tbENKUlT_T0_E_clISt17integral_constantIbLb0EESX_IbLb1EEEEDaST_SU_EUlST_E0_NS1_11comp_targetILNS1_3genE8ELNS1_11target_archE1030ELNS1_3gpuE2ELNS1_3repE0EEENS1_30default_config_static_selectorELNS0_4arch9wavefront6targetE1EEEvT1_.kd
    .uniform_work_group_size: 1
    .uses_dynamic_stack: false
    .vgpr_count:     0
    .vgpr_spill_count: 0
    .wavefront_size: 64
  - .agpr_count:     0
    .args:
      - .address_space:  global
        .offset:         0
        .size:           8
        .value_kind:     global_buffer
      - .address_space:  global
        .offset:         8
        .size:           8
        .value_kind:     global_buffer
      - .offset:         16
        .size:           4
        .value_kind:     by_value
      - .offset:         20
        .size:           4
        .value_kind:     by_value
      - .offset:         24
        .size:           4
        .value_kind:     by_value
      - .offset:         28
        .size:           2
        .value_kind:     by_value
      - .offset:         30
        .size:           1
        .value_kind:     by_value
      - .offset:         32
        .size:           4
        .value_kind:     hidden_block_count_x
      - .offset:         36
        .size:           4
        .value_kind:     hidden_block_count_y
      - .offset:         40
        .size:           4
        .value_kind:     hidden_block_count_z
      - .offset:         44
        .size:           2
        .value_kind:     hidden_group_size_x
      - .offset:         46
        .size:           2
        .value_kind:     hidden_group_size_y
      - .offset:         48
        .size:           2
        .value_kind:     hidden_group_size_z
      - .offset:         50
        .size:           2
        .value_kind:     hidden_remainder_x
      - .offset:         52
        .size:           2
        .value_kind:     hidden_remainder_y
      - .offset:         54
        .size:           2
        .value_kind:     hidden_remainder_z
      - .offset:         72
        .size:           8
        .value_kind:     hidden_global_offset_x
      - .offset:         80
        .size:           8
        .value_kind:     hidden_global_offset_y
      - .offset:         88
        .size:           8
        .value_kind:     hidden_global_offset_z
      - .offset:         96
        .size:           2
        .value_kind:     hidden_grid_dims
      - .offset:         152
        .size:           4
        .value_kind:     hidden_dynamic_lds_size
    .group_segment_fixed_size: 0
    .kernarg_segment_align: 8
    .kernarg_segment_size: 288
    .language:       OpenCL C
    .language_version:
      - 2
      - 0
    .max_flat_workgroup_size: 1024
    .name:           _ZN2at6native32tensor_kernel_scan_innermost_dimIN3c104HalfEZZZNS0_31launch_logcumsumexp_cuda_kernelERKNS_10TensorBaseES6_lENKUlvE_clEvENKUlvE3_clEvEUlS3_S3_E_EEvPT_PKSA_jjjSA_T0_
    .private_segment_fixed_size: 0
    .sgpr_count:     50
    .sgpr_spill_count: 0
    .symbol:         _ZN2at6native32tensor_kernel_scan_innermost_dimIN3c104HalfEZZZNS0_31launch_logcumsumexp_cuda_kernelERKNS_10TensorBaseES6_lENKUlvE_clEvENKUlvE3_clEvEUlS3_S3_E_EEvPT_PKSA_jjjSA_T0_.kd
    .uniform_work_group_size: 1
    .uses_dynamic_stack: false
    .vgpr_count:     38
    .vgpr_spill_count: 0
    .wavefront_size: 64
  - .agpr_count:     0
    .args:
      - .address_space:  global
        .offset:         0
        .size:           8
        .value_kind:     global_buffer
      - .address_space:  global
        .offset:         8
        .size:           8
        .value_kind:     global_buffer
      - .offset:         16
        .size:           4
        .value_kind:     by_value
      - .offset:         20
        .size:           4
        .value_kind:     by_value
      - .offset:         24
        .size:           4
        .value_kind:     by_value
      - .offset:         28
        .size:           2
        .value_kind:     by_value
      - .offset:         30
        .size:           1
        .value_kind:     by_value
      - .offset:         32
        .size:           4
        .value_kind:     hidden_block_count_x
      - .offset:         36
        .size:           4
        .value_kind:     hidden_block_count_y
      - .offset:         40
        .size:           4
        .value_kind:     hidden_block_count_z
      - .offset:         44
        .size:           2
        .value_kind:     hidden_group_size_x
      - .offset:         46
        .size:           2
        .value_kind:     hidden_group_size_y
      - .offset:         48
        .size:           2
        .value_kind:     hidden_group_size_z
      - .offset:         50
        .size:           2
        .value_kind:     hidden_remainder_x
      - .offset:         52
        .size:           2
        .value_kind:     hidden_remainder_y
      - .offset:         54
        .size:           2
        .value_kind:     hidden_remainder_z
      - .offset:         72
        .size:           8
        .value_kind:     hidden_global_offset_x
      - .offset:         80
        .size:           8
        .value_kind:     hidden_global_offset_y
      - .offset:         88
        .size:           8
        .value_kind:     hidden_global_offset_z
      - .offset:         96
        .size:           2
        .value_kind:     hidden_grid_dims
    .group_segment_fixed_size: 0
    .kernarg_segment_align: 8
    .kernarg_segment_size: 288
    .language:       OpenCL C
    .language_version:
      - 2
      - 0
    .max_flat_workgroup_size: 1024
    .name:           _ZN2at6native28tensor_kernel_scan_outer_dimIN3c104HalfEjZZZNS0_31launch_logcumsumexp_cuda_kernelERKNS_10TensorBaseES6_lENKUlvE_clEvENKUlvE3_clEvEUlS3_S3_E_EEvPT_PKSA_jjjSA_T1_
    .private_segment_fixed_size: 0
    .sgpr_count:     50
    .sgpr_spill_count: 0
    .symbol:         _ZN2at6native28tensor_kernel_scan_outer_dimIN3c104HalfEjZZZNS0_31launch_logcumsumexp_cuda_kernelERKNS_10TensorBaseES6_lENKUlvE_clEvENKUlvE3_clEvEUlS3_S3_E_EEvPT_PKSA_jjjSA_T1_.kd
    .uniform_work_group_size: 1
    .uses_dynamic_stack: false
    .vgpr_count:     25
    .vgpr_spill_count: 0
    .wavefront_size: 64
  - .agpr_count:     0
    .args:
      - .address_space:  global
        .offset:         0
        .size:           8
        .value_kind:     global_buffer
      - .address_space:  global
        .offset:         8
        .size:           8
        .value_kind:     global_buffer
      - .offset:         16
        .size:           4
        .value_kind:     by_value
      - .offset:         20
        .size:           4
        .value_kind:     by_value
      - .offset:         24
        .size:           4
        .value_kind:     by_value
      - .offset:         28
        .size:           2
        .value_kind:     by_value
      - .offset:         30
        .size:           1
        .value_kind:     by_value
      - .offset:         32
        .size:           4
        .value_kind:     hidden_block_count_x
      - .offset:         36
        .size:           4
        .value_kind:     hidden_block_count_y
      - .offset:         40
        .size:           4
        .value_kind:     hidden_block_count_z
      - .offset:         44
        .size:           2
        .value_kind:     hidden_group_size_x
      - .offset:         46
        .size:           2
        .value_kind:     hidden_group_size_y
      - .offset:         48
        .size:           2
        .value_kind:     hidden_group_size_z
      - .offset:         50
        .size:           2
        .value_kind:     hidden_remainder_x
      - .offset:         52
        .size:           2
        .value_kind:     hidden_remainder_y
      - .offset:         54
        .size:           2
        .value_kind:     hidden_remainder_z
      - .offset:         72
        .size:           8
        .value_kind:     hidden_global_offset_x
      - .offset:         80
        .size:           8
        .value_kind:     hidden_global_offset_y
      - .offset:         88
        .size:           8
        .value_kind:     hidden_global_offset_z
      - .offset:         96
        .size:           2
        .value_kind:     hidden_grid_dims
    .group_segment_fixed_size: 0
    .kernarg_segment_align: 8
    .kernarg_segment_size: 288
    .language:       OpenCL C
    .language_version:
      - 2
      - 0
    .max_flat_workgroup_size: 1024
    .name:           _ZN2at6native28tensor_kernel_scan_outer_dimIN3c104HalfEmZZZNS0_31launch_logcumsumexp_cuda_kernelERKNS_10TensorBaseES6_lENKUlvE_clEvENKUlvE3_clEvEUlS3_S3_E_EEvPT_PKSA_jjjSA_T1_
    .private_segment_fixed_size: 0
    .sgpr_count:     48
    .sgpr_spill_count: 0
    .symbol:         _ZN2at6native28tensor_kernel_scan_outer_dimIN3c104HalfEmZZZNS0_31launch_logcumsumexp_cuda_kernelERKNS_10TensorBaseES6_lENKUlvE_clEvENKUlvE3_clEvEUlS3_S3_E_EEvPT_PKSA_jjjSA_T1_.kd
    .uniform_work_group_size: 1
    .uses_dynamic_stack: false
    .vgpr_count:     25
    .vgpr_spill_count: 0
    .wavefront_size: 64
  - .agpr_count:     0
    .args:
      - .address_space:  global
        .offset:         0
        .size:           8
        .value_kind:     global_buffer
      - .offset:         8
        .size:           4
        .value_kind:     by_value
      - .offset:         12
        .size:           1
        .value_kind:     by_value
      - .offset:         16
        .size:           4
        .value_kind:     by_value
      - .address_space:  global
        .offset:         24
        .size:           8
        .value_kind:     global_buffer
      - .offset:         32
        .size:           4
        .value_kind:     hidden_block_count_x
      - .offset:         36
        .size:           4
        .value_kind:     hidden_block_count_y
      - .offset:         40
        .size:           4
        .value_kind:     hidden_block_count_z
      - .offset:         44
        .size:           2
        .value_kind:     hidden_group_size_x
      - .offset:         46
        .size:           2
        .value_kind:     hidden_group_size_y
      - .offset:         48
        .size:           2
        .value_kind:     hidden_group_size_z
      - .offset:         50
        .size:           2
        .value_kind:     hidden_remainder_x
      - .offset:         52
        .size:           2
        .value_kind:     hidden_remainder_y
      - .offset:         54
        .size:           2
        .value_kind:     hidden_remainder_z
      - .offset:         72
        .size:           8
        .value_kind:     hidden_global_offset_x
      - .offset:         80
        .size:           8
        .value_kind:     hidden_global_offset_y
      - .offset:         88
        .size:           8
        .value_kind:     hidden_global_offset_z
      - .offset:         96
        .size:           2
        .value_kind:     hidden_grid_dims
    .group_segment_fixed_size: 0
    .kernarg_segment_align: 8
    .kernarg_segment_size: 288
    .language:       OpenCL C
    .language_version:
      - 2
      - 0
    .max_flat_workgroup_size: 256
    .name:           _ZN7rocprim17ROCPRIM_400000_NS6detail31init_lookback_scan_state_kernelINS1_19lookback_scan_stateIN3c108BFloat16ELb0ELb1EEENS1_16block_id_wrapperIjLb0EEEEEvT_jT0_jPNS9_10value_typeE
    .private_segment_fixed_size: 0
    .sgpr_count:     15
    .sgpr_spill_count: 0
    .symbol:         _ZN7rocprim17ROCPRIM_400000_NS6detail31init_lookback_scan_state_kernelINS1_19lookback_scan_stateIN3c108BFloat16ELb0ELb1EEENS1_16block_id_wrapperIjLb0EEEEEvT_jT0_jPNS9_10value_typeE.kd
    .uniform_work_group_size: 1
    .uses_dynamic_stack: false
    .vgpr_count:     6
    .vgpr_spill_count: 0
    .wavefront_size: 64
  - .agpr_count:     0
    .args:
      - .offset:         0
        .size:           96
        .value_kind:     by_value
    .group_segment_fixed_size: 3584
    .kernarg_segment_align: 8
    .kernarg_segment_size: 96
    .language:       OpenCL C
    .language_version:
      - 2
      - 0
    .max_flat_workgroup_size: 128
    .name:           _ZN7rocprim17ROCPRIM_400000_NS6detail17trampoline_kernelINS0_14default_configENS1_20scan_config_selectorIN3c108BFloat16EEEZZNS1_9scan_implILNS1_25lookback_scan_determinismE0ELb0ELb0ES3_PKS6_PS6_S6_ZZZN2at6native31launch_logcumsumexp_cuda_kernelERKNSD_10TensorBaseESH_lENKUlvE_clEvENKUlvE4_clEvEUlS6_S6_E_S6_EEDaPvRmT3_T4_T5_mT6_P12ihipStream_tbENKUlT_T0_E_clISt17integral_constantIbLb0EESY_EEDaST_SU_EUlST_E_NS1_11comp_targetILNS1_3genE0ELNS1_11target_archE4294967295ELNS1_3gpuE0ELNS1_3repE0EEENS1_30default_config_static_selectorELNS0_4arch9wavefront6targetE1EEEvT1_
    .private_segment_fixed_size: 0
    .sgpr_count:     70
    .sgpr_spill_count: 0
    .symbol:         _ZN7rocprim17ROCPRIM_400000_NS6detail17trampoline_kernelINS0_14default_configENS1_20scan_config_selectorIN3c108BFloat16EEEZZNS1_9scan_implILNS1_25lookback_scan_determinismE0ELb0ELb0ES3_PKS6_PS6_S6_ZZZN2at6native31launch_logcumsumexp_cuda_kernelERKNSD_10TensorBaseESH_lENKUlvE_clEvENKUlvE4_clEvEUlS6_S6_E_S6_EEDaPvRmT3_T4_T5_mT6_P12ihipStream_tbENKUlT_T0_E_clISt17integral_constantIbLb0EESY_EEDaST_SU_EUlST_E_NS1_11comp_targetILNS1_3genE0ELNS1_11target_archE4294967295ELNS1_3gpuE0ELNS1_3repE0EEENS1_30default_config_static_selectorELNS0_4arch9wavefront6targetE1EEEvT1_.kd
    .uniform_work_group_size: 1
    .uses_dynamic_stack: false
    .vgpr_count:     82
    .vgpr_spill_count: 0
    .wavefront_size: 64
  - .agpr_count:     0
    .args:
      - .offset:         0
        .size:           96
        .value_kind:     by_value
    .group_segment_fixed_size: 0
    .kernarg_segment_align: 8
    .kernarg_segment_size: 96
    .language:       OpenCL C
    .language_version:
      - 2
      - 0
    .max_flat_workgroup_size: 256
    .name:           _ZN7rocprim17ROCPRIM_400000_NS6detail17trampoline_kernelINS0_14default_configENS1_20scan_config_selectorIN3c108BFloat16EEEZZNS1_9scan_implILNS1_25lookback_scan_determinismE0ELb0ELb0ES3_PKS6_PS6_S6_ZZZN2at6native31launch_logcumsumexp_cuda_kernelERKNSD_10TensorBaseESH_lENKUlvE_clEvENKUlvE4_clEvEUlS6_S6_E_S6_EEDaPvRmT3_T4_T5_mT6_P12ihipStream_tbENKUlT_T0_E_clISt17integral_constantIbLb0EESY_EEDaST_SU_EUlST_E_NS1_11comp_targetILNS1_3genE5ELNS1_11target_archE942ELNS1_3gpuE9ELNS1_3repE0EEENS1_30default_config_static_selectorELNS0_4arch9wavefront6targetE1EEEvT1_
    .private_segment_fixed_size: 0
    .sgpr_count:     6
    .sgpr_spill_count: 0
    .symbol:         _ZN7rocprim17ROCPRIM_400000_NS6detail17trampoline_kernelINS0_14default_configENS1_20scan_config_selectorIN3c108BFloat16EEEZZNS1_9scan_implILNS1_25lookback_scan_determinismE0ELb0ELb0ES3_PKS6_PS6_S6_ZZZN2at6native31launch_logcumsumexp_cuda_kernelERKNSD_10TensorBaseESH_lENKUlvE_clEvENKUlvE4_clEvEUlS6_S6_E_S6_EEDaPvRmT3_T4_T5_mT6_P12ihipStream_tbENKUlT_T0_E_clISt17integral_constantIbLb0EESY_EEDaST_SU_EUlST_E_NS1_11comp_targetILNS1_3genE5ELNS1_11target_archE942ELNS1_3gpuE9ELNS1_3repE0EEENS1_30default_config_static_selectorELNS0_4arch9wavefront6targetE1EEEvT1_.kd
    .uniform_work_group_size: 1
    .uses_dynamic_stack: false
    .vgpr_count:     0
    .vgpr_spill_count: 0
    .wavefront_size: 64
  - .agpr_count:     0
    .args:
      - .offset:         0
        .size:           96
        .value_kind:     by_value
    .group_segment_fixed_size: 0
    .kernarg_segment_align: 8
    .kernarg_segment_size: 96
    .language:       OpenCL C
    .language_version:
      - 2
      - 0
    .max_flat_workgroup_size: 64
    .name:           _ZN7rocprim17ROCPRIM_400000_NS6detail17trampoline_kernelINS0_14default_configENS1_20scan_config_selectorIN3c108BFloat16EEEZZNS1_9scan_implILNS1_25lookback_scan_determinismE0ELb0ELb0ES3_PKS6_PS6_S6_ZZZN2at6native31launch_logcumsumexp_cuda_kernelERKNSD_10TensorBaseESH_lENKUlvE_clEvENKUlvE4_clEvEUlS6_S6_E_S6_EEDaPvRmT3_T4_T5_mT6_P12ihipStream_tbENKUlT_T0_E_clISt17integral_constantIbLb0EESY_EEDaST_SU_EUlST_E_NS1_11comp_targetILNS1_3genE4ELNS1_11target_archE910ELNS1_3gpuE8ELNS1_3repE0EEENS1_30default_config_static_selectorELNS0_4arch9wavefront6targetE1EEEvT1_
    .private_segment_fixed_size: 0
    .sgpr_count:     6
    .sgpr_spill_count: 0
    .symbol:         _ZN7rocprim17ROCPRIM_400000_NS6detail17trampoline_kernelINS0_14default_configENS1_20scan_config_selectorIN3c108BFloat16EEEZZNS1_9scan_implILNS1_25lookback_scan_determinismE0ELb0ELb0ES3_PKS6_PS6_S6_ZZZN2at6native31launch_logcumsumexp_cuda_kernelERKNSD_10TensorBaseESH_lENKUlvE_clEvENKUlvE4_clEvEUlS6_S6_E_S6_EEDaPvRmT3_T4_T5_mT6_P12ihipStream_tbENKUlT_T0_E_clISt17integral_constantIbLb0EESY_EEDaST_SU_EUlST_E_NS1_11comp_targetILNS1_3genE4ELNS1_11target_archE910ELNS1_3gpuE8ELNS1_3repE0EEENS1_30default_config_static_selectorELNS0_4arch9wavefront6targetE1EEEvT1_.kd
    .uniform_work_group_size: 1
    .uses_dynamic_stack: false
    .vgpr_count:     0
    .vgpr_spill_count: 0
    .wavefront_size: 64
  - .agpr_count:     0
    .args:
      - .offset:         0
        .size:           96
        .value_kind:     by_value
    .group_segment_fixed_size: 0
    .kernarg_segment_align: 8
    .kernarg_segment_size: 96
    .language:       OpenCL C
    .language_version:
      - 2
      - 0
    .max_flat_workgroup_size: 128
    .name:           _ZN7rocprim17ROCPRIM_400000_NS6detail17trampoline_kernelINS0_14default_configENS1_20scan_config_selectorIN3c108BFloat16EEEZZNS1_9scan_implILNS1_25lookback_scan_determinismE0ELb0ELb0ES3_PKS6_PS6_S6_ZZZN2at6native31launch_logcumsumexp_cuda_kernelERKNSD_10TensorBaseESH_lENKUlvE_clEvENKUlvE4_clEvEUlS6_S6_E_S6_EEDaPvRmT3_T4_T5_mT6_P12ihipStream_tbENKUlT_T0_E_clISt17integral_constantIbLb0EESY_EEDaST_SU_EUlST_E_NS1_11comp_targetILNS1_3genE3ELNS1_11target_archE908ELNS1_3gpuE7ELNS1_3repE0EEENS1_30default_config_static_selectorELNS0_4arch9wavefront6targetE1EEEvT1_
    .private_segment_fixed_size: 0
    .sgpr_count:     6
    .sgpr_spill_count: 0
    .symbol:         _ZN7rocprim17ROCPRIM_400000_NS6detail17trampoline_kernelINS0_14default_configENS1_20scan_config_selectorIN3c108BFloat16EEEZZNS1_9scan_implILNS1_25lookback_scan_determinismE0ELb0ELb0ES3_PKS6_PS6_S6_ZZZN2at6native31launch_logcumsumexp_cuda_kernelERKNSD_10TensorBaseESH_lENKUlvE_clEvENKUlvE4_clEvEUlS6_S6_E_S6_EEDaPvRmT3_T4_T5_mT6_P12ihipStream_tbENKUlT_T0_E_clISt17integral_constantIbLb0EESY_EEDaST_SU_EUlST_E_NS1_11comp_targetILNS1_3genE3ELNS1_11target_archE908ELNS1_3gpuE7ELNS1_3repE0EEENS1_30default_config_static_selectorELNS0_4arch9wavefront6targetE1EEEvT1_.kd
    .uniform_work_group_size: 1
    .uses_dynamic_stack: false
    .vgpr_count:     0
    .vgpr_spill_count: 0
    .wavefront_size: 64
  - .agpr_count:     0
    .args:
      - .offset:         0
        .size:           96
        .value_kind:     by_value
    .group_segment_fixed_size: 0
    .kernarg_segment_align: 8
    .kernarg_segment_size: 96
    .language:       OpenCL C
    .language_version:
      - 2
      - 0
    .max_flat_workgroup_size: 256
    .name:           _ZN7rocprim17ROCPRIM_400000_NS6detail17trampoline_kernelINS0_14default_configENS1_20scan_config_selectorIN3c108BFloat16EEEZZNS1_9scan_implILNS1_25lookback_scan_determinismE0ELb0ELb0ES3_PKS6_PS6_S6_ZZZN2at6native31launch_logcumsumexp_cuda_kernelERKNSD_10TensorBaseESH_lENKUlvE_clEvENKUlvE4_clEvEUlS6_S6_E_S6_EEDaPvRmT3_T4_T5_mT6_P12ihipStream_tbENKUlT_T0_E_clISt17integral_constantIbLb0EESY_EEDaST_SU_EUlST_E_NS1_11comp_targetILNS1_3genE2ELNS1_11target_archE906ELNS1_3gpuE6ELNS1_3repE0EEENS1_30default_config_static_selectorELNS0_4arch9wavefront6targetE1EEEvT1_
    .private_segment_fixed_size: 0
    .sgpr_count:     6
    .sgpr_spill_count: 0
    .symbol:         _ZN7rocprim17ROCPRIM_400000_NS6detail17trampoline_kernelINS0_14default_configENS1_20scan_config_selectorIN3c108BFloat16EEEZZNS1_9scan_implILNS1_25lookback_scan_determinismE0ELb0ELb0ES3_PKS6_PS6_S6_ZZZN2at6native31launch_logcumsumexp_cuda_kernelERKNSD_10TensorBaseESH_lENKUlvE_clEvENKUlvE4_clEvEUlS6_S6_E_S6_EEDaPvRmT3_T4_T5_mT6_P12ihipStream_tbENKUlT_T0_E_clISt17integral_constantIbLb0EESY_EEDaST_SU_EUlST_E_NS1_11comp_targetILNS1_3genE2ELNS1_11target_archE906ELNS1_3gpuE6ELNS1_3repE0EEENS1_30default_config_static_selectorELNS0_4arch9wavefront6targetE1EEEvT1_.kd
    .uniform_work_group_size: 1
    .uses_dynamic_stack: false
    .vgpr_count:     0
    .vgpr_spill_count: 0
    .wavefront_size: 64
  - .agpr_count:     0
    .args:
      - .offset:         0
        .size:           96
        .value_kind:     by_value
    .group_segment_fixed_size: 0
    .kernarg_segment_align: 8
    .kernarg_segment_size: 96
    .language:       OpenCL C
    .language_version:
      - 2
      - 0
    .max_flat_workgroup_size: 256
    .name:           _ZN7rocprim17ROCPRIM_400000_NS6detail17trampoline_kernelINS0_14default_configENS1_20scan_config_selectorIN3c108BFloat16EEEZZNS1_9scan_implILNS1_25lookback_scan_determinismE0ELb0ELb0ES3_PKS6_PS6_S6_ZZZN2at6native31launch_logcumsumexp_cuda_kernelERKNSD_10TensorBaseESH_lENKUlvE_clEvENKUlvE4_clEvEUlS6_S6_E_S6_EEDaPvRmT3_T4_T5_mT6_P12ihipStream_tbENKUlT_T0_E_clISt17integral_constantIbLb0EESY_EEDaST_SU_EUlST_E_NS1_11comp_targetILNS1_3genE10ELNS1_11target_archE1201ELNS1_3gpuE5ELNS1_3repE0EEENS1_30default_config_static_selectorELNS0_4arch9wavefront6targetE1EEEvT1_
    .private_segment_fixed_size: 0
    .sgpr_count:     6
    .sgpr_spill_count: 0
    .symbol:         _ZN7rocprim17ROCPRIM_400000_NS6detail17trampoline_kernelINS0_14default_configENS1_20scan_config_selectorIN3c108BFloat16EEEZZNS1_9scan_implILNS1_25lookback_scan_determinismE0ELb0ELb0ES3_PKS6_PS6_S6_ZZZN2at6native31launch_logcumsumexp_cuda_kernelERKNSD_10TensorBaseESH_lENKUlvE_clEvENKUlvE4_clEvEUlS6_S6_E_S6_EEDaPvRmT3_T4_T5_mT6_P12ihipStream_tbENKUlT_T0_E_clISt17integral_constantIbLb0EESY_EEDaST_SU_EUlST_E_NS1_11comp_targetILNS1_3genE10ELNS1_11target_archE1201ELNS1_3gpuE5ELNS1_3repE0EEENS1_30default_config_static_selectorELNS0_4arch9wavefront6targetE1EEEvT1_.kd
    .uniform_work_group_size: 1
    .uses_dynamic_stack: false
    .vgpr_count:     0
    .vgpr_spill_count: 0
    .wavefront_size: 64
  - .agpr_count:     0
    .args:
      - .offset:         0
        .size:           96
        .value_kind:     by_value
    .group_segment_fixed_size: 0
    .kernarg_segment_align: 8
    .kernarg_segment_size: 96
    .language:       OpenCL C
    .language_version:
      - 2
      - 0
    .max_flat_workgroup_size: 256
    .name:           _ZN7rocprim17ROCPRIM_400000_NS6detail17trampoline_kernelINS0_14default_configENS1_20scan_config_selectorIN3c108BFloat16EEEZZNS1_9scan_implILNS1_25lookback_scan_determinismE0ELb0ELb0ES3_PKS6_PS6_S6_ZZZN2at6native31launch_logcumsumexp_cuda_kernelERKNSD_10TensorBaseESH_lENKUlvE_clEvENKUlvE4_clEvEUlS6_S6_E_S6_EEDaPvRmT3_T4_T5_mT6_P12ihipStream_tbENKUlT_T0_E_clISt17integral_constantIbLb0EESY_EEDaST_SU_EUlST_E_NS1_11comp_targetILNS1_3genE10ELNS1_11target_archE1200ELNS1_3gpuE4ELNS1_3repE0EEENS1_30default_config_static_selectorELNS0_4arch9wavefront6targetE1EEEvT1_
    .private_segment_fixed_size: 0
    .sgpr_count:     6
    .sgpr_spill_count: 0
    .symbol:         _ZN7rocprim17ROCPRIM_400000_NS6detail17trampoline_kernelINS0_14default_configENS1_20scan_config_selectorIN3c108BFloat16EEEZZNS1_9scan_implILNS1_25lookback_scan_determinismE0ELb0ELb0ES3_PKS6_PS6_S6_ZZZN2at6native31launch_logcumsumexp_cuda_kernelERKNSD_10TensorBaseESH_lENKUlvE_clEvENKUlvE4_clEvEUlS6_S6_E_S6_EEDaPvRmT3_T4_T5_mT6_P12ihipStream_tbENKUlT_T0_E_clISt17integral_constantIbLb0EESY_EEDaST_SU_EUlST_E_NS1_11comp_targetILNS1_3genE10ELNS1_11target_archE1200ELNS1_3gpuE4ELNS1_3repE0EEENS1_30default_config_static_selectorELNS0_4arch9wavefront6targetE1EEEvT1_.kd
    .uniform_work_group_size: 1
    .uses_dynamic_stack: false
    .vgpr_count:     0
    .vgpr_spill_count: 0
    .wavefront_size: 64
  - .agpr_count:     0
    .args:
      - .offset:         0
        .size:           96
        .value_kind:     by_value
    .group_segment_fixed_size: 0
    .kernarg_segment_align: 8
    .kernarg_segment_size: 96
    .language:       OpenCL C
    .language_version:
      - 2
      - 0
    .max_flat_workgroup_size: 64
    .name:           _ZN7rocprim17ROCPRIM_400000_NS6detail17trampoline_kernelINS0_14default_configENS1_20scan_config_selectorIN3c108BFloat16EEEZZNS1_9scan_implILNS1_25lookback_scan_determinismE0ELb0ELb0ES3_PKS6_PS6_S6_ZZZN2at6native31launch_logcumsumexp_cuda_kernelERKNSD_10TensorBaseESH_lENKUlvE_clEvENKUlvE4_clEvEUlS6_S6_E_S6_EEDaPvRmT3_T4_T5_mT6_P12ihipStream_tbENKUlT_T0_E_clISt17integral_constantIbLb0EESY_EEDaST_SU_EUlST_E_NS1_11comp_targetILNS1_3genE9ELNS1_11target_archE1100ELNS1_3gpuE3ELNS1_3repE0EEENS1_30default_config_static_selectorELNS0_4arch9wavefront6targetE1EEEvT1_
    .private_segment_fixed_size: 0
    .sgpr_count:     6
    .sgpr_spill_count: 0
    .symbol:         _ZN7rocprim17ROCPRIM_400000_NS6detail17trampoline_kernelINS0_14default_configENS1_20scan_config_selectorIN3c108BFloat16EEEZZNS1_9scan_implILNS1_25lookback_scan_determinismE0ELb0ELb0ES3_PKS6_PS6_S6_ZZZN2at6native31launch_logcumsumexp_cuda_kernelERKNSD_10TensorBaseESH_lENKUlvE_clEvENKUlvE4_clEvEUlS6_S6_E_S6_EEDaPvRmT3_T4_T5_mT6_P12ihipStream_tbENKUlT_T0_E_clISt17integral_constantIbLb0EESY_EEDaST_SU_EUlST_E_NS1_11comp_targetILNS1_3genE9ELNS1_11target_archE1100ELNS1_3gpuE3ELNS1_3repE0EEENS1_30default_config_static_selectorELNS0_4arch9wavefront6targetE1EEEvT1_.kd
    .uniform_work_group_size: 1
    .uses_dynamic_stack: false
    .vgpr_count:     0
    .vgpr_spill_count: 0
    .wavefront_size: 64
  - .agpr_count:     0
    .args:
      - .offset:         0
        .size:           96
        .value_kind:     by_value
    .group_segment_fixed_size: 0
    .kernarg_segment_align: 8
    .kernarg_segment_size: 96
    .language:       OpenCL C
    .language_version:
      - 2
      - 0
    .max_flat_workgroup_size: 64
    .name:           _ZN7rocprim17ROCPRIM_400000_NS6detail17trampoline_kernelINS0_14default_configENS1_20scan_config_selectorIN3c108BFloat16EEEZZNS1_9scan_implILNS1_25lookback_scan_determinismE0ELb0ELb0ES3_PKS6_PS6_S6_ZZZN2at6native31launch_logcumsumexp_cuda_kernelERKNSD_10TensorBaseESH_lENKUlvE_clEvENKUlvE4_clEvEUlS6_S6_E_S6_EEDaPvRmT3_T4_T5_mT6_P12ihipStream_tbENKUlT_T0_E_clISt17integral_constantIbLb0EESY_EEDaST_SU_EUlST_E_NS1_11comp_targetILNS1_3genE8ELNS1_11target_archE1030ELNS1_3gpuE2ELNS1_3repE0EEENS1_30default_config_static_selectorELNS0_4arch9wavefront6targetE1EEEvT1_
    .private_segment_fixed_size: 0
    .sgpr_count:     6
    .sgpr_spill_count: 0
    .symbol:         _ZN7rocprim17ROCPRIM_400000_NS6detail17trampoline_kernelINS0_14default_configENS1_20scan_config_selectorIN3c108BFloat16EEEZZNS1_9scan_implILNS1_25lookback_scan_determinismE0ELb0ELb0ES3_PKS6_PS6_S6_ZZZN2at6native31launch_logcumsumexp_cuda_kernelERKNSD_10TensorBaseESH_lENKUlvE_clEvENKUlvE4_clEvEUlS6_S6_E_S6_EEDaPvRmT3_T4_T5_mT6_P12ihipStream_tbENKUlT_T0_E_clISt17integral_constantIbLb0EESY_EEDaST_SU_EUlST_E_NS1_11comp_targetILNS1_3genE8ELNS1_11target_archE1030ELNS1_3gpuE2ELNS1_3repE0EEENS1_30default_config_static_selectorELNS0_4arch9wavefront6targetE1EEEvT1_.kd
    .uniform_work_group_size: 1
    .uses_dynamic_stack: false
    .vgpr_count:     0
    .vgpr_spill_count: 0
    .wavefront_size: 64
  - .agpr_count:     0
    .args:
      - .offset:         0
        .size:           40
        .value_kind:     by_value
      - .offset:         40
        .size:           4
        .value_kind:     hidden_block_count_x
      - .offset:         44
        .size:           4
        .value_kind:     hidden_block_count_y
      - .offset:         48
        .size:           4
        .value_kind:     hidden_block_count_z
      - .offset:         52
        .size:           2
        .value_kind:     hidden_group_size_x
      - .offset:         54
        .size:           2
        .value_kind:     hidden_group_size_y
      - .offset:         56
        .size:           2
        .value_kind:     hidden_group_size_z
      - .offset:         58
        .size:           2
        .value_kind:     hidden_remainder_x
      - .offset:         60
        .size:           2
        .value_kind:     hidden_remainder_y
      - .offset:         62
        .size:           2
        .value_kind:     hidden_remainder_z
      - .offset:         80
        .size:           8
        .value_kind:     hidden_global_offset_x
      - .offset:         88
        .size:           8
        .value_kind:     hidden_global_offset_y
      - .offset:         96
        .size:           8
        .value_kind:     hidden_global_offset_z
      - .offset:         104
        .size:           2
        .value_kind:     hidden_grid_dims
    .group_segment_fixed_size: 0
    .kernarg_segment_align: 8
    .kernarg_segment_size: 296
    .language:       OpenCL C
    .language_version:
      - 2
      - 0
    .max_flat_workgroup_size: 128
    .name:           _ZN7rocprim17ROCPRIM_400000_NS6detail17trampoline_kernelINS0_14default_configENS1_25transform_config_selectorIN3c108BFloat16ELb1EEEZNS1_14transform_implILb1ES3_S7_PS6_S9_NS0_8identityIS6_EEEE10hipError_tT2_T3_mT4_P12ihipStream_tbEUlT_E_NS1_11comp_targetILNS1_3genE0ELNS1_11target_archE4294967295ELNS1_3gpuE0ELNS1_3repE0EEENS1_30default_config_static_selectorELNS0_4arch9wavefront6targetE1EEEvT1_
    .private_segment_fixed_size: 0
    .sgpr_count:     24
    .sgpr_spill_count: 0
    .symbol:         _ZN7rocprim17ROCPRIM_400000_NS6detail17trampoline_kernelINS0_14default_configENS1_25transform_config_selectorIN3c108BFloat16ELb1EEEZNS1_14transform_implILb1ES3_S7_PS6_S9_NS0_8identityIS6_EEEE10hipError_tT2_T3_mT4_P12ihipStream_tbEUlT_E_NS1_11comp_targetILNS1_3genE0ELNS1_11target_archE4294967295ELNS1_3gpuE0ELNS1_3repE0EEENS1_30default_config_static_selectorELNS0_4arch9wavefront6targetE1EEEvT1_.kd
    .uniform_work_group_size: 1
    .uses_dynamic_stack: false
    .vgpr_count:     6
    .vgpr_spill_count: 0
    .wavefront_size: 64
  - .agpr_count:     0
    .args:
      - .offset:         0
        .size:           40
        .value_kind:     by_value
    .group_segment_fixed_size: 0
    .kernarg_segment_align: 8
    .kernarg_segment_size: 40
    .language:       OpenCL C
    .language_version:
      - 2
      - 0
    .max_flat_workgroup_size: 64
    .name:           _ZN7rocprim17ROCPRIM_400000_NS6detail17trampoline_kernelINS0_14default_configENS1_25transform_config_selectorIN3c108BFloat16ELb1EEEZNS1_14transform_implILb1ES3_S7_PS6_S9_NS0_8identityIS6_EEEE10hipError_tT2_T3_mT4_P12ihipStream_tbEUlT_E_NS1_11comp_targetILNS1_3genE10ELNS1_11target_archE1201ELNS1_3gpuE5ELNS1_3repE0EEENS1_30default_config_static_selectorELNS0_4arch9wavefront6targetE1EEEvT1_
    .private_segment_fixed_size: 0
    .sgpr_count:     6
    .sgpr_spill_count: 0
    .symbol:         _ZN7rocprim17ROCPRIM_400000_NS6detail17trampoline_kernelINS0_14default_configENS1_25transform_config_selectorIN3c108BFloat16ELb1EEEZNS1_14transform_implILb1ES3_S7_PS6_S9_NS0_8identityIS6_EEEE10hipError_tT2_T3_mT4_P12ihipStream_tbEUlT_E_NS1_11comp_targetILNS1_3genE10ELNS1_11target_archE1201ELNS1_3gpuE5ELNS1_3repE0EEENS1_30default_config_static_selectorELNS0_4arch9wavefront6targetE1EEEvT1_.kd
    .uniform_work_group_size: 1
    .uses_dynamic_stack: false
    .vgpr_count:     0
    .vgpr_spill_count: 0
    .wavefront_size: 64
  - .agpr_count:     0
    .args:
      - .offset:         0
        .size:           40
        .value_kind:     by_value
    .group_segment_fixed_size: 0
    .kernarg_segment_align: 8
    .kernarg_segment_size: 40
    .language:       OpenCL C
    .language_version:
      - 2
      - 0
    .max_flat_workgroup_size: 256
    .name:           _ZN7rocprim17ROCPRIM_400000_NS6detail17trampoline_kernelINS0_14default_configENS1_25transform_config_selectorIN3c108BFloat16ELb1EEEZNS1_14transform_implILb1ES3_S7_PS6_S9_NS0_8identityIS6_EEEE10hipError_tT2_T3_mT4_P12ihipStream_tbEUlT_E_NS1_11comp_targetILNS1_3genE5ELNS1_11target_archE942ELNS1_3gpuE9ELNS1_3repE0EEENS1_30default_config_static_selectorELNS0_4arch9wavefront6targetE1EEEvT1_
    .private_segment_fixed_size: 0
    .sgpr_count:     6
    .sgpr_spill_count: 0
    .symbol:         _ZN7rocprim17ROCPRIM_400000_NS6detail17trampoline_kernelINS0_14default_configENS1_25transform_config_selectorIN3c108BFloat16ELb1EEEZNS1_14transform_implILb1ES3_S7_PS6_S9_NS0_8identityIS6_EEEE10hipError_tT2_T3_mT4_P12ihipStream_tbEUlT_E_NS1_11comp_targetILNS1_3genE5ELNS1_11target_archE942ELNS1_3gpuE9ELNS1_3repE0EEENS1_30default_config_static_selectorELNS0_4arch9wavefront6targetE1EEEvT1_.kd
    .uniform_work_group_size: 1
    .uses_dynamic_stack: false
    .vgpr_count:     0
    .vgpr_spill_count: 0
    .wavefront_size: 64
  - .agpr_count:     0
    .args:
      - .offset:         0
        .size:           40
        .value_kind:     by_value
    .group_segment_fixed_size: 0
    .kernarg_segment_align: 8
    .kernarg_segment_size: 40
    .language:       OpenCL C
    .language_version:
      - 2
      - 0
    .max_flat_workgroup_size: 1024
    .name:           _ZN7rocprim17ROCPRIM_400000_NS6detail17trampoline_kernelINS0_14default_configENS1_25transform_config_selectorIN3c108BFloat16ELb1EEEZNS1_14transform_implILb1ES3_S7_PS6_S9_NS0_8identityIS6_EEEE10hipError_tT2_T3_mT4_P12ihipStream_tbEUlT_E_NS1_11comp_targetILNS1_3genE4ELNS1_11target_archE910ELNS1_3gpuE8ELNS1_3repE0EEENS1_30default_config_static_selectorELNS0_4arch9wavefront6targetE1EEEvT1_
    .private_segment_fixed_size: 0
    .sgpr_count:     6
    .sgpr_spill_count: 0
    .symbol:         _ZN7rocprim17ROCPRIM_400000_NS6detail17trampoline_kernelINS0_14default_configENS1_25transform_config_selectorIN3c108BFloat16ELb1EEEZNS1_14transform_implILb1ES3_S7_PS6_S9_NS0_8identityIS6_EEEE10hipError_tT2_T3_mT4_P12ihipStream_tbEUlT_E_NS1_11comp_targetILNS1_3genE4ELNS1_11target_archE910ELNS1_3gpuE8ELNS1_3repE0EEENS1_30default_config_static_selectorELNS0_4arch9wavefront6targetE1EEEvT1_.kd
    .uniform_work_group_size: 1
    .uses_dynamic_stack: false
    .vgpr_count:     0
    .vgpr_spill_count: 0
    .wavefront_size: 64
  - .agpr_count:     0
    .args:
      - .offset:         0
        .size:           40
        .value_kind:     by_value
    .group_segment_fixed_size: 0
    .kernarg_segment_align: 8
    .kernarg_segment_size: 40
    .language:       OpenCL C
    .language_version:
      - 2
      - 0
    .max_flat_workgroup_size: 128
    .name:           _ZN7rocprim17ROCPRIM_400000_NS6detail17trampoline_kernelINS0_14default_configENS1_25transform_config_selectorIN3c108BFloat16ELb1EEEZNS1_14transform_implILb1ES3_S7_PS6_S9_NS0_8identityIS6_EEEE10hipError_tT2_T3_mT4_P12ihipStream_tbEUlT_E_NS1_11comp_targetILNS1_3genE3ELNS1_11target_archE908ELNS1_3gpuE7ELNS1_3repE0EEENS1_30default_config_static_selectorELNS0_4arch9wavefront6targetE1EEEvT1_
    .private_segment_fixed_size: 0
    .sgpr_count:     6
    .sgpr_spill_count: 0
    .symbol:         _ZN7rocprim17ROCPRIM_400000_NS6detail17trampoline_kernelINS0_14default_configENS1_25transform_config_selectorIN3c108BFloat16ELb1EEEZNS1_14transform_implILb1ES3_S7_PS6_S9_NS0_8identityIS6_EEEE10hipError_tT2_T3_mT4_P12ihipStream_tbEUlT_E_NS1_11comp_targetILNS1_3genE3ELNS1_11target_archE908ELNS1_3gpuE7ELNS1_3repE0EEENS1_30default_config_static_selectorELNS0_4arch9wavefront6targetE1EEEvT1_.kd
    .uniform_work_group_size: 1
    .uses_dynamic_stack: false
    .vgpr_count:     0
    .vgpr_spill_count: 0
    .wavefront_size: 64
  - .agpr_count:     0
    .args:
      - .offset:         0
        .size:           40
        .value_kind:     by_value
    .group_segment_fixed_size: 0
    .kernarg_segment_align: 8
    .kernarg_segment_size: 40
    .language:       OpenCL C
    .language_version:
      - 2
      - 0
    .max_flat_workgroup_size: 1024
    .name:           _ZN7rocprim17ROCPRIM_400000_NS6detail17trampoline_kernelINS0_14default_configENS1_25transform_config_selectorIN3c108BFloat16ELb1EEEZNS1_14transform_implILb1ES3_S7_PS6_S9_NS0_8identityIS6_EEEE10hipError_tT2_T3_mT4_P12ihipStream_tbEUlT_E_NS1_11comp_targetILNS1_3genE2ELNS1_11target_archE906ELNS1_3gpuE6ELNS1_3repE0EEENS1_30default_config_static_selectorELNS0_4arch9wavefront6targetE1EEEvT1_
    .private_segment_fixed_size: 0
    .sgpr_count:     6
    .sgpr_spill_count: 0
    .symbol:         _ZN7rocprim17ROCPRIM_400000_NS6detail17trampoline_kernelINS0_14default_configENS1_25transform_config_selectorIN3c108BFloat16ELb1EEEZNS1_14transform_implILb1ES3_S7_PS6_S9_NS0_8identityIS6_EEEE10hipError_tT2_T3_mT4_P12ihipStream_tbEUlT_E_NS1_11comp_targetILNS1_3genE2ELNS1_11target_archE906ELNS1_3gpuE6ELNS1_3repE0EEENS1_30default_config_static_selectorELNS0_4arch9wavefront6targetE1EEEvT1_.kd
    .uniform_work_group_size: 1
    .uses_dynamic_stack: false
    .vgpr_count:     0
    .vgpr_spill_count: 0
    .wavefront_size: 64
  - .agpr_count:     0
    .args:
      - .offset:         0
        .size:           40
        .value_kind:     by_value
    .group_segment_fixed_size: 0
    .kernarg_segment_align: 8
    .kernarg_segment_size: 40
    .language:       OpenCL C
    .language_version:
      - 2
      - 0
    .max_flat_workgroup_size: 1024
    .name:           _ZN7rocprim17ROCPRIM_400000_NS6detail17trampoline_kernelINS0_14default_configENS1_25transform_config_selectorIN3c108BFloat16ELb1EEEZNS1_14transform_implILb1ES3_S7_PS6_S9_NS0_8identityIS6_EEEE10hipError_tT2_T3_mT4_P12ihipStream_tbEUlT_E_NS1_11comp_targetILNS1_3genE9ELNS1_11target_archE1100ELNS1_3gpuE3ELNS1_3repE0EEENS1_30default_config_static_selectorELNS0_4arch9wavefront6targetE1EEEvT1_
    .private_segment_fixed_size: 0
    .sgpr_count:     6
    .sgpr_spill_count: 0
    .symbol:         _ZN7rocprim17ROCPRIM_400000_NS6detail17trampoline_kernelINS0_14default_configENS1_25transform_config_selectorIN3c108BFloat16ELb1EEEZNS1_14transform_implILb1ES3_S7_PS6_S9_NS0_8identityIS6_EEEE10hipError_tT2_T3_mT4_P12ihipStream_tbEUlT_E_NS1_11comp_targetILNS1_3genE9ELNS1_11target_archE1100ELNS1_3gpuE3ELNS1_3repE0EEENS1_30default_config_static_selectorELNS0_4arch9wavefront6targetE1EEEvT1_.kd
    .uniform_work_group_size: 1
    .uses_dynamic_stack: false
    .vgpr_count:     0
    .vgpr_spill_count: 0
    .wavefront_size: 64
  - .agpr_count:     0
    .args:
      - .offset:         0
        .size:           40
        .value_kind:     by_value
    .group_segment_fixed_size: 0
    .kernarg_segment_align: 8
    .kernarg_segment_size: 40
    .language:       OpenCL C
    .language_version:
      - 2
      - 0
    .max_flat_workgroup_size: 1024
    .name:           _ZN7rocprim17ROCPRIM_400000_NS6detail17trampoline_kernelINS0_14default_configENS1_25transform_config_selectorIN3c108BFloat16ELb1EEEZNS1_14transform_implILb1ES3_S7_PS6_S9_NS0_8identityIS6_EEEE10hipError_tT2_T3_mT4_P12ihipStream_tbEUlT_E_NS1_11comp_targetILNS1_3genE8ELNS1_11target_archE1030ELNS1_3gpuE2ELNS1_3repE0EEENS1_30default_config_static_selectorELNS0_4arch9wavefront6targetE1EEEvT1_
    .private_segment_fixed_size: 0
    .sgpr_count:     6
    .sgpr_spill_count: 0
    .symbol:         _ZN7rocprim17ROCPRIM_400000_NS6detail17trampoline_kernelINS0_14default_configENS1_25transform_config_selectorIN3c108BFloat16ELb1EEEZNS1_14transform_implILb1ES3_S7_PS6_S9_NS0_8identityIS6_EEEE10hipError_tT2_T3_mT4_P12ihipStream_tbEUlT_E_NS1_11comp_targetILNS1_3genE8ELNS1_11target_archE1030ELNS1_3gpuE2ELNS1_3repE0EEENS1_30default_config_static_selectorELNS0_4arch9wavefront6targetE1EEEvT1_.kd
    .uniform_work_group_size: 1
    .uses_dynamic_stack: false
    .vgpr_count:     0
    .vgpr_spill_count: 0
    .wavefront_size: 64
  - .agpr_count:     0
    .args:
      - .offset:         0
        .size:           32
        .value_kind:     by_value
    .group_segment_fixed_size: 3584
    .kernarg_segment_align: 8
    .kernarg_segment_size: 32
    .language:       OpenCL C
    .language_version:
      - 2
      - 0
    .max_flat_workgroup_size: 128
    .name:           _ZN7rocprim17ROCPRIM_400000_NS6detail17trampoline_kernelINS0_14default_configENS1_20scan_config_selectorIN3c108BFloat16EEEZZNS1_9scan_implILNS1_25lookback_scan_determinismE0ELb0ELb0ES3_PKS6_PS6_S6_ZZZN2at6native31launch_logcumsumexp_cuda_kernelERKNSD_10TensorBaseESH_lENKUlvE_clEvENKUlvE4_clEvEUlS6_S6_E_S6_EEDaPvRmT3_T4_T5_mT6_P12ihipStream_tbENKUlT_T0_E_clISt17integral_constantIbLb0EESY_EEDaST_SU_EUlST_E0_NS1_11comp_targetILNS1_3genE0ELNS1_11target_archE4294967295ELNS1_3gpuE0ELNS1_3repE0EEENS1_30default_config_static_selectorELNS0_4arch9wavefront6targetE1EEEvT1_
    .private_segment_fixed_size: 0
    .sgpr_count:     74
    .sgpr_spill_count: 0
    .symbol:         _ZN7rocprim17ROCPRIM_400000_NS6detail17trampoline_kernelINS0_14default_configENS1_20scan_config_selectorIN3c108BFloat16EEEZZNS1_9scan_implILNS1_25lookback_scan_determinismE0ELb0ELb0ES3_PKS6_PS6_S6_ZZZN2at6native31launch_logcumsumexp_cuda_kernelERKNSD_10TensorBaseESH_lENKUlvE_clEvENKUlvE4_clEvEUlS6_S6_E_S6_EEDaPvRmT3_T4_T5_mT6_P12ihipStream_tbENKUlT_T0_E_clISt17integral_constantIbLb0EESY_EEDaST_SU_EUlST_E0_NS1_11comp_targetILNS1_3genE0ELNS1_11target_archE4294967295ELNS1_3gpuE0ELNS1_3repE0EEENS1_30default_config_static_selectorELNS0_4arch9wavefront6targetE1EEEvT1_.kd
    .uniform_work_group_size: 1
    .uses_dynamic_stack: false
    .vgpr_count:     54
    .vgpr_spill_count: 0
    .wavefront_size: 64
  - .agpr_count:     0
    .args:
      - .offset:         0
        .size:           32
        .value_kind:     by_value
    .group_segment_fixed_size: 0
    .kernarg_segment_align: 8
    .kernarg_segment_size: 32
    .language:       OpenCL C
    .language_version:
      - 2
      - 0
    .max_flat_workgroup_size: 256
    .name:           _ZN7rocprim17ROCPRIM_400000_NS6detail17trampoline_kernelINS0_14default_configENS1_20scan_config_selectorIN3c108BFloat16EEEZZNS1_9scan_implILNS1_25lookback_scan_determinismE0ELb0ELb0ES3_PKS6_PS6_S6_ZZZN2at6native31launch_logcumsumexp_cuda_kernelERKNSD_10TensorBaseESH_lENKUlvE_clEvENKUlvE4_clEvEUlS6_S6_E_S6_EEDaPvRmT3_T4_T5_mT6_P12ihipStream_tbENKUlT_T0_E_clISt17integral_constantIbLb0EESY_EEDaST_SU_EUlST_E0_NS1_11comp_targetILNS1_3genE5ELNS1_11target_archE942ELNS1_3gpuE9ELNS1_3repE0EEENS1_30default_config_static_selectorELNS0_4arch9wavefront6targetE1EEEvT1_
    .private_segment_fixed_size: 0
    .sgpr_count:     6
    .sgpr_spill_count: 0
    .symbol:         _ZN7rocprim17ROCPRIM_400000_NS6detail17trampoline_kernelINS0_14default_configENS1_20scan_config_selectorIN3c108BFloat16EEEZZNS1_9scan_implILNS1_25lookback_scan_determinismE0ELb0ELb0ES3_PKS6_PS6_S6_ZZZN2at6native31launch_logcumsumexp_cuda_kernelERKNSD_10TensorBaseESH_lENKUlvE_clEvENKUlvE4_clEvEUlS6_S6_E_S6_EEDaPvRmT3_T4_T5_mT6_P12ihipStream_tbENKUlT_T0_E_clISt17integral_constantIbLb0EESY_EEDaST_SU_EUlST_E0_NS1_11comp_targetILNS1_3genE5ELNS1_11target_archE942ELNS1_3gpuE9ELNS1_3repE0EEENS1_30default_config_static_selectorELNS0_4arch9wavefront6targetE1EEEvT1_.kd
    .uniform_work_group_size: 1
    .uses_dynamic_stack: false
    .vgpr_count:     0
    .vgpr_spill_count: 0
    .wavefront_size: 64
  - .agpr_count:     0
    .args:
      - .offset:         0
        .size:           32
        .value_kind:     by_value
    .group_segment_fixed_size: 0
    .kernarg_segment_align: 8
    .kernarg_segment_size: 32
    .language:       OpenCL C
    .language_version:
      - 2
      - 0
    .max_flat_workgroup_size: 64
    .name:           _ZN7rocprim17ROCPRIM_400000_NS6detail17trampoline_kernelINS0_14default_configENS1_20scan_config_selectorIN3c108BFloat16EEEZZNS1_9scan_implILNS1_25lookback_scan_determinismE0ELb0ELb0ES3_PKS6_PS6_S6_ZZZN2at6native31launch_logcumsumexp_cuda_kernelERKNSD_10TensorBaseESH_lENKUlvE_clEvENKUlvE4_clEvEUlS6_S6_E_S6_EEDaPvRmT3_T4_T5_mT6_P12ihipStream_tbENKUlT_T0_E_clISt17integral_constantIbLb0EESY_EEDaST_SU_EUlST_E0_NS1_11comp_targetILNS1_3genE4ELNS1_11target_archE910ELNS1_3gpuE8ELNS1_3repE0EEENS1_30default_config_static_selectorELNS0_4arch9wavefront6targetE1EEEvT1_
    .private_segment_fixed_size: 0
    .sgpr_count:     6
    .sgpr_spill_count: 0
    .symbol:         _ZN7rocprim17ROCPRIM_400000_NS6detail17trampoline_kernelINS0_14default_configENS1_20scan_config_selectorIN3c108BFloat16EEEZZNS1_9scan_implILNS1_25lookback_scan_determinismE0ELb0ELb0ES3_PKS6_PS6_S6_ZZZN2at6native31launch_logcumsumexp_cuda_kernelERKNSD_10TensorBaseESH_lENKUlvE_clEvENKUlvE4_clEvEUlS6_S6_E_S6_EEDaPvRmT3_T4_T5_mT6_P12ihipStream_tbENKUlT_T0_E_clISt17integral_constantIbLb0EESY_EEDaST_SU_EUlST_E0_NS1_11comp_targetILNS1_3genE4ELNS1_11target_archE910ELNS1_3gpuE8ELNS1_3repE0EEENS1_30default_config_static_selectorELNS0_4arch9wavefront6targetE1EEEvT1_.kd
    .uniform_work_group_size: 1
    .uses_dynamic_stack: false
    .vgpr_count:     0
    .vgpr_spill_count: 0
    .wavefront_size: 64
  - .agpr_count:     0
    .args:
      - .offset:         0
        .size:           32
        .value_kind:     by_value
    .group_segment_fixed_size: 0
    .kernarg_segment_align: 8
    .kernarg_segment_size: 32
    .language:       OpenCL C
    .language_version:
      - 2
      - 0
    .max_flat_workgroup_size: 128
    .name:           _ZN7rocprim17ROCPRIM_400000_NS6detail17trampoline_kernelINS0_14default_configENS1_20scan_config_selectorIN3c108BFloat16EEEZZNS1_9scan_implILNS1_25lookback_scan_determinismE0ELb0ELb0ES3_PKS6_PS6_S6_ZZZN2at6native31launch_logcumsumexp_cuda_kernelERKNSD_10TensorBaseESH_lENKUlvE_clEvENKUlvE4_clEvEUlS6_S6_E_S6_EEDaPvRmT3_T4_T5_mT6_P12ihipStream_tbENKUlT_T0_E_clISt17integral_constantIbLb0EESY_EEDaST_SU_EUlST_E0_NS1_11comp_targetILNS1_3genE3ELNS1_11target_archE908ELNS1_3gpuE7ELNS1_3repE0EEENS1_30default_config_static_selectorELNS0_4arch9wavefront6targetE1EEEvT1_
    .private_segment_fixed_size: 0
    .sgpr_count:     6
    .sgpr_spill_count: 0
    .symbol:         _ZN7rocprim17ROCPRIM_400000_NS6detail17trampoline_kernelINS0_14default_configENS1_20scan_config_selectorIN3c108BFloat16EEEZZNS1_9scan_implILNS1_25lookback_scan_determinismE0ELb0ELb0ES3_PKS6_PS6_S6_ZZZN2at6native31launch_logcumsumexp_cuda_kernelERKNSD_10TensorBaseESH_lENKUlvE_clEvENKUlvE4_clEvEUlS6_S6_E_S6_EEDaPvRmT3_T4_T5_mT6_P12ihipStream_tbENKUlT_T0_E_clISt17integral_constantIbLb0EESY_EEDaST_SU_EUlST_E0_NS1_11comp_targetILNS1_3genE3ELNS1_11target_archE908ELNS1_3gpuE7ELNS1_3repE0EEENS1_30default_config_static_selectorELNS0_4arch9wavefront6targetE1EEEvT1_.kd
    .uniform_work_group_size: 1
    .uses_dynamic_stack: false
    .vgpr_count:     0
    .vgpr_spill_count: 0
    .wavefront_size: 64
  - .agpr_count:     0
    .args:
      - .offset:         0
        .size:           32
        .value_kind:     by_value
    .group_segment_fixed_size: 0
    .kernarg_segment_align: 8
    .kernarg_segment_size: 32
    .language:       OpenCL C
    .language_version:
      - 2
      - 0
    .max_flat_workgroup_size: 256
    .name:           _ZN7rocprim17ROCPRIM_400000_NS6detail17trampoline_kernelINS0_14default_configENS1_20scan_config_selectorIN3c108BFloat16EEEZZNS1_9scan_implILNS1_25lookback_scan_determinismE0ELb0ELb0ES3_PKS6_PS6_S6_ZZZN2at6native31launch_logcumsumexp_cuda_kernelERKNSD_10TensorBaseESH_lENKUlvE_clEvENKUlvE4_clEvEUlS6_S6_E_S6_EEDaPvRmT3_T4_T5_mT6_P12ihipStream_tbENKUlT_T0_E_clISt17integral_constantIbLb0EESY_EEDaST_SU_EUlST_E0_NS1_11comp_targetILNS1_3genE2ELNS1_11target_archE906ELNS1_3gpuE6ELNS1_3repE0EEENS1_30default_config_static_selectorELNS0_4arch9wavefront6targetE1EEEvT1_
    .private_segment_fixed_size: 0
    .sgpr_count:     6
    .sgpr_spill_count: 0
    .symbol:         _ZN7rocprim17ROCPRIM_400000_NS6detail17trampoline_kernelINS0_14default_configENS1_20scan_config_selectorIN3c108BFloat16EEEZZNS1_9scan_implILNS1_25lookback_scan_determinismE0ELb0ELb0ES3_PKS6_PS6_S6_ZZZN2at6native31launch_logcumsumexp_cuda_kernelERKNSD_10TensorBaseESH_lENKUlvE_clEvENKUlvE4_clEvEUlS6_S6_E_S6_EEDaPvRmT3_T4_T5_mT6_P12ihipStream_tbENKUlT_T0_E_clISt17integral_constantIbLb0EESY_EEDaST_SU_EUlST_E0_NS1_11comp_targetILNS1_3genE2ELNS1_11target_archE906ELNS1_3gpuE6ELNS1_3repE0EEENS1_30default_config_static_selectorELNS0_4arch9wavefront6targetE1EEEvT1_.kd
    .uniform_work_group_size: 1
    .uses_dynamic_stack: false
    .vgpr_count:     0
    .vgpr_spill_count: 0
    .wavefront_size: 64
  - .agpr_count:     0
    .args:
      - .offset:         0
        .size:           32
        .value_kind:     by_value
    .group_segment_fixed_size: 0
    .kernarg_segment_align: 8
    .kernarg_segment_size: 32
    .language:       OpenCL C
    .language_version:
      - 2
      - 0
    .max_flat_workgroup_size: 256
    .name:           _ZN7rocprim17ROCPRIM_400000_NS6detail17trampoline_kernelINS0_14default_configENS1_20scan_config_selectorIN3c108BFloat16EEEZZNS1_9scan_implILNS1_25lookback_scan_determinismE0ELb0ELb0ES3_PKS6_PS6_S6_ZZZN2at6native31launch_logcumsumexp_cuda_kernelERKNSD_10TensorBaseESH_lENKUlvE_clEvENKUlvE4_clEvEUlS6_S6_E_S6_EEDaPvRmT3_T4_T5_mT6_P12ihipStream_tbENKUlT_T0_E_clISt17integral_constantIbLb0EESY_EEDaST_SU_EUlST_E0_NS1_11comp_targetILNS1_3genE10ELNS1_11target_archE1201ELNS1_3gpuE5ELNS1_3repE0EEENS1_30default_config_static_selectorELNS0_4arch9wavefront6targetE1EEEvT1_
    .private_segment_fixed_size: 0
    .sgpr_count:     6
    .sgpr_spill_count: 0
    .symbol:         _ZN7rocprim17ROCPRIM_400000_NS6detail17trampoline_kernelINS0_14default_configENS1_20scan_config_selectorIN3c108BFloat16EEEZZNS1_9scan_implILNS1_25lookback_scan_determinismE0ELb0ELb0ES3_PKS6_PS6_S6_ZZZN2at6native31launch_logcumsumexp_cuda_kernelERKNSD_10TensorBaseESH_lENKUlvE_clEvENKUlvE4_clEvEUlS6_S6_E_S6_EEDaPvRmT3_T4_T5_mT6_P12ihipStream_tbENKUlT_T0_E_clISt17integral_constantIbLb0EESY_EEDaST_SU_EUlST_E0_NS1_11comp_targetILNS1_3genE10ELNS1_11target_archE1201ELNS1_3gpuE5ELNS1_3repE0EEENS1_30default_config_static_selectorELNS0_4arch9wavefront6targetE1EEEvT1_.kd
    .uniform_work_group_size: 1
    .uses_dynamic_stack: false
    .vgpr_count:     0
    .vgpr_spill_count: 0
    .wavefront_size: 64
  - .agpr_count:     0
    .args:
      - .offset:         0
        .size:           32
        .value_kind:     by_value
    .group_segment_fixed_size: 0
    .kernarg_segment_align: 8
    .kernarg_segment_size: 32
    .language:       OpenCL C
    .language_version:
      - 2
      - 0
    .max_flat_workgroup_size: 256
    .name:           _ZN7rocprim17ROCPRIM_400000_NS6detail17trampoline_kernelINS0_14default_configENS1_20scan_config_selectorIN3c108BFloat16EEEZZNS1_9scan_implILNS1_25lookback_scan_determinismE0ELb0ELb0ES3_PKS6_PS6_S6_ZZZN2at6native31launch_logcumsumexp_cuda_kernelERKNSD_10TensorBaseESH_lENKUlvE_clEvENKUlvE4_clEvEUlS6_S6_E_S6_EEDaPvRmT3_T4_T5_mT6_P12ihipStream_tbENKUlT_T0_E_clISt17integral_constantIbLb0EESY_EEDaST_SU_EUlST_E0_NS1_11comp_targetILNS1_3genE10ELNS1_11target_archE1200ELNS1_3gpuE4ELNS1_3repE0EEENS1_30default_config_static_selectorELNS0_4arch9wavefront6targetE1EEEvT1_
    .private_segment_fixed_size: 0
    .sgpr_count:     6
    .sgpr_spill_count: 0
    .symbol:         _ZN7rocprim17ROCPRIM_400000_NS6detail17trampoline_kernelINS0_14default_configENS1_20scan_config_selectorIN3c108BFloat16EEEZZNS1_9scan_implILNS1_25lookback_scan_determinismE0ELb0ELb0ES3_PKS6_PS6_S6_ZZZN2at6native31launch_logcumsumexp_cuda_kernelERKNSD_10TensorBaseESH_lENKUlvE_clEvENKUlvE4_clEvEUlS6_S6_E_S6_EEDaPvRmT3_T4_T5_mT6_P12ihipStream_tbENKUlT_T0_E_clISt17integral_constantIbLb0EESY_EEDaST_SU_EUlST_E0_NS1_11comp_targetILNS1_3genE10ELNS1_11target_archE1200ELNS1_3gpuE4ELNS1_3repE0EEENS1_30default_config_static_selectorELNS0_4arch9wavefront6targetE1EEEvT1_.kd
    .uniform_work_group_size: 1
    .uses_dynamic_stack: false
    .vgpr_count:     0
    .vgpr_spill_count: 0
    .wavefront_size: 64
  - .agpr_count:     0
    .args:
      - .offset:         0
        .size:           32
        .value_kind:     by_value
    .group_segment_fixed_size: 0
    .kernarg_segment_align: 8
    .kernarg_segment_size: 32
    .language:       OpenCL C
    .language_version:
      - 2
      - 0
    .max_flat_workgroup_size: 64
    .name:           _ZN7rocprim17ROCPRIM_400000_NS6detail17trampoline_kernelINS0_14default_configENS1_20scan_config_selectorIN3c108BFloat16EEEZZNS1_9scan_implILNS1_25lookback_scan_determinismE0ELb0ELb0ES3_PKS6_PS6_S6_ZZZN2at6native31launch_logcumsumexp_cuda_kernelERKNSD_10TensorBaseESH_lENKUlvE_clEvENKUlvE4_clEvEUlS6_S6_E_S6_EEDaPvRmT3_T4_T5_mT6_P12ihipStream_tbENKUlT_T0_E_clISt17integral_constantIbLb0EESY_EEDaST_SU_EUlST_E0_NS1_11comp_targetILNS1_3genE9ELNS1_11target_archE1100ELNS1_3gpuE3ELNS1_3repE0EEENS1_30default_config_static_selectorELNS0_4arch9wavefront6targetE1EEEvT1_
    .private_segment_fixed_size: 0
    .sgpr_count:     6
    .sgpr_spill_count: 0
    .symbol:         _ZN7rocprim17ROCPRIM_400000_NS6detail17trampoline_kernelINS0_14default_configENS1_20scan_config_selectorIN3c108BFloat16EEEZZNS1_9scan_implILNS1_25lookback_scan_determinismE0ELb0ELb0ES3_PKS6_PS6_S6_ZZZN2at6native31launch_logcumsumexp_cuda_kernelERKNSD_10TensorBaseESH_lENKUlvE_clEvENKUlvE4_clEvEUlS6_S6_E_S6_EEDaPvRmT3_T4_T5_mT6_P12ihipStream_tbENKUlT_T0_E_clISt17integral_constantIbLb0EESY_EEDaST_SU_EUlST_E0_NS1_11comp_targetILNS1_3genE9ELNS1_11target_archE1100ELNS1_3gpuE3ELNS1_3repE0EEENS1_30default_config_static_selectorELNS0_4arch9wavefront6targetE1EEEvT1_.kd
    .uniform_work_group_size: 1
    .uses_dynamic_stack: false
    .vgpr_count:     0
    .vgpr_spill_count: 0
    .wavefront_size: 64
  - .agpr_count:     0
    .args:
      - .offset:         0
        .size:           32
        .value_kind:     by_value
    .group_segment_fixed_size: 0
    .kernarg_segment_align: 8
    .kernarg_segment_size: 32
    .language:       OpenCL C
    .language_version:
      - 2
      - 0
    .max_flat_workgroup_size: 64
    .name:           _ZN7rocprim17ROCPRIM_400000_NS6detail17trampoline_kernelINS0_14default_configENS1_20scan_config_selectorIN3c108BFloat16EEEZZNS1_9scan_implILNS1_25lookback_scan_determinismE0ELb0ELb0ES3_PKS6_PS6_S6_ZZZN2at6native31launch_logcumsumexp_cuda_kernelERKNSD_10TensorBaseESH_lENKUlvE_clEvENKUlvE4_clEvEUlS6_S6_E_S6_EEDaPvRmT3_T4_T5_mT6_P12ihipStream_tbENKUlT_T0_E_clISt17integral_constantIbLb0EESY_EEDaST_SU_EUlST_E0_NS1_11comp_targetILNS1_3genE8ELNS1_11target_archE1030ELNS1_3gpuE2ELNS1_3repE0EEENS1_30default_config_static_selectorELNS0_4arch9wavefront6targetE1EEEvT1_
    .private_segment_fixed_size: 0
    .sgpr_count:     6
    .sgpr_spill_count: 0
    .symbol:         _ZN7rocprim17ROCPRIM_400000_NS6detail17trampoline_kernelINS0_14default_configENS1_20scan_config_selectorIN3c108BFloat16EEEZZNS1_9scan_implILNS1_25lookback_scan_determinismE0ELb0ELb0ES3_PKS6_PS6_S6_ZZZN2at6native31launch_logcumsumexp_cuda_kernelERKNSD_10TensorBaseESH_lENKUlvE_clEvENKUlvE4_clEvEUlS6_S6_E_S6_EEDaPvRmT3_T4_T5_mT6_P12ihipStream_tbENKUlT_T0_E_clISt17integral_constantIbLb0EESY_EEDaST_SU_EUlST_E0_NS1_11comp_targetILNS1_3genE8ELNS1_11target_archE1030ELNS1_3gpuE2ELNS1_3repE0EEENS1_30default_config_static_selectorELNS0_4arch9wavefront6targetE1EEEvT1_.kd
    .uniform_work_group_size: 1
    .uses_dynamic_stack: false
    .vgpr_count:     0
    .vgpr_spill_count: 0
    .wavefront_size: 64
  - .agpr_count:     0
    .args:
      - .address_space:  global
        .offset:         0
        .size:           8
        .value_kind:     global_buffer
      - .offset:         8
        .size:           4
        .value_kind:     by_value
      - .address_space:  global
        .offset:         16
        .size:           8
        .value_kind:     global_buffer
      - .offset:         24
        .size:           4
        .value_kind:     by_value
      - .address_space:  global
        .offset:         32
        .size:           8
        .value_kind:     global_buffer
      - .offset:         40
        .size:           4
        .value_kind:     hidden_block_count_x
      - .offset:         44
        .size:           4
        .value_kind:     hidden_block_count_y
      - .offset:         48
        .size:           4
        .value_kind:     hidden_block_count_z
      - .offset:         52
        .size:           2
        .value_kind:     hidden_group_size_x
      - .offset:         54
        .size:           2
        .value_kind:     hidden_group_size_y
      - .offset:         56
        .size:           2
        .value_kind:     hidden_group_size_z
      - .offset:         58
        .size:           2
        .value_kind:     hidden_remainder_x
      - .offset:         60
        .size:           2
        .value_kind:     hidden_remainder_y
      - .offset:         62
        .size:           2
        .value_kind:     hidden_remainder_z
      - .offset:         80
        .size:           8
        .value_kind:     hidden_global_offset_x
      - .offset:         88
        .size:           8
        .value_kind:     hidden_global_offset_y
      - .offset:         96
        .size:           8
        .value_kind:     hidden_global_offset_z
      - .offset:         104
        .size:           2
        .value_kind:     hidden_grid_dims
    .group_segment_fixed_size: 0
    .kernarg_segment_align: 8
    .kernarg_segment_size: 296
    .language:       OpenCL C
    .language_version:
      - 2
      - 0
    .max_flat_workgroup_size: 256
    .name:           _ZN7rocprim17ROCPRIM_400000_NS6detail31init_lookback_scan_state_kernelINS1_19lookback_scan_stateIN3c108BFloat16ELb1ELb1EEENS1_16block_id_wrapperIjLb1EEEEEvT_jT0_jPNS9_10value_typeE
    .private_segment_fixed_size: 0
    .sgpr_count:     20
    .sgpr_spill_count: 0
    .symbol:         _ZN7rocprim17ROCPRIM_400000_NS6detail31init_lookback_scan_state_kernelINS1_19lookback_scan_stateIN3c108BFloat16ELb1ELb1EEENS1_16block_id_wrapperIjLb1EEEEEvT_jT0_jPNS9_10value_typeE.kd
    .uniform_work_group_size: 1
    .uses_dynamic_stack: false
    .vgpr_count:     6
    .vgpr_spill_count: 0
    .wavefront_size: 64
  - .agpr_count:     0
    .args:
      - .offset:         0
        .size:           96
        .value_kind:     by_value
    .group_segment_fixed_size: 0
    .kernarg_segment_align: 8
    .kernarg_segment_size: 96
    .language:       OpenCL C
    .language_version:
      - 2
      - 0
    .max_flat_workgroup_size: 128
    .name:           _ZN7rocprim17ROCPRIM_400000_NS6detail17trampoline_kernelINS0_14default_configENS1_20scan_config_selectorIN3c108BFloat16EEEZZNS1_9scan_implILNS1_25lookback_scan_determinismE0ELb0ELb0ES3_PKS6_PS6_S6_ZZZN2at6native31launch_logcumsumexp_cuda_kernelERKNSD_10TensorBaseESH_lENKUlvE_clEvENKUlvE4_clEvEUlS6_S6_E_S6_EEDaPvRmT3_T4_T5_mT6_P12ihipStream_tbENKUlT_T0_E_clISt17integral_constantIbLb1EESY_EEDaST_SU_EUlST_E_NS1_11comp_targetILNS1_3genE0ELNS1_11target_archE4294967295ELNS1_3gpuE0ELNS1_3repE0EEENS1_30default_config_static_selectorELNS0_4arch9wavefront6targetE1EEEvT1_
    .private_segment_fixed_size: 0
    .sgpr_count:     6
    .sgpr_spill_count: 0
    .symbol:         _ZN7rocprim17ROCPRIM_400000_NS6detail17trampoline_kernelINS0_14default_configENS1_20scan_config_selectorIN3c108BFloat16EEEZZNS1_9scan_implILNS1_25lookback_scan_determinismE0ELb0ELb0ES3_PKS6_PS6_S6_ZZZN2at6native31launch_logcumsumexp_cuda_kernelERKNSD_10TensorBaseESH_lENKUlvE_clEvENKUlvE4_clEvEUlS6_S6_E_S6_EEDaPvRmT3_T4_T5_mT6_P12ihipStream_tbENKUlT_T0_E_clISt17integral_constantIbLb1EESY_EEDaST_SU_EUlST_E_NS1_11comp_targetILNS1_3genE0ELNS1_11target_archE4294967295ELNS1_3gpuE0ELNS1_3repE0EEENS1_30default_config_static_selectorELNS0_4arch9wavefront6targetE1EEEvT1_.kd
    .uniform_work_group_size: 1
    .uses_dynamic_stack: false
    .vgpr_count:     0
    .vgpr_spill_count: 0
    .wavefront_size: 64
  - .agpr_count:     0
    .args:
      - .offset:         0
        .size:           96
        .value_kind:     by_value
    .group_segment_fixed_size: 0
    .kernarg_segment_align: 8
    .kernarg_segment_size: 96
    .language:       OpenCL C
    .language_version:
      - 2
      - 0
    .max_flat_workgroup_size: 256
    .name:           _ZN7rocprim17ROCPRIM_400000_NS6detail17trampoline_kernelINS0_14default_configENS1_20scan_config_selectorIN3c108BFloat16EEEZZNS1_9scan_implILNS1_25lookback_scan_determinismE0ELb0ELb0ES3_PKS6_PS6_S6_ZZZN2at6native31launch_logcumsumexp_cuda_kernelERKNSD_10TensorBaseESH_lENKUlvE_clEvENKUlvE4_clEvEUlS6_S6_E_S6_EEDaPvRmT3_T4_T5_mT6_P12ihipStream_tbENKUlT_T0_E_clISt17integral_constantIbLb1EESY_EEDaST_SU_EUlST_E_NS1_11comp_targetILNS1_3genE5ELNS1_11target_archE942ELNS1_3gpuE9ELNS1_3repE0EEENS1_30default_config_static_selectorELNS0_4arch9wavefront6targetE1EEEvT1_
    .private_segment_fixed_size: 0
    .sgpr_count:     6
    .sgpr_spill_count: 0
    .symbol:         _ZN7rocprim17ROCPRIM_400000_NS6detail17trampoline_kernelINS0_14default_configENS1_20scan_config_selectorIN3c108BFloat16EEEZZNS1_9scan_implILNS1_25lookback_scan_determinismE0ELb0ELb0ES3_PKS6_PS6_S6_ZZZN2at6native31launch_logcumsumexp_cuda_kernelERKNSD_10TensorBaseESH_lENKUlvE_clEvENKUlvE4_clEvEUlS6_S6_E_S6_EEDaPvRmT3_T4_T5_mT6_P12ihipStream_tbENKUlT_T0_E_clISt17integral_constantIbLb1EESY_EEDaST_SU_EUlST_E_NS1_11comp_targetILNS1_3genE5ELNS1_11target_archE942ELNS1_3gpuE9ELNS1_3repE0EEENS1_30default_config_static_selectorELNS0_4arch9wavefront6targetE1EEEvT1_.kd
    .uniform_work_group_size: 1
    .uses_dynamic_stack: false
    .vgpr_count:     0
    .vgpr_spill_count: 0
    .wavefront_size: 64
  - .agpr_count:     0
    .args:
      - .offset:         0
        .size:           96
        .value_kind:     by_value
    .group_segment_fixed_size: 0
    .kernarg_segment_align: 8
    .kernarg_segment_size: 96
    .language:       OpenCL C
    .language_version:
      - 2
      - 0
    .max_flat_workgroup_size: 64
    .name:           _ZN7rocprim17ROCPRIM_400000_NS6detail17trampoline_kernelINS0_14default_configENS1_20scan_config_selectorIN3c108BFloat16EEEZZNS1_9scan_implILNS1_25lookback_scan_determinismE0ELb0ELb0ES3_PKS6_PS6_S6_ZZZN2at6native31launch_logcumsumexp_cuda_kernelERKNSD_10TensorBaseESH_lENKUlvE_clEvENKUlvE4_clEvEUlS6_S6_E_S6_EEDaPvRmT3_T4_T5_mT6_P12ihipStream_tbENKUlT_T0_E_clISt17integral_constantIbLb1EESY_EEDaST_SU_EUlST_E_NS1_11comp_targetILNS1_3genE4ELNS1_11target_archE910ELNS1_3gpuE8ELNS1_3repE0EEENS1_30default_config_static_selectorELNS0_4arch9wavefront6targetE1EEEvT1_
    .private_segment_fixed_size: 0
    .sgpr_count:     6
    .sgpr_spill_count: 0
    .symbol:         _ZN7rocprim17ROCPRIM_400000_NS6detail17trampoline_kernelINS0_14default_configENS1_20scan_config_selectorIN3c108BFloat16EEEZZNS1_9scan_implILNS1_25lookback_scan_determinismE0ELb0ELb0ES3_PKS6_PS6_S6_ZZZN2at6native31launch_logcumsumexp_cuda_kernelERKNSD_10TensorBaseESH_lENKUlvE_clEvENKUlvE4_clEvEUlS6_S6_E_S6_EEDaPvRmT3_T4_T5_mT6_P12ihipStream_tbENKUlT_T0_E_clISt17integral_constantIbLb1EESY_EEDaST_SU_EUlST_E_NS1_11comp_targetILNS1_3genE4ELNS1_11target_archE910ELNS1_3gpuE8ELNS1_3repE0EEENS1_30default_config_static_selectorELNS0_4arch9wavefront6targetE1EEEvT1_.kd
    .uniform_work_group_size: 1
    .uses_dynamic_stack: false
    .vgpr_count:     0
    .vgpr_spill_count: 0
    .wavefront_size: 64
  - .agpr_count:     0
    .args:
      - .offset:         0
        .size:           96
        .value_kind:     by_value
    .group_segment_fixed_size: 0
    .kernarg_segment_align: 8
    .kernarg_segment_size: 96
    .language:       OpenCL C
    .language_version:
      - 2
      - 0
    .max_flat_workgroup_size: 128
    .name:           _ZN7rocprim17ROCPRIM_400000_NS6detail17trampoline_kernelINS0_14default_configENS1_20scan_config_selectorIN3c108BFloat16EEEZZNS1_9scan_implILNS1_25lookback_scan_determinismE0ELb0ELb0ES3_PKS6_PS6_S6_ZZZN2at6native31launch_logcumsumexp_cuda_kernelERKNSD_10TensorBaseESH_lENKUlvE_clEvENKUlvE4_clEvEUlS6_S6_E_S6_EEDaPvRmT3_T4_T5_mT6_P12ihipStream_tbENKUlT_T0_E_clISt17integral_constantIbLb1EESY_EEDaST_SU_EUlST_E_NS1_11comp_targetILNS1_3genE3ELNS1_11target_archE908ELNS1_3gpuE7ELNS1_3repE0EEENS1_30default_config_static_selectorELNS0_4arch9wavefront6targetE1EEEvT1_
    .private_segment_fixed_size: 0
    .sgpr_count:     6
    .sgpr_spill_count: 0
    .symbol:         _ZN7rocprim17ROCPRIM_400000_NS6detail17trampoline_kernelINS0_14default_configENS1_20scan_config_selectorIN3c108BFloat16EEEZZNS1_9scan_implILNS1_25lookback_scan_determinismE0ELb0ELb0ES3_PKS6_PS6_S6_ZZZN2at6native31launch_logcumsumexp_cuda_kernelERKNSD_10TensorBaseESH_lENKUlvE_clEvENKUlvE4_clEvEUlS6_S6_E_S6_EEDaPvRmT3_T4_T5_mT6_P12ihipStream_tbENKUlT_T0_E_clISt17integral_constantIbLb1EESY_EEDaST_SU_EUlST_E_NS1_11comp_targetILNS1_3genE3ELNS1_11target_archE908ELNS1_3gpuE7ELNS1_3repE0EEENS1_30default_config_static_selectorELNS0_4arch9wavefront6targetE1EEEvT1_.kd
    .uniform_work_group_size: 1
    .uses_dynamic_stack: false
    .vgpr_count:     0
    .vgpr_spill_count: 0
    .wavefront_size: 64
  - .agpr_count:     0
    .args:
      - .offset:         0
        .size:           96
        .value_kind:     by_value
    .group_segment_fixed_size: 0
    .kernarg_segment_align: 8
    .kernarg_segment_size: 96
    .language:       OpenCL C
    .language_version:
      - 2
      - 0
    .max_flat_workgroup_size: 256
    .name:           _ZN7rocprim17ROCPRIM_400000_NS6detail17trampoline_kernelINS0_14default_configENS1_20scan_config_selectorIN3c108BFloat16EEEZZNS1_9scan_implILNS1_25lookback_scan_determinismE0ELb0ELb0ES3_PKS6_PS6_S6_ZZZN2at6native31launch_logcumsumexp_cuda_kernelERKNSD_10TensorBaseESH_lENKUlvE_clEvENKUlvE4_clEvEUlS6_S6_E_S6_EEDaPvRmT3_T4_T5_mT6_P12ihipStream_tbENKUlT_T0_E_clISt17integral_constantIbLb1EESY_EEDaST_SU_EUlST_E_NS1_11comp_targetILNS1_3genE2ELNS1_11target_archE906ELNS1_3gpuE6ELNS1_3repE0EEENS1_30default_config_static_selectorELNS0_4arch9wavefront6targetE1EEEvT1_
    .private_segment_fixed_size: 0
    .sgpr_count:     6
    .sgpr_spill_count: 0
    .symbol:         _ZN7rocprim17ROCPRIM_400000_NS6detail17trampoline_kernelINS0_14default_configENS1_20scan_config_selectorIN3c108BFloat16EEEZZNS1_9scan_implILNS1_25lookback_scan_determinismE0ELb0ELb0ES3_PKS6_PS6_S6_ZZZN2at6native31launch_logcumsumexp_cuda_kernelERKNSD_10TensorBaseESH_lENKUlvE_clEvENKUlvE4_clEvEUlS6_S6_E_S6_EEDaPvRmT3_T4_T5_mT6_P12ihipStream_tbENKUlT_T0_E_clISt17integral_constantIbLb1EESY_EEDaST_SU_EUlST_E_NS1_11comp_targetILNS1_3genE2ELNS1_11target_archE906ELNS1_3gpuE6ELNS1_3repE0EEENS1_30default_config_static_selectorELNS0_4arch9wavefront6targetE1EEEvT1_.kd
    .uniform_work_group_size: 1
    .uses_dynamic_stack: false
    .vgpr_count:     0
    .vgpr_spill_count: 0
    .wavefront_size: 64
  - .agpr_count:     0
    .args:
      - .offset:         0
        .size:           96
        .value_kind:     by_value
    .group_segment_fixed_size: 0
    .kernarg_segment_align: 8
    .kernarg_segment_size: 96
    .language:       OpenCL C
    .language_version:
      - 2
      - 0
    .max_flat_workgroup_size: 256
    .name:           _ZN7rocprim17ROCPRIM_400000_NS6detail17trampoline_kernelINS0_14default_configENS1_20scan_config_selectorIN3c108BFloat16EEEZZNS1_9scan_implILNS1_25lookback_scan_determinismE0ELb0ELb0ES3_PKS6_PS6_S6_ZZZN2at6native31launch_logcumsumexp_cuda_kernelERKNSD_10TensorBaseESH_lENKUlvE_clEvENKUlvE4_clEvEUlS6_S6_E_S6_EEDaPvRmT3_T4_T5_mT6_P12ihipStream_tbENKUlT_T0_E_clISt17integral_constantIbLb1EESY_EEDaST_SU_EUlST_E_NS1_11comp_targetILNS1_3genE10ELNS1_11target_archE1201ELNS1_3gpuE5ELNS1_3repE0EEENS1_30default_config_static_selectorELNS0_4arch9wavefront6targetE1EEEvT1_
    .private_segment_fixed_size: 0
    .sgpr_count:     6
    .sgpr_spill_count: 0
    .symbol:         _ZN7rocprim17ROCPRIM_400000_NS6detail17trampoline_kernelINS0_14default_configENS1_20scan_config_selectorIN3c108BFloat16EEEZZNS1_9scan_implILNS1_25lookback_scan_determinismE0ELb0ELb0ES3_PKS6_PS6_S6_ZZZN2at6native31launch_logcumsumexp_cuda_kernelERKNSD_10TensorBaseESH_lENKUlvE_clEvENKUlvE4_clEvEUlS6_S6_E_S6_EEDaPvRmT3_T4_T5_mT6_P12ihipStream_tbENKUlT_T0_E_clISt17integral_constantIbLb1EESY_EEDaST_SU_EUlST_E_NS1_11comp_targetILNS1_3genE10ELNS1_11target_archE1201ELNS1_3gpuE5ELNS1_3repE0EEENS1_30default_config_static_selectorELNS0_4arch9wavefront6targetE1EEEvT1_.kd
    .uniform_work_group_size: 1
    .uses_dynamic_stack: false
    .vgpr_count:     0
    .vgpr_spill_count: 0
    .wavefront_size: 64
  - .agpr_count:     0
    .args:
      - .offset:         0
        .size:           96
        .value_kind:     by_value
    .group_segment_fixed_size: 0
    .kernarg_segment_align: 8
    .kernarg_segment_size: 96
    .language:       OpenCL C
    .language_version:
      - 2
      - 0
    .max_flat_workgroup_size: 256
    .name:           _ZN7rocprim17ROCPRIM_400000_NS6detail17trampoline_kernelINS0_14default_configENS1_20scan_config_selectorIN3c108BFloat16EEEZZNS1_9scan_implILNS1_25lookback_scan_determinismE0ELb0ELb0ES3_PKS6_PS6_S6_ZZZN2at6native31launch_logcumsumexp_cuda_kernelERKNSD_10TensorBaseESH_lENKUlvE_clEvENKUlvE4_clEvEUlS6_S6_E_S6_EEDaPvRmT3_T4_T5_mT6_P12ihipStream_tbENKUlT_T0_E_clISt17integral_constantIbLb1EESY_EEDaST_SU_EUlST_E_NS1_11comp_targetILNS1_3genE10ELNS1_11target_archE1200ELNS1_3gpuE4ELNS1_3repE0EEENS1_30default_config_static_selectorELNS0_4arch9wavefront6targetE1EEEvT1_
    .private_segment_fixed_size: 0
    .sgpr_count:     6
    .sgpr_spill_count: 0
    .symbol:         _ZN7rocprim17ROCPRIM_400000_NS6detail17trampoline_kernelINS0_14default_configENS1_20scan_config_selectorIN3c108BFloat16EEEZZNS1_9scan_implILNS1_25lookback_scan_determinismE0ELb0ELb0ES3_PKS6_PS6_S6_ZZZN2at6native31launch_logcumsumexp_cuda_kernelERKNSD_10TensorBaseESH_lENKUlvE_clEvENKUlvE4_clEvEUlS6_S6_E_S6_EEDaPvRmT3_T4_T5_mT6_P12ihipStream_tbENKUlT_T0_E_clISt17integral_constantIbLb1EESY_EEDaST_SU_EUlST_E_NS1_11comp_targetILNS1_3genE10ELNS1_11target_archE1200ELNS1_3gpuE4ELNS1_3repE0EEENS1_30default_config_static_selectorELNS0_4arch9wavefront6targetE1EEEvT1_.kd
    .uniform_work_group_size: 1
    .uses_dynamic_stack: false
    .vgpr_count:     0
    .vgpr_spill_count: 0
    .wavefront_size: 64
  - .agpr_count:     0
    .args:
      - .offset:         0
        .size:           96
        .value_kind:     by_value
    .group_segment_fixed_size: 0
    .kernarg_segment_align: 8
    .kernarg_segment_size: 96
    .language:       OpenCL C
    .language_version:
      - 2
      - 0
    .max_flat_workgroup_size: 64
    .name:           _ZN7rocprim17ROCPRIM_400000_NS6detail17trampoline_kernelINS0_14default_configENS1_20scan_config_selectorIN3c108BFloat16EEEZZNS1_9scan_implILNS1_25lookback_scan_determinismE0ELb0ELb0ES3_PKS6_PS6_S6_ZZZN2at6native31launch_logcumsumexp_cuda_kernelERKNSD_10TensorBaseESH_lENKUlvE_clEvENKUlvE4_clEvEUlS6_S6_E_S6_EEDaPvRmT3_T4_T5_mT6_P12ihipStream_tbENKUlT_T0_E_clISt17integral_constantIbLb1EESY_EEDaST_SU_EUlST_E_NS1_11comp_targetILNS1_3genE9ELNS1_11target_archE1100ELNS1_3gpuE3ELNS1_3repE0EEENS1_30default_config_static_selectorELNS0_4arch9wavefront6targetE1EEEvT1_
    .private_segment_fixed_size: 0
    .sgpr_count:     6
    .sgpr_spill_count: 0
    .symbol:         _ZN7rocprim17ROCPRIM_400000_NS6detail17trampoline_kernelINS0_14default_configENS1_20scan_config_selectorIN3c108BFloat16EEEZZNS1_9scan_implILNS1_25lookback_scan_determinismE0ELb0ELb0ES3_PKS6_PS6_S6_ZZZN2at6native31launch_logcumsumexp_cuda_kernelERKNSD_10TensorBaseESH_lENKUlvE_clEvENKUlvE4_clEvEUlS6_S6_E_S6_EEDaPvRmT3_T4_T5_mT6_P12ihipStream_tbENKUlT_T0_E_clISt17integral_constantIbLb1EESY_EEDaST_SU_EUlST_E_NS1_11comp_targetILNS1_3genE9ELNS1_11target_archE1100ELNS1_3gpuE3ELNS1_3repE0EEENS1_30default_config_static_selectorELNS0_4arch9wavefront6targetE1EEEvT1_.kd
    .uniform_work_group_size: 1
    .uses_dynamic_stack: false
    .vgpr_count:     0
    .vgpr_spill_count: 0
    .wavefront_size: 64
  - .agpr_count:     0
    .args:
      - .offset:         0
        .size:           96
        .value_kind:     by_value
    .group_segment_fixed_size: 0
    .kernarg_segment_align: 8
    .kernarg_segment_size: 96
    .language:       OpenCL C
    .language_version:
      - 2
      - 0
    .max_flat_workgroup_size: 64
    .name:           _ZN7rocprim17ROCPRIM_400000_NS6detail17trampoline_kernelINS0_14default_configENS1_20scan_config_selectorIN3c108BFloat16EEEZZNS1_9scan_implILNS1_25lookback_scan_determinismE0ELb0ELb0ES3_PKS6_PS6_S6_ZZZN2at6native31launch_logcumsumexp_cuda_kernelERKNSD_10TensorBaseESH_lENKUlvE_clEvENKUlvE4_clEvEUlS6_S6_E_S6_EEDaPvRmT3_T4_T5_mT6_P12ihipStream_tbENKUlT_T0_E_clISt17integral_constantIbLb1EESY_EEDaST_SU_EUlST_E_NS1_11comp_targetILNS1_3genE8ELNS1_11target_archE1030ELNS1_3gpuE2ELNS1_3repE0EEENS1_30default_config_static_selectorELNS0_4arch9wavefront6targetE1EEEvT1_
    .private_segment_fixed_size: 0
    .sgpr_count:     6
    .sgpr_spill_count: 0
    .symbol:         _ZN7rocprim17ROCPRIM_400000_NS6detail17trampoline_kernelINS0_14default_configENS1_20scan_config_selectorIN3c108BFloat16EEEZZNS1_9scan_implILNS1_25lookback_scan_determinismE0ELb0ELb0ES3_PKS6_PS6_S6_ZZZN2at6native31launch_logcumsumexp_cuda_kernelERKNSD_10TensorBaseESH_lENKUlvE_clEvENKUlvE4_clEvEUlS6_S6_E_S6_EEDaPvRmT3_T4_T5_mT6_P12ihipStream_tbENKUlT_T0_E_clISt17integral_constantIbLb1EESY_EEDaST_SU_EUlST_E_NS1_11comp_targetILNS1_3genE8ELNS1_11target_archE1030ELNS1_3gpuE2ELNS1_3repE0EEENS1_30default_config_static_selectorELNS0_4arch9wavefront6targetE1EEEvT1_.kd
    .uniform_work_group_size: 1
    .uses_dynamic_stack: false
    .vgpr_count:     0
    .vgpr_spill_count: 0
    .wavefront_size: 64
  - .agpr_count:     0
    .args:
      - .offset:         0
        .size:           32
        .value_kind:     by_value
    .group_segment_fixed_size: 3584
    .kernarg_segment_align: 8
    .kernarg_segment_size: 32
    .language:       OpenCL C
    .language_version:
      - 2
      - 0
    .max_flat_workgroup_size: 128
    .name:           _ZN7rocprim17ROCPRIM_400000_NS6detail17trampoline_kernelINS0_14default_configENS1_20scan_config_selectorIN3c108BFloat16EEEZZNS1_9scan_implILNS1_25lookback_scan_determinismE0ELb0ELb0ES3_PKS6_PS6_S6_ZZZN2at6native31launch_logcumsumexp_cuda_kernelERKNSD_10TensorBaseESH_lENKUlvE_clEvENKUlvE4_clEvEUlS6_S6_E_S6_EEDaPvRmT3_T4_T5_mT6_P12ihipStream_tbENKUlT_T0_E_clISt17integral_constantIbLb1EESY_EEDaST_SU_EUlST_E0_NS1_11comp_targetILNS1_3genE0ELNS1_11target_archE4294967295ELNS1_3gpuE0ELNS1_3repE0EEENS1_30default_config_static_selectorELNS0_4arch9wavefront6targetE1EEEvT1_
    .private_segment_fixed_size: 0
    .sgpr_count:     74
    .sgpr_spill_count: 0
    .symbol:         _ZN7rocprim17ROCPRIM_400000_NS6detail17trampoline_kernelINS0_14default_configENS1_20scan_config_selectorIN3c108BFloat16EEEZZNS1_9scan_implILNS1_25lookback_scan_determinismE0ELb0ELb0ES3_PKS6_PS6_S6_ZZZN2at6native31launch_logcumsumexp_cuda_kernelERKNSD_10TensorBaseESH_lENKUlvE_clEvENKUlvE4_clEvEUlS6_S6_E_S6_EEDaPvRmT3_T4_T5_mT6_P12ihipStream_tbENKUlT_T0_E_clISt17integral_constantIbLb1EESY_EEDaST_SU_EUlST_E0_NS1_11comp_targetILNS1_3genE0ELNS1_11target_archE4294967295ELNS1_3gpuE0ELNS1_3repE0EEENS1_30default_config_static_selectorELNS0_4arch9wavefront6targetE1EEEvT1_.kd
    .uniform_work_group_size: 1
    .uses_dynamic_stack: false
    .vgpr_count:     54
    .vgpr_spill_count: 0
    .wavefront_size: 64
  - .agpr_count:     0
    .args:
      - .offset:         0
        .size:           32
        .value_kind:     by_value
    .group_segment_fixed_size: 0
    .kernarg_segment_align: 8
    .kernarg_segment_size: 32
    .language:       OpenCL C
    .language_version:
      - 2
      - 0
    .max_flat_workgroup_size: 256
    .name:           _ZN7rocprim17ROCPRIM_400000_NS6detail17trampoline_kernelINS0_14default_configENS1_20scan_config_selectorIN3c108BFloat16EEEZZNS1_9scan_implILNS1_25lookback_scan_determinismE0ELb0ELb0ES3_PKS6_PS6_S6_ZZZN2at6native31launch_logcumsumexp_cuda_kernelERKNSD_10TensorBaseESH_lENKUlvE_clEvENKUlvE4_clEvEUlS6_S6_E_S6_EEDaPvRmT3_T4_T5_mT6_P12ihipStream_tbENKUlT_T0_E_clISt17integral_constantIbLb1EESY_EEDaST_SU_EUlST_E0_NS1_11comp_targetILNS1_3genE5ELNS1_11target_archE942ELNS1_3gpuE9ELNS1_3repE0EEENS1_30default_config_static_selectorELNS0_4arch9wavefront6targetE1EEEvT1_
    .private_segment_fixed_size: 0
    .sgpr_count:     6
    .sgpr_spill_count: 0
    .symbol:         _ZN7rocprim17ROCPRIM_400000_NS6detail17trampoline_kernelINS0_14default_configENS1_20scan_config_selectorIN3c108BFloat16EEEZZNS1_9scan_implILNS1_25lookback_scan_determinismE0ELb0ELb0ES3_PKS6_PS6_S6_ZZZN2at6native31launch_logcumsumexp_cuda_kernelERKNSD_10TensorBaseESH_lENKUlvE_clEvENKUlvE4_clEvEUlS6_S6_E_S6_EEDaPvRmT3_T4_T5_mT6_P12ihipStream_tbENKUlT_T0_E_clISt17integral_constantIbLb1EESY_EEDaST_SU_EUlST_E0_NS1_11comp_targetILNS1_3genE5ELNS1_11target_archE942ELNS1_3gpuE9ELNS1_3repE0EEENS1_30default_config_static_selectorELNS0_4arch9wavefront6targetE1EEEvT1_.kd
    .uniform_work_group_size: 1
    .uses_dynamic_stack: false
    .vgpr_count:     0
    .vgpr_spill_count: 0
    .wavefront_size: 64
  - .agpr_count:     0
    .args:
      - .offset:         0
        .size:           32
        .value_kind:     by_value
    .group_segment_fixed_size: 0
    .kernarg_segment_align: 8
    .kernarg_segment_size: 32
    .language:       OpenCL C
    .language_version:
      - 2
      - 0
    .max_flat_workgroup_size: 64
    .name:           _ZN7rocprim17ROCPRIM_400000_NS6detail17trampoline_kernelINS0_14default_configENS1_20scan_config_selectorIN3c108BFloat16EEEZZNS1_9scan_implILNS1_25lookback_scan_determinismE0ELb0ELb0ES3_PKS6_PS6_S6_ZZZN2at6native31launch_logcumsumexp_cuda_kernelERKNSD_10TensorBaseESH_lENKUlvE_clEvENKUlvE4_clEvEUlS6_S6_E_S6_EEDaPvRmT3_T4_T5_mT6_P12ihipStream_tbENKUlT_T0_E_clISt17integral_constantIbLb1EESY_EEDaST_SU_EUlST_E0_NS1_11comp_targetILNS1_3genE4ELNS1_11target_archE910ELNS1_3gpuE8ELNS1_3repE0EEENS1_30default_config_static_selectorELNS0_4arch9wavefront6targetE1EEEvT1_
    .private_segment_fixed_size: 0
    .sgpr_count:     6
    .sgpr_spill_count: 0
    .symbol:         _ZN7rocprim17ROCPRIM_400000_NS6detail17trampoline_kernelINS0_14default_configENS1_20scan_config_selectorIN3c108BFloat16EEEZZNS1_9scan_implILNS1_25lookback_scan_determinismE0ELb0ELb0ES3_PKS6_PS6_S6_ZZZN2at6native31launch_logcumsumexp_cuda_kernelERKNSD_10TensorBaseESH_lENKUlvE_clEvENKUlvE4_clEvEUlS6_S6_E_S6_EEDaPvRmT3_T4_T5_mT6_P12ihipStream_tbENKUlT_T0_E_clISt17integral_constantIbLb1EESY_EEDaST_SU_EUlST_E0_NS1_11comp_targetILNS1_3genE4ELNS1_11target_archE910ELNS1_3gpuE8ELNS1_3repE0EEENS1_30default_config_static_selectorELNS0_4arch9wavefront6targetE1EEEvT1_.kd
    .uniform_work_group_size: 1
    .uses_dynamic_stack: false
    .vgpr_count:     0
    .vgpr_spill_count: 0
    .wavefront_size: 64
  - .agpr_count:     0
    .args:
      - .offset:         0
        .size:           32
        .value_kind:     by_value
    .group_segment_fixed_size: 0
    .kernarg_segment_align: 8
    .kernarg_segment_size: 32
    .language:       OpenCL C
    .language_version:
      - 2
      - 0
    .max_flat_workgroup_size: 128
    .name:           _ZN7rocprim17ROCPRIM_400000_NS6detail17trampoline_kernelINS0_14default_configENS1_20scan_config_selectorIN3c108BFloat16EEEZZNS1_9scan_implILNS1_25lookback_scan_determinismE0ELb0ELb0ES3_PKS6_PS6_S6_ZZZN2at6native31launch_logcumsumexp_cuda_kernelERKNSD_10TensorBaseESH_lENKUlvE_clEvENKUlvE4_clEvEUlS6_S6_E_S6_EEDaPvRmT3_T4_T5_mT6_P12ihipStream_tbENKUlT_T0_E_clISt17integral_constantIbLb1EESY_EEDaST_SU_EUlST_E0_NS1_11comp_targetILNS1_3genE3ELNS1_11target_archE908ELNS1_3gpuE7ELNS1_3repE0EEENS1_30default_config_static_selectorELNS0_4arch9wavefront6targetE1EEEvT1_
    .private_segment_fixed_size: 0
    .sgpr_count:     6
    .sgpr_spill_count: 0
    .symbol:         _ZN7rocprim17ROCPRIM_400000_NS6detail17trampoline_kernelINS0_14default_configENS1_20scan_config_selectorIN3c108BFloat16EEEZZNS1_9scan_implILNS1_25lookback_scan_determinismE0ELb0ELb0ES3_PKS6_PS6_S6_ZZZN2at6native31launch_logcumsumexp_cuda_kernelERKNSD_10TensorBaseESH_lENKUlvE_clEvENKUlvE4_clEvEUlS6_S6_E_S6_EEDaPvRmT3_T4_T5_mT6_P12ihipStream_tbENKUlT_T0_E_clISt17integral_constantIbLb1EESY_EEDaST_SU_EUlST_E0_NS1_11comp_targetILNS1_3genE3ELNS1_11target_archE908ELNS1_3gpuE7ELNS1_3repE0EEENS1_30default_config_static_selectorELNS0_4arch9wavefront6targetE1EEEvT1_.kd
    .uniform_work_group_size: 1
    .uses_dynamic_stack: false
    .vgpr_count:     0
    .vgpr_spill_count: 0
    .wavefront_size: 64
  - .agpr_count:     0
    .args:
      - .offset:         0
        .size:           32
        .value_kind:     by_value
    .group_segment_fixed_size: 0
    .kernarg_segment_align: 8
    .kernarg_segment_size: 32
    .language:       OpenCL C
    .language_version:
      - 2
      - 0
    .max_flat_workgroup_size: 256
    .name:           _ZN7rocprim17ROCPRIM_400000_NS6detail17trampoline_kernelINS0_14default_configENS1_20scan_config_selectorIN3c108BFloat16EEEZZNS1_9scan_implILNS1_25lookback_scan_determinismE0ELb0ELb0ES3_PKS6_PS6_S6_ZZZN2at6native31launch_logcumsumexp_cuda_kernelERKNSD_10TensorBaseESH_lENKUlvE_clEvENKUlvE4_clEvEUlS6_S6_E_S6_EEDaPvRmT3_T4_T5_mT6_P12ihipStream_tbENKUlT_T0_E_clISt17integral_constantIbLb1EESY_EEDaST_SU_EUlST_E0_NS1_11comp_targetILNS1_3genE2ELNS1_11target_archE906ELNS1_3gpuE6ELNS1_3repE0EEENS1_30default_config_static_selectorELNS0_4arch9wavefront6targetE1EEEvT1_
    .private_segment_fixed_size: 0
    .sgpr_count:     6
    .sgpr_spill_count: 0
    .symbol:         _ZN7rocprim17ROCPRIM_400000_NS6detail17trampoline_kernelINS0_14default_configENS1_20scan_config_selectorIN3c108BFloat16EEEZZNS1_9scan_implILNS1_25lookback_scan_determinismE0ELb0ELb0ES3_PKS6_PS6_S6_ZZZN2at6native31launch_logcumsumexp_cuda_kernelERKNSD_10TensorBaseESH_lENKUlvE_clEvENKUlvE4_clEvEUlS6_S6_E_S6_EEDaPvRmT3_T4_T5_mT6_P12ihipStream_tbENKUlT_T0_E_clISt17integral_constantIbLb1EESY_EEDaST_SU_EUlST_E0_NS1_11comp_targetILNS1_3genE2ELNS1_11target_archE906ELNS1_3gpuE6ELNS1_3repE0EEENS1_30default_config_static_selectorELNS0_4arch9wavefront6targetE1EEEvT1_.kd
    .uniform_work_group_size: 1
    .uses_dynamic_stack: false
    .vgpr_count:     0
    .vgpr_spill_count: 0
    .wavefront_size: 64
  - .agpr_count:     0
    .args:
      - .offset:         0
        .size:           32
        .value_kind:     by_value
    .group_segment_fixed_size: 0
    .kernarg_segment_align: 8
    .kernarg_segment_size: 32
    .language:       OpenCL C
    .language_version:
      - 2
      - 0
    .max_flat_workgroup_size: 256
    .name:           _ZN7rocprim17ROCPRIM_400000_NS6detail17trampoline_kernelINS0_14default_configENS1_20scan_config_selectorIN3c108BFloat16EEEZZNS1_9scan_implILNS1_25lookback_scan_determinismE0ELb0ELb0ES3_PKS6_PS6_S6_ZZZN2at6native31launch_logcumsumexp_cuda_kernelERKNSD_10TensorBaseESH_lENKUlvE_clEvENKUlvE4_clEvEUlS6_S6_E_S6_EEDaPvRmT3_T4_T5_mT6_P12ihipStream_tbENKUlT_T0_E_clISt17integral_constantIbLb1EESY_EEDaST_SU_EUlST_E0_NS1_11comp_targetILNS1_3genE10ELNS1_11target_archE1201ELNS1_3gpuE5ELNS1_3repE0EEENS1_30default_config_static_selectorELNS0_4arch9wavefront6targetE1EEEvT1_
    .private_segment_fixed_size: 0
    .sgpr_count:     6
    .sgpr_spill_count: 0
    .symbol:         _ZN7rocprim17ROCPRIM_400000_NS6detail17trampoline_kernelINS0_14default_configENS1_20scan_config_selectorIN3c108BFloat16EEEZZNS1_9scan_implILNS1_25lookback_scan_determinismE0ELb0ELb0ES3_PKS6_PS6_S6_ZZZN2at6native31launch_logcumsumexp_cuda_kernelERKNSD_10TensorBaseESH_lENKUlvE_clEvENKUlvE4_clEvEUlS6_S6_E_S6_EEDaPvRmT3_T4_T5_mT6_P12ihipStream_tbENKUlT_T0_E_clISt17integral_constantIbLb1EESY_EEDaST_SU_EUlST_E0_NS1_11comp_targetILNS1_3genE10ELNS1_11target_archE1201ELNS1_3gpuE5ELNS1_3repE0EEENS1_30default_config_static_selectorELNS0_4arch9wavefront6targetE1EEEvT1_.kd
    .uniform_work_group_size: 1
    .uses_dynamic_stack: false
    .vgpr_count:     0
    .vgpr_spill_count: 0
    .wavefront_size: 64
  - .agpr_count:     0
    .args:
      - .offset:         0
        .size:           32
        .value_kind:     by_value
    .group_segment_fixed_size: 0
    .kernarg_segment_align: 8
    .kernarg_segment_size: 32
    .language:       OpenCL C
    .language_version:
      - 2
      - 0
    .max_flat_workgroup_size: 256
    .name:           _ZN7rocprim17ROCPRIM_400000_NS6detail17trampoline_kernelINS0_14default_configENS1_20scan_config_selectorIN3c108BFloat16EEEZZNS1_9scan_implILNS1_25lookback_scan_determinismE0ELb0ELb0ES3_PKS6_PS6_S6_ZZZN2at6native31launch_logcumsumexp_cuda_kernelERKNSD_10TensorBaseESH_lENKUlvE_clEvENKUlvE4_clEvEUlS6_S6_E_S6_EEDaPvRmT3_T4_T5_mT6_P12ihipStream_tbENKUlT_T0_E_clISt17integral_constantIbLb1EESY_EEDaST_SU_EUlST_E0_NS1_11comp_targetILNS1_3genE10ELNS1_11target_archE1200ELNS1_3gpuE4ELNS1_3repE0EEENS1_30default_config_static_selectorELNS0_4arch9wavefront6targetE1EEEvT1_
    .private_segment_fixed_size: 0
    .sgpr_count:     6
    .sgpr_spill_count: 0
    .symbol:         _ZN7rocprim17ROCPRIM_400000_NS6detail17trampoline_kernelINS0_14default_configENS1_20scan_config_selectorIN3c108BFloat16EEEZZNS1_9scan_implILNS1_25lookback_scan_determinismE0ELb0ELb0ES3_PKS6_PS6_S6_ZZZN2at6native31launch_logcumsumexp_cuda_kernelERKNSD_10TensorBaseESH_lENKUlvE_clEvENKUlvE4_clEvEUlS6_S6_E_S6_EEDaPvRmT3_T4_T5_mT6_P12ihipStream_tbENKUlT_T0_E_clISt17integral_constantIbLb1EESY_EEDaST_SU_EUlST_E0_NS1_11comp_targetILNS1_3genE10ELNS1_11target_archE1200ELNS1_3gpuE4ELNS1_3repE0EEENS1_30default_config_static_selectorELNS0_4arch9wavefront6targetE1EEEvT1_.kd
    .uniform_work_group_size: 1
    .uses_dynamic_stack: false
    .vgpr_count:     0
    .vgpr_spill_count: 0
    .wavefront_size: 64
  - .agpr_count:     0
    .args:
      - .offset:         0
        .size:           32
        .value_kind:     by_value
    .group_segment_fixed_size: 0
    .kernarg_segment_align: 8
    .kernarg_segment_size: 32
    .language:       OpenCL C
    .language_version:
      - 2
      - 0
    .max_flat_workgroup_size: 64
    .name:           _ZN7rocprim17ROCPRIM_400000_NS6detail17trampoline_kernelINS0_14default_configENS1_20scan_config_selectorIN3c108BFloat16EEEZZNS1_9scan_implILNS1_25lookback_scan_determinismE0ELb0ELb0ES3_PKS6_PS6_S6_ZZZN2at6native31launch_logcumsumexp_cuda_kernelERKNSD_10TensorBaseESH_lENKUlvE_clEvENKUlvE4_clEvEUlS6_S6_E_S6_EEDaPvRmT3_T4_T5_mT6_P12ihipStream_tbENKUlT_T0_E_clISt17integral_constantIbLb1EESY_EEDaST_SU_EUlST_E0_NS1_11comp_targetILNS1_3genE9ELNS1_11target_archE1100ELNS1_3gpuE3ELNS1_3repE0EEENS1_30default_config_static_selectorELNS0_4arch9wavefront6targetE1EEEvT1_
    .private_segment_fixed_size: 0
    .sgpr_count:     6
    .sgpr_spill_count: 0
    .symbol:         _ZN7rocprim17ROCPRIM_400000_NS6detail17trampoline_kernelINS0_14default_configENS1_20scan_config_selectorIN3c108BFloat16EEEZZNS1_9scan_implILNS1_25lookback_scan_determinismE0ELb0ELb0ES3_PKS6_PS6_S6_ZZZN2at6native31launch_logcumsumexp_cuda_kernelERKNSD_10TensorBaseESH_lENKUlvE_clEvENKUlvE4_clEvEUlS6_S6_E_S6_EEDaPvRmT3_T4_T5_mT6_P12ihipStream_tbENKUlT_T0_E_clISt17integral_constantIbLb1EESY_EEDaST_SU_EUlST_E0_NS1_11comp_targetILNS1_3genE9ELNS1_11target_archE1100ELNS1_3gpuE3ELNS1_3repE0EEENS1_30default_config_static_selectorELNS0_4arch9wavefront6targetE1EEEvT1_.kd
    .uniform_work_group_size: 1
    .uses_dynamic_stack: false
    .vgpr_count:     0
    .vgpr_spill_count: 0
    .wavefront_size: 64
  - .agpr_count:     0
    .args:
      - .offset:         0
        .size:           32
        .value_kind:     by_value
    .group_segment_fixed_size: 0
    .kernarg_segment_align: 8
    .kernarg_segment_size: 32
    .language:       OpenCL C
    .language_version:
      - 2
      - 0
    .max_flat_workgroup_size: 64
    .name:           _ZN7rocprim17ROCPRIM_400000_NS6detail17trampoline_kernelINS0_14default_configENS1_20scan_config_selectorIN3c108BFloat16EEEZZNS1_9scan_implILNS1_25lookback_scan_determinismE0ELb0ELb0ES3_PKS6_PS6_S6_ZZZN2at6native31launch_logcumsumexp_cuda_kernelERKNSD_10TensorBaseESH_lENKUlvE_clEvENKUlvE4_clEvEUlS6_S6_E_S6_EEDaPvRmT3_T4_T5_mT6_P12ihipStream_tbENKUlT_T0_E_clISt17integral_constantIbLb1EESY_EEDaST_SU_EUlST_E0_NS1_11comp_targetILNS1_3genE8ELNS1_11target_archE1030ELNS1_3gpuE2ELNS1_3repE0EEENS1_30default_config_static_selectorELNS0_4arch9wavefront6targetE1EEEvT1_
    .private_segment_fixed_size: 0
    .sgpr_count:     6
    .sgpr_spill_count: 0
    .symbol:         _ZN7rocprim17ROCPRIM_400000_NS6detail17trampoline_kernelINS0_14default_configENS1_20scan_config_selectorIN3c108BFloat16EEEZZNS1_9scan_implILNS1_25lookback_scan_determinismE0ELb0ELb0ES3_PKS6_PS6_S6_ZZZN2at6native31launch_logcumsumexp_cuda_kernelERKNSD_10TensorBaseESH_lENKUlvE_clEvENKUlvE4_clEvEUlS6_S6_E_S6_EEDaPvRmT3_T4_T5_mT6_P12ihipStream_tbENKUlT_T0_E_clISt17integral_constantIbLb1EESY_EEDaST_SU_EUlST_E0_NS1_11comp_targetILNS1_3genE8ELNS1_11target_archE1030ELNS1_3gpuE2ELNS1_3repE0EEENS1_30default_config_static_selectorELNS0_4arch9wavefront6targetE1EEEvT1_.kd
    .uniform_work_group_size: 1
    .uses_dynamic_stack: false
    .vgpr_count:     0
    .vgpr_spill_count: 0
    .wavefront_size: 64
  - .agpr_count:     0
    .args:
      - .address_space:  global
        .offset:         0
        .size:           8
        .value_kind:     global_buffer
      - .offset:         8
        .size:           4
        .value_kind:     by_value
      - .offset:         12
        .size:           1
        .value_kind:     by_value
      - .offset:         16
        .size:           4
        .value_kind:     by_value
      - .address_space:  global
        .offset:         24
        .size:           8
        .value_kind:     global_buffer
      - .offset:         32
        .size:           4
        .value_kind:     hidden_block_count_x
      - .offset:         36
        .size:           4
        .value_kind:     hidden_block_count_y
      - .offset:         40
        .size:           4
        .value_kind:     hidden_block_count_z
      - .offset:         44
        .size:           2
        .value_kind:     hidden_group_size_x
      - .offset:         46
        .size:           2
        .value_kind:     hidden_group_size_y
      - .offset:         48
        .size:           2
        .value_kind:     hidden_group_size_z
      - .offset:         50
        .size:           2
        .value_kind:     hidden_remainder_x
      - .offset:         52
        .size:           2
        .value_kind:     hidden_remainder_y
      - .offset:         54
        .size:           2
        .value_kind:     hidden_remainder_z
      - .offset:         72
        .size:           8
        .value_kind:     hidden_global_offset_x
      - .offset:         80
        .size:           8
        .value_kind:     hidden_global_offset_y
      - .offset:         88
        .size:           8
        .value_kind:     hidden_global_offset_z
      - .offset:         96
        .size:           2
        .value_kind:     hidden_grid_dims
    .group_segment_fixed_size: 0
    .kernarg_segment_align: 8
    .kernarg_segment_size: 288
    .language:       OpenCL C
    .language_version:
      - 2
      - 0
    .max_flat_workgroup_size: 256
    .name:           _ZN7rocprim17ROCPRIM_400000_NS6detail31init_lookback_scan_state_kernelINS1_19lookback_scan_stateIN3c108BFloat16ELb1ELb1EEENS1_16block_id_wrapperIjLb0EEEEEvT_jT0_jPNS9_10value_typeE
    .private_segment_fixed_size: 0
    .sgpr_count:     18
    .sgpr_spill_count: 0
    .symbol:         _ZN7rocprim17ROCPRIM_400000_NS6detail31init_lookback_scan_state_kernelINS1_19lookback_scan_stateIN3c108BFloat16ELb1ELb1EEENS1_16block_id_wrapperIjLb0EEEEEvT_jT0_jPNS9_10value_typeE.kd
    .uniform_work_group_size: 1
    .uses_dynamic_stack: false
    .vgpr_count:     6
    .vgpr_spill_count: 0
    .wavefront_size: 64
  - .agpr_count:     0
    .args:
      - .offset:         0
        .size:           96
        .value_kind:     by_value
    .group_segment_fixed_size: 0
    .kernarg_segment_align: 8
    .kernarg_segment_size: 96
    .language:       OpenCL C
    .language_version:
      - 2
      - 0
    .max_flat_workgroup_size: 128
    .name:           _ZN7rocprim17ROCPRIM_400000_NS6detail17trampoline_kernelINS0_14default_configENS1_20scan_config_selectorIN3c108BFloat16EEEZZNS1_9scan_implILNS1_25lookback_scan_determinismE0ELb0ELb0ES3_PKS6_PS6_S6_ZZZN2at6native31launch_logcumsumexp_cuda_kernelERKNSD_10TensorBaseESH_lENKUlvE_clEvENKUlvE4_clEvEUlS6_S6_E_S6_EEDaPvRmT3_T4_T5_mT6_P12ihipStream_tbENKUlT_T0_E_clISt17integral_constantIbLb1EESX_IbLb0EEEEDaST_SU_EUlST_E_NS1_11comp_targetILNS1_3genE0ELNS1_11target_archE4294967295ELNS1_3gpuE0ELNS1_3repE0EEENS1_30default_config_static_selectorELNS0_4arch9wavefront6targetE1EEEvT1_
    .private_segment_fixed_size: 0
    .sgpr_count:     6
    .sgpr_spill_count: 0
    .symbol:         _ZN7rocprim17ROCPRIM_400000_NS6detail17trampoline_kernelINS0_14default_configENS1_20scan_config_selectorIN3c108BFloat16EEEZZNS1_9scan_implILNS1_25lookback_scan_determinismE0ELb0ELb0ES3_PKS6_PS6_S6_ZZZN2at6native31launch_logcumsumexp_cuda_kernelERKNSD_10TensorBaseESH_lENKUlvE_clEvENKUlvE4_clEvEUlS6_S6_E_S6_EEDaPvRmT3_T4_T5_mT6_P12ihipStream_tbENKUlT_T0_E_clISt17integral_constantIbLb1EESX_IbLb0EEEEDaST_SU_EUlST_E_NS1_11comp_targetILNS1_3genE0ELNS1_11target_archE4294967295ELNS1_3gpuE0ELNS1_3repE0EEENS1_30default_config_static_selectorELNS0_4arch9wavefront6targetE1EEEvT1_.kd
    .uniform_work_group_size: 1
    .uses_dynamic_stack: false
    .vgpr_count:     0
    .vgpr_spill_count: 0
    .wavefront_size: 64
  - .agpr_count:     0
    .args:
      - .offset:         0
        .size:           96
        .value_kind:     by_value
    .group_segment_fixed_size: 0
    .kernarg_segment_align: 8
    .kernarg_segment_size: 96
    .language:       OpenCL C
    .language_version:
      - 2
      - 0
    .max_flat_workgroup_size: 256
    .name:           _ZN7rocprim17ROCPRIM_400000_NS6detail17trampoline_kernelINS0_14default_configENS1_20scan_config_selectorIN3c108BFloat16EEEZZNS1_9scan_implILNS1_25lookback_scan_determinismE0ELb0ELb0ES3_PKS6_PS6_S6_ZZZN2at6native31launch_logcumsumexp_cuda_kernelERKNSD_10TensorBaseESH_lENKUlvE_clEvENKUlvE4_clEvEUlS6_S6_E_S6_EEDaPvRmT3_T4_T5_mT6_P12ihipStream_tbENKUlT_T0_E_clISt17integral_constantIbLb1EESX_IbLb0EEEEDaST_SU_EUlST_E_NS1_11comp_targetILNS1_3genE5ELNS1_11target_archE942ELNS1_3gpuE9ELNS1_3repE0EEENS1_30default_config_static_selectorELNS0_4arch9wavefront6targetE1EEEvT1_
    .private_segment_fixed_size: 0
    .sgpr_count:     6
    .sgpr_spill_count: 0
    .symbol:         _ZN7rocprim17ROCPRIM_400000_NS6detail17trampoline_kernelINS0_14default_configENS1_20scan_config_selectorIN3c108BFloat16EEEZZNS1_9scan_implILNS1_25lookback_scan_determinismE0ELb0ELb0ES3_PKS6_PS6_S6_ZZZN2at6native31launch_logcumsumexp_cuda_kernelERKNSD_10TensorBaseESH_lENKUlvE_clEvENKUlvE4_clEvEUlS6_S6_E_S6_EEDaPvRmT3_T4_T5_mT6_P12ihipStream_tbENKUlT_T0_E_clISt17integral_constantIbLb1EESX_IbLb0EEEEDaST_SU_EUlST_E_NS1_11comp_targetILNS1_3genE5ELNS1_11target_archE942ELNS1_3gpuE9ELNS1_3repE0EEENS1_30default_config_static_selectorELNS0_4arch9wavefront6targetE1EEEvT1_.kd
    .uniform_work_group_size: 1
    .uses_dynamic_stack: false
    .vgpr_count:     0
    .vgpr_spill_count: 0
    .wavefront_size: 64
  - .agpr_count:     0
    .args:
      - .offset:         0
        .size:           96
        .value_kind:     by_value
    .group_segment_fixed_size: 0
    .kernarg_segment_align: 8
    .kernarg_segment_size: 96
    .language:       OpenCL C
    .language_version:
      - 2
      - 0
    .max_flat_workgroup_size: 64
    .name:           _ZN7rocprim17ROCPRIM_400000_NS6detail17trampoline_kernelINS0_14default_configENS1_20scan_config_selectorIN3c108BFloat16EEEZZNS1_9scan_implILNS1_25lookback_scan_determinismE0ELb0ELb0ES3_PKS6_PS6_S6_ZZZN2at6native31launch_logcumsumexp_cuda_kernelERKNSD_10TensorBaseESH_lENKUlvE_clEvENKUlvE4_clEvEUlS6_S6_E_S6_EEDaPvRmT3_T4_T5_mT6_P12ihipStream_tbENKUlT_T0_E_clISt17integral_constantIbLb1EESX_IbLb0EEEEDaST_SU_EUlST_E_NS1_11comp_targetILNS1_3genE4ELNS1_11target_archE910ELNS1_3gpuE8ELNS1_3repE0EEENS1_30default_config_static_selectorELNS0_4arch9wavefront6targetE1EEEvT1_
    .private_segment_fixed_size: 0
    .sgpr_count:     6
    .sgpr_spill_count: 0
    .symbol:         _ZN7rocprim17ROCPRIM_400000_NS6detail17trampoline_kernelINS0_14default_configENS1_20scan_config_selectorIN3c108BFloat16EEEZZNS1_9scan_implILNS1_25lookback_scan_determinismE0ELb0ELb0ES3_PKS6_PS6_S6_ZZZN2at6native31launch_logcumsumexp_cuda_kernelERKNSD_10TensorBaseESH_lENKUlvE_clEvENKUlvE4_clEvEUlS6_S6_E_S6_EEDaPvRmT3_T4_T5_mT6_P12ihipStream_tbENKUlT_T0_E_clISt17integral_constantIbLb1EESX_IbLb0EEEEDaST_SU_EUlST_E_NS1_11comp_targetILNS1_3genE4ELNS1_11target_archE910ELNS1_3gpuE8ELNS1_3repE0EEENS1_30default_config_static_selectorELNS0_4arch9wavefront6targetE1EEEvT1_.kd
    .uniform_work_group_size: 1
    .uses_dynamic_stack: false
    .vgpr_count:     0
    .vgpr_spill_count: 0
    .wavefront_size: 64
  - .agpr_count:     0
    .args:
      - .offset:         0
        .size:           96
        .value_kind:     by_value
    .group_segment_fixed_size: 0
    .kernarg_segment_align: 8
    .kernarg_segment_size: 96
    .language:       OpenCL C
    .language_version:
      - 2
      - 0
    .max_flat_workgroup_size: 128
    .name:           _ZN7rocprim17ROCPRIM_400000_NS6detail17trampoline_kernelINS0_14default_configENS1_20scan_config_selectorIN3c108BFloat16EEEZZNS1_9scan_implILNS1_25lookback_scan_determinismE0ELb0ELb0ES3_PKS6_PS6_S6_ZZZN2at6native31launch_logcumsumexp_cuda_kernelERKNSD_10TensorBaseESH_lENKUlvE_clEvENKUlvE4_clEvEUlS6_S6_E_S6_EEDaPvRmT3_T4_T5_mT6_P12ihipStream_tbENKUlT_T0_E_clISt17integral_constantIbLb1EESX_IbLb0EEEEDaST_SU_EUlST_E_NS1_11comp_targetILNS1_3genE3ELNS1_11target_archE908ELNS1_3gpuE7ELNS1_3repE0EEENS1_30default_config_static_selectorELNS0_4arch9wavefront6targetE1EEEvT1_
    .private_segment_fixed_size: 0
    .sgpr_count:     6
    .sgpr_spill_count: 0
    .symbol:         _ZN7rocprim17ROCPRIM_400000_NS6detail17trampoline_kernelINS0_14default_configENS1_20scan_config_selectorIN3c108BFloat16EEEZZNS1_9scan_implILNS1_25lookback_scan_determinismE0ELb0ELb0ES3_PKS6_PS6_S6_ZZZN2at6native31launch_logcumsumexp_cuda_kernelERKNSD_10TensorBaseESH_lENKUlvE_clEvENKUlvE4_clEvEUlS6_S6_E_S6_EEDaPvRmT3_T4_T5_mT6_P12ihipStream_tbENKUlT_T0_E_clISt17integral_constantIbLb1EESX_IbLb0EEEEDaST_SU_EUlST_E_NS1_11comp_targetILNS1_3genE3ELNS1_11target_archE908ELNS1_3gpuE7ELNS1_3repE0EEENS1_30default_config_static_selectorELNS0_4arch9wavefront6targetE1EEEvT1_.kd
    .uniform_work_group_size: 1
    .uses_dynamic_stack: false
    .vgpr_count:     0
    .vgpr_spill_count: 0
    .wavefront_size: 64
  - .agpr_count:     0
    .args:
      - .offset:         0
        .size:           96
        .value_kind:     by_value
    .group_segment_fixed_size: 0
    .kernarg_segment_align: 8
    .kernarg_segment_size: 96
    .language:       OpenCL C
    .language_version:
      - 2
      - 0
    .max_flat_workgroup_size: 256
    .name:           _ZN7rocprim17ROCPRIM_400000_NS6detail17trampoline_kernelINS0_14default_configENS1_20scan_config_selectorIN3c108BFloat16EEEZZNS1_9scan_implILNS1_25lookback_scan_determinismE0ELb0ELb0ES3_PKS6_PS6_S6_ZZZN2at6native31launch_logcumsumexp_cuda_kernelERKNSD_10TensorBaseESH_lENKUlvE_clEvENKUlvE4_clEvEUlS6_S6_E_S6_EEDaPvRmT3_T4_T5_mT6_P12ihipStream_tbENKUlT_T0_E_clISt17integral_constantIbLb1EESX_IbLb0EEEEDaST_SU_EUlST_E_NS1_11comp_targetILNS1_3genE2ELNS1_11target_archE906ELNS1_3gpuE6ELNS1_3repE0EEENS1_30default_config_static_selectorELNS0_4arch9wavefront6targetE1EEEvT1_
    .private_segment_fixed_size: 0
    .sgpr_count:     6
    .sgpr_spill_count: 0
    .symbol:         _ZN7rocprim17ROCPRIM_400000_NS6detail17trampoline_kernelINS0_14default_configENS1_20scan_config_selectorIN3c108BFloat16EEEZZNS1_9scan_implILNS1_25lookback_scan_determinismE0ELb0ELb0ES3_PKS6_PS6_S6_ZZZN2at6native31launch_logcumsumexp_cuda_kernelERKNSD_10TensorBaseESH_lENKUlvE_clEvENKUlvE4_clEvEUlS6_S6_E_S6_EEDaPvRmT3_T4_T5_mT6_P12ihipStream_tbENKUlT_T0_E_clISt17integral_constantIbLb1EESX_IbLb0EEEEDaST_SU_EUlST_E_NS1_11comp_targetILNS1_3genE2ELNS1_11target_archE906ELNS1_3gpuE6ELNS1_3repE0EEENS1_30default_config_static_selectorELNS0_4arch9wavefront6targetE1EEEvT1_.kd
    .uniform_work_group_size: 1
    .uses_dynamic_stack: false
    .vgpr_count:     0
    .vgpr_spill_count: 0
    .wavefront_size: 64
  - .agpr_count:     0
    .args:
      - .offset:         0
        .size:           96
        .value_kind:     by_value
    .group_segment_fixed_size: 0
    .kernarg_segment_align: 8
    .kernarg_segment_size: 96
    .language:       OpenCL C
    .language_version:
      - 2
      - 0
    .max_flat_workgroup_size: 256
    .name:           _ZN7rocprim17ROCPRIM_400000_NS6detail17trampoline_kernelINS0_14default_configENS1_20scan_config_selectorIN3c108BFloat16EEEZZNS1_9scan_implILNS1_25lookback_scan_determinismE0ELb0ELb0ES3_PKS6_PS6_S6_ZZZN2at6native31launch_logcumsumexp_cuda_kernelERKNSD_10TensorBaseESH_lENKUlvE_clEvENKUlvE4_clEvEUlS6_S6_E_S6_EEDaPvRmT3_T4_T5_mT6_P12ihipStream_tbENKUlT_T0_E_clISt17integral_constantIbLb1EESX_IbLb0EEEEDaST_SU_EUlST_E_NS1_11comp_targetILNS1_3genE10ELNS1_11target_archE1201ELNS1_3gpuE5ELNS1_3repE0EEENS1_30default_config_static_selectorELNS0_4arch9wavefront6targetE1EEEvT1_
    .private_segment_fixed_size: 0
    .sgpr_count:     6
    .sgpr_spill_count: 0
    .symbol:         _ZN7rocprim17ROCPRIM_400000_NS6detail17trampoline_kernelINS0_14default_configENS1_20scan_config_selectorIN3c108BFloat16EEEZZNS1_9scan_implILNS1_25lookback_scan_determinismE0ELb0ELb0ES3_PKS6_PS6_S6_ZZZN2at6native31launch_logcumsumexp_cuda_kernelERKNSD_10TensorBaseESH_lENKUlvE_clEvENKUlvE4_clEvEUlS6_S6_E_S6_EEDaPvRmT3_T4_T5_mT6_P12ihipStream_tbENKUlT_T0_E_clISt17integral_constantIbLb1EESX_IbLb0EEEEDaST_SU_EUlST_E_NS1_11comp_targetILNS1_3genE10ELNS1_11target_archE1201ELNS1_3gpuE5ELNS1_3repE0EEENS1_30default_config_static_selectorELNS0_4arch9wavefront6targetE1EEEvT1_.kd
    .uniform_work_group_size: 1
    .uses_dynamic_stack: false
    .vgpr_count:     0
    .vgpr_spill_count: 0
    .wavefront_size: 64
  - .agpr_count:     0
    .args:
      - .offset:         0
        .size:           96
        .value_kind:     by_value
    .group_segment_fixed_size: 0
    .kernarg_segment_align: 8
    .kernarg_segment_size: 96
    .language:       OpenCL C
    .language_version:
      - 2
      - 0
    .max_flat_workgroup_size: 256
    .name:           _ZN7rocprim17ROCPRIM_400000_NS6detail17trampoline_kernelINS0_14default_configENS1_20scan_config_selectorIN3c108BFloat16EEEZZNS1_9scan_implILNS1_25lookback_scan_determinismE0ELb0ELb0ES3_PKS6_PS6_S6_ZZZN2at6native31launch_logcumsumexp_cuda_kernelERKNSD_10TensorBaseESH_lENKUlvE_clEvENKUlvE4_clEvEUlS6_S6_E_S6_EEDaPvRmT3_T4_T5_mT6_P12ihipStream_tbENKUlT_T0_E_clISt17integral_constantIbLb1EESX_IbLb0EEEEDaST_SU_EUlST_E_NS1_11comp_targetILNS1_3genE10ELNS1_11target_archE1200ELNS1_3gpuE4ELNS1_3repE0EEENS1_30default_config_static_selectorELNS0_4arch9wavefront6targetE1EEEvT1_
    .private_segment_fixed_size: 0
    .sgpr_count:     6
    .sgpr_spill_count: 0
    .symbol:         _ZN7rocprim17ROCPRIM_400000_NS6detail17trampoline_kernelINS0_14default_configENS1_20scan_config_selectorIN3c108BFloat16EEEZZNS1_9scan_implILNS1_25lookback_scan_determinismE0ELb0ELb0ES3_PKS6_PS6_S6_ZZZN2at6native31launch_logcumsumexp_cuda_kernelERKNSD_10TensorBaseESH_lENKUlvE_clEvENKUlvE4_clEvEUlS6_S6_E_S6_EEDaPvRmT3_T4_T5_mT6_P12ihipStream_tbENKUlT_T0_E_clISt17integral_constantIbLb1EESX_IbLb0EEEEDaST_SU_EUlST_E_NS1_11comp_targetILNS1_3genE10ELNS1_11target_archE1200ELNS1_3gpuE4ELNS1_3repE0EEENS1_30default_config_static_selectorELNS0_4arch9wavefront6targetE1EEEvT1_.kd
    .uniform_work_group_size: 1
    .uses_dynamic_stack: false
    .vgpr_count:     0
    .vgpr_spill_count: 0
    .wavefront_size: 64
  - .agpr_count:     0
    .args:
      - .offset:         0
        .size:           96
        .value_kind:     by_value
    .group_segment_fixed_size: 0
    .kernarg_segment_align: 8
    .kernarg_segment_size: 96
    .language:       OpenCL C
    .language_version:
      - 2
      - 0
    .max_flat_workgroup_size: 64
    .name:           _ZN7rocprim17ROCPRIM_400000_NS6detail17trampoline_kernelINS0_14default_configENS1_20scan_config_selectorIN3c108BFloat16EEEZZNS1_9scan_implILNS1_25lookback_scan_determinismE0ELb0ELb0ES3_PKS6_PS6_S6_ZZZN2at6native31launch_logcumsumexp_cuda_kernelERKNSD_10TensorBaseESH_lENKUlvE_clEvENKUlvE4_clEvEUlS6_S6_E_S6_EEDaPvRmT3_T4_T5_mT6_P12ihipStream_tbENKUlT_T0_E_clISt17integral_constantIbLb1EESX_IbLb0EEEEDaST_SU_EUlST_E_NS1_11comp_targetILNS1_3genE9ELNS1_11target_archE1100ELNS1_3gpuE3ELNS1_3repE0EEENS1_30default_config_static_selectorELNS0_4arch9wavefront6targetE1EEEvT1_
    .private_segment_fixed_size: 0
    .sgpr_count:     6
    .sgpr_spill_count: 0
    .symbol:         _ZN7rocprim17ROCPRIM_400000_NS6detail17trampoline_kernelINS0_14default_configENS1_20scan_config_selectorIN3c108BFloat16EEEZZNS1_9scan_implILNS1_25lookback_scan_determinismE0ELb0ELb0ES3_PKS6_PS6_S6_ZZZN2at6native31launch_logcumsumexp_cuda_kernelERKNSD_10TensorBaseESH_lENKUlvE_clEvENKUlvE4_clEvEUlS6_S6_E_S6_EEDaPvRmT3_T4_T5_mT6_P12ihipStream_tbENKUlT_T0_E_clISt17integral_constantIbLb1EESX_IbLb0EEEEDaST_SU_EUlST_E_NS1_11comp_targetILNS1_3genE9ELNS1_11target_archE1100ELNS1_3gpuE3ELNS1_3repE0EEENS1_30default_config_static_selectorELNS0_4arch9wavefront6targetE1EEEvT1_.kd
    .uniform_work_group_size: 1
    .uses_dynamic_stack: false
    .vgpr_count:     0
    .vgpr_spill_count: 0
    .wavefront_size: 64
  - .agpr_count:     0
    .args:
      - .offset:         0
        .size:           96
        .value_kind:     by_value
    .group_segment_fixed_size: 0
    .kernarg_segment_align: 8
    .kernarg_segment_size: 96
    .language:       OpenCL C
    .language_version:
      - 2
      - 0
    .max_flat_workgroup_size: 64
    .name:           _ZN7rocprim17ROCPRIM_400000_NS6detail17trampoline_kernelINS0_14default_configENS1_20scan_config_selectorIN3c108BFloat16EEEZZNS1_9scan_implILNS1_25lookback_scan_determinismE0ELb0ELb0ES3_PKS6_PS6_S6_ZZZN2at6native31launch_logcumsumexp_cuda_kernelERKNSD_10TensorBaseESH_lENKUlvE_clEvENKUlvE4_clEvEUlS6_S6_E_S6_EEDaPvRmT3_T4_T5_mT6_P12ihipStream_tbENKUlT_T0_E_clISt17integral_constantIbLb1EESX_IbLb0EEEEDaST_SU_EUlST_E_NS1_11comp_targetILNS1_3genE8ELNS1_11target_archE1030ELNS1_3gpuE2ELNS1_3repE0EEENS1_30default_config_static_selectorELNS0_4arch9wavefront6targetE1EEEvT1_
    .private_segment_fixed_size: 0
    .sgpr_count:     6
    .sgpr_spill_count: 0
    .symbol:         _ZN7rocprim17ROCPRIM_400000_NS6detail17trampoline_kernelINS0_14default_configENS1_20scan_config_selectorIN3c108BFloat16EEEZZNS1_9scan_implILNS1_25lookback_scan_determinismE0ELb0ELb0ES3_PKS6_PS6_S6_ZZZN2at6native31launch_logcumsumexp_cuda_kernelERKNSD_10TensorBaseESH_lENKUlvE_clEvENKUlvE4_clEvEUlS6_S6_E_S6_EEDaPvRmT3_T4_T5_mT6_P12ihipStream_tbENKUlT_T0_E_clISt17integral_constantIbLb1EESX_IbLb0EEEEDaST_SU_EUlST_E_NS1_11comp_targetILNS1_3genE8ELNS1_11target_archE1030ELNS1_3gpuE2ELNS1_3repE0EEENS1_30default_config_static_selectorELNS0_4arch9wavefront6targetE1EEEvT1_.kd
    .uniform_work_group_size: 1
    .uses_dynamic_stack: false
    .vgpr_count:     0
    .vgpr_spill_count: 0
    .wavefront_size: 64
  - .agpr_count:     0
    .args:
      - .offset:         0
        .size:           32
        .value_kind:     by_value
    .group_segment_fixed_size: 3584
    .kernarg_segment_align: 8
    .kernarg_segment_size: 32
    .language:       OpenCL C
    .language_version:
      - 2
      - 0
    .max_flat_workgroup_size: 128
    .name:           _ZN7rocprim17ROCPRIM_400000_NS6detail17trampoline_kernelINS0_14default_configENS1_20scan_config_selectorIN3c108BFloat16EEEZZNS1_9scan_implILNS1_25lookback_scan_determinismE0ELb0ELb0ES3_PKS6_PS6_S6_ZZZN2at6native31launch_logcumsumexp_cuda_kernelERKNSD_10TensorBaseESH_lENKUlvE_clEvENKUlvE4_clEvEUlS6_S6_E_S6_EEDaPvRmT3_T4_T5_mT6_P12ihipStream_tbENKUlT_T0_E_clISt17integral_constantIbLb1EESX_IbLb0EEEEDaST_SU_EUlST_E0_NS1_11comp_targetILNS1_3genE0ELNS1_11target_archE4294967295ELNS1_3gpuE0ELNS1_3repE0EEENS1_30default_config_static_selectorELNS0_4arch9wavefront6targetE1EEEvT1_
    .private_segment_fixed_size: 0
    .sgpr_count:     74
    .sgpr_spill_count: 0
    .symbol:         _ZN7rocprim17ROCPRIM_400000_NS6detail17trampoline_kernelINS0_14default_configENS1_20scan_config_selectorIN3c108BFloat16EEEZZNS1_9scan_implILNS1_25lookback_scan_determinismE0ELb0ELb0ES3_PKS6_PS6_S6_ZZZN2at6native31launch_logcumsumexp_cuda_kernelERKNSD_10TensorBaseESH_lENKUlvE_clEvENKUlvE4_clEvEUlS6_S6_E_S6_EEDaPvRmT3_T4_T5_mT6_P12ihipStream_tbENKUlT_T0_E_clISt17integral_constantIbLb1EESX_IbLb0EEEEDaST_SU_EUlST_E0_NS1_11comp_targetILNS1_3genE0ELNS1_11target_archE4294967295ELNS1_3gpuE0ELNS1_3repE0EEENS1_30default_config_static_selectorELNS0_4arch9wavefront6targetE1EEEvT1_.kd
    .uniform_work_group_size: 1
    .uses_dynamic_stack: false
    .vgpr_count:     54
    .vgpr_spill_count: 0
    .wavefront_size: 64
  - .agpr_count:     0
    .args:
      - .offset:         0
        .size:           32
        .value_kind:     by_value
    .group_segment_fixed_size: 0
    .kernarg_segment_align: 8
    .kernarg_segment_size: 32
    .language:       OpenCL C
    .language_version:
      - 2
      - 0
    .max_flat_workgroup_size: 256
    .name:           _ZN7rocprim17ROCPRIM_400000_NS6detail17trampoline_kernelINS0_14default_configENS1_20scan_config_selectorIN3c108BFloat16EEEZZNS1_9scan_implILNS1_25lookback_scan_determinismE0ELb0ELb0ES3_PKS6_PS6_S6_ZZZN2at6native31launch_logcumsumexp_cuda_kernelERKNSD_10TensorBaseESH_lENKUlvE_clEvENKUlvE4_clEvEUlS6_S6_E_S6_EEDaPvRmT3_T4_T5_mT6_P12ihipStream_tbENKUlT_T0_E_clISt17integral_constantIbLb1EESX_IbLb0EEEEDaST_SU_EUlST_E0_NS1_11comp_targetILNS1_3genE5ELNS1_11target_archE942ELNS1_3gpuE9ELNS1_3repE0EEENS1_30default_config_static_selectorELNS0_4arch9wavefront6targetE1EEEvT1_
    .private_segment_fixed_size: 0
    .sgpr_count:     6
    .sgpr_spill_count: 0
    .symbol:         _ZN7rocprim17ROCPRIM_400000_NS6detail17trampoline_kernelINS0_14default_configENS1_20scan_config_selectorIN3c108BFloat16EEEZZNS1_9scan_implILNS1_25lookback_scan_determinismE0ELb0ELb0ES3_PKS6_PS6_S6_ZZZN2at6native31launch_logcumsumexp_cuda_kernelERKNSD_10TensorBaseESH_lENKUlvE_clEvENKUlvE4_clEvEUlS6_S6_E_S6_EEDaPvRmT3_T4_T5_mT6_P12ihipStream_tbENKUlT_T0_E_clISt17integral_constantIbLb1EESX_IbLb0EEEEDaST_SU_EUlST_E0_NS1_11comp_targetILNS1_3genE5ELNS1_11target_archE942ELNS1_3gpuE9ELNS1_3repE0EEENS1_30default_config_static_selectorELNS0_4arch9wavefront6targetE1EEEvT1_.kd
    .uniform_work_group_size: 1
    .uses_dynamic_stack: false
    .vgpr_count:     0
    .vgpr_spill_count: 0
    .wavefront_size: 64
  - .agpr_count:     0
    .args:
      - .offset:         0
        .size:           32
        .value_kind:     by_value
    .group_segment_fixed_size: 0
    .kernarg_segment_align: 8
    .kernarg_segment_size: 32
    .language:       OpenCL C
    .language_version:
      - 2
      - 0
    .max_flat_workgroup_size: 64
    .name:           _ZN7rocprim17ROCPRIM_400000_NS6detail17trampoline_kernelINS0_14default_configENS1_20scan_config_selectorIN3c108BFloat16EEEZZNS1_9scan_implILNS1_25lookback_scan_determinismE0ELb0ELb0ES3_PKS6_PS6_S6_ZZZN2at6native31launch_logcumsumexp_cuda_kernelERKNSD_10TensorBaseESH_lENKUlvE_clEvENKUlvE4_clEvEUlS6_S6_E_S6_EEDaPvRmT3_T4_T5_mT6_P12ihipStream_tbENKUlT_T0_E_clISt17integral_constantIbLb1EESX_IbLb0EEEEDaST_SU_EUlST_E0_NS1_11comp_targetILNS1_3genE4ELNS1_11target_archE910ELNS1_3gpuE8ELNS1_3repE0EEENS1_30default_config_static_selectorELNS0_4arch9wavefront6targetE1EEEvT1_
    .private_segment_fixed_size: 0
    .sgpr_count:     6
    .sgpr_spill_count: 0
    .symbol:         _ZN7rocprim17ROCPRIM_400000_NS6detail17trampoline_kernelINS0_14default_configENS1_20scan_config_selectorIN3c108BFloat16EEEZZNS1_9scan_implILNS1_25lookback_scan_determinismE0ELb0ELb0ES3_PKS6_PS6_S6_ZZZN2at6native31launch_logcumsumexp_cuda_kernelERKNSD_10TensorBaseESH_lENKUlvE_clEvENKUlvE4_clEvEUlS6_S6_E_S6_EEDaPvRmT3_T4_T5_mT6_P12ihipStream_tbENKUlT_T0_E_clISt17integral_constantIbLb1EESX_IbLb0EEEEDaST_SU_EUlST_E0_NS1_11comp_targetILNS1_3genE4ELNS1_11target_archE910ELNS1_3gpuE8ELNS1_3repE0EEENS1_30default_config_static_selectorELNS0_4arch9wavefront6targetE1EEEvT1_.kd
    .uniform_work_group_size: 1
    .uses_dynamic_stack: false
    .vgpr_count:     0
    .vgpr_spill_count: 0
    .wavefront_size: 64
  - .agpr_count:     0
    .args:
      - .offset:         0
        .size:           32
        .value_kind:     by_value
    .group_segment_fixed_size: 0
    .kernarg_segment_align: 8
    .kernarg_segment_size: 32
    .language:       OpenCL C
    .language_version:
      - 2
      - 0
    .max_flat_workgroup_size: 128
    .name:           _ZN7rocprim17ROCPRIM_400000_NS6detail17trampoline_kernelINS0_14default_configENS1_20scan_config_selectorIN3c108BFloat16EEEZZNS1_9scan_implILNS1_25lookback_scan_determinismE0ELb0ELb0ES3_PKS6_PS6_S6_ZZZN2at6native31launch_logcumsumexp_cuda_kernelERKNSD_10TensorBaseESH_lENKUlvE_clEvENKUlvE4_clEvEUlS6_S6_E_S6_EEDaPvRmT3_T4_T5_mT6_P12ihipStream_tbENKUlT_T0_E_clISt17integral_constantIbLb1EESX_IbLb0EEEEDaST_SU_EUlST_E0_NS1_11comp_targetILNS1_3genE3ELNS1_11target_archE908ELNS1_3gpuE7ELNS1_3repE0EEENS1_30default_config_static_selectorELNS0_4arch9wavefront6targetE1EEEvT1_
    .private_segment_fixed_size: 0
    .sgpr_count:     6
    .sgpr_spill_count: 0
    .symbol:         _ZN7rocprim17ROCPRIM_400000_NS6detail17trampoline_kernelINS0_14default_configENS1_20scan_config_selectorIN3c108BFloat16EEEZZNS1_9scan_implILNS1_25lookback_scan_determinismE0ELb0ELb0ES3_PKS6_PS6_S6_ZZZN2at6native31launch_logcumsumexp_cuda_kernelERKNSD_10TensorBaseESH_lENKUlvE_clEvENKUlvE4_clEvEUlS6_S6_E_S6_EEDaPvRmT3_T4_T5_mT6_P12ihipStream_tbENKUlT_T0_E_clISt17integral_constantIbLb1EESX_IbLb0EEEEDaST_SU_EUlST_E0_NS1_11comp_targetILNS1_3genE3ELNS1_11target_archE908ELNS1_3gpuE7ELNS1_3repE0EEENS1_30default_config_static_selectorELNS0_4arch9wavefront6targetE1EEEvT1_.kd
    .uniform_work_group_size: 1
    .uses_dynamic_stack: false
    .vgpr_count:     0
    .vgpr_spill_count: 0
    .wavefront_size: 64
  - .agpr_count:     0
    .args:
      - .offset:         0
        .size:           32
        .value_kind:     by_value
    .group_segment_fixed_size: 0
    .kernarg_segment_align: 8
    .kernarg_segment_size: 32
    .language:       OpenCL C
    .language_version:
      - 2
      - 0
    .max_flat_workgroup_size: 256
    .name:           _ZN7rocprim17ROCPRIM_400000_NS6detail17trampoline_kernelINS0_14default_configENS1_20scan_config_selectorIN3c108BFloat16EEEZZNS1_9scan_implILNS1_25lookback_scan_determinismE0ELb0ELb0ES3_PKS6_PS6_S6_ZZZN2at6native31launch_logcumsumexp_cuda_kernelERKNSD_10TensorBaseESH_lENKUlvE_clEvENKUlvE4_clEvEUlS6_S6_E_S6_EEDaPvRmT3_T4_T5_mT6_P12ihipStream_tbENKUlT_T0_E_clISt17integral_constantIbLb1EESX_IbLb0EEEEDaST_SU_EUlST_E0_NS1_11comp_targetILNS1_3genE2ELNS1_11target_archE906ELNS1_3gpuE6ELNS1_3repE0EEENS1_30default_config_static_selectorELNS0_4arch9wavefront6targetE1EEEvT1_
    .private_segment_fixed_size: 0
    .sgpr_count:     6
    .sgpr_spill_count: 0
    .symbol:         _ZN7rocprim17ROCPRIM_400000_NS6detail17trampoline_kernelINS0_14default_configENS1_20scan_config_selectorIN3c108BFloat16EEEZZNS1_9scan_implILNS1_25lookback_scan_determinismE0ELb0ELb0ES3_PKS6_PS6_S6_ZZZN2at6native31launch_logcumsumexp_cuda_kernelERKNSD_10TensorBaseESH_lENKUlvE_clEvENKUlvE4_clEvEUlS6_S6_E_S6_EEDaPvRmT3_T4_T5_mT6_P12ihipStream_tbENKUlT_T0_E_clISt17integral_constantIbLb1EESX_IbLb0EEEEDaST_SU_EUlST_E0_NS1_11comp_targetILNS1_3genE2ELNS1_11target_archE906ELNS1_3gpuE6ELNS1_3repE0EEENS1_30default_config_static_selectorELNS0_4arch9wavefront6targetE1EEEvT1_.kd
    .uniform_work_group_size: 1
    .uses_dynamic_stack: false
    .vgpr_count:     0
    .vgpr_spill_count: 0
    .wavefront_size: 64
  - .agpr_count:     0
    .args:
      - .offset:         0
        .size:           32
        .value_kind:     by_value
    .group_segment_fixed_size: 0
    .kernarg_segment_align: 8
    .kernarg_segment_size: 32
    .language:       OpenCL C
    .language_version:
      - 2
      - 0
    .max_flat_workgroup_size: 256
    .name:           _ZN7rocprim17ROCPRIM_400000_NS6detail17trampoline_kernelINS0_14default_configENS1_20scan_config_selectorIN3c108BFloat16EEEZZNS1_9scan_implILNS1_25lookback_scan_determinismE0ELb0ELb0ES3_PKS6_PS6_S6_ZZZN2at6native31launch_logcumsumexp_cuda_kernelERKNSD_10TensorBaseESH_lENKUlvE_clEvENKUlvE4_clEvEUlS6_S6_E_S6_EEDaPvRmT3_T4_T5_mT6_P12ihipStream_tbENKUlT_T0_E_clISt17integral_constantIbLb1EESX_IbLb0EEEEDaST_SU_EUlST_E0_NS1_11comp_targetILNS1_3genE10ELNS1_11target_archE1201ELNS1_3gpuE5ELNS1_3repE0EEENS1_30default_config_static_selectorELNS0_4arch9wavefront6targetE1EEEvT1_
    .private_segment_fixed_size: 0
    .sgpr_count:     6
    .sgpr_spill_count: 0
    .symbol:         _ZN7rocprim17ROCPRIM_400000_NS6detail17trampoline_kernelINS0_14default_configENS1_20scan_config_selectorIN3c108BFloat16EEEZZNS1_9scan_implILNS1_25lookback_scan_determinismE0ELb0ELb0ES3_PKS6_PS6_S6_ZZZN2at6native31launch_logcumsumexp_cuda_kernelERKNSD_10TensorBaseESH_lENKUlvE_clEvENKUlvE4_clEvEUlS6_S6_E_S6_EEDaPvRmT3_T4_T5_mT6_P12ihipStream_tbENKUlT_T0_E_clISt17integral_constantIbLb1EESX_IbLb0EEEEDaST_SU_EUlST_E0_NS1_11comp_targetILNS1_3genE10ELNS1_11target_archE1201ELNS1_3gpuE5ELNS1_3repE0EEENS1_30default_config_static_selectorELNS0_4arch9wavefront6targetE1EEEvT1_.kd
    .uniform_work_group_size: 1
    .uses_dynamic_stack: false
    .vgpr_count:     0
    .vgpr_spill_count: 0
    .wavefront_size: 64
  - .agpr_count:     0
    .args:
      - .offset:         0
        .size:           32
        .value_kind:     by_value
    .group_segment_fixed_size: 0
    .kernarg_segment_align: 8
    .kernarg_segment_size: 32
    .language:       OpenCL C
    .language_version:
      - 2
      - 0
    .max_flat_workgroup_size: 256
    .name:           _ZN7rocprim17ROCPRIM_400000_NS6detail17trampoline_kernelINS0_14default_configENS1_20scan_config_selectorIN3c108BFloat16EEEZZNS1_9scan_implILNS1_25lookback_scan_determinismE0ELb0ELb0ES3_PKS6_PS6_S6_ZZZN2at6native31launch_logcumsumexp_cuda_kernelERKNSD_10TensorBaseESH_lENKUlvE_clEvENKUlvE4_clEvEUlS6_S6_E_S6_EEDaPvRmT3_T4_T5_mT6_P12ihipStream_tbENKUlT_T0_E_clISt17integral_constantIbLb1EESX_IbLb0EEEEDaST_SU_EUlST_E0_NS1_11comp_targetILNS1_3genE10ELNS1_11target_archE1200ELNS1_3gpuE4ELNS1_3repE0EEENS1_30default_config_static_selectorELNS0_4arch9wavefront6targetE1EEEvT1_
    .private_segment_fixed_size: 0
    .sgpr_count:     6
    .sgpr_spill_count: 0
    .symbol:         _ZN7rocprim17ROCPRIM_400000_NS6detail17trampoline_kernelINS0_14default_configENS1_20scan_config_selectorIN3c108BFloat16EEEZZNS1_9scan_implILNS1_25lookback_scan_determinismE0ELb0ELb0ES3_PKS6_PS6_S6_ZZZN2at6native31launch_logcumsumexp_cuda_kernelERKNSD_10TensorBaseESH_lENKUlvE_clEvENKUlvE4_clEvEUlS6_S6_E_S6_EEDaPvRmT3_T4_T5_mT6_P12ihipStream_tbENKUlT_T0_E_clISt17integral_constantIbLb1EESX_IbLb0EEEEDaST_SU_EUlST_E0_NS1_11comp_targetILNS1_3genE10ELNS1_11target_archE1200ELNS1_3gpuE4ELNS1_3repE0EEENS1_30default_config_static_selectorELNS0_4arch9wavefront6targetE1EEEvT1_.kd
    .uniform_work_group_size: 1
    .uses_dynamic_stack: false
    .vgpr_count:     0
    .vgpr_spill_count: 0
    .wavefront_size: 64
  - .agpr_count:     0
    .args:
      - .offset:         0
        .size:           32
        .value_kind:     by_value
    .group_segment_fixed_size: 0
    .kernarg_segment_align: 8
    .kernarg_segment_size: 32
    .language:       OpenCL C
    .language_version:
      - 2
      - 0
    .max_flat_workgroup_size: 64
    .name:           _ZN7rocprim17ROCPRIM_400000_NS6detail17trampoline_kernelINS0_14default_configENS1_20scan_config_selectorIN3c108BFloat16EEEZZNS1_9scan_implILNS1_25lookback_scan_determinismE0ELb0ELb0ES3_PKS6_PS6_S6_ZZZN2at6native31launch_logcumsumexp_cuda_kernelERKNSD_10TensorBaseESH_lENKUlvE_clEvENKUlvE4_clEvEUlS6_S6_E_S6_EEDaPvRmT3_T4_T5_mT6_P12ihipStream_tbENKUlT_T0_E_clISt17integral_constantIbLb1EESX_IbLb0EEEEDaST_SU_EUlST_E0_NS1_11comp_targetILNS1_3genE9ELNS1_11target_archE1100ELNS1_3gpuE3ELNS1_3repE0EEENS1_30default_config_static_selectorELNS0_4arch9wavefront6targetE1EEEvT1_
    .private_segment_fixed_size: 0
    .sgpr_count:     6
    .sgpr_spill_count: 0
    .symbol:         _ZN7rocprim17ROCPRIM_400000_NS6detail17trampoline_kernelINS0_14default_configENS1_20scan_config_selectorIN3c108BFloat16EEEZZNS1_9scan_implILNS1_25lookback_scan_determinismE0ELb0ELb0ES3_PKS6_PS6_S6_ZZZN2at6native31launch_logcumsumexp_cuda_kernelERKNSD_10TensorBaseESH_lENKUlvE_clEvENKUlvE4_clEvEUlS6_S6_E_S6_EEDaPvRmT3_T4_T5_mT6_P12ihipStream_tbENKUlT_T0_E_clISt17integral_constantIbLb1EESX_IbLb0EEEEDaST_SU_EUlST_E0_NS1_11comp_targetILNS1_3genE9ELNS1_11target_archE1100ELNS1_3gpuE3ELNS1_3repE0EEENS1_30default_config_static_selectorELNS0_4arch9wavefront6targetE1EEEvT1_.kd
    .uniform_work_group_size: 1
    .uses_dynamic_stack: false
    .vgpr_count:     0
    .vgpr_spill_count: 0
    .wavefront_size: 64
  - .agpr_count:     0
    .args:
      - .offset:         0
        .size:           32
        .value_kind:     by_value
    .group_segment_fixed_size: 0
    .kernarg_segment_align: 8
    .kernarg_segment_size: 32
    .language:       OpenCL C
    .language_version:
      - 2
      - 0
    .max_flat_workgroup_size: 64
    .name:           _ZN7rocprim17ROCPRIM_400000_NS6detail17trampoline_kernelINS0_14default_configENS1_20scan_config_selectorIN3c108BFloat16EEEZZNS1_9scan_implILNS1_25lookback_scan_determinismE0ELb0ELb0ES3_PKS6_PS6_S6_ZZZN2at6native31launch_logcumsumexp_cuda_kernelERKNSD_10TensorBaseESH_lENKUlvE_clEvENKUlvE4_clEvEUlS6_S6_E_S6_EEDaPvRmT3_T4_T5_mT6_P12ihipStream_tbENKUlT_T0_E_clISt17integral_constantIbLb1EESX_IbLb0EEEEDaST_SU_EUlST_E0_NS1_11comp_targetILNS1_3genE8ELNS1_11target_archE1030ELNS1_3gpuE2ELNS1_3repE0EEENS1_30default_config_static_selectorELNS0_4arch9wavefront6targetE1EEEvT1_
    .private_segment_fixed_size: 0
    .sgpr_count:     6
    .sgpr_spill_count: 0
    .symbol:         _ZN7rocprim17ROCPRIM_400000_NS6detail17trampoline_kernelINS0_14default_configENS1_20scan_config_selectorIN3c108BFloat16EEEZZNS1_9scan_implILNS1_25lookback_scan_determinismE0ELb0ELb0ES3_PKS6_PS6_S6_ZZZN2at6native31launch_logcumsumexp_cuda_kernelERKNSD_10TensorBaseESH_lENKUlvE_clEvENKUlvE4_clEvEUlS6_S6_E_S6_EEDaPvRmT3_T4_T5_mT6_P12ihipStream_tbENKUlT_T0_E_clISt17integral_constantIbLb1EESX_IbLb0EEEEDaST_SU_EUlST_E0_NS1_11comp_targetILNS1_3genE8ELNS1_11target_archE1030ELNS1_3gpuE2ELNS1_3repE0EEENS1_30default_config_static_selectorELNS0_4arch9wavefront6targetE1EEEvT1_.kd
    .uniform_work_group_size: 1
    .uses_dynamic_stack: false
    .vgpr_count:     0
    .vgpr_spill_count: 0
    .wavefront_size: 64
  - .agpr_count:     0
    .args:
      - .address_space:  global
        .offset:         0
        .size:           8
        .value_kind:     global_buffer
      - .offset:         8
        .size:           4
        .value_kind:     by_value
      - .address_space:  global
        .offset:         16
        .size:           8
        .value_kind:     global_buffer
      - .offset:         24
        .size:           4
        .value_kind:     by_value
      - .address_space:  global
        .offset:         32
        .size:           8
        .value_kind:     global_buffer
      - .offset:         40
        .size:           4
        .value_kind:     hidden_block_count_x
      - .offset:         44
        .size:           4
        .value_kind:     hidden_block_count_y
      - .offset:         48
        .size:           4
        .value_kind:     hidden_block_count_z
      - .offset:         52
        .size:           2
        .value_kind:     hidden_group_size_x
      - .offset:         54
        .size:           2
        .value_kind:     hidden_group_size_y
      - .offset:         56
        .size:           2
        .value_kind:     hidden_group_size_z
      - .offset:         58
        .size:           2
        .value_kind:     hidden_remainder_x
      - .offset:         60
        .size:           2
        .value_kind:     hidden_remainder_y
      - .offset:         62
        .size:           2
        .value_kind:     hidden_remainder_z
      - .offset:         80
        .size:           8
        .value_kind:     hidden_global_offset_x
      - .offset:         88
        .size:           8
        .value_kind:     hidden_global_offset_y
      - .offset:         96
        .size:           8
        .value_kind:     hidden_global_offset_z
      - .offset:         104
        .size:           2
        .value_kind:     hidden_grid_dims
    .group_segment_fixed_size: 0
    .kernarg_segment_align: 8
    .kernarg_segment_size: 296
    .language:       OpenCL C
    .language_version:
      - 2
      - 0
    .max_flat_workgroup_size: 256
    .name:           _ZN7rocprim17ROCPRIM_400000_NS6detail31init_lookback_scan_state_kernelINS1_19lookback_scan_stateIN3c108BFloat16ELb0ELb1EEENS1_16block_id_wrapperIjLb1EEEEEvT_jT0_jPNS9_10value_typeE
    .private_segment_fixed_size: 0
    .sgpr_count:     17
    .sgpr_spill_count: 0
    .symbol:         _ZN7rocprim17ROCPRIM_400000_NS6detail31init_lookback_scan_state_kernelINS1_19lookback_scan_stateIN3c108BFloat16ELb0ELb1EEENS1_16block_id_wrapperIjLb1EEEEEvT_jT0_jPNS9_10value_typeE.kd
    .uniform_work_group_size: 1
    .uses_dynamic_stack: false
    .vgpr_count:     6
    .vgpr_spill_count: 0
    .wavefront_size: 64
  - .agpr_count:     0
    .args:
      - .offset:         0
        .size:           96
        .value_kind:     by_value
    .group_segment_fixed_size: 3584
    .kernarg_segment_align: 8
    .kernarg_segment_size: 96
    .language:       OpenCL C
    .language_version:
      - 2
      - 0
    .max_flat_workgroup_size: 128
    .name:           _ZN7rocprim17ROCPRIM_400000_NS6detail17trampoline_kernelINS0_14default_configENS1_20scan_config_selectorIN3c108BFloat16EEEZZNS1_9scan_implILNS1_25lookback_scan_determinismE0ELb0ELb0ES3_PKS6_PS6_S6_ZZZN2at6native31launch_logcumsumexp_cuda_kernelERKNSD_10TensorBaseESH_lENKUlvE_clEvENKUlvE4_clEvEUlS6_S6_E_S6_EEDaPvRmT3_T4_T5_mT6_P12ihipStream_tbENKUlT_T0_E_clISt17integral_constantIbLb0EESX_IbLb1EEEEDaST_SU_EUlST_E_NS1_11comp_targetILNS1_3genE0ELNS1_11target_archE4294967295ELNS1_3gpuE0ELNS1_3repE0EEENS1_30default_config_static_selectorELNS0_4arch9wavefront6targetE1EEEvT1_
    .private_segment_fixed_size: 0
    .sgpr_count:     80
    .sgpr_spill_count: 0
    .symbol:         _ZN7rocprim17ROCPRIM_400000_NS6detail17trampoline_kernelINS0_14default_configENS1_20scan_config_selectorIN3c108BFloat16EEEZZNS1_9scan_implILNS1_25lookback_scan_determinismE0ELb0ELb0ES3_PKS6_PS6_S6_ZZZN2at6native31launch_logcumsumexp_cuda_kernelERKNSD_10TensorBaseESH_lENKUlvE_clEvENKUlvE4_clEvEUlS6_S6_E_S6_EEDaPvRmT3_T4_T5_mT6_P12ihipStream_tbENKUlT_T0_E_clISt17integral_constantIbLb0EESX_IbLb1EEEEDaST_SU_EUlST_E_NS1_11comp_targetILNS1_3genE0ELNS1_11target_archE4294967295ELNS1_3gpuE0ELNS1_3repE0EEENS1_30default_config_static_selectorELNS0_4arch9wavefront6targetE1EEEvT1_.kd
    .uniform_work_group_size: 1
    .uses_dynamic_stack: false
    .vgpr_count:     82
    .vgpr_spill_count: 0
    .wavefront_size: 64
  - .agpr_count:     0
    .args:
      - .offset:         0
        .size:           96
        .value_kind:     by_value
    .group_segment_fixed_size: 0
    .kernarg_segment_align: 8
    .kernarg_segment_size: 96
    .language:       OpenCL C
    .language_version:
      - 2
      - 0
    .max_flat_workgroup_size: 256
    .name:           _ZN7rocprim17ROCPRIM_400000_NS6detail17trampoline_kernelINS0_14default_configENS1_20scan_config_selectorIN3c108BFloat16EEEZZNS1_9scan_implILNS1_25lookback_scan_determinismE0ELb0ELb0ES3_PKS6_PS6_S6_ZZZN2at6native31launch_logcumsumexp_cuda_kernelERKNSD_10TensorBaseESH_lENKUlvE_clEvENKUlvE4_clEvEUlS6_S6_E_S6_EEDaPvRmT3_T4_T5_mT6_P12ihipStream_tbENKUlT_T0_E_clISt17integral_constantIbLb0EESX_IbLb1EEEEDaST_SU_EUlST_E_NS1_11comp_targetILNS1_3genE5ELNS1_11target_archE942ELNS1_3gpuE9ELNS1_3repE0EEENS1_30default_config_static_selectorELNS0_4arch9wavefront6targetE1EEEvT1_
    .private_segment_fixed_size: 0
    .sgpr_count:     6
    .sgpr_spill_count: 0
    .symbol:         _ZN7rocprim17ROCPRIM_400000_NS6detail17trampoline_kernelINS0_14default_configENS1_20scan_config_selectorIN3c108BFloat16EEEZZNS1_9scan_implILNS1_25lookback_scan_determinismE0ELb0ELb0ES3_PKS6_PS6_S6_ZZZN2at6native31launch_logcumsumexp_cuda_kernelERKNSD_10TensorBaseESH_lENKUlvE_clEvENKUlvE4_clEvEUlS6_S6_E_S6_EEDaPvRmT3_T4_T5_mT6_P12ihipStream_tbENKUlT_T0_E_clISt17integral_constantIbLb0EESX_IbLb1EEEEDaST_SU_EUlST_E_NS1_11comp_targetILNS1_3genE5ELNS1_11target_archE942ELNS1_3gpuE9ELNS1_3repE0EEENS1_30default_config_static_selectorELNS0_4arch9wavefront6targetE1EEEvT1_.kd
    .uniform_work_group_size: 1
    .uses_dynamic_stack: false
    .vgpr_count:     0
    .vgpr_spill_count: 0
    .wavefront_size: 64
  - .agpr_count:     0
    .args:
      - .offset:         0
        .size:           96
        .value_kind:     by_value
    .group_segment_fixed_size: 0
    .kernarg_segment_align: 8
    .kernarg_segment_size: 96
    .language:       OpenCL C
    .language_version:
      - 2
      - 0
    .max_flat_workgroup_size: 64
    .name:           _ZN7rocprim17ROCPRIM_400000_NS6detail17trampoline_kernelINS0_14default_configENS1_20scan_config_selectorIN3c108BFloat16EEEZZNS1_9scan_implILNS1_25lookback_scan_determinismE0ELb0ELb0ES3_PKS6_PS6_S6_ZZZN2at6native31launch_logcumsumexp_cuda_kernelERKNSD_10TensorBaseESH_lENKUlvE_clEvENKUlvE4_clEvEUlS6_S6_E_S6_EEDaPvRmT3_T4_T5_mT6_P12ihipStream_tbENKUlT_T0_E_clISt17integral_constantIbLb0EESX_IbLb1EEEEDaST_SU_EUlST_E_NS1_11comp_targetILNS1_3genE4ELNS1_11target_archE910ELNS1_3gpuE8ELNS1_3repE0EEENS1_30default_config_static_selectorELNS0_4arch9wavefront6targetE1EEEvT1_
    .private_segment_fixed_size: 0
    .sgpr_count:     6
    .sgpr_spill_count: 0
    .symbol:         _ZN7rocprim17ROCPRIM_400000_NS6detail17trampoline_kernelINS0_14default_configENS1_20scan_config_selectorIN3c108BFloat16EEEZZNS1_9scan_implILNS1_25lookback_scan_determinismE0ELb0ELb0ES3_PKS6_PS6_S6_ZZZN2at6native31launch_logcumsumexp_cuda_kernelERKNSD_10TensorBaseESH_lENKUlvE_clEvENKUlvE4_clEvEUlS6_S6_E_S6_EEDaPvRmT3_T4_T5_mT6_P12ihipStream_tbENKUlT_T0_E_clISt17integral_constantIbLb0EESX_IbLb1EEEEDaST_SU_EUlST_E_NS1_11comp_targetILNS1_3genE4ELNS1_11target_archE910ELNS1_3gpuE8ELNS1_3repE0EEENS1_30default_config_static_selectorELNS0_4arch9wavefront6targetE1EEEvT1_.kd
    .uniform_work_group_size: 1
    .uses_dynamic_stack: false
    .vgpr_count:     0
    .vgpr_spill_count: 0
    .wavefront_size: 64
  - .agpr_count:     0
    .args:
      - .offset:         0
        .size:           96
        .value_kind:     by_value
    .group_segment_fixed_size: 0
    .kernarg_segment_align: 8
    .kernarg_segment_size: 96
    .language:       OpenCL C
    .language_version:
      - 2
      - 0
    .max_flat_workgroup_size: 128
    .name:           _ZN7rocprim17ROCPRIM_400000_NS6detail17trampoline_kernelINS0_14default_configENS1_20scan_config_selectorIN3c108BFloat16EEEZZNS1_9scan_implILNS1_25lookback_scan_determinismE0ELb0ELb0ES3_PKS6_PS6_S6_ZZZN2at6native31launch_logcumsumexp_cuda_kernelERKNSD_10TensorBaseESH_lENKUlvE_clEvENKUlvE4_clEvEUlS6_S6_E_S6_EEDaPvRmT3_T4_T5_mT6_P12ihipStream_tbENKUlT_T0_E_clISt17integral_constantIbLb0EESX_IbLb1EEEEDaST_SU_EUlST_E_NS1_11comp_targetILNS1_3genE3ELNS1_11target_archE908ELNS1_3gpuE7ELNS1_3repE0EEENS1_30default_config_static_selectorELNS0_4arch9wavefront6targetE1EEEvT1_
    .private_segment_fixed_size: 0
    .sgpr_count:     6
    .sgpr_spill_count: 0
    .symbol:         _ZN7rocprim17ROCPRIM_400000_NS6detail17trampoline_kernelINS0_14default_configENS1_20scan_config_selectorIN3c108BFloat16EEEZZNS1_9scan_implILNS1_25lookback_scan_determinismE0ELb0ELb0ES3_PKS6_PS6_S6_ZZZN2at6native31launch_logcumsumexp_cuda_kernelERKNSD_10TensorBaseESH_lENKUlvE_clEvENKUlvE4_clEvEUlS6_S6_E_S6_EEDaPvRmT3_T4_T5_mT6_P12ihipStream_tbENKUlT_T0_E_clISt17integral_constantIbLb0EESX_IbLb1EEEEDaST_SU_EUlST_E_NS1_11comp_targetILNS1_3genE3ELNS1_11target_archE908ELNS1_3gpuE7ELNS1_3repE0EEENS1_30default_config_static_selectorELNS0_4arch9wavefront6targetE1EEEvT1_.kd
    .uniform_work_group_size: 1
    .uses_dynamic_stack: false
    .vgpr_count:     0
    .vgpr_spill_count: 0
    .wavefront_size: 64
  - .agpr_count:     0
    .args:
      - .offset:         0
        .size:           96
        .value_kind:     by_value
    .group_segment_fixed_size: 0
    .kernarg_segment_align: 8
    .kernarg_segment_size: 96
    .language:       OpenCL C
    .language_version:
      - 2
      - 0
    .max_flat_workgroup_size: 256
    .name:           _ZN7rocprim17ROCPRIM_400000_NS6detail17trampoline_kernelINS0_14default_configENS1_20scan_config_selectorIN3c108BFloat16EEEZZNS1_9scan_implILNS1_25lookback_scan_determinismE0ELb0ELb0ES3_PKS6_PS6_S6_ZZZN2at6native31launch_logcumsumexp_cuda_kernelERKNSD_10TensorBaseESH_lENKUlvE_clEvENKUlvE4_clEvEUlS6_S6_E_S6_EEDaPvRmT3_T4_T5_mT6_P12ihipStream_tbENKUlT_T0_E_clISt17integral_constantIbLb0EESX_IbLb1EEEEDaST_SU_EUlST_E_NS1_11comp_targetILNS1_3genE2ELNS1_11target_archE906ELNS1_3gpuE6ELNS1_3repE0EEENS1_30default_config_static_selectorELNS0_4arch9wavefront6targetE1EEEvT1_
    .private_segment_fixed_size: 0
    .sgpr_count:     6
    .sgpr_spill_count: 0
    .symbol:         _ZN7rocprim17ROCPRIM_400000_NS6detail17trampoline_kernelINS0_14default_configENS1_20scan_config_selectorIN3c108BFloat16EEEZZNS1_9scan_implILNS1_25lookback_scan_determinismE0ELb0ELb0ES3_PKS6_PS6_S6_ZZZN2at6native31launch_logcumsumexp_cuda_kernelERKNSD_10TensorBaseESH_lENKUlvE_clEvENKUlvE4_clEvEUlS6_S6_E_S6_EEDaPvRmT3_T4_T5_mT6_P12ihipStream_tbENKUlT_T0_E_clISt17integral_constantIbLb0EESX_IbLb1EEEEDaST_SU_EUlST_E_NS1_11comp_targetILNS1_3genE2ELNS1_11target_archE906ELNS1_3gpuE6ELNS1_3repE0EEENS1_30default_config_static_selectorELNS0_4arch9wavefront6targetE1EEEvT1_.kd
    .uniform_work_group_size: 1
    .uses_dynamic_stack: false
    .vgpr_count:     0
    .vgpr_spill_count: 0
    .wavefront_size: 64
  - .agpr_count:     0
    .args:
      - .offset:         0
        .size:           96
        .value_kind:     by_value
    .group_segment_fixed_size: 0
    .kernarg_segment_align: 8
    .kernarg_segment_size: 96
    .language:       OpenCL C
    .language_version:
      - 2
      - 0
    .max_flat_workgroup_size: 256
    .name:           _ZN7rocprim17ROCPRIM_400000_NS6detail17trampoline_kernelINS0_14default_configENS1_20scan_config_selectorIN3c108BFloat16EEEZZNS1_9scan_implILNS1_25lookback_scan_determinismE0ELb0ELb0ES3_PKS6_PS6_S6_ZZZN2at6native31launch_logcumsumexp_cuda_kernelERKNSD_10TensorBaseESH_lENKUlvE_clEvENKUlvE4_clEvEUlS6_S6_E_S6_EEDaPvRmT3_T4_T5_mT6_P12ihipStream_tbENKUlT_T0_E_clISt17integral_constantIbLb0EESX_IbLb1EEEEDaST_SU_EUlST_E_NS1_11comp_targetILNS1_3genE10ELNS1_11target_archE1201ELNS1_3gpuE5ELNS1_3repE0EEENS1_30default_config_static_selectorELNS0_4arch9wavefront6targetE1EEEvT1_
    .private_segment_fixed_size: 0
    .sgpr_count:     6
    .sgpr_spill_count: 0
    .symbol:         _ZN7rocprim17ROCPRIM_400000_NS6detail17trampoline_kernelINS0_14default_configENS1_20scan_config_selectorIN3c108BFloat16EEEZZNS1_9scan_implILNS1_25lookback_scan_determinismE0ELb0ELb0ES3_PKS6_PS6_S6_ZZZN2at6native31launch_logcumsumexp_cuda_kernelERKNSD_10TensorBaseESH_lENKUlvE_clEvENKUlvE4_clEvEUlS6_S6_E_S6_EEDaPvRmT3_T4_T5_mT6_P12ihipStream_tbENKUlT_T0_E_clISt17integral_constantIbLb0EESX_IbLb1EEEEDaST_SU_EUlST_E_NS1_11comp_targetILNS1_3genE10ELNS1_11target_archE1201ELNS1_3gpuE5ELNS1_3repE0EEENS1_30default_config_static_selectorELNS0_4arch9wavefront6targetE1EEEvT1_.kd
    .uniform_work_group_size: 1
    .uses_dynamic_stack: false
    .vgpr_count:     0
    .vgpr_spill_count: 0
    .wavefront_size: 64
  - .agpr_count:     0
    .args:
      - .offset:         0
        .size:           96
        .value_kind:     by_value
    .group_segment_fixed_size: 0
    .kernarg_segment_align: 8
    .kernarg_segment_size: 96
    .language:       OpenCL C
    .language_version:
      - 2
      - 0
    .max_flat_workgroup_size: 256
    .name:           _ZN7rocprim17ROCPRIM_400000_NS6detail17trampoline_kernelINS0_14default_configENS1_20scan_config_selectorIN3c108BFloat16EEEZZNS1_9scan_implILNS1_25lookback_scan_determinismE0ELb0ELb0ES3_PKS6_PS6_S6_ZZZN2at6native31launch_logcumsumexp_cuda_kernelERKNSD_10TensorBaseESH_lENKUlvE_clEvENKUlvE4_clEvEUlS6_S6_E_S6_EEDaPvRmT3_T4_T5_mT6_P12ihipStream_tbENKUlT_T0_E_clISt17integral_constantIbLb0EESX_IbLb1EEEEDaST_SU_EUlST_E_NS1_11comp_targetILNS1_3genE10ELNS1_11target_archE1200ELNS1_3gpuE4ELNS1_3repE0EEENS1_30default_config_static_selectorELNS0_4arch9wavefront6targetE1EEEvT1_
    .private_segment_fixed_size: 0
    .sgpr_count:     6
    .sgpr_spill_count: 0
    .symbol:         _ZN7rocprim17ROCPRIM_400000_NS6detail17trampoline_kernelINS0_14default_configENS1_20scan_config_selectorIN3c108BFloat16EEEZZNS1_9scan_implILNS1_25lookback_scan_determinismE0ELb0ELb0ES3_PKS6_PS6_S6_ZZZN2at6native31launch_logcumsumexp_cuda_kernelERKNSD_10TensorBaseESH_lENKUlvE_clEvENKUlvE4_clEvEUlS6_S6_E_S6_EEDaPvRmT3_T4_T5_mT6_P12ihipStream_tbENKUlT_T0_E_clISt17integral_constantIbLb0EESX_IbLb1EEEEDaST_SU_EUlST_E_NS1_11comp_targetILNS1_3genE10ELNS1_11target_archE1200ELNS1_3gpuE4ELNS1_3repE0EEENS1_30default_config_static_selectorELNS0_4arch9wavefront6targetE1EEEvT1_.kd
    .uniform_work_group_size: 1
    .uses_dynamic_stack: false
    .vgpr_count:     0
    .vgpr_spill_count: 0
    .wavefront_size: 64
  - .agpr_count:     0
    .args:
      - .offset:         0
        .size:           96
        .value_kind:     by_value
    .group_segment_fixed_size: 0
    .kernarg_segment_align: 8
    .kernarg_segment_size: 96
    .language:       OpenCL C
    .language_version:
      - 2
      - 0
    .max_flat_workgroup_size: 64
    .name:           _ZN7rocprim17ROCPRIM_400000_NS6detail17trampoline_kernelINS0_14default_configENS1_20scan_config_selectorIN3c108BFloat16EEEZZNS1_9scan_implILNS1_25lookback_scan_determinismE0ELb0ELb0ES3_PKS6_PS6_S6_ZZZN2at6native31launch_logcumsumexp_cuda_kernelERKNSD_10TensorBaseESH_lENKUlvE_clEvENKUlvE4_clEvEUlS6_S6_E_S6_EEDaPvRmT3_T4_T5_mT6_P12ihipStream_tbENKUlT_T0_E_clISt17integral_constantIbLb0EESX_IbLb1EEEEDaST_SU_EUlST_E_NS1_11comp_targetILNS1_3genE9ELNS1_11target_archE1100ELNS1_3gpuE3ELNS1_3repE0EEENS1_30default_config_static_selectorELNS0_4arch9wavefront6targetE1EEEvT1_
    .private_segment_fixed_size: 0
    .sgpr_count:     6
    .sgpr_spill_count: 0
    .symbol:         _ZN7rocprim17ROCPRIM_400000_NS6detail17trampoline_kernelINS0_14default_configENS1_20scan_config_selectorIN3c108BFloat16EEEZZNS1_9scan_implILNS1_25lookback_scan_determinismE0ELb0ELb0ES3_PKS6_PS6_S6_ZZZN2at6native31launch_logcumsumexp_cuda_kernelERKNSD_10TensorBaseESH_lENKUlvE_clEvENKUlvE4_clEvEUlS6_S6_E_S6_EEDaPvRmT3_T4_T5_mT6_P12ihipStream_tbENKUlT_T0_E_clISt17integral_constantIbLb0EESX_IbLb1EEEEDaST_SU_EUlST_E_NS1_11comp_targetILNS1_3genE9ELNS1_11target_archE1100ELNS1_3gpuE3ELNS1_3repE0EEENS1_30default_config_static_selectorELNS0_4arch9wavefront6targetE1EEEvT1_.kd
    .uniform_work_group_size: 1
    .uses_dynamic_stack: false
    .vgpr_count:     0
    .vgpr_spill_count: 0
    .wavefront_size: 64
  - .agpr_count:     0
    .args:
      - .offset:         0
        .size:           96
        .value_kind:     by_value
    .group_segment_fixed_size: 0
    .kernarg_segment_align: 8
    .kernarg_segment_size: 96
    .language:       OpenCL C
    .language_version:
      - 2
      - 0
    .max_flat_workgroup_size: 64
    .name:           _ZN7rocprim17ROCPRIM_400000_NS6detail17trampoline_kernelINS0_14default_configENS1_20scan_config_selectorIN3c108BFloat16EEEZZNS1_9scan_implILNS1_25lookback_scan_determinismE0ELb0ELb0ES3_PKS6_PS6_S6_ZZZN2at6native31launch_logcumsumexp_cuda_kernelERKNSD_10TensorBaseESH_lENKUlvE_clEvENKUlvE4_clEvEUlS6_S6_E_S6_EEDaPvRmT3_T4_T5_mT6_P12ihipStream_tbENKUlT_T0_E_clISt17integral_constantIbLb0EESX_IbLb1EEEEDaST_SU_EUlST_E_NS1_11comp_targetILNS1_3genE8ELNS1_11target_archE1030ELNS1_3gpuE2ELNS1_3repE0EEENS1_30default_config_static_selectorELNS0_4arch9wavefront6targetE1EEEvT1_
    .private_segment_fixed_size: 0
    .sgpr_count:     6
    .sgpr_spill_count: 0
    .symbol:         _ZN7rocprim17ROCPRIM_400000_NS6detail17trampoline_kernelINS0_14default_configENS1_20scan_config_selectorIN3c108BFloat16EEEZZNS1_9scan_implILNS1_25lookback_scan_determinismE0ELb0ELb0ES3_PKS6_PS6_S6_ZZZN2at6native31launch_logcumsumexp_cuda_kernelERKNSD_10TensorBaseESH_lENKUlvE_clEvENKUlvE4_clEvEUlS6_S6_E_S6_EEDaPvRmT3_T4_T5_mT6_P12ihipStream_tbENKUlT_T0_E_clISt17integral_constantIbLb0EESX_IbLb1EEEEDaST_SU_EUlST_E_NS1_11comp_targetILNS1_3genE8ELNS1_11target_archE1030ELNS1_3gpuE2ELNS1_3repE0EEENS1_30default_config_static_selectorELNS0_4arch9wavefront6targetE1EEEvT1_.kd
    .uniform_work_group_size: 1
    .uses_dynamic_stack: false
    .vgpr_count:     0
    .vgpr_spill_count: 0
    .wavefront_size: 64
  - .agpr_count:     0
    .args:
      - .offset:         0
        .size:           32
        .value_kind:     by_value
    .group_segment_fixed_size: 3584
    .kernarg_segment_align: 8
    .kernarg_segment_size: 32
    .language:       OpenCL C
    .language_version:
      - 2
      - 0
    .max_flat_workgroup_size: 128
    .name:           _ZN7rocprim17ROCPRIM_400000_NS6detail17trampoline_kernelINS0_14default_configENS1_20scan_config_selectorIN3c108BFloat16EEEZZNS1_9scan_implILNS1_25lookback_scan_determinismE0ELb0ELb0ES3_PKS6_PS6_S6_ZZZN2at6native31launch_logcumsumexp_cuda_kernelERKNSD_10TensorBaseESH_lENKUlvE_clEvENKUlvE4_clEvEUlS6_S6_E_S6_EEDaPvRmT3_T4_T5_mT6_P12ihipStream_tbENKUlT_T0_E_clISt17integral_constantIbLb0EESX_IbLb1EEEEDaST_SU_EUlST_E0_NS1_11comp_targetILNS1_3genE0ELNS1_11target_archE4294967295ELNS1_3gpuE0ELNS1_3repE0EEENS1_30default_config_static_selectorELNS0_4arch9wavefront6targetE1EEEvT1_
    .private_segment_fixed_size: 0
    .sgpr_count:     74
    .sgpr_spill_count: 0
    .symbol:         _ZN7rocprim17ROCPRIM_400000_NS6detail17trampoline_kernelINS0_14default_configENS1_20scan_config_selectorIN3c108BFloat16EEEZZNS1_9scan_implILNS1_25lookback_scan_determinismE0ELb0ELb0ES3_PKS6_PS6_S6_ZZZN2at6native31launch_logcumsumexp_cuda_kernelERKNSD_10TensorBaseESH_lENKUlvE_clEvENKUlvE4_clEvEUlS6_S6_E_S6_EEDaPvRmT3_T4_T5_mT6_P12ihipStream_tbENKUlT_T0_E_clISt17integral_constantIbLb0EESX_IbLb1EEEEDaST_SU_EUlST_E0_NS1_11comp_targetILNS1_3genE0ELNS1_11target_archE4294967295ELNS1_3gpuE0ELNS1_3repE0EEENS1_30default_config_static_selectorELNS0_4arch9wavefront6targetE1EEEvT1_.kd
    .uniform_work_group_size: 1
    .uses_dynamic_stack: false
    .vgpr_count:     54
    .vgpr_spill_count: 0
    .wavefront_size: 64
  - .agpr_count:     0
    .args:
      - .offset:         0
        .size:           32
        .value_kind:     by_value
    .group_segment_fixed_size: 0
    .kernarg_segment_align: 8
    .kernarg_segment_size: 32
    .language:       OpenCL C
    .language_version:
      - 2
      - 0
    .max_flat_workgroup_size: 256
    .name:           _ZN7rocprim17ROCPRIM_400000_NS6detail17trampoline_kernelINS0_14default_configENS1_20scan_config_selectorIN3c108BFloat16EEEZZNS1_9scan_implILNS1_25lookback_scan_determinismE0ELb0ELb0ES3_PKS6_PS6_S6_ZZZN2at6native31launch_logcumsumexp_cuda_kernelERKNSD_10TensorBaseESH_lENKUlvE_clEvENKUlvE4_clEvEUlS6_S6_E_S6_EEDaPvRmT3_T4_T5_mT6_P12ihipStream_tbENKUlT_T0_E_clISt17integral_constantIbLb0EESX_IbLb1EEEEDaST_SU_EUlST_E0_NS1_11comp_targetILNS1_3genE5ELNS1_11target_archE942ELNS1_3gpuE9ELNS1_3repE0EEENS1_30default_config_static_selectorELNS0_4arch9wavefront6targetE1EEEvT1_
    .private_segment_fixed_size: 0
    .sgpr_count:     6
    .sgpr_spill_count: 0
    .symbol:         _ZN7rocprim17ROCPRIM_400000_NS6detail17trampoline_kernelINS0_14default_configENS1_20scan_config_selectorIN3c108BFloat16EEEZZNS1_9scan_implILNS1_25lookback_scan_determinismE0ELb0ELb0ES3_PKS6_PS6_S6_ZZZN2at6native31launch_logcumsumexp_cuda_kernelERKNSD_10TensorBaseESH_lENKUlvE_clEvENKUlvE4_clEvEUlS6_S6_E_S6_EEDaPvRmT3_T4_T5_mT6_P12ihipStream_tbENKUlT_T0_E_clISt17integral_constantIbLb0EESX_IbLb1EEEEDaST_SU_EUlST_E0_NS1_11comp_targetILNS1_3genE5ELNS1_11target_archE942ELNS1_3gpuE9ELNS1_3repE0EEENS1_30default_config_static_selectorELNS0_4arch9wavefront6targetE1EEEvT1_.kd
    .uniform_work_group_size: 1
    .uses_dynamic_stack: false
    .vgpr_count:     0
    .vgpr_spill_count: 0
    .wavefront_size: 64
  - .agpr_count:     0
    .args:
      - .offset:         0
        .size:           32
        .value_kind:     by_value
    .group_segment_fixed_size: 0
    .kernarg_segment_align: 8
    .kernarg_segment_size: 32
    .language:       OpenCL C
    .language_version:
      - 2
      - 0
    .max_flat_workgroup_size: 64
    .name:           _ZN7rocprim17ROCPRIM_400000_NS6detail17trampoline_kernelINS0_14default_configENS1_20scan_config_selectorIN3c108BFloat16EEEZZNS1_9scan_implILNS1_25lookback_scan_determinismE0ELb0ELb0ES3_PKS6_PS6_S6_ZZZN2at6native31launch_logcumsumexp_cuda_kernelERKNSD_10TensorBaseESH_lENKUlvE_clEvENKUlvE4_clEvEUlS6_S6_E_S6_EEDaPvRmT3_T4_T5_mT6_P12ihipStream_tbENKUlT_T0_E_clISt17integral_constantIbLb0EESX_IbLb1EEEEDaST_SU_EUlST_E0_NS1_11comp_targetILNS1_3genE4ELNS1_11target_archE910ELNS1_3gpuE8ELNS1_3repE0EEENS1_30default_config_static_selectorELNS0_4arch9wavefront6targetE1EEEvT1_
    .private_segment_fixed_size: 0
    .sgpr_count:     6
    .sgpr_spill_count: 0
    .symbol:         _ZN7rocprim17ROCPRIM_400000_NS6detail17trampoline_kernelINS0_14default_configENS1_20scan_config_selectorIN3c108BFloat16EEEZZNS1_9scan_implILNS1_25lookback_scan_determinismE0ELb0ELb0ES3_PKS6_PS6_S6_ZZZN2at6native31launch_logcumsumexp_cuda_kernelERKNSD_10TensorBaseESH_lENKUlvE_clEvENKUlvE4_clEvEUlS6_S6_E_S6_EEDaPvRmT3_T4_T5_mT6_P12ihipStream_tbENKUlT_T0_E_clISt17integral_constantIbLb0EESX_IbLb1EEEEDaST_SU_EUlST_E0_NS1_11comp_targetILNS1_3genE4ELNS1_11target_archE910ELNS1_3gpuE8ELNS1_3repE0EEENS1_30default_config_static_selectorELNS0_4arch9wavefront6targetE1EEEvT1_.kd
    .uniform_work_group_size: 1
    .uses_dynamic_stack: false
    .vgpr_count:     0
    .vgpr_spill_count: 0
    .wavefront_size: 64
  - .agpr_count:     0
    .args:
      - .offset:         0
        .size:           32
        .value_kind:     by_value
    .group_segment_fixed_size: 0
    .kernarg_segment_align: 8
    .kernarg_segment_size: 32
    .language:       OpenCL C
    .language_version:
      - 2
      - 0
    .max_flat_workgroup_size: 128
    .name:           _ZN7rocprim17ROCPRIM_400000_NS6detail17trampoline_kernelINS0_14default_configENS1_20scan_config_selectorIN3c108BFloat16EEEZZNS1_9scan_implILNS1_25lookback_scan_determinismE0ELb0ELb0ES3_PKS6_PS6_S6_ZZZN2at6native31launch_logcumsumexp_cuda_kernelERKNSD_10TensorBaseESH_lENKUlvE_clEvENKUlvE4_clEvEUlS6_S6_E_S6_EEDaPvRmT3_T4_T5_mT6_P12ihipStream_tbENKUlT_T0_E_clISt17integral_constantIbLb0EESX_IbLb1EEEEDaST_SU_EUlST_E0_NS1_11comp_targetILNS1_3genE3ELNS1_11target_archE908ELNS1_3gpuE7ELNS1_3repE0EEENS1_30default_config_static_selectorELNS0_4arch9wavefront6targetE1EEEvT1_
    .private_segment_fixed_size: 0
    .sgpr_count:     6
    .sgpr_spill_count: 0
    .symbol:         _ZN7rocprim17ROCPRIM_400000_NS6detail17trampoline_kernelINS0_14default_configENS1_20scan_config_selectorIN3c108BFloat16EEEZZNS1_9scan_implILNS1_25lookback_scan_determinismE0ELb0ELb0ES3_PKS6_PS6_S6_ZZZN2at6native31launch_logcumsumexp_cuda_kernelERKNSD_10TensorBaseESH_lENKUlvE_clEvENKUlvE4_clEvEUlS6_S6_E_S6_EEDaPvRmT3_T4_T5_mT6_P12ihipStream_tbENKUlT_T0_E_clISt17integral_constantIbLb0EESX_IbLb1EEEEDaST_SU_EUlST_E0_NS1_11comp_targetILNS1_3genE3ELNS1_11target_archE908ELNS1_3gpuE7ELNS1_3repE0EEENS1_30default_config_static_selectorELNS0_4arch9wavefront6targetE1EEEvT1_.kd
    .uniform_work_group_size: 1
    .uses_dynamic_stack: false
    .vgpr_count:     0
    .vgpr_spill_count: 0
    .wavefront_size: 64
  - .agpr_count:     0
    .args:
      - .offset:         0
        .size:           32
        .value_kind:     by_value
    .group_segment_fixed_size: 0
    .kernarg_segment_align: 8
    .kernarg_segment_size: 32
    .language:       OpenCL C
    .language_version:
      - 2
      - 0
    .max_flat_workgroup_size: 256
    .name:           _ZN7rocprim17ROCPRIM_400000_NS6detail17trampoline_kernelINS0_14default_configENS1_20scan_config_selectorIN3c108BFloat16EEEZZNS1_9scan_implILNS1_25lookback_scan_determinismE0ELb0ELb0ES3_PKS6_PS6_S6_ZZZN2at6native31launch_logcumsumexp_cuda_kernelERKNSD_10TensorBaseESH_lENKUlvE_clEvENKUlvE4_clEvEUlS6_S6_E_S6_EEDaPvRmT3_T4_T5_mT6_P12ihipStream_tbENKUlT_T0_E_clISt17integral_constantIbLb0EESX_IbLb1EEEEDaST_SU_EUlST_E0_NS1_11comp_targetILNS1_3genE2ELNS1_11target_archE906ELNS1_3gpuE6ELNS1_3repE0EEENS1_30default_config_static_selectorELNS0_4arch9wavefront6targetE1EEEvT1_
    .private_segment_fixed_size: 0
    .sgpr_count:     6
    .sgpr_spill_count: 0
    .symbol:         _ZN7rocprim17ROCPRIM_400000_NS6detail17trampoline_kernelINS0_14default_configENS1_20scan_config_selectorIN3c108BFloat16EEEZZNS1_9scan_implILNS1_25lookback_scan_determinismE0ELb0ELb0ES3_PKS6_PS6_S6_ZZZN2at6native31launch_logcumsumexp_cuda_kernelERKNSD_10TensorBaseESH_lENKUlvE_clEvENKUlvE4_clEvEUlS6_S6_E_S6_EEDaPvRmT3_T4_T5_mT6_P12ihipStream_tbENKUlT_T0_E_clISt17integral_constantIbLb0EESX_IbLb1EEEEDaST_SU_EUlST_E0_NS1_11comp_targetILNS1_3genE2ELNS1_11target_archE906ELNS1_3gpuE6ELNS1_3repE0EEENS1_30default_config_static_selectorELNS0_4arch9wavefront6targetE1EEEvT1_.kd
    .uniform_work_group_size: 1
    .uses_dynamic_stack: false
    .vgpr_count:     0
    .vgpr_spill_count: 0
    .wavefront_size: 64
  - .agpr_count:     0
    .args:
      - .offset:         0
        .size:           32
        .value_kind:     by_value
    .group_segment_fixed_size: 0
    .kernarg_segment_align: 8
    .kernarg_segment_size: 32
    .language:       OpenCL C
    .language_version:
      - 2
      - 0
    .max_flat_workgroup_size: 256
    .name:           _ZN7rocprim17ROCPRIM_400000_NS6detail17trampoline_kernelINS0_14default_configENS1_20scan_config_selectorIN3c108BFloat16EEEZZNS1_9scan_implILNS1_25lookback_scan_determinismE0ELb0ELb0ES3_PKS6_PS6_S6_ZZZN2at6native31launch_logcumsumexp_cuda_kernelERKNSD_10TensorBaseESH_lENKUlvE_clEvENKUlvE4_clEvEUlS6_S6_E_S6_EEDaPvRmT3_T4_T5_mT6_P12ihipStream_tbENKUlT_T0_E_clISt17integral_constantIbLb0EESX_IbLb1EEEEDaST_SU_EUlST_E0_NS1_11comp_targetILNS1_3genE10ELNS1_11target_archE1201ELNS1_3gpuE5ELNS1_3repE0EEENS1_30default_config_static_selectorELNS0_4arch9wavefront6targetE1EEEvT1_
    .private_segment_fixed_size: 0
    .sgpr_count:     6
    .sgpr_spill_count: 0
    .symbol:         _ZN7rocprim17ROCPRIM_400000_NS6detail17trampoline_kernelINS0_14default_configENS1_20scan_config_selectorIN3c108BFloat16EEEZZNS1_9scan_implILNS1_25lookback_scan_determinismE0ELb0ELb0ES3_PKS6_PS6_S6_ZZZN2at6native31launch_logcumsumexp_cuda_kernelERKNSD_10TensorBaseESH_lENKUlvE_clEvENKUlvE4_clEvEUlS6_S6_E_S6_EEDaPvRmT3_T4_T5_mT6_P12ihipStream_tbENKUlT_T0_E_clISt17integral_constantIbLb0EESX_IbLb1EEEEDaST_SU_EUlST_E0_NS1_11comp_targetILNS1_3genE10ELNS1_11target_archE1201ELNS1_3gpuE5ELNS1_3repE0EEENS1_30default_config_static_selectorELNS0_4arch9wavefront6targetE1EEEvT1_.kd
    .uniform_work_group_size: 1
    .uses_dynamic_stack: false
    .vgpr_count:     0
    .vgpr_spill_count: 0
    .wavefront_size: 64
  - .agpr_count:     0
    .args:
      - .offset:         0
        .size:           32
        .value_kind:     by_value
    .group_segment_fixed_size: 0
    .kernarg_segment_align: 8
    .kernarg_segment_size: 32
    .language:       OpenCL C
    .language_version:
      - 2
      - 0
    .max_flat_workgroup_size: 256
    .name:           _ZN7rocprim17ROCPRIM_400000_NS6detail17trampoline_kernelINS0_14default_configENS1_20scan_config_selectorIN3c108BFloat16EEEZZNS1_9scan_implILNS1_25lookback_scan_determinismE0ELb0ELb0ES3_PKS6_PS6_S6_ZZZN2at6native31launch_logcumsumexp_cuda_kernelERKNSD_10TensorBaseESH_lENKUlvE_clEvENKUlvE4_clEvEUlS6_S6_E_S6_EEDaPvRmT3_T4_T5_mT6_P12ihipStream_tbENKUlT_T0_E_clISt17integral_constantIbLb0EESX_IbLb1EEEEDaST_SU_EUlST_E0_NS1_11comp_targetILNS1_3genE10ELNS1_11target_archE1200ELNS1_3gpuE4ELNS1_3repE0EEENS1_30default_config_static_selectorELNS0_4arch9wavefront6targetE1EEEvT1_
    .private_segment_fixed_size: 0
    .sgpr_count:     6
    .sgpr_spill_count: 0
    .symbol:         _ZN7rocprim17ROCPRIM_400000_NS6detail17trampoline_kernelINS0_14default_configENS1_20scan_config_selectorIN3c108BFloat16EEEZZNS1_9scan_implILNS1_25lookback_scan_determinismE0ELb0ELb0ES3_PKS6_PS6_S6_ZZZN2at6native31launch_logcumsumexp_cuda_kernelERKNSD_10TensorBaseESH_lENKUlvE_clEvENKUlvE4_clEvEUlS6_S6_E_S6_EEDaPvRmT3_T4_T5_mT6_P12ihipStream_tbENKUlT_T0_E_clISt17integral_constantIbLb0EESX_IbLb1EEEEDaST_SU_EUlST_E0_NS1_11comp_targetILNS1_3genE10ELNS1_11target_archE1200ELNS1_3gpuE4ELNS1_3repE0EEENS1_30default_config_static_selectorELNS0_4arch9wavefront6targetE1EEEvT1_.kd
    .uniform_work_group_size: 1
    .uses_dynamic_stack: false
    .vgpr_count:     0
    .vgpr_spill_count: 0
    .wavefront_size: 64
  - .agpr_count:     0
    .args:
      - .offset:         0
        .size:           32
        .value_kind:     by_value
    .group_segment_fixed_size: 0
    .kernarg_segment_align: 8
    .kernarg_segment_size: 32
    .language:       OpenCL C
    .language_version:
      - 2
      - 0
    .max_flat_workgroup_size: 64
    .name:           _ZN7rocprim17ROCPRIM_400000_NS6detail17trampoline_kernelINS0_14default_configENS1_20scan_config_selectorIN3c108BFloat16EEEZZNS1_9scan_implILNS1_25lookback_scan_determinismE0ELb0ELb0ES3_PKS6_PS6_S6_ZZZN2at6native31launch_logcumsumexp_cuda_kernelERKNSD_10TensorBaseESH_lENKUlvE_clEvENKUlvE4_clEvEUlS6_S6_E_S6_EEDaPvRmT3_T4_T5_mT6_P12ihipStream_tbENKUlT_T0_E_clISt17integral_constantIbLb0EESX_IbLb1EEEEDaST_SU_EUlST_E0_NS1_11comp_targetILNS1_3genE9ELNS1_11target_archE1100ELNS1_3gpuE3ELNS1_3repE0EEENS1_30default_config_static_selectorELNS0_4arch9wavefront6targetE1EEEvT1_
    .private_segment_fixed_size: 0
    .sgpr_count:     6
    .sgpr_spill_count: 0
    .symbol:         _ZN7rocprim17ROCPRIM_400000_NS6detail17trampoline_kernelINS0_14default_configENS1_20scan_config_selectorIN3c108BFloat16EEEZZNS1_9scan_implILNS1_25lookback_scan_determinismE0ELb0ELb0ES3_PKS6_PS6_S6_ZZZN2at6native31launch_logcumsumexp_cuda_kernelERKNSD_10TensorBaseESH_lENKUlvE_clEvENKUlvE4_clEvEUlS6_S6_E_S6_EEDaPvRmT3_T4_T5_mT6_P12ihipStream_tbENKUlT_T0_E_clISt17integral_constantIbLb0EESX_IbLb1EEEEDaST_SU_EUlST_E0_NS1_11comp_targetILNS1_3genE9ELNS1_11target_archE1100ELNS1_3gpuE3ELNS1_3repE0EEENS1_30default_config_static_selectorELNS0_4arch9wavefront6targetE1EEEvT1_.kd
    .uniform_work_group_size: 1
    .uses_dynamic_stack: false
    .vgpr_count:     0
    .vgpr_spill_count: 0
    .wavefront_size: 64
  - .agpr_count:     0
    .args:
      - .offset:         0
        .size:           32
        .value_kind:     by_value
    .group_segment_fixed_size: 0
    .kernarg_segment_align: 8
    .kernarg_segment_size: 32
    .language:       OpenCL C
    .language_version:
      - 2
      - 0
    .max_flat_workgroup_size: 64
    .name:           _ZN7rocprim17ROCPRIM_400000_NS6detail17trampoline_kernelINS0_14default_configENS1_20scan_config_selectorIN3c108BFloat16EEEZZNS1_9scan_implILNS1_25lookback_scan_determinismE0ELb0ELb0ES3_PKS6_PS6_S6_ZZZN2at6native31launch_logcumsumexp_cuda_kernelERKNSD_10TensorBaseESH_lENKUlvE_clEvENKUlvE4_clEvEUlS6_S6_E_S6_EEDaPvRmT3_T4_T5_mT6_P12ihipStream_tbENKUlT_T0_E_clISt17integral_constantIbLb0EESX_IbLb1EEEEDaST_SU_EUlST_E0_NS1_11comp_targetILNS1_3genE8ELNS1_11target_archE1030ELNS1_3gpuE2ELNS1_3repE0EEENS1_30default_config_static_selectorELNS0_4arch9wavefront6targetE1EEEvT1_
    .private_segment_fixed_size: 0
    .sgpr_count:     6
    .sgpr_spill_count: 0
    .symbol:         _ZN7rocprim17ROCPRIM_400000_NS6detail17trampoline_kernelINS0_14default_configENS1_20scan_config_selectorIN3c108BFloat16EEEZZNS1_9scan_implILNS1_25lookback_scan_determinismE0ELb0ELb0ES3_PKS6_PS6_S6_ZZZN2at6native31launch_logcumsumexp_cuda_kernelERKNSD_10TensorBaseESH_lENKUlvE_clEvENKUlvE4_clEvEUlS6_S6_E_S6_EEDaPvRmT3_T4_T5_mT6_P12ihipStream_tbENKUlT_T0_E_clISt17integral_constantIbLb0EESX_IbLb1EEEEDaST_SU_EUlST_E0_NS1_11comp_targetILNS1_3genE8ELNS1_11target_archE1030ELNS1_3gpuE2ELNS1_3repE0EEENS1_30default_config_static_selectorELNS0_4arch9wavefront6targetE1EEEvT1_.kd
    .uniform_work_group_size: 1
    .uses_dynamic_stack: false
    .vgpr_count:     0
    .vgpr_spill_count: 0
    .wavefront_size: 64
  - .agpr_count:     0
    .args:
      - .address_space:  global
        .offset:         0
        .size:           8
        .value_kind:     global_buffer
      - .address_space:  global
        .offset:         8
        .size:           8
        .value_kind:     global_buffer
      - .offset:         16
        .size:           4
        .value_kind:     by_value
      - .offset:         20
        .size:           4
        .value_kind:     by_value
      - .offset:         24
        .size:           4
        .value_kind:     by_value
      - .offset:         28
        .size:           2
        .value_kind:     by_value
      - .offset:         30
        .size:           1
        .value_kind:     by_value
      - .offset:         32
        .size:           4
        .value_kind:     hidden_block_count_x
      - .offset:         36
        .size:           4
        .value_kind:     hidden_block_count_y
      - .offset:         40
        .size:           4
        .value_kind:     hidden_block_count_z
      - .offset:         44
        .size:           2
        .value_kind:     hidden_group_size_x
      - .offset:         46
        .size:           2
        .value_kind:     hidden_group_size_y
      - .offset:         48
        .size:           2
        .value_kind:     hidden_group_size_z
      - .offset:         50
        .size:           2
        .value_kind:     hidden_remainder_x
      - .offset:         52
        .size:           2
        .value_kind:     hidden_remainder_y
      - .offset:         54
        .size:           2
        .value_kind:     hidden_remainder_z
      - .offset:         72
        .size:           8
        .value_kind:     hidden_global_offset_x
      - .offset:         80
        .size:           8
        .value_kind:     hidden_global_offset_y
      - .offset:         88
        .size:           8
        .value_kind:     hidden_global_offset_z
      - .offset:         96
        .size:           2
        .value_kind:     hidden_grid_dims
      - .offset:         152
        .size:           4
        .value_kind:     hidden_dynamic_lds_size
    .group_segment_fixed_size: 0
    .kernarg_segment_align: 8
    .kernarg_segment_size: 288
    .language:       OpenCL C
    .language_version:
      - 2
      - 0
    .max_flat_workgroup_size: 1024
    .name:           _ZN2at6native32tensor_kernel_scan_innermost_dimIN3c108BFloat16EZZZNS0_31launch_logcumsumexp_cuda_kernelERKNS_10TensorBaseES6_lENKUlvE_clEvENKUlvE4_clEvEUlS3_S3_E_EEvPT_PKSA_jjjSA_T0_
    .private_segment_fixed_size: 0
    .sgpr_count:     52
    .sgpr_spill_count: 0
    .symbol:         _ZN2at6native32tensor_kernel_scan_innermost_dimIN3c108BFloat16EZZZNS0_31launch_logcumsumexp_cuda_kernelERKNS_10TensorBaseES6_lENKUlvE_clEvENKUlvE4_clEvEUlS3_S3_E_EEvPT_PKSA_jjjSA_T0_.kd
    .uniform_work_group_size: 1
    .uses_dynamic_stack: false
    .vgpr_count:     39
    .vgpr_spill_count: 0
    .wavefront_size: 64
  - .agpr_count:     0
    .args:
      - .address_space:  global
        .offset:         0
        .size:           8
        .value_kind:     global_buffer
      - .address_space:  global
        .offset:         8
        .size:           8
        .value_kind:     global_buffer
      - .offset:         16
        .size:           4
        .value_kind:     by_value
      - .offset:         20
        .size:           4
        .value_kind:     by_value
      - .offset:         24
        .size:           4
        .value_kind:     by_value
      - .offset:         28
        .size:           2
        .value_kind:     by_value
      - .offset:         30
        .size:           1
        .value_kind:     by_value
      - .offset:         32
        .size:           4
        .value_kind:     hidden_block_count_x
      - .offset:         36
        .size:           4
        .value_kind:     hidden_block_count_y
      - .offset:         40
        .size:           4
        .value_kind:     hidden_block_count_z
      - .offset:         44
        .size:           2
        .value_kind:     hidden_group_size_x
      - .offset:         46
        .size:           2
        .value_kind:     hidden_group_size_y
      - .offset:         48
        .size:           2
        .value_kind:     hidden_group_size_z
      - .offset:         50
        .size:           2
        .value_kind:     hidden_remainder_x
      - .offset:         52
        .size:           2
        .value_kind:     hidden_remainder_y
      - .offset:         54
        .size:           2
        .value_kind:     hidden_remainder_z
      - .offset:         72
        .size:           8
        .value_kind:     hidden_global_offset_x
      - .offset:         80
        .size:           8
        .value_kind:     hidden_global_offset_y
      - .offset:         88
        .size:           8
        .value_kind:     hidden_global_offset_z
      - .offset:         96
        .size:           2
        .value_kind:     hidden_grid_dims
    .group_segment_fixed_size: 0
    .kernarg_segment_align: 8
    .kernarg_segment_size: 288
    .language:       OpenCL C
    .language_version:
      - 2
      - 0
    .max_flat_workgroup_size: 1024
    .name:           _ZN2at6native28tensor_kernel_scan_outer_dimIN3c108BFloat16EjZZZNS0_31launch_logcumsumexp_cuda_kernelERKNS_10TensorBaseES6_lENKUlvE_clEvENKUlvE4_clEvEUlS3_S3_E_EEvPT_PKSA_jjjSA_T1_
    .private_segment_fixed_size: 0
    .sgpr_count:     50
    .sgpr_spill_count: 0
    .symbol:         _ZN2at6native28tensor_kernel_scan_outer_dimIN3c108BFloat16EjZZZNS0_31launch_logcumsumexp_cuda_kernelERKNS_10TensorBaseES6_lENKUlvE_clEvENKUlvE4_clEvEUlS3_S3_E_EEvPT_PKSA_jjjSA_T1_.kd
    .uniform_work_group_size: 1
    .uses_dynamic_stack: false
    .vgpr_count:     26
    .vgpr_spill_count: 0
    .wavefront_size: 64
  - .agpr_count:     0
    .args:
      - .address_space:  global
        .offset:         0
        .size:           8
        .value_kind:     global_buffer
      - .address_space:  global
        .offset:         8
        .size:           8
        .value_kind:     global_buffer
      - .offset:         16
        .size:           4
        .value_kind:     by_value
      - .offset:         20
        .size:           4
        .value_kind:     by_value
      - .offset:         24
        .size:           4
        .value_kind:     by_value
      - .offset:         28
        .size:           2
        .value_kind:     by_value
      - .offset:         30
        .size:           1
        .value_kind:     by_value
      - .offset:         32
        .size:           4
        .value_kind:     hidden_block_count_x
      - .offset:         36
        .size:           4
        .value_kind:     hidden_block_count_y
      - .offset:         40
        .size:           4
        .value_kind:     hidden_block_count_z
      - .offset:         44
        .size:           2
        .value_kind:     hidden_group_size_x
      - .offset:         46
        .size:           2
        .value_kind:     hidden_group_size_y
      - .offset:         48
        .size:           2
        .value_kind:     hidden_group_size_z
      - .offset:         50
        .size:           2
        .value_kind:     hidden_remainder_x
      - .offset:         52
        .size:           2
        .value_kind:     hidden_remainder_y
      - .offset:         54
        .size:           2
        .value_kind:     hidden_remainder_z
      - .offset:         72
        .size:           8
        .value_kind:     hidden_global_offset_x
      - .offset:         80
        .size:           8
        .value_kind:     hidden_global_offset_y
      - .offset:         88
        .size:           8
        .value_kind:     hidden_global_offset_z
      - .offset:         96
        .size:           2
        .value_kind:     hidden_grid_dims
    .group_segment_fixed_size: 0
    .kernarg_segment_align: 8
    .kernarg_segment_size: 288
    .language:       OpenCL C
    .language_version:
      - 2
      - 0
    .max_flat_workgroup_size: 1024
    .name:           _ZN2at6native28tensor_kernel_scan_outer_dimIN3c108BFloat16EmZZZNS0_31launch_logcumsumexp_cuda_kernelERKNS_10TensorBaseES6_lENKUlvE_clEvENKUlvE4_clEvEUlS3_S3_E_EEvPT_PKSA_jjjSA_T1_
    .private_segment_fixed_size: 0
    .sgpr_count:     50
    .sgpr_spill_count: 0
    .symbol:         _ZN2at6native28tensor_kernel_scan_outer_dimIN3c108BFloat16EmZZZNS0_31launch_logcumsumexp_cuda_kernelERKNS_10TensorBaseES6_lENKUlvE_clEvENKUlvE4_clEvEUlS3_S3_E_EEvPT_PKSA_jjjSA_T1_.kd
    .uniform_work_group_size: 1
    .uses_dynamic_stack: false
    .vgpr_count:     26
    .vgpr_spill_count: 0
    .wavefront_size: 64
amdhsa.target:   amdgcn-amd-amdhsa--gfx950
amdhsa.version:
  - 1
  - 2
...

	.end_amdgpu_metadata
